;; amdgpu-corpus repo=ROCm/rocSOLVER kind=compiled arch=gfx1100 opt=O3
	.text
	.amdgcn_target "amdgcn-amd-amdhsa--gfx1100"
	.amdhsa_code_object_version 6
	.section	.text._ZN9rocsolver6v33100L18getri_kernel_smallILi1EfPfEEvT1_iilPiilS4_bb,"axG",@progbits,_ZN9rocsolver6v33100L18getri_kernel_smallILi1EfPfEEvT1_iilPiilS4_bb,comdat
	.globl	_ZN9rocsolver6v33100L18getri_kernel_smallILi1EfPfEEvT1_iilPiilS4_bb ; -- Begin function _ZN9rocsolver6v33100L18getri_kernel_smallILi1EfPfEEvT1_iilPiilS4_bb
	.p2align	8
	.type	_ZN9rocsolver6v33100L18getri_kernel_smallILi1EfPfEEvT1_iilPiilS4_bb,@function
_ZN9rocsolver6v33100L18getri_kernel_smallILi1EfPfEEvT1_iilPiilS4_bb: ; @_ZN9rocsolver6v33100L18getri_kernel_smallILi1EfPfEEvT1_iilPiilS4_bb
; %bb.0:
	s_mov_b32 s8, 0
	s_mov_b32 s2, exec_lo
	v_cmpx_eq_u32_e32 0, v0
	s_cbranch_execz .LBB0_12
; %bb.1:
	s_clause 0x4
	s_load_b32 s2, s[0:1], 0x8
	s_load_b64 s[10:11], s[0:1], 0x10
	s_load_b32 s5, s[0:1], 0x38
	s_load_b64 s[12:13], s[0:1], 0x0
	s_load_b64 s[6:7], s[0:1], 0x30
	s_mov_b32 s4, s15
	s_waitcnt lgkmcnt(0)
	s_ashr_i32 s3, s2, 31
	s_mul_i32 s0, s15, s11
	s_bitcmp1_b32 s5, 0
	s_mul_hi_u32 s1, s15, s10
	s_cselect_b32 s9, -1, 0
	s_ashr_i32 s5, s15, 31
	s_add_i32 s1, s1, s0
	s_mul_i32 s11, s5, s10
	s_mul_i32 s0, s15, s10
	s_add_i32 s1, s1, s11
	s_delay_alu instid0(SALU_CYCLE_1) | instskip(NEXT) | instid1(SALU_CYCLE_1)
	s_lshl_b64 s[0:1], s[0:1], 2
	s_add_u32 s10, s12, s0
	s_addc_u32 s11, s13, s1
	s_lshl_b64 s[0:1], s[2:3], 2
	s_delay_alu instid0(SALU_CYCLE_1)
	s_add_u32 s2, s10, s0
	s_addc_u32 s3, s11, s1
	s_and_b32 vcc_lo, exec_lo, s9
	s_load_b32 s1, s[2:3], 0x0
	s_cbranch_vccnz .LBB0_4
; %bb.2:
	s_lshl_b64 s[8:9], s[4:5], 2
	s_delay_alu instid0(SALU_CYCLE_1)
	s_add_u32 s8, s6, s8
	s_addc_u32 s9, s7, s9
	s_load_b32 s0, s[8:9], 0x0
	s_mov_b32 s8, -1
	s_waitcnt lgkmcnt(0)
	s_cmp_eq_u32 s0, 0
	s_cselect_b32 s0, -1, 0
	s_cbranch_execz .LBB0_5
; %bb.3:
	s_waitcnt lgkmcnt(0)
	v_mov_b32_e32 v0, s1
	s_and_b32 vcc_lo, exec_lo, s8
	s_cbranch_vccz .LBB0_12
	s_branch .LBB0_14
.LBB0_4:
                                        ; implicit-def: $sgpr0
.LBB0_5:
	s_waitcnt lgkmcnt(0)
	v_cmp_neq_f32_e64 s0, s1, 0
	v_mov_b32_e32 v0, 0
	s_delay_alu instid0(VALU_DEP_2)
	s_and_b32 vcc_lo, exec_lo, s0
	ds_store_b32 v0, v0
	s_waitcnt lgkmcnt(0)
	s_barrier
	buffer_gl0_inv
	s_cbranch_vccnz .LBB0_10
; %bb.6:
	ds_load_b32 v1, v0
	s_waitcnt lgkmcnt(0)
	v_cmp_ne_u32_e32 vcc_lo, 0, v1
	v_cmp_gt_i32_e64 s0, 2, v1
	s_delay_alu instid0(VALU_DEP_1) | instskip(NEXT) | instid1(SALU_CYCLE_1)
	s_and_b32 s0, vcc_lo, s0
	s_and_b32 vcc_lo, exec_lo, s0
	s_cbranch_vccnz .LBB0_10
; %bb.7:
	v_dual_mov_b32 v2, 1 :: v_dual_mov_b32 v3, 0
	s_mov_b32 s9, 0
.LBB0_8:                                ; =>This Inner Loop Header: Depth=1
	ds_cmpstore_rtn_b32 v1, v3, v2, v1
	s_waitcnt lgkmcnt(0)
	v_cmp_ne_u32_e32 vcc_lo, 0, v1
	v_cmp_gt_i32_e64 s0, 2, v1
	s_delay_alu instid0(VALU_DEP_1) | instskip(NEXT) | instid1(SALU_CYCLE_1)
	s_and_b32 s0, vcc_lo, s0
	s_and_b32 s0, exec_lo, s0
	s_delay_alu instid0(SALU_CYCLE_1) | instskip(NEXT) | instid1(SALU_CYCLE_1)
	s_or_b32 s9, s0, s9
	s_and_not1_b32 exec_lo, exec_lo, s9
	s_cbranch_execnz .LBB0_8
; %bb.9:
	s_or_b32 exec_lo, exec_lo, s9
.LBB0_10:
	s_barrier
	buffer_gl0_inv
	ds_load_b32 v1, v0
	s_lshl_b64 s[4:5], s[4:5], 2
	s_delay_alu instid0(SALU_CYCLE_1)
	s_add_u32 s4, s6, s4
	s_addc_u32 s5, s7, s5
	s_waitcnt lgkmcnt(0)
	v_cmp_ne_u32_e32 vcc_lo, 0, v1
	global_store_b32 v0, v1, s[4:5]
	s_cbranch_vccz .LBB0_13
; %bb.11:
                                        ; implicit-def: $vgpr0
                                        ; implicit-def: $sgpr0
	s_and_b32 vcc_lo, exec_lo, s8
	s_cbranch_vccnz .LBB0_14
.LBB0_12:
	s_nop 0
	s_sendmsg sendmsg(MSG_DEALLOC_VGPRS)
	s_endpgm
.LBB0_13:
	v_div_scale_f32 v0, null, s1, s1, 1.0
	s_mov_b32 s0, -1
	s_delay_alu instid0(VALU_DEP_1) | instskip(SKIP_2) | instid1(VALU_DEP_1)
	v_rcp_f32_e32 v1, v0
	s_waitcnt_depctr 0xfff
	v_fma_f32 v2, -v0, v1, 1.0
	v_fmac_f32_e32 v1, v2, v1
	v_div_scale_f32 v2, vcc_lo, 1.0, s1, 1.0
	s_delay_alu instid0(VALU_DEP_1) | instskip(NEXT) | instid1(VALU_DEP_1)
	v_mul_f32_e32 v3, v2, v1
	v_fma_f32 v4, -v0, v3, v2
	s_delay_alu instid0(VALU_DEP_1) | instskip(NEXT) | instid1(VALU_DEP_1)
	v_fmac_f32_e32 v3, v4, v1
	v_fma_f32 v0, -v0, v3, v2
	s_delay_alu instid0(VALU_DEP_1) | instskip(NEXT) | instid1(VALU_DEP_1)
	v_div_fmas_f32 v0, v0, v1, v3
	v_div_fixup_f32 v0, v0, s1, 1.0
	s_cbranch_execz .LBB0_12
.LBB0_14:
	s_and_not1_b32 vcc_lo, exec_lo, s0
	s_cbranch_vccnz .LBB0_12
; %bb.15:
	v_mov_b32_e32 v1, 0
	global_store_b32 v1, v0, s[2:3]
	s_nop 0
	s_sendmsg sendmsg(MSG_DEALLOC_VGPRS)
	s_endpgm
	.section	.rodata,"a",@progbits
	.p2align	6, 0x0
	.amdhsa_kernel _ZN9rocsolver6v33100L18getri_kernel_smallILi1EfPfEEvT1_iilPiilS4_bb
		.amdhsa_group_segment_fixed_size 4
		.amdhsa_private_segment_fixed_size 0
		.amdhsa_kernarg_size 60
		.amdhsa_user_sgpr_count 15
		.amdhsa_user_sgpr_dispatch_ptr 0
		.amdhsa_user_sgpr_queue_ptr 0
		.amdhsa_user_sgpr_kernarg_segment_ptr 1
		.amdhsa_user_sgpr_dispatch_id 0
		.amdhsa_user_sgpr_private_segment_size 0
		.amdhsa_wavefront_size32 1
		.amdhsa_uses_dynamic_stack 0
		.amdhsa_enable_private_segment 0
		.amdhsa_system_sgpr_workgroup_id_x 1
		.amdhsa_system_sgpr_workgroup_id_y 0
		.amdhsa_system_sgpr_workgroup_id_z 0
		.amdhsa_system_sgpr_workgroup_info 0
		.amdhsa_system_vgpr_workitem_id 0
		.amdhsa_next_free_vgpr 5
		.amdhsa_next_free_sgpr 16
		.amdhsa_reserve_vcc 1
		.amdhsa_float_round_mode_32 0
		.amdhsa_float_round_mode_16_64 0
		.amdhsa_float_denorm_mode_32 3
		.amdhsa_float_denorm_mode_16_64 3
		.amdhsa_dx10_clamp 1
		.amdhsa_ieee_mode 1
		.amdhsa_fp16_overflow 0
		.amdhsa_workgroup_processor_mode 1
		.amdhsa_memory_ordered 1
		.amdhsa_forward_progress 0
		.amdhsa_shared_vgpr_count 0
		.amdhsa_exception_fp_ieee_invalid_op 0
		.amdhsa_exception_fp_denorm_src 0
		.amdhsa_exception_fp_ieee_div_zero 0
		.amdhsa_exception_fp_ieee_overflow 0
		.amdhsa_exception_fp_ieee_underflow 0
		.amdhsa_exception_fp_ieee_inexact 0
		.amdhsa_exception_int_div_zero 0
	.end_amdhsa_kernel
	.section	.text._ZN9rocsolver6v33100L18getri_kernel_smallILi1EfPfEEvT1_iilPiilS4_bb,"axG",@progbits,_ZN9rocsolver6v33100L18getri_kernel_smallILi1EfPfEEvT1_iilPiilS4_bb,comdat
.Lfunc_end0:
	.size	_ZN9rocsolver6v33100L18getri_kernel_smallILi1EfPfEEvT1_iilPiilS4_bb, .Lfunc_end0-_ZN9rocsolver6v33100L18getri_kernel_smallILi1EfPfEEvT1_iilPiilS4_bb
                                        ; -- End function
	.section	.AMDGPU.csdata,"",@progbits
; Kernel info:
; codeLenInByte = 588
; NumSgprs: 18
; NumVgprs: 5
; ScratchSize: 0
; MemoryBound: 0
; FloatMode: 240
; IeeeMode: 1
; LDSByteSize: 4 bytes/workgroup (compile time only)
; SGPRBlocks: 2
; VGPRBlocks: 0
; NumSGPRsForWavesPerEU: 18
; NumVGPRsForWavesPerEU: 5
; Occupancy: 16
; WaveLimiterHint : 0
; COMPUTE_PGM_RSRC2:SCRATCH_EN: 0
; COMPUTE_PGM_RSRC2:USER_SGPR: 15
; COMPUTE_PGM_RSRC2:TRAP_HANDLER: 0
; COMPUTE_PGM_RSRC2:TGID_X_EN: 1
; COMPUTE_PGM_RSRC2:TGID_Y_EN: 0
; COMPUTE_PGM_RSRC2:TGID_Z_EN: 0
; COMPUTE_PGM_RSRC2:TIDIG_COMP_CNT: 0
	.section	.text._ZN9rocsolver6v33100L18getri_kernel_smallILi2EfPfEEvT1_iilPiilS4_bb,"axG",@progbits,_ZN9rocsolver6v33100L18getri_kernel_smallILi2EfPfEEvT1_iilPiilS4_bb,comdat
	.globl	_ZN9rocsolver6v33100L18getri_kernel_smallILi2EfPfEEvT1_iilPiilS4_bb ; -- Begin function _ZN9rocsolver6v33100L18getri_kernel_smallILi2EfPfEEvT1_iilPiilS4_bb
	.p2align	8
	.type	_ZN9rocsolver6v33100L18getri_kernel_smallILi2EfPfEEvT1_iilPiilS4_bb,@function
_ZN9rocsolver6v33100L18getri_kernel_smallILi2EfPfEEvT1_iilPiilS4_bb: ; @_ZN9rocsolver6v33100L18getri_kernel_smallILi2EfPfEEvT1_iilPiilS4_bb
; %bb.0:
	s_mov_b32 s2, exec_lo
	v_cmpx_gt_u32_e32 2, v0
	s_cbranch_execz .LBB1_16
; %bb.1:
	s_mov_b32 s12, s15
	s_clause 0x2
	s_load_b32 s15, s[0:1], 0x38
	s_load_b128 s[8:11], s[0:1], 0x10
	s_load_b128 s[4:7], s[0:1], 0x28
	s_waitcnt lgkmcnt(0)
	s_bitcmp1_b32 s15, 8
	s_cselect_b32 s14, -1, 0
	s_bfe_u32 s2, s15, 0x10008
	s_ashr_i32 s13, s12, 31
	s_cmp_eq_u32 s2, 0
                                        ; implicit-def: $sgpr2_sgpr3
	s_cbranch_scc1 .LBB1_3
; %bb.2:
	s_load_b32 s2, s[0:1], 0x20
	s_mul_i32 s3, s12, s5
	s_mul_hi_u32 s5, s12, s4
	s_mul_i32 s16, s13, s4
	s_add_i32 s3, s5, s3
	s_mul_i32 s4, s12, s4
	s_add_i32 s5, s3, s16
	s_delay_alu instid0(SALU_CYCLE_1)
	s_lshl_b64 s[4:5], s[4:5], 2
	s_waitcnt lgkmcnt(0)
	s_ashr_i32 s3, s2, 31
	s_add_u32 s4, s10, s4
	s_addc_u32 s5, s11, s5
	s_lshl_b64 s[2:3], s[2:3], 2
	s_delay_alu instid0(SALU_CYCLE_1)
	s_add_u32 s2, s4, s2
	s_addc_u32 s3, s5, s3
.LBB1_3:
	s_load_b128 s[16:19], s[0:1], 0x0
	s_mul_i32 s0, s12, s9
	s_mul_hi_u32 s1, s12, s8
	s_mul_i32 s4, s13, s8
	s_add_i32 s1, s1, s0
	s_mul_i32 s0, s12, s8
	s_add_i32 s1, s1, s4
	v_lshlrev_b32_e32 v7, 2, v0
	s_lshl_b64 s[0:1], s[0:1], 2
	s_waitcnt lgkmcnt(0)
	s_ashr_i32 s5, s18, 31
	s_mov_b32 s4, s18
	s_add_u32 s8, s16, s0
	s_addc_u32 s9, s17, s1
	s_lshl_b64 s[0:1], s[4:5], 2
	s_mov_b32 s4, s19
	s_add_u32 s0, s8, s0
	s_addc_u32 s1, s9, s1
	v_add_co_u32 v1, s8, s0, v7
	s_ashr_i32 s5, s19, 31
	v_add_co_ci_u32_e64 v2, null, s1, 0, s8
	s_lshl_b64 s[4:5], s[4:5], 2
	s_bitcmp0_b32 s15, 0
	v_add_co_u32 v3, vcc_lo, v1, s4
	s_delay_alu instid0(VALU_DEP_2)
	v_add_co_ci_u32_e32 v4, vcc_lo, s5, v2, vcc_lo
	s_clause 0x1
	global_load_b32 v5, v7, s[0:1]
	global_load_b32 v6, v[3:4], off
	s_mov_b32 s0, -1
	s_cbranch_scc1 .LBB1_14
; %bb.4:
	v_cmp_eq_u32_e64 s0, 0, v0
	s_delay_alu instid0(VALU_DEP_1)
	s_and_saveexec_b32 s1, s0
	s_cbranch_execz .LBB1_6
; %bb.5:
	v_mov_b32_e32 v8, 0
	ds_store_b32 v8, v8 offset:16
.LBB1_6:
	s_or_b32 exec_lo, exec_lo, s1
	v_cmp_eq_u32_e32 vcc_lo, 1, v0
	s_mov_b32 s4, exec_lo
	s_waitcnt vmcnt(0) lgkmcnt(0)
	s_barrier
	buffer_gl0_inv
	v_cndmask_b32_e32 v8, v5, v6, vcc_lo
	s_delay_alu instid0(VALU_DEP_1)
	v_cmpx_eq_f32_e32 0, v8
	s_cbranch_execz .LBB1_10
; %bb.7:
	v_mov_b32_e32 v9, 0
	ds_load_b32 v10, v9 offset:16
	s_waitcnt lgkmcnt(0)
	v_readfirstlane_b32 s1, v10
	v_add_nc_u32_e32 v10, 1, v0
	s_delay_alu instid0(VALU_DEP_2) | instskip(NEXT) | instid1(VALU_DEP_1)
	s_cmp_eq_u32 s1, 0
	v_cmp_gt_i32_e32 vcc_lo, s1, v10
	s_cselect_b32 s5, -1, 0
	s_delay_alu instid0(SALU_CYCLE_1) | instskip(NEXT) | instid1(SALU_CYCLE_1)
	s_or_b32 s5, s5, vcc_lo
	s_and_b32 exec_lo, exec_lo, s5
	s_cbranch_execz .LBB1_10
; %bb.8:
	v_mov_b32_e32 v11, s1
	s_mov_b32 s5, 0
.LBB1_9:                                ; =>This Inner Loop Header: Depth=1
	ds_cmpstore_rtn_b32 v11, v9, v10, v11 offset:16
	s_waitcnt lgkmcnt(0)
	v_cmp_ne_u32_e32 vcc_lo, 0, v11
	v_cmp_le_i32_e64 s1, v11, v10
	s_delay_alu instid0(VALU_DEP_1) | instskip(NEXT) | instid1(SALU_CYCLE_1)
	s_and_b32 s1, vcc_lo, s1
	s_and_b32 s1, exec_lo, s1
	s_delay_alu instid0(SALU_CYCLE_1) | instskip(NEXT) | instid1(SALU_CYCLE_1)
	s_or_b32 s5, s1, s5
	s_and_not1_b32 exec_lo, exec_lo, s5
	s_cbranch_execnz .LBB1_9
.LBB1_10:
	s_or_b32 exec_lo, exec_lo, s4
	v_mov_b32_e32 v9, 0
	s_barrier
	buffer_gl0_inv
	ds_load_b32 v10, v9 offset:16
	s_and_saveexec_b32 s1, s0
	s_cbranch_execz .LBB1_12
; %bb.11:
	s_lshl_b64 s[4:5], s[12:13], 2
	s_delay_alu instid0(SALU_CYCLE_1)
	s_add_u32 s4, s6, s4
	s_addc_u32 s5, s7, s5
	s_waitcnt lgkmcnt(0)
	global_store_b32 v9, v10, s[4:5]
.LBB1_12:
	s_or_b32 exec_lo, exec_lo, s1
	s_waitcnt lgkmcnt(0)
	v_cmp_ne_u32_e32 vcc_lo, 0, v10
	s_cbranch_vccz .LBB1_17
; %bb.13:
	s_mov_b32 s0, 0
                                        ; implicit-def: $vgpr5_vgpr6
.LBB1_14:
	s_delay_alu instid0(SALU_CYCLE_1)
	s_and_b32 vcc_lo, exec_lo, s0
	s_cbranch_vccz .LBB1_16
.LBB1_15:
	s_lshl_b64 s[0:1], s[12:13], 2
	v_mov_b32_e32 v7, 0
	s_add_u32 s0, s6, s0
	s_addc_u32 s1, s7, s1
	global_load_b32 v7, v7, s[0:1]
	s_waitcnt vmcnt(0)
	v_cmp_ne_u32_e32 vcc_lo, 0, v7
	s_cbranch_vccz .LBB1_18
.LBB1_16:
	s_nop 0
	s_sendmsg sendmsg(MSG_DEALLOC_VGPRS)
	s_endpgm
.LBB1_17:
	v_div_scale_f32 v9, null, v8, v8, 1.0
	v_div_scale_f32 v12, vcc_lo, 1.0, v8, 1.0
	s_delay_alu instid0(VALU_DEP_2) | instskip(SKIP_2) | instid1(VALU_DEP_1)
	v_rcp_f32_e32 v10, v9
	s_waitcnt_depctr 0xfff
	v_fma_f32 v11, -v9, v10, 1.0
	v_fmac_f32_e32 v10, v11, v10
	s_delay_alu instid0(VALU_DEP_1) | instskip(NEXT) | instid1(VALU_DEP_1)
	v_mul_f32_e32 v11, v12, v10
	v_fma_f32 v13, -v9, v11, v12
	s_delay_alu instid0(VALU_DEP_1) | instskip(NEXT) | instid1(VALU_DEP_1)
	v_fmac_f32_e32 v11, v13, v10
	v_fma_f32 v9, -v9, v11, v12
	s_delay_alu instid0(VALU_DEP_1) | instskip(SKIP_2) | instid1(VALU_DEP_3)
	v_div_fmas_f32 v9, v9, v10, v11
	v_mov_b32_e32 v10, 0
	v_cmp_eq_u32_e32 vcc_lo, 1, v0
	v_div_fixup_f32 v8, v9, v8, 1.0
	s_delay_alu instid0(VALU_DEP_1)
	v_cndmask_b32_e32 v9, v6, v8, vcc_lo
	v_xor_b32_e32 v6, 0x80000000, v8
	v_cmp_eq_u32_e32 vcc_lo, 0, v0
	ds_store_2addr_b32 v7, v6, v9 offset1:2
	s_waitcnt lgkmcnt(0)
	s_waitcnt_vscnt null, 0x0
	s_barrier
	buffer_gl0_inv
	ds_load_2addr_b32 v[6:7], v10 offset0:1 offset1:2
	v_cndmask_b32_e32 v5, v5, v8, vcc_lo
	s_waitcnt lgkmcnt(0)
	s_barrier
	buffer_gl0_inv
	v_fma_f32 v7, v5, v7, 0
	s_delay_alu instid0(VALU_DEP_1) | instskip(NEXT) | instid1(VALU_DEP_1)
	v_mul_f32_e32 v6, v7, v6
	v_cndmask_b32_e64 v6, v9, v6, s0
	s_cbranch_execnz .LBB1_15
	s_branch .LBB1_16
.LBB1_18:
	s_mov_b32 s0, exec_lo
	v_cmpx_eq_u32_e32 1, v0
	s_cbranch_execz .LBB1_20
; %bb.19:
	v_dual_mov_b32 v7, 0 :: v_dual_mov_b32 v8, v6
	ds_store_b32 v7, v5 offset:12
	v_dual_mov_b32 v5, v7 :: v_dual_mov_b32 v6, v8
.LBB1_20:
	s_or_b32 exec_lo, exec_lo, s0
	v_mov_b32_e32 v0, 0
	s_waitcnt lgkmcnt(0)
	s_waitcnt_vscnt null, 0x0
	s_barrier
	buffer_gl0_inv
	s_and_not1_b32 vcc_lo, exec_lo, s14
	ds_load_b32 v0, v0 offset:12
	s_waitcnt lgkmcnt(0)
	v_fma_f32 v0, v6, v0, 0
	s_delay_alu instid0(VALU_DEP_1)
	v_sub_f32_e32 v5, v5, v0
	s_cbranch_vccnz .LBB1_22
; %bb.21:
	v_dual_mov_b32 v8, s3 :: v_dual_mov_b32 v7, s2
	flat_load_b32 v0, v[7:8]
	s_waitcnt vmcnt(0) lgkmcnt(0)
	v_add_nc_u32_e32 v0, -1, v0
	s_delay_alu instid0(VALU_DEP_1) | instskip(SKIP_2) | instid1(VALU_DEP_2)
	v_cmp_eq_u32_e32 vcc_lo, 1, v0
	v_dual_cndmask_b32 v7, v5, v6 :: v_dual_cndmask_b32 v8, v6, v5
	v_cmp_eq_u32_e32 vcc_lo, 0, v0
	v_cndmask_b32_e32 v0, v7, v5, vcc_lo
	s_delay_alu instid0(VALU_DEP_3) | instskip(NEXT) | instid1(VALU_DEP_2)
	v_cndmask_b32_e32 v6, v8, v6, vcc_lo
	v_cndmask_b32_e32 v5, v0, v5, vcc_lo
.LBB1_22:
	s_clause 0x1
	global_store_b32 v[1:2], v5, off
	global_store_b32 v[3:4], v6, off
	s_nop 0
	s_sendmsg sendmsg(MSG_DEALLOC_VGPRS)
	s_endpgm
	.section	.rodata,"a",@progbits
	.p2align	6, 0x0
	.amdhsa_kernel _ZN9rocsolver6v33100L18getri_kernel_smallILi2EfPfEEvT1_iilPiilS4_bb
		.amdhsa_group_segment_fixed_size 20
		.amdhsa_private_segment_fixed_size 0
		.amdhsa_kernarg_size 60
		.amdhsa_user_sgpr_count 15
		.amdhsa_user_sgpr_dispatch_ptr 0
		.amdhsa_user_sgpr_queue_ptr 0
		.amdhsa_user_sgpr_kernarg_segment_ptr 1
		.amdhsa_user_sgpr_dispatch_id 0
		.amdhsa_user_sgpr_private_segment_size 0
		.amdhsa_wavefront_size32 1
		.amdhsa_uses_dynamic_stack 0
		.amdhsa_enable_private_segment 0
		.amdhsa_system_sgpr_workgroup_id_x 1
		.amdhsa_system_sgpr_workgroup_id_y 0
		.amdhsa_system_sgpr_workgroup_id_z 0
		.amdhsa_system_sgpr_workgroup_info 0
		.amdhsa_system_vgpr_workitem_id 0
		.amdhsa_next_free_vgpr 14
		.amdhsa_next_free_sgpr 20
		.amdhsa_reserve_vcc 1
		.amdhsa_float_round_mode_32 0
		.amdhsa_float_round_mode_16_64 0
		.amdhsa_float_denorm_mode_32 3
		.amdhsa_float_denorm_mode_16_64 3
		.amdhsa_dx10_clamp 1
		.amdhsa_ieee_mode 1
		.amdhsa_fp16_overflow 0
		.amdhsa_workgroup_processor_mode 1
		.amdhsa_memory_ordered 1
		.amdhsa_forward_progress 0
		.amdhsa_shared_vgpr_count 0
		.amdhsa_exception_fp_ieee_invalid_op 0
		.amdhsa_exception_fp_denorm_src 0
		.amdhsa_exception_fp_ieee_div_zero 0
		.amdhsa_exception_fp_ieee_overflow 0
		.amdhsa_exception_fp_ieee_underflow 0
		.amdhsa_exception_fp_ieee_inexact 0
		.amdhsa_exception_int_div_zero 0
	.end_amdhsa_kernel
	.section	.text._ZN9rocsolver6v33100L18getri_kernel_smallILi2EfPfEEvT1_iilPiilS4_bb,"axG",@progbits,_ZN9rocsolver6v33100L18getri_kernel_smallILi2EfPfEEvT1_iilPiilS4_bb,comdat
.Lfunc_end1:
	.size	_ZN9rocsolver6v33100L18getri_kernel_smallILi2EfPfEEvT1_iilPiilS4_bb, .Lfunc_end1-_ZN9rocsolver6v33100L18getri_kernel_smallILi2EfPfEEvT1_iilPiilS4_bb
                                        ; -- End function
	.section	.AMDGPU.csdata,"",@progbits
; Kernel info:
; codeLenInByte = 1032
; NumSgprs: 22
; NumVgprs: 14
; ScratchSize: 0
; MemoryBound: 0
; FloatMode: 240
; IeeeMode: 1
; LDSByteSize: 20 bytes/workgroup (compile time only)
; SGPRBlocks: 2
; VGPRBlocks: 1
; NumSGPRsForWavesPerEU: 22
; NumVGPRsForWavesPerEU: 14
; Occupancy: 16
; WaveLimiterHint : 0
; COMPUTE_PGM_RSRC2:SCRATCH_EN: 0
; COMPUTE_PGM_RSRC2:USER_SGPR: 15
; COMPUTE_PGM_RSRC2:TRAP_HANDLER: 0
; COMPUTE_PGM_RSRC2:TGID_X_EN: 1
; COMPUTE_PGM_RSRC2:TGID_Y_EN: 0
; COMPUTE_PGM_RSRC2:TGID_Z_EN: 0
; COMPUTE_PGM_RSRC2:TIDIG_COMP_CNT: 0
	.section	.text._ZN9rocsolver6v33100L18getri_kernel_smallILi3EfPfEEvT1_iilPiilS4_bb,"axG",@progbits,_ZN9rocsolver6v33100L18getri_kernel_smallILi3EfPfEEvT1_iilPiilS4_bb,comdat
	.globl	_ZN9rocsolver6v33100L18getri_kernel_smallILi3EfPfEEvT1_iilPiilS4_bb ; -- Begin function _ZN9rocsolver6v33100L18getri_kernel_smallILi3EfPfEEvT1_iilPiilS4_bb
	.p2align	8
	.type	_ZN9rocsolver6v33100L18getri_kernel_smallILi3EfPfEEvT1_iilPiilS4_bb,@function
_ZN9rocsolver6v33100L18getri_kernel_smallILi3EfPfEEvT1_iilPiilS4_bb: ; @_ZN9rocsolver6v33100L18getri_kernel_smallILi3EfPfEEvT1_iilPiilS4_bb
; %bb.0:
	s_mov_b32 s2, exec_lo
	v_cmpx_gt_u32_e32 3, v0
	s_cbranch_execz .LBB2_16
; %bb.1:
	s_mov_b32 s12, s15
	s_clause 0x2
	s_load_b32 s15, s[0:1], 0x38
	s_load_b128 s[8:11], s[0:1], 0x10
	s_load_b128 s[4:7], s[0:1], 0x28
	s_waitcnt lgkmcnt(0)
	s_bitcmp1_b32 s15, 8
	s_cselect_b32 s14, -1, 0
	s_bfe_u32 s2, s15, 0x10008
	s_ashr_i32 s13, s12, 31
	s_cmp_eq_u32 s2, 0
                                        ; implicit-def: $sgpr2_sgpr3
	s_cbranch_scc1 .LBB2_3
; %bb.2:
	s_load_b32 s2, s[0:1], 0x20
	s_mul_i32 s3, s12, s5
	s_mul_hi_u32 s5, s12, s4
	s_mul_i32 s16, s13, s4
	s_add_i32 s3, s5, s3
	s_mul_i32 s4, s12, s4
	s_add_i32 s5, s3, s16
	s_delay_alu instid0(SALU_CYCLE_1)
	s_lshl_b64 s[4:5], s[4:5], 2
	s_waitcnt lgkmcnt(0)
	s_ashr_i32 s3, s2, 31
	s_add_u32 s4, s10, s4
	s_addc_u32 s5, s11, s5
	s_lshl_b64 s[2:3], s[2:3], 2
	s_delay_alu instid0(SALU_CYCLE_1)
	s_add_u32 s2, s4, s2
	s_addc_u32 s3, s5, s3
.LBB2_3:
	s_load_b128 s[16:19], s[0:1], 0x0
	s_mul_i32 s0, s12, s9
	s_mul_hi_u32 s1, s12, s8
	s_mul_i32 s4, s13, s8
	s_add_i32 s1, s1, s0
	s_mul_i32 s0, s12, s8
	s_add_i32 s1, s1, s4
	v_lshlrev_b32_e32 v10, 2, v0
	s_lshl_b64 s[0:1], s[0:1], 2
	s_waitcnt lgkmcnt(0)
	v_add3_u32 v1, s19, s19, v0
	s_ashr_i32 s5, s18, 31
	s_mov_b32 s4, s18
	s_add_u32 s8, s16, s0
	s_addc_u32 s9, s17, s1
	s_lshl_b64 s[0:1], s[4:5], 2
	v_ashrrev_i32_e32 v2, 31, v1
	s_add_u32 s0, s8, s0
	s_addc_u32 s1, s9, s1
	v_add_co_u32 v4, s8, s0, v10
	s_mov_b32 s4, s19
	s_ashr_i32 s5, s19, 31
	v_add_co_ci_u32_e64 v5, null, s1, 0, s8
	v_lshlrev_b64 v[1:2], 2, v[1:2]
	s_lshl_b64 s[4:5], s[4:5], 2
	s_bitcmp0_b32 s15, 0
	v_add_co_u32 v6, vcc_lo, v4, s4
	v_add_co_ci_u32_e32 v7, vcc_lo, s5, v5, vcc_lo
	s_delay_alu instid0(VALU_DEP_3)
	v_add_co_u32 v8, vcc_lo, s0, v1
	v_add_co_ci_u32_e32 v9, vcc_lo, s1, v2, vcc_lo
	s_clause 0x2
	global_load_b32 v2, v[6:7], off
	global_load_b32 v1, v10, s[0:1]
	global_load_b32 v3, v[8:9], off
	s_mov_b32 s0, -1
	s_cbranch_scc1 .LBB2_14
; %bb.4:
	v_cmp_eq_u32_e64 s0, 0, v0
	s_delay_alu instid0(VALU_DEP_1)
	s_and_saveexec_b32 s1, s0
	s_cbranch_execz .LBB2_6
; %bb.5:
	v_mov_b32_e32 v11, 0
	ds_store_b32 v11, v11 offset:12
.LBB2_6:
	s_or_b32 exec_lo, exec_lo, s1
	v_cmp_eq_u32_e32 vcc_lo, 1, v0
	s_mov_b32 s4, exec_lo
	s_waitcnt vmcnt(0) lgkmcnt(0)
	s_barrier
	buffer_gl0_inv
	v_cndmask_b32_e32 v11, v1, v2, vcc_lo
	v_cmp_eq_u32_e32 vcc_lo, 2, v0
	s_delay_alu instid0(VALU_DEP_2) | instskip(NEXT) | instid1(VALU_DEP_1)
	v_cndmask_b32_e32 v11, v11, v3, vcc_lo
	v_cmpx_eq_f32_e32 0, v11
	s_cbranch_execz .LBB2_10
; %bb.7:
	v_mov_b32_e32 v12, 0
	ds_load_b32 v13, v12 offset:12
	s_waitcnt lgkmcnt(0)
	v_readfirstlane_b32 s1, v13
	v_add_nc_u32_e32 v13, 1, v0
	s_delay_alu instid0(VALU_DEP_2) | instskip(NEXT) | instid1(VALU_DEP_1)
	s_cmp_eq_u32 s1, 0
	v_cmp_gt_i32_e32 vcc_lo, s1, v13
	s_cselect_b32 s5, -1, 0
	s_delay_alu instid0(SALU_CYCLE_1) | instskip(NEXT) | instid1(SALU_CYCLE_1)
	s_or_b32 s5, s5, vcc_lo
	s_and_b32 exec_lo, exec_lo, s5
	s_cbranch_execz .LBB2_10
; %bb.8:
	v_mov_b32_e32 v14, s1
	s_mov_b32 s5, 0
.LBB2_9:                                ; =>This Inner Loop Header: Depth=1
	ds_cmpstore_rtn_b32 v14, v12, v13, v14 offset:12
	s_waitcnt lgkmcnt(0)
	v_cmp_ne_u32_e32 vcc_lo, 0, v14
	v_cmp_le_i32_e64 s1, v14, v13
	s_delay_alu instid0(VALU_DEP_1) | instskip(NEXT) | instid1(SALU_CYCLE_1)
	s_and_b32 s1, vcc_lo, s1
	s_and_b32 s1, exec_lo, s1
	s_delay_alu instid0(SALU_CYCLE_1) | instskip(NEXT) | instid1(SALU_CYCLE_1)
	s_or_b32 s5, s1, s5
	s_and_not1_b32 exec_lo, exec_lo, s5
	s_cbranch_execnz .LBB2_9
.LBB2_10:
	s_or_b32 exec_lo, exec_lo, s4
	v_mov_b32_e32 v12, 0
	s_barrier
	buffer_gl0_inv
	ds_load_b32 v13, v12 offset:12
	s_and_saveexec_b32 s1, s0
	s_cbranch_execz .LBB2_12
; %bb.11:
	s_lshl_b64 s[4:5], s[12:13], 2
	s_delay_alu instid0(SALU_CYCLE_1)
	s_add_u32 s4, s6, s4
	s_addc_u32 s5, s7, s5
	s_waitcnt lgkmcnt(0)
	global_store_b32 v12, v13, s[4:5]
.LBB2_12:
	s_or_b32 exec_lo, exec_lo, s1
	s_waitcnt lgkmcnt(0)
	v_cmp_ne_u32_e32 vcc_lo, 0, v13
	s_cbranch_vccz .LBB2_17
; %bb.13:
	s_mov_b32 s0, 0
                                        ; implicit-def: $vgpr1_vgpr2_vgpr3
.LBB2_14:
	s_delay_alu instid0(SALU_CYCLE_1)
	s_and_b32 vcc_lo, exec_lo, s0
	s_cbranch_vccz .LBB2_16
.LBB2_15:
	s_lshl_b64 s[0:1], s[12:13], 2
	v_mov_b32_e32 v10, 0
	s_add_u32 s0, s6, s0
	s_addc_u32 s1, s7, s1
	global_load_b32 v10, v10, s[0:1]
	s_waitcnt vmcnt(0)
	v_cmp_ne_u32_e32 vcc_lo, 0, v10
	s_cbranch_vccz .LBB2_22
.LBB2_16:
	s_nop 0
	s_sendmsg sendmsg(MSG_DEALLOC_VGPRS)
	s_endpgm
.LBB2_17:
	v_div_scale_f32 v12, null, v11, v11, 1.0
	v_div_scale_f32 v15, vcc_lo, 1.0, v11, 1.0
	s_delay_alu instid0(VALU_DEP_2) | instskip(SKIP_2) | instid1(VALU_DEP_1)
	v_rcp_f32_e32 v13, v12
	s_waitcnt_depctr 0xfff
	v_fma_f32 v14, -v12, v13, 1.0
	v_fmac_f32_e32 v13, v14, v13
	s_delay_alu instid0(VALU_DEP_1) | instskip(NEXT) | instid1(VALU_DEP_1)
	v_mul_f32_e32 v14, v15, v13
	v_fma_f32 v16, -v12, v14, v15
	s_delay_alu instid0(VALU_DEP_1) | instskip(NEXT) | instid1(VALU_DEP_1)
	v_fmac_f32_e32 v14, v16, v13
	v_fma_f32 v12, -v12, v14, v15
	s_delay_alu instid0(VALU_DEP_1) | instskip(SKIP_1) | instid1(VALU_DEP_2)
	v_div_fmas_f32 v12, v12, v13, v14
	v_cmp_eq_u32_e32 vcc_lo, 1, v0
	v_div_fixup_f32 v12, v12, v11, 1.0
	s_delay_alu instid0(VALU_DEP_1)
	v_dual_cndmask_b32 v2, v2, v12 :: v_dual_add_nc_u32 v11, 16, v10
	v_cmp_eq_u32_e32 vcc_lo, 2, v0
	v_xor_b32_e32 v13, 0x80000000, v12
	v_cndmask_b32_e32 v3, v3, v12, vcc_lo
	v_cmp_eq_u32_e32 vcc_lo, 0, v0
	ds_store_2addr_b32 v10, v13, v2 offset1:4
	s_waitcnt lgkmcnt(0)
	s_waitcnt_vscnt null, 0x0
	s_barrier
	buffer_gl0_inv
	v_cndmask_b32_e32 v1, v1, v12, vcc_lo
	s_and_saveexec_b32 s1, s0
	s_cbranch_execz .LBB2_19
; %bb.18:
	v_mov_b32_e32 v2, 0
	ds_load_b32 v10, v11
	ds_load_b32 v2, v2 offset:4
	s_waitcnt lgkmcnt(1)
	v_fma_f32 v10, v12, v10, 0
	s_waitcnt lgkmcnt(0)
	s_delay_alu instid0(VALU_DEP_1)
	v_mul_f32_e32 v2, v10, v2
.LBB2_19:
	s_or_b32 exec_lo, exec_lo, s1
	s_delay_alu instid0(SALU_CYCLE_1)
	s_mov_b32 s1, exec_lo
	s_barrier
	buffer_gl0_inv
	ds_store_b32 v11, v3
	s_waitcnt lgkmcnt(0)
	s_barrier
	buffer_gl0_inv
	v_cmpx_ne_u32_e32 2, v0
	s_cbranch_execz .LBB2_21
; %bb.20:
	ds_load_b32 v12, v11
	v_cmp_eq_u32_e32 vcc_lo, 1, v0
	v_dual_mov_b32 v10, 0 :: v_dual_cndmask_b32 v13, v1, v2
	ds_load_2addr_b32 v[10:11], v10 offset0:2 offset1:5
	v_cmp_eq_u32_e32 vcc_lo, 2, v0
	v_cndmask_b32_e32 v3, v13, v3, vcc_lo
	s_waitcnt lgkmcnt(1)
	s_delay_alu instid0(VALU_DEP_1) | instskip(SKIP_1) | instid1(VALU_DEP_1)
	v_fma_f32 v3, v3, v12, 0
	s_waitcnt lgkmcnt(0)
	v_fma_f32 v11, v2, v11, v3
	s_delay_alu instid0(VALU_DEP_1) | instskip(NEXT) | instid1(VALU_DEP_1)
	v_cndmask_b32_e64 v3, v3, v11, s0
	v_mul_f32_e32 v3, v3, v10
.LBB2_21:
	s_or_b32 exec_lo, exec_lo, s1
	s_barrier
	buffer_gl0_inv
	s_cbranch_execnz .LBB2_15
	s_branch .LBB2_16
.LBB2_22:
	v_lshl_add_u32 v10, v0, 2, 16
	s_mov_b32 s0, exec_lo
	v_cmpx_eq_u32_e32 2, v0
	s_cbranch_execz .LBB2_24
; %bb.23:
	s_mov_b32 s1, 0
	ds_store_b32 v10, v2
	v_mov_b32_e32 v2, s1
.LBB2_24:
	s_or_b32 exec_lo, exec_lo, s0
	v_mov_b32_e32 v11, 0
	s_waitcnt lgkmcnt(0)
	s_waitcnt_vscnt null, 0x0
	s_barrier
	buffer_gl0_inv
	s_mov_b32 s1, 0
	ds_load_b32 v12, v11 offset:24
	s_mov_b32 s0, exec_lo
	s_waitcnt lgkmcnt(0)
	v_fma_f32 v12, v3, v12, 0
	s_delay_alu instid0(VALU_DEP_1)
	v_sub_f32_e32 v2, v2, v12
	v_cmpx_ne_u32_e32 0, v0
	s_cbranch_execz .LBB2_26
; %bb.25:
	s_delay_alu instid0(VALU_DEP_2)
	v_dual_mov_b32 v14, v3 :: v_dual_mov_b32 v13, v2
	v_mov_b32_e32 v12, v1
	v_mov_b32_e32 v12, s1
	ds_store_b32 v10, v1
	v_dual_mov_b32 v1, v12 :: v_dual_mov_b32 v2, v13
	v_mov_b32_e32 v3, v14
.LBB2_26:
	s_or_b32 exec_lo, exec_lo, s0
	s_waitcnt lgkmcnt(0)
	s_barrier
	buffer_gl0_inv
	ds_load_2addr_b32 v[10:11], v11 offset0:5 offset1:6
	s_and_b32 vcc_lo, exec_lo, s14
	s_waitcnt lgkmcnt(0)
	v_fma_f32 v0, v2, v10, 0
	s_delay_alu instid0(VALU_DEP_1) | instskip(NEXT) | instid1(VALU_DEP_1)
	v_fmac_f32_e32 v0, v3, v11
	v_sub_f32_e32 v1, v1, v0
	s_cbranch_vccz .LBB2_32
; %bb.27:
	v_dual_mov_b32 v11, s3 :: v_dual_mov_b32 v10, s2
	s_mov_b32 s1, exec_lo
	flat_load_b32 v0, v[10:11] offset:4
	s_waitcnt vmcnt(0) lgkmcnt(0)
	v_add_nc_u32_e32 v0, -1, v0
	s_delay_alu instid0(VALU_DEP_1)
	v_cmpx_ne_u32_e32 1, v0
; %bb.28:
	v_cmp_eq_u32_e32 vcc_lo, 1, v0
	v_cmp_eq_u32_e64 s0, 2, v0
	v_cndmask_b32_e32 v10, v1, v2, vcc_lo
	s_delay_alu instid0(VALU_DEP_2) | instskip(NEXT) | instid1(VALU_DEP_2)
	v_cndmask_b32_e64 v12, v3, v2, s0
	v_cndmask_b32_e64 v10, v10, v3, s0
	s_delay_alu instid0(VALU_DEP_1) | instskip(SKIP_2) | instid1(VALU_DEP_1)
	v_cndmask_b32_e32 v11, v10, v2, vcc_lo
	v_cmp_eq_u32_e32 vcc_lo, 0, v0
	v_cndmask_b32_e32 v10, v1, v2, vcc_lo
	v_dual_mov_b32 v1, v10 :: v_dual_mov_b32 v2, v11
	v_mov_b32_e32 v3, v12
; %bb.29:
	s_or_b32 exec_lo, exec_lo, s1
	v_dual_mov_b32 v11, s3 :: v_dual_mov_b32 v10, s2
	s_mov_b32 s1, exec_lo
	flat_load_b32 v0, v[10:11]
	s_waitcnt vmcnt(0) lgkmcnt(0)
	v_add_nc_u32_e32 v0, -1, v0
	s_delay_alu instid0(VALU_DEP_1)
	v_cmpx_ne_u32_e32 0, v0
; %bb.30:
	v_cmp_eq_u32_e32 vcc_lo, 1, v0
	v_cmp_eq_u32_e64 s0, 2, v0
	v_dual_cndmask_b32 v10, v1, v2 :: v_dual_cndmask_b32 v11, v2, v1
	s_delay_alu instid0(VALU_DEP_2) | instskip(NEXT) | instid1(VALU_DEP_2)
	v_cndmask_b32_e64 v12, v3, v1, s0
	v_cndmask_b32_e64 v10, v10, v3, s0
	v_cmp_eq_u32_e64 s0, 0, v0
	s_delay_alu instid0(VALU_DEP_1) | instskip(NEXT) | instid1(VALU_DEP_1)
	v_cndmask_b32_e64 v10, v10, v1, s0
	v_dual_mov_b32 v1, v10 :: v_dual_mov_b32 v2, v11
	v_mov_b32_e32 v3, v12
; %bb.31:
	s_or_b32 exec_lo, exec_lo, s1
.LBB2_32:
	s_clause 0x2
	global_store_b32 v[4:5], v1, off
	global_store_b32 v[6:7], v2, off
	;; [unrolled: 1-line block ×3, first 2 shown]
	s_nop 0
	s_sendmsg sendmsg(MSG_DEALLOC_VGPRS)
	s_endpgm
	.section	.rodata,"a",@progbits
	.p2align	6, 0x0
	.amdhsa_kernel _ZN9rocsolver6v33100L18getri_kernel_smallILi3EfPfEEvT1_iilPiilS4_bb
		.amdhsa_group_segment_fixed_size 28
		.amdhsa_private_segment_fixed_size 0
		.amdhsa_kernarg_size 60
		.amdhsa_user_sgpr_count 15
		.amdhsa_user_sgpr_dispatch_ptr 0
		.amdhsa_user_sgpr_queue_ptr 0
		.amdhsa_user_sgpr_kernarg_segment_ptr 1
		.amdhsa_user_sgpr_dispatch_id 0
		.amdhsa_user_sgpr_private_segment_size 0
		.amdhsa_wavefront_size32 1
		.amdhsa_uses_dynamic_stack 0
		.amdhsa_enable_private_segment 0
		.amdhsa_system_sgpr_workgroup_id_x 1
		.amdhsa_system_sgpr_workgroup_id_y 0
		.amdhsa_system_sgpr_workgroup_id_z 0
		.amdhsa_system_sgpr_workgroup_info 0
		.amdhsa_system_vgpr_workitem_id 0
		.amdhsa_next_free_vgpr 17
		.amdhsa_next_free_sgpr 20
		.amdhsa_reserve_vcc 1
		.amdhsa_float_round_mode_32 0
		.amdhsa_float_round_mode_16_64 0
		.amdhsa_float_denorm_mode_32 3
		.amdhsa_float_denorm_mode_16_64 3
		.amdhsa_dx10_clamp 1
		.amdhsa_ieee_mode 1
		.amdhsa_fp16_overflow 0
		.amdhsa_workgroup_processor_mode 1
		.amdhsa_memory_ordered 1
		.amdhsa_forward_progress 0
		.amdhsa_shared_vgpr_count 0
		.amdhsa_exception_fp_ieee_invalid_op 0
		.amdhsa_exception_fp_denorm_src 0
		.amdhsa_exception_fp_ieee_div_zero 0
		.amdhsa_exception_fp_ieee_overflow 0
		.amdhsa_exception_fp_ieee_underflow 0
		.amdhsa_exception_fp_ieee_inexact 0
		.amdhsa_exception_int_div_zero 0
	.end_amdhsa_kernel
	.section	.text._ZN9rocsolver6v33100L18getri_kernel_smallILi3EfPfEEvT1_iilPiilS4_bb,"axG",@progbits,_ZN9rocsolver6v33100L18getri_kernel_smallILi3EfPfEEvT1_iilPiilS4_bb,comdat
.Lfunc_end2:
	.size	_ZN9rocsolver6v33100L18getri_kernel_smallILi3EfPfEEvT1_iilPiilS4_bb, .Lfunc_end2-_ZN9rocsolver6v33100L18getri_kernel_smallILi3EfPfEEvT1_iilPiilS4_bb
                                        ; -- End function
	.section	.AMDGPU.csdata,"",@progbits
; Kernel info:
; codeLenInByte = 1516
; NumSgprs: 22
; NumVgprs: 17
; ScratchSize: 0
; MemoryBound: 0
; FloatMode: 240
; IeeeMode: 1
; LDSByteSize: 28 bytes/workgroup (compile time only)
; SGPRBlocks: 2
; VGPRBlocks: 2
; NumSGPRsForWavesPerEU: 22
; NumVGPRsForWavesPerEU: 17
; Occupancy: 16
; WaveLimiterHint : 0
; COMPUTE_PGM_RSRC2:SCRATCH_EN: 0
; COMPUTE_PGM_RSRC2:USER_SGPR: 15
; COMPUTE_PGM_RSRC2:TRAP_HANDLER: 0
; COMPUTE_PGM_RSRC2:TGID_X_EN: 1
; COMPUTE_PGM_RSRC2:TGID_Y_EN: 0
; COMPUTE_PGM_RSRC2:TGID_Z_EN: 0
; COMPUTE_PGM_RSRC2:TIDIG_COMP_CNT: 0
	.section	.text._ZN9rocsolver6v33100L18getri_kernel_smallILi4EfPfEEvT1_iilPiilS4_bb,"axG",@progbits,_ZN9rocsolver6v33100L18getri_kernel_smallILi4EfPfEEvT1_iilPiilS4_bb,comdat
	.globl	_ZN9rocsolver6v33100L18getri_kernel_smallILi4EfPfEEvT1_iilPiilS4_bb ; -- Begin function _ZN9rocsolver6v33100L18getri_kernel_smallILi4EfPfEEvT1_iilPiilS4_bb
	.p2align	8
	.type	_ZN9rocsolver6v33100L18getri_kernel_smallILi4EfPfEEvT1_iilPiilS4_bb,@function
_ZN9rocsolver6v33100L18getri_kernel_smallILi4EfPfEEvT1_iilPiilS4_bb: ; @_ZN9rocsolver6v33100L18getri_kernel_smallILi4EfPfEEvT1_iilPiilS4_bb
; %bb.0:
	s_mov_b32 s2, exec_lo
	v_cmpx_gt_u32_e32 4, v0
	s_cbranch_execz .LBB3_16
; %bb.1:
	s_clause 0x2
	s_load_b32 s17, s[0:1], 0x38
	s_load_b128 s[8:11], s[0:1], 0x10
	s_load_b128 s[4:7], s[0:1], 0x28
	s_mov_b32 s14, s15
                                        ; implicit-def: $sgpr12_sgpr13
	s_waitcnt lgkmcnt(0)
	s_bitcmp1_b32 s17, 8
	s_cselect_b32 s16, -1, 0
	s_bfe_u32 s2, s17, 0x10008
	s_ashr_i32 s15, s15, 31
	s_cmp_eq_u32 s2, 0
	s_cbranch_scc1 .LBB3_3
; %bb.2:
	s_load_b32 s2, s[0:1], 0x20
	s_mul_i32 s3, s14, s5
	s_mul_hi_u32 s5, s14, s4
	s_mul_i32 s12, s15, s4
	s_add_i32 s3, s5, s3
	s_mul_i32 s4, s14, s4
	s_add_i32 s5, s3, s12
	s_delay_alu instid0(SALU_CYCLE_1)
	s_lshl_b64 s[4:5], s[4:5], 2
	s_waitcnt lgkmcnt(0)
	s_ashr_i32 s3, s2, 31
	s_add_u32 s4, s10, s4
	s_addc_u32 s5, s11, s5
	s_lshl_b64 s[2:3], s[2:3], 2
	s_delay_alu instid0(SALU_CYCLE_1)
	s_add_u32 s12, s4, s2
	s_addc_u32 s13, s5, s3
.LBB3_3:
	s_load_b128 s[0:3], s[0:1], 0x0
	s_mul_i32 s4, s14, s9
	s_mul_hi_u32 s5, s14, s8
	s_mul_i32 s9, s15, s8
	s_add_i32 s5, s5, s4
	s_mul_i32 s4, s14, s8
	s_add_i32 s5, s5, s9
	v_lshlrev_b32_e32 v14, 2, v0
	s_lshl_b64 s[4:5], s[4:5], 2
	s_waitcnt lgkmcnt(0)
	v_add3_u32 v1, s3, s3, v0
	s_ashr_i32 s9, s2, 31
	s_mov_b32 s8, s2
	s_add_u32 s2, s0, s4
	s_addc_u32 s5, s1, s5
	v_add_nc_u32_e32 v3, s3, v1
	s_lshl_b64 s[0:1], s[8:9], 2
	v_ashrrev_i32_e32 v2, 31, v1
	s_add_u32 s0, s2, s0
	s_addc_u32 s1, s5, s1
	v_add_co_u32 v6, s2, s0, v14
	v_ashrrev_i32_e32 v4, 31, v3
	s_mov_b32 s4, s3
	s_ashr_i32 s5, s3, 31
	v_add_co_ci_u32_e64 v7, null, s1, 0, s2
	v_lshlrev_b64 v[1:2], 2, v[1:2]
	s_lshl_b64 s[2:3], s[4:5], 2
	v_lshlrev_b64 v[3:4], 2, v[3:4]
	v_add_co_u32 v8, vcc_lo, v6, s2
	v_add_co_ci_u32_e32 v9, vcc_lo, s3, v7, vcc_lo
	s_delay_alu instid0(VALU_DEP_4)
	v_add_co_u32 v10, vcc_lo, s0, v1
	v_mov_b32_e32 v1, 0
	v_add_co_ci_u32_e32 v11, vcc_lo, s1, v2, vcc_lo
	v_add_co_u32 v12, vcc_lo, s0, v3
	v_add_co_ci_u32_e32 v13, vcc_lo, s1, v4, vcc_lo
	s_clause 0x3
	global_load_b32 v3, v[8:9], off
	global_load_b32 v4, v[10:11], off
	global_load_b32 v2, v14, s[0:1]
	global_load_b32 v5, v[12:13], off
	s_bitcmp0_b32 s17, 0
	s_mov_b32 s0, -1
	s_cbranch_scc1 .LBB3_14
; %bb.4:
	v_cmp_eq_u32_e64 s0, 0, v0
	s_delay_alu instid0(VALU_DEP_1)
	s_and_saveexec_b32 s1, s0
	s_cbranch_execz .LBB3_6
; %bb.5:
	v_mov_b32_e32 v15, 0
	ds_store_b32 v15, v15 offset:32
.LBB3_6:
	s_or_b32 exec_lo, exec_lo, s1
	v_cmp_eq_u32_e32 vcc_lo, 1, v0
	s_mov_b32 s2, exec_lo
	s_waitcnt vmcnt(0) lgkmcnt(0)
	s_barrier
	buffer_gl0_inv
	v_cndmask_b32_e32 v15, v2, v3, vcc_lo
	v_cmp_eq_u32_e32 vcc_lo, 2, v0
	s_delay_alu instid0(VALU_DEP_2) | instskip(SKIP_1) | instid1(VALU_DEP_2)
	v_cndmask_b32_e32 v15, v15, v4, vcc_lo
	v_cmp_eq_u32_e32 vcc_lo, 3, v0
	v_cndmask_b32_e32 v15, v15, v5, vcc_lo
	s_delay_alu instid0(VALU_DEP_1)
	v_cmpx_eq_f32_e32 0, v15
	s_cbranch_execz .LBB3_10
; %bb.7:
	v_mov_b32_e32 v16, 0
	ds_load_b32 v17, v16 offset:32
	s_waitcnt lgkmcnt(0)
	v_readfirstlane_b32 s1, v17
	v_add_nc_u32_e32 v17, 1, v0
	s_delay_alu instid0(VALU_DEP_2) | instskip(NEXT) | instid1(VALU_DEP_1)
	s_cmp_eq_u32 s1, 0
	v_cmp_gt_i32_e32 vcc_lo, s1, v17
	s_cselect_b32 s3, -1, 0
	s_delay_alu instid0(SALU_CYCLE_1) | instskip(NEXT) | instid1(SALU_CYCLE_1)
	s_or_b32 s3, s3, vcc_lo
	s_and_b32 exec_lo, exec_lo, s3
	s_cbranch_execz .LBB3_10
; %bb.8:
	v_mov_b32_e32 v18, s1
	s_mov_b32 s3, 0
.LBB3_9:                                ; =>This Inner Loop Header: Depth=1
	ds_cmpstore_rtn_b32 v18, v16, v17, v18 offset:32
	s_waitcnt lgkmcnt(0)
	v_cmp_ne_u32_e32 vcc_lo, 0, v18
	v_cmp_le_i32_e64 s1, v18, v17
	s_delay_alu instid0(VALU_DEP_1) | instskip(NEXT) | instid1(SALU_CYCLE_1)
	s_and_b32 s1, vcc_lo, s1
	s_and_b32 s1, exec_lo, s1
	s_delay_alu instid0(SALU_CYCLE_1) | instskip(NEXT) | instid1(SALU_CYCLE_1)
	s_or_b32 s3, s1, s3
	s_and_not1_b32 exec_lo, exec_lo, s3
	s_cbranch_execnz .LBB3_9
.LBB3_10:
	s_or_b32 exec_lo, exec_lo, s2
	v_mov_b32_e32 v16, 0
	s_barrier
	buffer_gl0_inv
	ds_load_b32 v17, v16 offset:32
	s_and_saveexec_b32 s1, s0
	s_cbranch_execz .LBB3_12
; %bb.11:
	s_lshl_b64 s[2:3], s[14:15], 2
	s_delay_alu instid0(SALU_CYCLE_1)
	s_add_u32 s2, s6, s2
	s_addc_u32 s3, s7, s3
	s_waitcnt lgkmcnt(0)
	global_store_b32 v16, v17, s[2:3]
.LBB3_12:
	s_or_b32 exec_lo, exec_lo, s1
	s_waitcnt lgkmcnt(0)
	v_cmp_ne_u32_e32 vcc_lo, 0, v17
	s_cbranch_vccz .LBB3_17
; %bb.13:
	s_mov_b32 s0, 0
                                        ; implicit-def: $vgpr2_vgpr3_vgpr4_vgpr5
.LBB3_14:
	s_delay_alu instid0(SALU_CYCLE_1)
	s_and_b32 vcc_lo, exec_lo, s0
	s_cbranch_vccz .LBB3_16
.LBB3_15:
	s_lshl_b64 s[0:1], s[14:15], 2
	v_mov_b32_e32 v1, 0
	s_add_u32 s0, s6, s0
	s_addc_u32 s1, s7, s1
	global_load_b32 v1, v1, s[0:1]
	s_waitcnt vmcnt(0)
	v_cmp_ne_u32_e32 vcc_lo, 0, v1
	s_cbranch_vccz .LBB3_26
.LBB3_16:
	s_nop 0
	s_sendmsg sendmsg(MSG_DEALLOC_VGPRS)
	s_endpgm
.LBB3_17:
	v_div_scale_f32 v16, null, v15, v15, 1.0
	v_div_scale_f32 v19, vcc_lo, 1.0, v15, 1.0
	s_delay_alu instid0(VALU_DEP_2) | instskip(SKIP_2) | instid1(VALU_DEP_1)
	v_rcp_f32_e32 v17, v16
	s_waitcnt_depctr 0xfff
	v_fma_f32 v18, -v16, v17, 1.0
	v_fmac_f32_e32 v17, v18, v17
	s_delay_alu instid0(VALU_DEP_1) | instskip(NEXT) | instid1(VALU_DEP_1)
	v_mul_f32_e32 v18, v19, v17
	v_fma_f32 v20, -v16, v18, v19
	s_delay_alu instid0(VALU_DEP_1) | instskip(NEXT) | instid1(VALU_DEP_1)
	v_fmac_f32_e32 v18, v20, v17
	v_fma_f32 v16, -v16, v18, v19
	s_delay_alu instid0(VALU_DEP_1) | instskip(SKIP_1) | instid1(VALU_DEP_2)
	v_div_fmas_f32 v16, v16, v17, v18
	v_cmp_eq_u32_e32 vcc_lo, 3, v0
	v_div_fixup_f32 v16, v16, v15, 1.0
	v_add_nc_u32_e32 v15, 16, v14
	s_delay_alu instid0(VALU_DEP_2)
	v_cndmask_b32_e32 v5, v5, v16, vcc_lo
	v_cmp_eq_u32_e32 vcc_lo, 1, v0
	v_xor_b32_e32 v17, 0x80000000, v16
	v_cndmask_b32_e32 v3, v3, v16, vcc_lo
	v_cmp_eq_u32_e32 vcc_lo, 2, v0
	ds_store_2addr_b32 v14, v17, v3 offset1:4
	v_cndmask_b32_e32 v4, v4, v16, vcc_lo
	v_cmp_eq_u32_e32 vcc_lo, 0, v0
	s_waitcnt lgkmcnt(0)
	s_waitcnt_vscnt null, 0x0
	s_barrier
	buffer_gl0_inv
	v_cndmask_b32_e32 v2, v2, v16, vcc_lo
	s_and_saveexec_b32 s1, s0
	s_cbranch_execz .LBB3_19
; %bb.18:
	v_mov_b32_e32 v3, 0
	ds_load_b32 v14, v15
	ds_load_b32 v3, v3 offset:4
	s_waitcnt lgkmcnt(1)
	v_fma_f32 v14, v16, v14, 0
	s_waitcnt lgkmcnt(0)
	s_delay_alu instid0(VALU_DEP_1)
	v_mul_f32_e32 v3, v14, v3
.LBB3_19:
	s_or_b32 exec_lo, exec_lo, s1
	s_delay_alu instid0(SALU_CYCLE_1)
	s_mov_b32 s1, exec_lo
	s_barrier
	buffer_gl0_inv
	ds_store_b32 v15, v4
	s_waitcnt lgkmcnt(0)
	s_barrier
	buffer_gl0_inv
	v_cmpx_gt_u32_e32 2, v0
	s_cbranch_execz .LBB3_21
; %bb.20:
	ds_load_b32 v14, v15
	v_mov_b32_e32 v16, 0
	v_cmp_eq_u32_e32 vcc_lo, 1, v0
	ds_load_2addr_b32 v[16:17], v16 offset0:2 offset1:5
	v_cndmask_b32_e32 v18, v2, v3, vcc_lo
	v_cmp_eq_u32_e32 vcc_lo, 2, v0
	s_delay_alu instid0(VALU_DEP_2) | instskip(SKIP_1) | instid1(VALU_DEP_2)
	v_cndmask_b32_e32 v4, v18, v4, vcc_lo
	v_cmp_eq_u32_e32 vcc_lo, 3, v0
	v_cndmask_b32_e32 v4, v4, v5, vcc_lo
	s_waitcnt lgkmcnt(1)
	s_delay_alu instid0(VALU_DEP_1) | instskip(SKIP_1) | instid1(VALU_DEP_1)
	v_fma_f32 v4, v4, v14, 0
	s_waitcnt lgkmcnt(0)
	v_fma_f32 v14, v3, v17, v4
	s_delay_alu instid0(VALU_DEP_1) | instskip(NEXT) | instid1(VALU_DEP_1)
	v_cndmask_b32_e64 v4, v4, v14, s0
	v_mul_f32_e32 v4, v4, v16
.LBB3_21:
	s_or_b32 exec_lo, exec_lo, s1
	s_delay_alu instid0(SALU_CYCLE_1)
	s_mov_b32 s1, exec_lo
	s_barrier
	buffer_gl0_inv
	ds_store_b32 v15, v5
	s_waitcnt lgkmcnt(0)
	s_barrier
	buffer_gl0_inv
	v_cmpx_ne_u32_e32 3, v0
	s_cbranch_execz .LBB3_25
; %bb.22:
	v_dual_mov_b32 v16, 0 :: v_dual_mov_b32 v15, v1
	v_lshl_add_u32 v17, v0, 2, 16
	v_mov_b32_e32 v14, v0
	s_mov_b32 s2, 0
	.p2align	6
.LBB3_23:                               ; =>This Inner Loop Header: Depth=1
	s_delay_alu instid0(VALU_DEP_1) | instskip(SKIP_3) | instid1(VALU_DEP_2)
	v_cmp_eq_u32_e32 vcc_lo, 1, v14
	ds_load_b32 v1, v17
	v_dual_cndmask_b32 v18, v2, v3 :: v_dual_add_nc_u32 v17, 4, v17
	v_cmp_eq_u32_e32 vcc_lo, 2, v14
	v_cndmask_b32_e32 v18, v18, v4, vcc_lo
	v_cmp_eq_u32_e32 vcc_lo, 3, v14
	v_add_co_u32 v14, s0, v14, 1
	s_delay_alu instid0(VALU_DEP_1) | instskip(NEXT) | instid1(VALU_DEP_2)
	v_add_co_ci_u32_e64 v15, s0, 0, v15, s0
	v_dual_cndmask_b32 v18, v18, v5 :: v_dual_add_nc_u32 v19, -1, v14
	s_waitcnt lgkmcnt(0)
	s_delay_alu instid0(VALU_DEP_1) | instskip(NEXT) | instid1(VALU_DEP_2)
	v_fmac_f32_e32 v16, v18, v1
	v_cmp_lt_u32_e32 vcc_lo, 1, v19
	s_or_b32 s2, vcc_lo, s2
	s_delay_alu instid0(SALU_CYCLE_1)
	s_and_not1_b32 exec_lo, exec_lo, s2
	s_cbranch_execnz .LBB3_23
; %bb.24:
	s_or_b32 exec_lo, exec_lo, s2
	v_mov_b32_e32 v1, 0
	ds_load_b32 v1, v1 offset:12
	s_waitcnt lgkmcnt(0)
	v_mul_f32_e32 v5, v16, v1
.LBB3_25:
	s_or_b32 exec_lo, exec_lo, s1
	s_barrier
	buffer_gl0_inv
	s_cbranch_execnz .LBB3_15
	s_branch .LBB3_16
.LBB3_26:
	v_lshl_add_u32 v1, v0, 2, 16
	s_mov_b32 s0, exec_lo
	v_cmpx_eq_u32_e32 3, v0
	s_cbranch_execz .LBB3_28
; %bb.27:
	s_mov_b32 s1, 0
	ds_store_b32 v1, v4
	v_mov_b32_e32 v4, s1
.LBB3_28:
	s_or_b32 exec_lo, exec_lo, s0
	v_mov_b32_e32 v14, 0
	s_waitcnt lgkmcnt(0)
	s_waitcnt_vscnt null, 0x0
	s_barrier
	buffer_gl0_inv
	s_mov_b32 s0, exec_lo
	ds_load_b32 v15, v14 offset:28
	s_waitcnt lgkmcnt(0)
	v_fma_f32 v15, v5, v15, 0
	s_delay_alu instid0(VALU_DEP_1)
	v_sub_f32_e32 v4, v4, v15
	v_cmpx_lt_u32_e32 1, v0
	s_cbranch_execz .LBB3_30
; %bb.29:
	s_mov_b32 s1, 0
	s_delay_alu instid0(VALU_DEP_2)
	v_dual_mov_b32 v18, v5 :: v_dual_mov_b32 v17, v4
	v_dual_mov_b32 v16, v3 :: v_dual_mov_b32 v15, v2
	v_mov_b32_e32 v16, s1
	ds_store_b32 v1, v3
	v_dual_mov_b32 v2, v15 :: v_dual_mov_b32 v3, v16
	v_dual_mov_b32 v4, v17 :: v_dual_mov_b32 v5, v18
.LBB3_30:
	s_or_b32 exec_lo, exec_lo, s0
	s_waitcnt lgkmcnt(0)
	s_barrier
	buffer_gl0_inv
	ds_load_b64 v[14:15], v14 offset:24
	s_mov_b32 s1, 0
	s_mov_b32 s0, exec_lo
	s_waitcnt lgkmcnt(0)
	v_fma_f32 v14, v4, v14, 0
	s_delay_alu instid0(VALU_DEP_1) | instskip(NEXT) | instid1(VALU_DEP_1)
	v_fmac_f32_e32 v14, v5, v15
	v_sub_f32_e32 v3, v3, v14
	v_cmpx_ne_u32_e32 0, v0
	s_cbranch_execz .LBB3_32
; %bb.31:
	v_dual_mov_b32 v17, v5 :: v_dual_mov_b32 v16, v4
	s_delay_alu instid0(VALU_DEP_3)
	v_dual_mov_b32 v15, v3 :: v_dual_mov_b32 v14, v2
	v_mov_b32_e32 v14, s1
	ds_store_b32 v1, v2
	v_dual_mov_b32 v2, v14 :: v_dual_mov_b32 v3, v15
	v_dual_mov_b32 v4, v16 :: v_dual_mov_b32 v5, v17
.LBB3_32:
	s_or_b32 exec_lo, exec_lo, s0
	v_mov_b32_e32 v14, 0
	s_waitcnt lgkmcnt(0)
	s_barrier
	buffer_gl0_inv
	s_and_b32 vcc_lo, exec_lo, s16
	ds_load_2addr_b32 v[0:1], v14 offset0:5 offset1:6
	ds_load_b32 v14, v14 offset:28
	s_waitcnt lgkmcnt(1)
	v_fma_f32 v0, v3, v0, 0
	s_delay_alu instid0(VALU_DEP_1) | instskip(SKIP_1) | instid1(VALU_DEP_1)
	v_fmac_f32_e32 v0, v4, v1
	s_waitcnt lgkmcnt(0)
	v_fmac_f32_e32 v0, v5, v14
	s_delay_alu instid0(VALU_DEP_1)
	v_sub_f32_e32 v2, v2, v0
	s_cbranch_vccz .LBB3_40
; %bb.33:
	v_dual_mov_b32 v0, s12 :: v_dual_mov_b32 v1, s13
	s_mov_b32 s2, exec_lo
	flat_load_b32 v0, v[0:1] offset:8
	s_waitcnt vmcnt(0) lgkmcnt(0)
	v_add_nc_u32_e32 v0, -1, v0
	s_delay_alu instid0(VALU_DEP_1)
	v_cmpx_ne_u32_e32 2, v0
	s_cbranch_execz .LBB3_35
; %bb.34:
	v_cmp_eq_u32_e32 vcc_lo, 1, v0
	v_cmp_eq_u32_e64 s1, 3, v0
	v_cmp_eq_u32_e64 s0, 2, v0
	v_cndmask_b32_e32 v15, v3, v4, vcc_lo
	s_delay_alu instid0(VALU_DEP_3) | instskip(SKIP_2) | instid1(VALU_DEP_2)
	v_cndmask_b32_e64 v17, v5, v4, s1
	v_cndmask_b32_e32 v1, v2, v3, vcc_lo
	v_cmp_eq_u32_e32 vcc_lo, 0, v0
	v_cndmask_b32_e64 v1, v1, v4, s0
	v_cndmask_b32_e32 v14, v2, v4, vcc_lo
	s_delay_alu instid0(VALU_DEP_2) | instskip(NEXT) | instid1(VALU_DEP_1)
	v_cndmask_b32_e64 v1, v1, v5, s1
	v_cndmask_b32_e64 v16, v1, v4, s0
	s_delay_alu instid0(VALU_DEP_3) | instskip(NEXT) | instid1(VALU_DEP_2)
	v_dual_mov_b32 v2, v14 :: v_dual_mov_b32 v3, v15
	v_dual_mov_b32 v5, v17 :: v_dual_mov_b32 v4, v16
.LBB3_35:
	s_or_b32 exec_lo, exec_lo, s2
	v_dual_mov_b32 v0, s12 :: v_dual_mov_b32 v1, s13
	s_mov_b32 s2, exec_lo
	flat_load_b32 v0, v[0:1] offset:4
	s_waitcnt vmcnt(0) lgkmcnt(0)
	v_add_nc_u32_e32 v0, -1, v0
	s_delay_alu instid0(VALU_DEP_1)
	v_cmpx_ne_u32_e32 1, v0
	s_cbranch_execz .LBB3_37
; %bb.36:
	v_cmp_eq_u32_e32 vcc_lo, 1, v0
	v_cmp_eq_u32_e64 s0, 2, v0
	v_cmp_eq_u32_e64 s1, 3, v0
	s_delay_alu instid0(VALU_DEP_2) | instskip(NEXT) | instid1(VALU_DEP_2)
	v_cndmask_b32_e64 v16, v4, v3, s0
	v_cndmask_b32_e64 v17, v5, v3, s1
	v_cndmask_b32_e32 v1, v2, v3, vcc_lo
	s_delay_alu instid0(VALU_DEP_1) | instskip(NEXT) | instid1(VALU_DEP_1)
	v_cndmask_b32_e64 v1, v1, v4, s0
	v_cndmask_b32_e64 v1, v1, v5, s1
	s_delay_alu instid0(VALU_DEP_1) | instskip(SKIP_2) | instid1(VALU_DEP_1)
	v_cndmask_b32_e32 v15, v1, v3, vcc_lo
	v_cmp_eq_u32_e32 vcc_lo, 0, v0
	v_cndmask_b32_e32 v14, v2, v3, vcc_lo
	v_dual_mov_b32 v2, v14 :: v_dual_mov_b32 v3, v15
	v_dual_mov_b32 v4, v16 :: v_dual_mov_b32 v5, v17
.LBB3_37:
	s_or_b32 exec_lo, exec_lo, s2
	v_dual_mov_b32 v0, s12 :: v_dual_mov_b32 v1, s13
	s_mov_b32 s2, exec_lo
	flat_load_b32 v0, v[0:1]
	s_waitcnt vmcnt(0) lgkmcnt(0)
	v_add_nc_u32_e32 v0, -1, v0
	s_delay_alu instid0(VALU_DEP_1)
	v_cmpx_ne_u32_e32 0, v0
	s_cbranch_execz .LBB3_39
; %bb.38:
	v_cmp_eq_u32_e32 vcc_lo, 1, v0
	v_cmp_eq_u32_e64 s0, 2, v0
	v_cmp_eq_u32_e64 s1, 3, v0
	v_cndmask_b32_e32 v15, v3, v2, vcc_lo
	s_delay_alu instid0(VALU_DEP_3) | instskip(NEXT) | instid1(VALU_DEP_3)
	v_cndmask_b32_e64 v16, v4, v2, s0
	v_cndmask_b32_e64 v17, v5, v2, s1
	v_cndmask_b32_e32 v1, v2, v3, vcc_lo
	s_delay_alu instid0(VALU_DEP_1) | instskip(SKIP_1) | instid1(VALU_DEP_2)
	v_cndmask_b32_e64 v1, v1, v4, s0
	v_cmp_eq_u32_e64 s0, 0, v0
	v_cndmask_b32_e64 v1, v1, v5, s1
	s_delay_alu instid0(VALU_DEP_1) | instskip(NEXT) | instid1(VALU_DEP_1)
	v_cndmask_b32_e64 v14, v1, v2, s0
	v_dual_mov_b32 v2, v14 :: v_dual_mov_b32 v3, v15
	v_dual_mov_b32 v4, v16 :: v_dual_mov_b32 v5, v17
.LBB3_39:
	s_or_b32 exec_lo, exec_lo, s2
.LBB3_40:
	s_clause 0x3
	global_store_b32 v[6:7], v2, off
	global_store_b32 v[8:9], v3, off
	;; [unrolled: 1-line block ×4, first 2 shown]
	s_nop 0
	s_sendmsg sendmsg(MSG_DEALLOC_VGPRS)
	s_endpgm
	.section	.rodata,"a",@progbits
	.p2align	6, 0x0
	.amdhsa_kernel _ZN9rocsolver6v33100L18getri_kernel_smallILi4EfPfEEvT1_iilPiilS4_bb
		.amdhsa_group_segment_fixed_size 36
		.amdhsa_private_segment_fixed_size 0
		.amdhsa_kernarg_size 60
		.amdhsa_user_sgpr_count 15
		.amdhsa_user_sgpr_dispatch_ptr 0
		.amdhsa_user_sgpr_queue_ptr 0
		.amdhsa_user_sgpr_kernarg_segment_ptr 1
		.amdhsa_user_sgpr_dispatch_id 0
		.amdhsa_user_sgpr_private_segment_size 0
		.amdhsa_wavefront_size32 1
		.amdhsa_uses_dynamic_stack 0
		.amdhsa_enable_private_segment 0
		.amdhsa_system_sgpr_workgroup_id_x 1
		.amdhsa_system_sgpr_workgroup_id_y 0
		.amdhsa_system_sgpr_workgroup_id_z 0
		.amdhsa_system_sgpr_workgroup_info 0
		.amdhsa_system_vgpr_workitem_id 0
		.amdhsa_next_free_vgpr 21
		.amdhsa_next_free_sgpr 18
		.amdhsa_reserve_vcc 1
		.amdhsa_float_round_mode_32 0
		.amdhsa_float_round_mode_16_64 0
		.amdhsa_float_denorm_mode_32 3
		.amdhsa_float_denorm_mode_16_64 3
		.amdhsa_dx10_clamp 1
		.amdhsa_ieee_mode 1
		.amdhsa_fp16_overflow 0
		.amdhsa_workgroup_processor_mode 1
		.amdhsa_memory_ordered 1
		.amdhsa_forward_progress 0
		.amdhsa_shared_vgpr_count 0
		.amdhsa_exception_fp_ieee_invalid_op 0
		.amdhsa_exception_fp_denorm_src 0
		.amdhsa_exception_fp_ieee_div_zero 0
		.amdhsa_exception_fp_ieee_overflow 0
		.amdhsa_exception_fp_ieee_underflow 0
		.amdhsa_exception_fp_ieee_inexact 0
		.amdhsa_exception_int_div_zero 0
	.end_amdhsa_kernel
	.section	.text._ZN9rocsolver6v33100L18getri_kernel_smallILi4EfPfEEvT1_iilPiilS4_bb,"axG",@progbits,_ZN9rocsolver6v33100L18getri_kernel_smallILi4EfPfEEvT1_iilPiilS4_bb,comdat
.Lfunc_end3:
	.size	_ZN9rocsolver6v33100L18getri_kernel_smallILi4EfPfEEvT1_iilPiilS4_bb, .Lfunc_end3-_ZN9rocsolver6v33100L18getri_kernel_smallILi4EfPfEEvT1_iilPiilS4_bb
                                        ; -- End function
	.section	.AMDGPU.csdata,"",@progbits
; Kernel info:
; codeLenInByte = 2156
; NumSgprs: 20
; NumVgprs: 21
; ScratchSize: 0
; MemoryBound: 0
; FloatMode: 240
; IeeeMode: 1
; LDSByteSize: 36 bytes/workgroup (compile time only)
; SGPRBlocks: 2
; VGPRBlocks: 2
; NumSGPRsForWavesPerEU: 20
; NumVGPRsForWavesPerEU: 21
; Occupancy: 16
; WaveLimiterHint : 0
; COMPUTE_PGM_RSRC2:SCRATCH_EN: 0
; COMPUTE_PGM_RSRC2:USER_SGPR: 15
; COMPUTE_PGM_RSRC2:TRAP_HANDLER: 0
; COMPUTE_PGM_RSRC2:TGID_X_EN: 1
; COMPUTE_PGM_RSRC2:TGID_Y_EN: 0
; COMPUTE_PGM_RSRC2:TGID_Z_EN: 0
; COMPUTE_PGM_RSRC2:TIDIG_COMP_CNT: 0
	.section	.text._ZN9rocsolver6v33100L18getri_kernel_smallILi5EfPfEEvT1_iilPiilS4_bb,"axG",@progbits,_ZN9rocsolver6v33100L18getri_kernel_smallILi5EfPfEEvT1_iilPiilS4_bb,comdat
	.globl	_ZN9rocsolver6v33100L18getri_kernel_smallILi5EfPfEEvT1_iilPiilS4_bb ; -- Begin function _ZN9rocsolver6v33100L18getri_kernel_smallILi5EfPfEEvT1_iilPiilS4_bb
	.p2align	8
	.type	_ZN9rocsolver6v33100L18getri_kernel_smallILi5EfPfEEvT1_iilPiilS4_bb,@function
_ZN9rocsolver6v33100L18getri_kernel_smallILi5EfPfEEvT1_iilPiilS4_bb: ; @_ZN9rocsolver6v33100L18getri_kernel_smallILi5EfPfEEvT1_iilPiilS4_bb
; %bb.0:
	s_mov_b32 s2, exec_lo
	v_cmpx_gt_u32_e32 5, v0
	s_cbranch_execz .LBB4_16
; %bb.1:
	s_clause 0x2
	s_load_b32 s17, s[0:1], 0x38
	s_load_b128 s[8:11], s[0:1], 0x10
	s_load_b128 s[4:7], s[0:1], 0x28
	s_mov_b32 s14, s15
                                        ; implicit-def: $sgpr12_sgpr13
	s_waitcnt lgkmcnt(0)
	s_bitcmp1_b32 s17, 8
	s_cselect_b32 s16, -1, 0
	s_bfe_u32 s2, s17, 0x10008
	s_ashr_i32 s15, s15, 31
	s_cmp_eq_u32 s2, 0
	s_cbranch_scc1 .LBB4_3
; %bb.2:
	s_load_b32 s2, s[0:1], 0x20
	s_mul_i32 s3, s14, s5
	s_mul_hi_u32 s5, s14, s4
	s_mul_i32 s12, s15, s4
	s_add_i32 s3, s5, s3
	s_mul_i32 s4, s14, s4
	s_add_i32 s5, s3, s12
	s_delay_alu instid0(SALU_CYCLE_1)
	s_lshl_b64 s[4:5], s[4:5], 2
	s_waitcnt lgkmcnt(0)
	s_ashr_i32 s3, s2, 31
	s_add_u32 s4, s10, s4
	s_addc_u32 s5, s11, s5
	s_lshl_b64 s[2:3], s[2:3], 2
	s_delay_alu instid0(SALU_CYCLE_1)
	s_add_u32 s12, s4, s2
	s_addc_u32 s13, s5, s3
.LBB4_3:
	s_load_b128 s[0:3], s[0:1], 0x0
	s_mul_i32 s4, s14, s9
	s_mul_hi_u32 s5, s14, s8
	s_mul_i32 s9, s15, s8
	s_add_i32 s5, s5, s4
	s_mul_i32 s4, s14, s8
	s_add_i32 s5, s5, s9
	v_lshlrev_b32_e32 v17, 2, v0
	s_lshl_b64 s[4:5], s[4:5], 2
	s_waitcnt lgkmcnt(0)
	v_add3_u32 v1, s3, s3, v0
	s_ashr_i32 s9, s2, 31
	s_mov_b32 s8, s2
	s_add_u32 s2, s0, s4
	s_addc_u32 s5, s1, s5
	v_add_nc_u32_e32 v3, s3, v1
	s_lshl_b64 s[0:1], s[8:9], 2
	v_ashrrev_i32_e32 v2, 31, v1
	s_add_u32 s0, s2, s0
	s_addc_u32 s1, s5, s1
	v_add_co_u32 v7, s2, s0, v17
	v_add_nc_u32_e32 v5, s3, v3
	s_mov_b32 s4, s3
	s_ashr_i32 s5, s3, 31
	v_add_co_ci_u32_e64 v8, null, s1, 0, s2
	v_lshlrev_b64 v[1:2], 2, v[1:2]
	v_ashrrev_i32_e32 v4, 31, v3
	s_lshl_b64 s[4:5], s[4:5], 2
	v_ashrrev_i32_e32 v6, 31, v5
	v_add_co_u32 v9, vcc_lo, v7, s4
	v_add_co_ci_u32_e32 v10, vcc_lo, s5, v8, vcc_lo
	v_lshlrev_b64 v[3:4], 2, v[3:4]
	v_add_co_u32 v11, vcc_lo, s0, v1
	v_add_co_ci_u32_e32 v12, vcc_lo, s1, v2, vcc_lo
	v_lshlrev_b64 v[1:2], 2, v[5:6]
	s_delay_alu instid0(VALU_DEP_4) | instskip(SKIP_2) | instid1(VALU_DEP_3)
	v_add_co_u32 v13, vcc_lo, s0, v3
	v_add_co_ci_u32_e32 v14, vcc_lo, s1, v4, vcc_lo
	s_bitcmp0_b32 s17, 0
	v_add_co_u32 v15, vcc_lo, s0, v1
	s_delay_alu instid0(VALU_DEP_4)
	v_add_co_ci_u32_e32 v16, vcc_lo, s1, v2, vcc_lo
	s_clause 0x4
	global_load_b32 v3, v[9:10], off
	global_load_b32 v4, v[11:12], off
	;; [unrolled: 1-line block ×3, first 2 shown]
	global_load_b32 v2, v17, s[0:1]
	global_load_b32 v6, v[15:16], off
	v_mov_b32_e32 v1, 0
	s_mov_b32 s0, -1
	s_cbranch_scc1 .LBB4_14
; %bb.4:
	v_cmp_eq_u32_e64 s0, 0, v0
	s_delay_alu instid0(VALU_DEP_1)
	s_and_saveexec_b32 s1, s0
	s_cbranch_execz .LBB4_6
; %bb.5:
	v_mov_b32_e32 v18, 0
	ds_store_b32 v18, v18 offset:20
.LBB4_6:
	s_or_b32 exec_lo, exec_lo, s1
	v_cmp_eq_u32_e32 vcc_lo, 1, v0
	s_mov_b32 s2, exec_lo
	s_waitcnt vmcnt(0) lgkmcnt(0)
	s_barrier
	buffer_gl0_inv
	v_cndmask_b32_e32 v18, v2, v3, vcc_lo
	v_cmp_eq_u32_e32 vcc_lo, 2, v0
	s_delay_alu instid0(VALU_DEP_2) | instskip(SKIP_1) | instid1(VALU_DEP_2)
	v_cndmask_b32_e32 v18, v18, v4, vcc_lo
	v_cmp_eq_u32_e32 vcc_lo, 3, v0
	v_cndmask_b32_e32 v18, v18, v5, vcc_lo
	v_cmp_eq_u32_e32 vcc_lo, 4, v0
	s_delay_alu instid0(VALU_DEP_2) | instskip(NEXT) | instid1(VALU_DEP_1)
	v_cndmask_b32_e32 v18, v18, v6, vcc_lo
	v_cmpx_eq_f32_e32 0, v18
	s_cbranch_execz .LBB4_10
; %bb.7:
	v_mov_b32_e32 v19, 0
	ds_load_b32 v20, v19 offset:20
	s_waitcnt lgkmcnt(0)
	v_readfirstlane_b32 s1, v20
	v_add_nc_u32_e32 v20, 1, v0
	s_delay_alu instid0(VALU_DEP_2) | instskip(NEXT) | instid1(VALU_DEP_1)
	s_cmp_eq_u32 s1, 0
	v_cmp_gt_i32_e32 vcc_lo, s1, v20
	s_cselect_b32 s3, -1, 0
	s_delay_alu instid0(SALU_CYCLE_1) | instskip(NEXT) | instid1(SALU_CYCLE_1)
	s_or_b32 s3, s3, vcc_lo
	s_and_b32 exec_lo, exec_lo, s3
	s_cbranch_execz .LBB4_10
; %bb.8:
	v_mov_b32_e32 v21, s1
	s_mov_b32 s3, 0
.LBB4_9:                                ; =>This Inner Loop Header: Depth=1
	ds_cmpstore_rtn_b32 v21, v19, v20, v21 offset:20
	s_waitcnt lgkmcnt(0)
	v_cmp_ne_u32_e32 vcc_lo, 0, v21
	v_cmp_le_i32_e64 s1, v21, v20
	s_delay_alu instid0(VALU_DEP_1) | instskip(NEXT) | instid1(SALU_CYCLE_1)
	s_and_b32 s1, vcc_lo, s1
	s_and_b32 s1, exec_lo, s1
	s_delay_alu instid0(SALU_CYCLE_1) | instskip(NEXT) | instid1(SALU_CYCLE_1)
	s_or_b32 s3, s1, s3
	s_and_not1_b32 exec_lo, exec_lo, s3
	s_cbranch_execnz .LBB4_9
.LBB4_10:
	s_or_b32 exec_lo, exec_lo, s2
	v_mov_b32_e32 v19, 0
	s_barrier
	buffer_gl0_inv
	ds_load_b32 v20, v19 offset:20
	s_and_saveexec_b32 s1, s0
	s_cbranch_execz .LBB4_12
; %bb.11:
	s_lshl_b64 s[2:3], s[14:15], 2
	s_delay_alu instid0(SALU_CYCLE_1)
	s_add_u32 s2, s6, s2
	s_addc_u32 s3, s7, s3
	s_waitcnt lgkmcnt(0)
	global_store_b32 v19, v20, s[2:3]
.LBB4_12:
	s_or_b32 exec_lo, exec_lo, s1
	s_waitcnt lgkmcnt(0)
	v_cmp_ne_u32_e32 vcc_lo, 0, v20
	s_cbranch_vccz .LBB4_17
; %bb.13:
	s_mov_b32 s0, 0
                                        ; implicit-def: $vgpr2_vgpr3_vgpr4_vgpr5_vgpr6
.LBB4_14:
	s_delay_alu instid0(SALU_CYCLE_1)
	s_and_b32 vcc_lo, exec_lo, s0
	s_cbranch_vccz .LBB4_16
.LBB4_15:
	s_lshl_b64 s[0:1], s[14:15], 2
	v_mov_b32_e32 v1, 0
	s_add_u32 s0, s6, s0
	s_addc_u32 s1, s7, s1
	global_load_b32 v1, v1, s[0:1]
	s_waitcnt vmcnt(0)
	v_cmp_ne_u32_e32 vcc_lo, 0, v1
	s_cbranch_vccz .LBB4_30
.LBB4_16:
	s_nop 0
	s_sendmsg sendmsg(MSG_DEALLOC_VGPRS)
	s_endpgm
.LBB4_17:
	v_div_scale_f32 v19, null, v18, v18, 1.0
	v_div_scale_f32 v22, vcc_lo, 1.0, v18, 1.0
	s_delay_alu instid0(VALU_DEP_2) | instskip(SKIP_2) | instid1(VALU_DEP_1)
	v_rcp_f32_e32 v20, v19
	s_waitcnt_depctr 0xfff
	v_fma_f32 v21, -v19, v20, 1.0
	v_fmac_f32_e32 v20, v21, v20
	s_delay_alu instid0(VALU_DEP_1) | instskip(NEXT) | instid1(VALU_DEP_1)
	v_mul_f32_e32 v21, v22, v20
	v_fma_f32 v23, -v19, v21, v22
	s_delay_alu instid0(VALU_DEP_1) | instskip(NEXT) | instid1(VALU_DEP_1)
	v_fmac_f32_e32 v21, v23, v20
	v_fma_f32 v19, -v19, v21, v22
	s_delay_alu instid0(VALU_DEP_1) | instskip(SKIP_1) | instid1(VALU_DEP_2)
	v_div_fmas_f32 v19, v19, v20, v21
	v_cmp_eq_u32_e32 vcc_lo, 4, v0
	v_div_fixup_f32 v18, v19, v18, 1.0
	s_delay_alu instid0(VALU_DEP_1)
	v_dual_cndmask_b32 v6, v6, v18 :: v_dual_add_nc_u32 v19, 32, v17
	v_cmp_eq_u32_e32 vcc_lo, 3, v0
	v_xor_b32_e32 v20, 0x80000000, v18
	v_cndmask_b32_e32 v5, v5, v18, vcc_lo
	v_cmp_eq_u32_e32 vcc_lo, 1, v0
	v_cndmask_b32_e32 v3, v3, v18, vcc_lo
	v_cmp_eq_u32_e32 vcc_lo, 2, v0
	ds_store_2addr_b32 v17, v20, v3 offset1:8
	v_cndmask_b32_e32 v4, v4, v18, vcc_lo
	v_cmp_eq_u32_e32 vcc_lo, 0, v0
	s_waitcnt lgkmcnt(0)
	s_waitcnt_vscnt null, 0x0
	s_barrier
	buffer_gl0_inv
	v_cndmask_b32_e32 v2, v2, v18, vcc_lo
	s_and_saveexec_b32 s1, s0
	s_cbranch_execz .LBB4_19
; %bb.18:
	v_mov_b32_e32 v3, 0
	ds_load_b32 v17, v19
	ds_load_b32 v3, v3 offset:4
	s_waitcnt lgkmcnt(1)
	v_fma_f32 v17, v18, v17, 0
	s_waitcnt lgkmcnt(0)
	s_delay_alu instid0(VALU_DEP_1)
	v_mul_f32_e32 v3, v17, v3
.LBB4_19:
	s_or_b32 exec_lo, exec_lo, s1
	s_delay_alu instid0(SALU_CYCLE_1)
	s_mov_b32 s1, exec_lo
	s_barrier
	buffer_gl0_inv
	ds_store_b32 v19, v4
	s_waitcnt lgkmcnt(0)
	s_barrier
	buffer_gl0_inv
	v_cmpx_gt_u32_e32 2, v0
	s_cbranch_execz .LBB4_21
; %bb.20:
	v_cmp_eq_u32_e32 vcc_lo, 1, v0
	ds_load_b32 v20, v19
	v_dual_mov_b32 v18, 0 :: v_dual_cndmask_b32 v17, v2, v3
	v_cmp_eq_u32_e32 vcc_lo, 2, v0
	s_delay_alu instid0(VALU_DEP_2) | instskip(SKIP_4) | instid1(VALU_DEP_2)
	v_cndmask_b32_e32 v4, v17, v4, vcc_lo
	ds_load_2addr_b32 v[17:18], v18 offset0:2 offset1:9
	v_cmp_eq_u32_e32 vcc_lo, 3, v0
	v_cndmask_b32_e32 v4, v4, v5, vcc_lo
	v_cmp_eq_u32_e32 vcc_lo, 4, v0
	v_cndmask_b32_e32 v4, v4, v6, vcc_lo
	s_waitcnt lgkmcnt(1)
	s_delay_alu instid0(VALU_DEP_1) | instskip(SKIP_1) | instid1(VALU_DEP_1)
	v_fma_f32 v4, v4, v20, 0
	s_waitcnt lgkmcnt(0)
	v_fma_f32 v18, v3, v18, v4
	s_delay_alu instid0(VALU_DEP_1) | instskip(NEXT) | instid1(VALU_DEP_1)
	v_cndmask_b32_e64 v4, v4, v18, s0
	v_mul_f32_e32 v4, v4, v17
.LBB4_21:
	s_or_b32 exec_lo, exec_lo, s1
	s_delay_alu instid0(SALU_CYCLE_1)
	s_mov_b32 s1, exec_lo
	s_barrier
	buffer_gl0_inv
	ds_store_b32 v19, v5
	s_waitcnt lgkmcnt(0)
	s_barrier
	buffer_gl0_inv
	v_cmpx_gt_u32_e32 3, v0
	s_cbranch_execz .LBB4_25
; %bb.22:
	v_mov_b32_e32 v18, v1
	v_lshl_add_u32 v21, v0, 2, 32
	v_dual_mov_b32 v20, 0 :: v_dual_mov_b32 v17, v0
	s_mov_b32 s2, 0
	.p2align	6
.LBB4_23:                               ; =>This Inner Loop Header: Depth=1
	s_delay_alu instid0(VALU_DEP_1) | instskip(SKIP_3) | instid1(VALU_DEP_2)
	v_cmp_eq_u32_e32 vcc_lo, 1, v17
	ds_load_b32 v23, v21
	v_dual_cndmask_b32 v22, v2, v3 :: v_dual_add_nc_u32 v21, 4, v21
	v_cmp_eq_u32_e32 vcc_lo, 2, v17
	v_cndmask_b32_e32 v22, v22, v4, vcc_lo
	v_cmp_eq_u32_e32 vcc_lo, 3, v17
	s_delay_alu instid0(VALU_DEP_2) | instskip(SKIP_2) | instid1(VALU_DEP_1)
	v_cndmask_b32_e32 v22, v22, v5, vcc_lo
	v_cmp_eq_u32_e32 vcc_lo, 4, v17
	v_add_co_u32 v17, s0, v17, 1
	v_add_co_ci_u32_e64 v18, s0, 0, v18, s0
	s_delay_alu instid0(VALU_DEP_4) | instskip(NEXT) | instid1(VALU_DEP_3)
	v_cndmask_b32_e32 v22, v22, v6, vcc_lo
	v_add_nc_u32_e32 v24, -1, v17
	s_waitcnt lgkmcnt(0)
	s_delay_alu instid0(VALU_DEP_2) | instskip(NEXT) | instid1(VALU_DEP_2)
	v_fmac_f32_e32 v20, v22, v23
	v_cmp_lt_u32_e32 vcc_lo, 1, v24
	s_or_b32 s2, vcc_lo, s2
	s_delay_alu instid0(SALU_CYCLE_1)
	s_and_not1_b32 exec_lo, exec_lo, s2
	s_cbranch_execnz .LBB4_23
; %bb.24:
	s_or_b32 exec_lo, exec_lo, s2
	v_mov_b32_e32 v5, 0
	ds_load_b32 v5, v5 offset:12
	s_waitcnt lgkmcnt(0)
	v_mul_f32_e32 v5, v20, v5
.LBB4_25:
	s_or_b32 exec_lo, exec_lo, s1
	s_delay_alu instid0(SALU_CYCLE_1)
	s_mov_b32 s1, exec_lo
	s_barrier
	buffer_gl0_inv
	ds_store_b32 v19, v6
	s_waitcnt lgkmcnt(0)
	s_barrier
	buffer_gl0_inv
	v_cmpx_ne_u32_e32 4, v0
	s_cbranch_execz .LBB4_29
; %bb.26:
	v_dual_mov_b32 v19, 0 :: v_dual_mov_b32 v18, v1
	v_lshl_add_u32 v20, v0, 2, 32
	v_mov_b32_e32 v17, v0
	s_mov_b32 s2, 0
	.p2align	6
.LBB4_27:                               ; =>This Inner Loop Header: Depth=1
	s_delay_alu instid0(VALU_DEP_1) | instskip(SKIP_3) | instid1(VALU_DEP_2)
	v_cmp_eq_u32_e32 vcc_lo, 1, v17
	ds_load_b32 v21, v20
	v_dual_cndmask_b32 v1, v2, v3 :: v_dual_add_nc_u32 v20, 4, v20
	v_cmp_eq_u32_e32 vcc_lo, 2, v17
	v_cndmask_b32_e32 v1, v1, v4, vcc_lo
	v_cmp_eq_u32_e32 vcc_lo, 3, v17
	s_delay_alu instid0(VALU_DEP_2) | instskip(SKIP_2) | instid1(VALU_DEP_1)
	v_cndmask_b32_e32 v1, v1, v5, vcc_lo
	v_cmp_eq_u32_e32 vcc_lo, 4, v17
	v_add_co_u32 v17, s0, v17, 1
	v_add_co_ci_u32_e64 v18, s0, 0, v18, s0
	s_delay_alu instid0(VALU_DEP_2) | instskip(SKIP_1) | instid1(VALU_DEP_1)
	v_dual_cndmask_b32 v1, v1, v6 :: v_dual_add_nc_u32 v22, -1, v17
	s_waitcnt lgkmcnt(0)
	v_fmac_f32_e32 v19, v1, v21
	s_delay_alu instid0(VALU_DEP_2) | instskip(SKIP_1) | instid1(SALU_CYCLE_1)
	v_cmp_lt_u32_e32 vcc_lo, 2, v22
	s_or_b32 s2, vcc_lo, s2
	s_and_not1_b32 exec_lo, exec_lo, s2
	s_cbranch_execnz .LBB4_27
; %bb.28:
	s_or_b32 exec_lo, exec_lo, s2
	v_mov_b32_e32 v1, 0
	ds_load_b32 v1, v1 offset:16
	s_waitcnt lgkmcnt(0)
	v_mul_f32_e32 v6, v19, v1
.LBB4_29:
	s_or_b32 exec_lo, exec_lo, s1
	s_barrier
	buffer_gl0_inv
	s_cbranch_execnz .LBB4_15
	s_branch .LBB4_16
.LBB4_30:
	v_lshl_add_u32 v1, v0, 2, 32
	s_mov_b32 s0, exec_lo
	v_cmpx_eq_u32_e32 4, v0
	s_cbranch_execz .LBB4_32
; %bb.31:
	s_mov_b32 s1, 0
	ds_store_b32 v1, v5
	v_mov_b32_e32 v5, s1
.LBB4_32:
	s_or_b32 exec_lo, exec_lo, s0
	v_mov_b32_e32 v17, 0
	s_waitcnt lgkmcnt(0)
	s_waitcnt_vscnt null, 0x0
	s_barrier
	buffer_gl0_inv
	s_mov_b32 s0, exec_lo
	ds_load_b32 v18, v17 offset:48
	s_waitcnt lgkmcnt(0)
	v_fma_f32 v18, v6, v18, 0
	s_delay_alu instid0(VALU_DEP_1)
	v_sub_f32_e32 v5, v5, v18
	v_cmpx_lt_u32_e32 2, v0
	s_cbranch_execz .LBB4_34
; %bb.33:
	s_mov_b32 s1, 0
	s_delay_alu instid0(VALU_DEP_2)
	v_dual_mov_b32 v22, v6 :: v_dual_mov_b32 v21, v5
	v_dual_mov_b32 v20, v4 :: v_dual_mov_b32 v19, v3
	v_mov_b32_e32 v18, v2
	v_mov_b32_e32 v20, s1
	ds_store_b32 v1, v4
	v_dual_mov_b32 v2, v18 :: v_dual_mov_b32 v3, v19
	v_dual_mov_b32 v4, v20 :: v_dual_mov_b32 v5, v21
	v_mov_b32_e32 v6, v22
.LBB4_34:
	s_or_b32 exec_lo, exec_lo, s0
	s_waitcnt lgkmcnt(0)
	s_barrier
	buffer_gl0_inv
	ds_load_2addr_b32 v[17:18], v17 offset0:11 offset1:12
	s_mov_b32 s0, exec_lo
	s_waitcnt lgkmcnt(0)
	v_fma_f32 v17, v5, v17, 0
	s_delay_alu instid0(VALU_DEP_1) | instskip(NEXT) | instid1(VALU_DEP_1)
	v_fmac_f32_e32 v17, v6, v18
	v_sub_f32_e32 v4, v4, v17
	v_cmpx_lt_u32_e32 1, v0
	s_cbranch_execz .LBB4_36
; %bb.35:
	s_mov_b32 s1, 0
	v_dual_mov_b32 v21, v6 :: v_dual_mov_b32 v20, v5
	v_dual_mov_b32 v19, v4 :: v_dual_mov_b32 v18, v3
	;; [unrolled: 1-line block ×3, first 2 shown]
	ds_store_b32 v1, v3
	v_dual_mov_b32 v2, v17 :: v_dual_mov_b32 v3, v18
	v_dual_mov_b32 v4, v19 :: v_dual_mov_b32 v5, v20
	v_mov_b32_e32 v6, v21
.LBB4_36:
	s_or_b32 exec_lo, exec_lo, s0
	v_mov_b32_e32 v17, 0
	s_waitcnt lgkmcnt(0)
	s_barrier
	buffer_gl0_inv
	s_mov_b32 s1, 0
	ds_load_b64 v[18:19], v17 offset:40
	ds_load_b32 v20, v17 offset:48
	s_mov_b32 s0, exec_lo
	s_waitcnt lgkmcnt(1)
	v_fma_f32 v18, v4, v18, 0
	s_delay_alu instid0(VALU_DEP_1) | instskip(SKIP_1) | instid1(VALU_DEP_1)
	v_fmac_f32_e32 v18, v5, v19
	s_waitcnt lgkmcnt(0)
	v_fmac_f32_e32 v18, v6, v20
	s_delay_alu instid0(VALU_DEP_1)
	v_sub_f32_e32 v3, v3, v18
	v_cmpx_ne_u32_e32 0, v0
	s_cbranch_execz .LBB4_38
; %bb.37:
	v_dual_mov_b32 v22, v6 :: v_dual_mov_b32 v21, v5
	v_mov_b32_e32 v18, v2
	v_mov_b32_e32 v18, s1
	v_dual_mov_b32 v20, v4 :: v_dual_mov_b32 v19, v3
	ds_store_b32 v1, v2
	v_mov_b32_e32 v2, v18
	v_dual_mov_b32 v4, v20 :: v_dual_mov_b32 v5, v21
	v_dual_mov_b32 v3, v19 :: v_dual_mov_b32 v6, v22
.LBB4_38:
	s_or_b32 exec_lo, exec_lo, s0
	s_waitcnt lgkmcnt(0)
	s_barrier
	buffer_gl0_inv
	ds_load_2addr_b32 v[0:1], v17 offset0:9 offset1:10
	ds_load_2addr_b32 v[17:18], v17 offset0:11 offset1:12
	s_and_b32 vcc_lo, exec_lo, s16
	s_waitcnt lgkmcnt(1)
	v_fma_f32 v0, v3, v0, 0
	s_delay_alu instid0(VALU_DEP_1) | instskip(SKIP_1) | instid1(VALU_DEP_1)
	v_fmac_f32_e32 v0, v4, v1
	s_waitcnt lgkmcnt(0)
	v_fmac_f32_e32 v0, v5, v17
	s_delay_alu instid0(VALU_DEP_1) | instskip(NEXT) | instid1(VALU_DEP_1)
	v_fmac_f32_e32 v0, v6, v18
	v_sub_f32_e32 v2, v2, v0
	s_cbranch_vccz .LBB4_48
; %bb.39:
	v_dual_mov_b32 v0, s12 :: v_dual_mov_b32 v1, s13
	s_mov_b32 s3, exec_lo
	flat_load_b32 v0, v[0:1] offset:12
	s_waitcnt vmcnt(0) lgkmcnt(0)
	v_add_nc_u32_e32 v0, -1, v0
	s_delay_alu instid0(VALU_DEP_1)
	v_cmpx_ne_u32_e32 3, v0
	s_cbranch_execz .LBB4_41
; %bb.40:
	v_cmp_eq_u32_e32 vcc_lo, 1, v0
	v_cmp_eq_u32_e64 s0, 2, v0
	v_cmp_eq_u32_e64 s1, 3, v0
	;; [unrolled: 1-line block ×3, first 2 shown]
	v_dual_cndmask_b32 v1, v2, v3 :: v_dual_cndmask_b32 v18, v3, v5
	v_cmp_eq_u32_e32 vcc_lo, 0, v0
	v_cndmask_b32_e64 v19, v4, v5, s0
	s_delay_alu instid0(VALU_DEP_4) | instskip(NEXT) | instid1(VALU_DEP_4)
	v_cndmask_b32_e64 v21, v6, v5, s2
	v_cndmask_b32_e64 v1, v1, v4, s0
	v_cndmask_b32_e32 v17, v2, v5, vcc_lo
	s_delay_alu instid0(VALU_DEP_2) | instskip(NEXT) | instid1(VALU_DEP_1)
	v_cndmask_b32_e64 v1, v1, v5, s1
	v_cndmask_b32_e64 v1, v1, v6, s2
	s_delay_alu instid0(VALU_DEP_1) | instskip(NEXT) | instid1(VALU_DEP_4)
	v_cndmask_b32_e64 v20, v1, v5, s1
	v_dual_mov_b32 v2, v17 :: v_dual_mov_b32 v3, v18
	v_mov_b32_e32 v4, v19
	s_delay_alu instid0(VALU_DEP_3)
	v_dual_mov_b32 v6, v21 :: v_dual_mov_b32 v5, v20
.LBB4_41:
	s_or_b32 exec_lo, exec_lo, s3
	v_dual_mov_b32 v0, s12 :: v_dual_mov_b32 v1, s13
	s_mov_b32 s3, exec_lo
	flat_load_b32 v0, v[0:1] offset:8
	s_waitcnt vmcnt(0) lgkmcnt(0)
	v_add_nc_u32_e32 v0, -1, v0
	s_delay_alu instid0(VALU_DEP_1)
	v_cmpx_ne_u32_e32 2, v0
	s_cbranch_execz .LBB4_43
; %bb.42:
	v_cmp_eq_u32_e32 vcc_lo, 1, v0
	v_cmp_eq_u32_e64 s0, 2, v0
	v_cmp_eq_u32_e64 s1, 3, v0
	;; [unrolled: 1-line block ×3, first 2 shown]
	v_dual_cndmask_b32 v1, v2, v3 :: v_dual_cndmask_b32 v18, v3, v4
	v_cmp_eq_u32_e32 vcc_lo, 0, v0
	s_delay_alu instid0(VALU_DEP_4) | instskip(NEXT) | instid1(VALU_DEP_4)
	v_cndmask_b32_e64 v20, v5, v4, s1
	v_cndmask_b32_e64 v21, v6, v4, s2
	s_delay_alu instid0(VALU_DEP_4) | instskip(SKIP_1) | instid1(VALU_DEP_2)
	v_cndmask_b32_e64 v1, v1, v4, s0
	v_cndmask_b32_e32 v17, v2, v4, vcc_lo
	v_cndmask_b32_e64 v1, v1, v5, s1
	s_delay_alu instid0(VALU_DEP_1) | instskip(NEXT) | instid1(VALU_DEP_1)
	v_cndmask_b32_e64 v1, v1, v6, s2
	v_cndmask_b32_e64 v19, v1, v4, s0
	s_delay_alu instid0(VALU_DEP_4) | instskip(SKIP_1) | instid1(VALU_DEP_3)
	v_dual_mov_b32 v2, v17 :: v_dual_mov_b32 v3, v18
	v_dual_mov_b32 v6, v21 :: v_dual_mov_b32 v5, v20
	v_mov_b32_e32 v4, v19
.LBB4_43:
	s_or_b32 exec_lo, exec_lo, s3
	v_dual_mov_b32 v0, s12 :: v_dual_mov_b32 v1, s13
	s_mov_b32 s3, exec_lo
	flat_load_b32 v0, v[0:1] offset:4
	s_waitcnt vmcnt(0) lgkmcnt(0)
	v_add_nc_u32_e32 v0, -1, v0
	s_delay_alu instid0(VALU_DEP_1)
	v_cmpx_ne_u32_e32 1, v0
	s_cbranch_execz .LBB4_45
; %bb.44:
	v_cmp_eq_u32_e32 vcc_lo, 1, v0
	v_cmp_eq_u32_e64 s0, 2, v0
	v_cmp_eq_u32_e64 s1, 3, v0
	;; [unrolled: 1-line block ×3, first 2 shown]
	s_delay_alu instid0(VALU_DEP_3) | instskip(NEXT) | instid1(VALU_DEP_3)
	v_cndmask_b32_e64 v19, v4, v3, s0
	v_cndmask_b32_e64 v20, v5, v3, s1
	s_delay_alu instid0(VALU_DEP_3) | instskip(SKIP_1) | instid1(VALU_DEP_1)
	v_cndmask_b32_e64 v21, v6, v3, s2
	v_cndmask_b32_e32 v1, v2, v3, vcc_lo
	v_cndmask_b32_e64 v1, v1, v4, s0
	s_delay_alu instid0(VALU_DEP_1) | instskip(NEXT) | instid1(VALU_DEP_1)
	v_cndmask_b32_e64 v1, v1, v5, s1
	v_cndmask_b32_e64 v1, v1, v6, s2
	s_delay_alu instid0(VALU_DEP_1) | instskip(SKIP_2) | instid1(VALU_DEP_1)
	v_cndmask_b32_e32 v18, v1, v3, vcc_lo
	v_cmp_eq_u32_e32 vcc_lo, 0, v0
	v_cndmask_b32_e32 v17, v2, v3, vcc_lo
	v_dual_mov_b32 v2, v17 :: v_dual_mov_b32 v3, v18
	v_dual_mov_b32 v4, v19 :: v_dual_mov_b32 v5, v20
	v_mov_b32_e32 v6, v21
.LBB4_45:
	s_or_b32 exec_lo, exec_lo, s3
	v_dual_mov_b32 v0, s12 :: v_dual_mov_b32 v1, s13
	s_mov_b32 s3, exec_lo
	flat_load_b32 v0, v[0:1]
	s_waitcnt vmcnt(0) lgkmcnt(0)
	v_add_nc_u32_e32 v0, -1, v0
	s_delay_alu instid0(VALU_DEP_1)
	v_cmpx_ne_u32_e32 0, v0
	s_cbranch_execz .LBB4_47
; %bb.46:
	v_cmp_eq_u32_e32 vcc_lo, 1, v0
	v_cmp_eq_u32_e64 s0, 2, v0
	v_cmp_eq_u32_e64 s1, 3, v0
	;; [unrolled: 1-line block ×3, first 2 shown]
	v_dual_cndmask_b32 v1, v2, v3 :: v_dual_cndmask_b32 v18, v3, v2
	s_delay_alu instid0(VALU_DEP_4) | instskip(NEXT) | instid1(VALU_DEP_4)
	v_cndmask_b32_e64 v19, v4, v2, s0
	v_cndmask_b32_e64 v20, v5, v2, s1
	s_delay_alu instid0(VALU_DEP_4) | instskip(NEXT) | instid1(VALU_DEP_4)
	v_cndmask_b32_e64 v21, v6, v2, s2
	v_cndmask_b32_e64 v1, v1, v4, s0
	v_cmp_eq_u32_e64 s0, 0, v0
	s_delay_alu instid0(VALU_DEP_2) | instskip(NEXT) | instid1(VALU_DEP_1)
	v_cndmask_b32_e64 v1, v1, v5, s1
	v_cndmask_b32_e64 v1, v1, v6, s2
	s_delay_alu instid0(VALU_DEP_1) | instskip(NEXT) | instid1(VALU_DEP_1)
	v_cndmask_b32_e64 v17, v1, v2, s0
	v_dual_mov_b32 v2, v17 :: v_dual_mov_b32 v3, v18
	v_dual_mov_b32 v4, v19 :: v_dual_mov_b32 v5, v20
	v_mov_b32_e32 v6, v21
.LBB4_47:
	s_or_b32 exec_lo, exec_lo, s3
.LBB4_48:
	s_clause 0x4
	global_store_b32 v[7:8], v2, off
	global_store_b32 v[9:10], v3, off
	global_store_b32 v[11:12], v4, off
	global_store_b32 v[13:14], v5, off
	global_store_b32 v[15:16], v6, off
	s_nop 0
	s_sendmsg sendmsg(MSG_DEALLOC_VGPRS)
	s_endpgm
	.section	.rodata,"a",@progbits
	.p2align	6, 0x0
	.amdhsa_kernel _ZN9rocsolver6v33100L18getri_kernel_smallILi5EfPfEEvT1_iilPiilS4_bb
		.amdhsa_group_segment_fixed_size 52
		.amdhsa_private_segment_fixed_size 0
		.amdhsa_kernarg_size 60
		.amdhsa_user_sgpr_count 15
		.amdhsa_user_sgpr_dispatch_ptr 0
		.amdhsa_user_sgpr_queue_ptr 0
		.amdhsa_user_sgpr_kernarg_segment_ptr 1
		.amdhsa_user_sgpr_dispatch_id 0
		.amdhsa_user_sgpr_private_segment_size 0
		.amdhsa_wavefront_size32 1
		.amdhsa_uses_dynamic_stack 0
		.amdhsa_enable_private_segment 0
		.amdhsa_system_sgpr_workgroup_id_x 1
		.amdhsa_system_sgpr_workgroup_id_y 0
		.amdhsa_system_sgpr_workgroup_id_z 0
		.amdhsa_system_sgpr_workgroup_info 0
		.amdhsa_system_vgpr_workitem_id 0
		.amdhsa_next_free_vgpr 25
		.amdhsa_next_free_sgpr 18
		.amdhsa_reserve_vcc 1
		.amdhsa_float_round_mode_32 0
		.amdhsa_float_round_mode_16_64 0
		.amdhsa_float_denorm_mode_32 3
		.amdhsa_float_denorm_mode_16_64 3
		.amdhsa_dx10_clamp 1
		.amdhsa_ieee_mode 1
		.amdhsa_fp16_overflow 0
		.amdhsa_workgroup_processor_mode 1
		.amdhsa_memory_ordered 1
		.amdhsa_forward_progress 0
		.amdhsa_shared_vgpr_count 0
		.amdhsa_exception_fp_ieee_invalid_op 0
		.amdhsa_exception_fp_denorm_src 0
		.amdhsa_exception_fp_ieee_div_zero 0
		.amdhsa_exception_fp_ieee_overflow 0
		.amdhsa_exception_fp_ieee_underflow 0
		.amdhsa_exception_fp_ieee_inexact 0
		.amdhsa_exception_int_div_zero 0
	.end_amdhsa_kernel
	.section	.text._ZN9rocsolver6v33100L18getri_kernel_smallILi5EfPfEEvT1_iilPiilS4_bb,"axG",@progbits,_ZN9rocsolver6v33100L18getri_kernel_smallILi5EfPfEEvT1_iilPiilS4_bb,comdat
.Lfunc_end4:
	.size	_ZN9rocsolver6v33100L18getri_kernel_smallILi5EfPfEEvT1_iilPiilS4_bb, .Lfunc_end4-_ZN9rocsolver6v33100L18getri_kernel_smallILi5EfPfEEvT1_iilPiilS4_bb
                                        ; -- End function
	.section	.AMDGPU.csdata,"",@progbits
; Kernel info:
; codeLenInByte = 2872
; NumSgprs: 20
; NumVgprs: 25
; ScratchSize: 0
; MemoryBound: 0
; FloatMode: 240
; IeeeMode: 1
; LDSByteSize: 52 bytes/workgroup (compile time only)
; SGPRBlocks: 2
; VGPRBlocks: 3
; NumSGPRsForWavesPerEU: 20
; NumVGPRsForWavesPerEU: 25
; Occupancy: 16
; WaveLimiterHint : 0
; COMPUTE_PGM_RSRC2:SCRATCH_EN: 0
; COMPUTE_PGM_RSRC2:USER_SGPR: 15
; COMPUTE_PGM_RSRC2:TRAP_HANDLER: 0
; COMPUTE_PGM_RSRC2:TGID_X_EN: 1
; COMPUTE_PGM_RSRC2:TGID_Y_EN: 0
; COMPUTE_PGM_RSRC2:TGID_Z_EN: 0
; COMPUTE_PGM_RSRC2:TIDIG_COMP_CNT: 0
	.section	.text._ZN9rocsolver6v33100L18getri_kernel_smallILi6EfPfEEvT1_iilPiilS4_bb,"axG",@progbits,_ZN9rocsolver6v33100L18getri_kernel_smallILi6EfPfEEvT1_iilPiilS4_bb,comdat
	.globl	_ZN9rocsolver6v33100L18getri_kernel_smallILi6EfPfEEvT1_iilPiilS4_bb ; -- Begin function _ZN9rocsolver6v33100L18getri_kernel_smallILi6EfPfEEvT1_iilPiilS4_bb
	.p2align	8
	.type	_ZN9rocsolver6v33100L18getri_kernel_smallILi6EfPfEEvT1_iilPiilS4_bb,@function
_ZN9rocsolver6v33100L18getri_kernel_smallILi6EfPfEEvT1_iilPiilS4_bb: ; @_ZN9rocsolver6v33100L18getri_kernel_smallILi6EfPfEEvT1_iilPiilS4_bb
; %bb.0:
	s_mov_b32 s2, exec_lo
	v_cmpx_gt_u32_e32 6, v0
	s_cbranch_execz .LBB5_16
; %bb.1:
	s_clause 0x2
	s_load_b32 s17, s[0:1], 0x38
	s_load_b128 s[8:11], s[0:1], 0x10
	s_load_b128 s[4:7], s[0:1], 0x28
	s_mov_b32 s14, s15
                                        ; implicit-def: $sgpr12_sgpr13
	s_waitcnt lgkmcnt(0)
	s_bitcmp1_b32 s17, 8
	s_cselect_b32 s16, -1, 0
	s_bfe_u32 s2, s17, 0x10008
	s_ashr_i32 s15, s15, 31
	s_cmp_eq_u32 s2, 0
	s_cbranch_scc1 .LBB5_3
; %bb.2:
	s_load_b32 s2, s[0:1], 0x20
	s_mul_i32 s3, s14, s5
	s_mul_hi_u32 s5, s14, s4
	s_mul_i32 s12, s15, s4
	s_add_i32 s3, s5, s3
	s_mul_i32 s4, s14, s4
	s_add_i32 s5, s3, s12
	s_delay_alu instid0(SALU_CYCLE_1)
	s_lshl_b64 s[4:5], s[4:5], 2
	s_waitcnt lgkmcnt(0)
	s_ashr_i32 s3, s2, 31
	s_add_u32 s4, s10, s4
	s_addc_u32 s5, s11, s5
	s_lshl_b64 s[2:3], s[2:3], 2
	s_delay_alu instid0(SALU_CYCLE_1)
	s_add_u32 s12, s4, s2
	s_addc_u32 s13, s5, s3
.LBB5_3:
	s_load_b128 s[0:3], s[0:1], 0x0
	s_mul_i32 s4, s14, s9
	s_mul_hi_u32 s5, s14, s8
	s_mul_i32 s9, s15, s8
	s_add_i32 s5, s5, s4
	s_mul_i32 s4, s14, s8
	s_add_i32 s5, s5, s9
	v_lshlrev_b32_e32 v20, 2, v0
	s_lshl_b64 s[4:5], s[4:5], 2
	s_waitcnt lgkmcnt(0)
	v_add3_u32 v1, s3, s3, v0
	s_ashr_i32 s9, s2, 31
	s_mov_b32 s8, s2
	s_add_u32 s2, s0, s4
	s_addc_u32 s5, s1, s5
	v_add_nc_u32_e32 v3, s3, v1
	s_lshl_b64 s[0:1], s[8:9], 2
	v_ashrrev_i32_e32 v2, 31, v1
	s_add_u32 s0, s2, s0
	s_addc_u32 s1, s5, s1
	v_add_nc_u32_e32 v5, s3, v3
	v_add_co_u32 v8, s2, s0, v20
	v_ashrrev_i32_e32 v4, 31, v3
	s_mov_b32 s4, s3
	s_ashr_i32 s5, s3, 31
	v_add_co_ci_u32_e64 v9, null, s1, 0, s2
	v_lshlrev_b64 v[1:2], 2, v[1:2]
	s_lshl_b64 s[4:5], s[4:5], 2
	v_add_nc_u32_e32 v16, s3, v5
	v_add_co_u32 v10, vcc_lo, v8, s4
	v_lshlrev_b64 v[3:4], 2, v[3:4]
	v_ashrrev_i32_e32 v6, 31, v5
	v_add_co_ci_u32_e32 v11, vcc_lo, s5, v9, vcc_lo
	v_add_co_u32 v12, vcc_lo, s0, v1
	v_ashrrev_i32_e32 v17, 31, v16
	v_add_co_ci_u32_e32 v13, vcc_lo, s1, v2, vcc_lo
	v_lshlrev_b64 v[1:2], 2, v[5:6]
	v_add_co_u32 v14, vcc_lo, s0, v3
	v_add_co_ci_u32_e32 v15, vcc_lo, s1, v4, vcc_lo
	v_lshlrev_b64 v[3:4], 2, v[16:17]
	s_delay_alu instid0(VALU_DEP_4) | instskip(SKIP_2) | instid1(VALU_DEP_4)
	v_add_co_u32 v16, vcc_lo, s0, v1
	v_mov_b32_e32 v1, 0
	v_add_co_ci_u32_e32 v17, vcc_lo, s1, v2, vcc_lo
	v_add_co_u32 v18, vcc_lo, s0, v3
	v_add_co_ci_u32_e32 v19, vcc_lo, s1, v4, vcc_lo
	s_clause 0x5
	global_load_b32 v3, v[10:11], off
	global_load_b32 v4, v[12:13], off
	;; [unrolled: 1-line block ×4, first 2 shown]
	global_load_b32 v2, v20, s[0:1]
	global_load_b32 v7, v[18:19], off
	s_bitcmp0_b32 s17, 0
	s_mov_b32 s0, -1
	s_cbranch_scc1 .LBB5_14
; %bb.4:
	v_cmp_eq_u32_e64 s0, 0, v0
	s_delay_alu instid0(VALU_DEP_1)
	s_and_saveexec_b32 s1, s0
	s_cbranch_execz .LBB5_6
; %bb.5:
	v_mov_b32_e32 v21, 0
	ds_store_b32 v21, v21 offset:24
.LBB5_6:
	s_or_b32 exec_lo, exec_lo, s1
	v_cmp_eq_u32_e32 vcc_lo, 1, v0
	s_mov_b32 s2, exec_lo
	s_waitcnt vmcnt(0) lgkmcnt(0)
	s_barrier
	buffer_gl0_inv
	v_cndmask_b32_e32 v21, v2, v3, vcc_lo
	v_cmp_eq_u32_e32 vcc_lo, 2, v0
	s_delay_alu instid0(VALU_DEP_2) | instskip(SKIP_1) | instid1(VALU_DEP_2)
	v_cndmask_b32_e32 v21, v21, v4, vcc_lo
	v_cmp_eq_u32_e32 vcc_lo, 3, v0
	v_cndmask_b32_e32 v21, v21, v5, vcc_lo
	v_cmp_eq_u32_e32 vcc_lo, 4, v0
	s_delay_alu instid0(VALU_DEP_2) | instskip(SKIP_1) | instid1(VALU_DEP_2)
	v_cndmask_b32_e32 v21, v21, v6, vcc_lo
	v_cmp_eq_u32_e32 vcc_lo, 5, v0
	v_cndmask_b32_e32 v21, v21, v7, vcc_lo
	s_delay_alu instid0(VALU_DEP_1)
	v_cmpx_eq_f32_e32 0, v21
	s_cbranch_execz .LBB5_10
; %bb.7:
	v_mov_b32_e32 v22, 0
	ds_load_b32 v23, v22 offset:24
	s_waitcnt lgkmcnt(0)
	v_readfirstlane_b32 s1, v23
	v_add_nc_u32_e32 v23, 1, v0
	s_delay_alu instid0(VALU_DEP_2) | instskip(NEXT) | instid1(VALU_DEP_1)
	s_cmp_eq_u32 s1, 0
	v_cmp_gt_i32_e32 vcc_lo, s1, v23
	s_cselect_b32 s3, -1, 0
	s_delay_alu instid0(SALU_CYCLE_1) | instskip(NEXT) | instid1(SALU_CYCLE_1)
	s_or_b32 s3, s3, vcc_lo
	s_and_b32 exec_lo, exec_lo, s3
	s_cbranch_execz .LBB5_10
; %bb.8:
	v_mov_b32_e32 v24, s1
	s_mov_b32 s3, 0
.LBB5_9:                                ; =>This Inner Loop Header: Depth=1
	ds_cmpstore_rtn_b32 v24, v22, v23, v24 offset:24
	s_waitcnt lgkmcnt(0)
	v_cmp_ne_u32_e32 vcc_lo, 0, v24
	v_cmp_le_i32_e64 s1, v24, v23
	s_delay_alu instid0(VALU_DEP_1) | instskip(NEXT) | instid1(SALU_CYCLE_1)
	s_and_b32 s1, vcc_lo, s1
	s_and_b32 s1, exec_lo, s1
	s_delay_alu instid0(SALU_CYCLE_1) | instskip(NEXT) | instid1(SALU_CYCLE_1)
	s_or_b32 s3, s1, s3
	s_and_not1_b32 exec_lo, exec_lo, s3
	s_cbranch_execnz .LBB5_9
.LBB5_10:
	s_or_b32 exec_lo, exec_lo, s2
	v_mov_b32_e32 v22, 0
	s_barrier
	buffer_gl0_inv
	ds_load_b32 v23, v22 offset:24
	s_and_saveexec_b32 s1, s0
	s_cbranch_execz .LBB5_12
; %bb.11:
	s_lshl_b64 s[2:3], s[14:15], 2
	s_delay_alu instid0(SALU_CYCLE_1)
	s_add_u32 s2, s6, s2
	s_addc_u32 s3, s7, s3
	s_waitcnt lgkmcnt(0)
	global_store_b32 v22, v23, s[2:3]
.LBB5_12:
	s_or_b32 exec_lo, exec_lo, s1
	s_waitcnt lgkmcnt(0)
	v_cmp_ne_u32_e32 vcc_lo, 0, v23
	s_cbranch_vccz .LBB5_17
; %bb.13:
	s_mov_b32 s0, 0
                                        ; implicit-def: $vgpr2_vgpr3_vgpr4_vgpr5_vgpr6_vgpr7
.LBB5_14:
	s_delay_alu instid0(SALU_CYCLE_1)
	s_and_b32 vcc_lo, exec_lo, s0
	s_cbranch_vccz .LBB5_16
.LBB5_15:
	s_lshl_b64 s[0:1], s[14:15], 2
	v_mov_b32_e32 v1, 0
	s_add_u32 s0, s6, s0
	s_addc_u32 s1, s7, s1
	global_load_b32 v1, v1, s[0:1]
	s_waitcnt vmcnt(0)
	v_cmp_ne_u32_e32 vcc_lo, 0, v1
	s_cbranch_vccz .LBB5_34
.LBB5_16:
	s_nop 0
	s_sendmsg sendmsg(MSG_DEALLOC_VGPRS)
	s_endpgm
.LBB5_17:
	v_div_scale_f32 v22, null, v21, v21, 1.0
	v_div_scale_f32 v25, vcc_lo, 1.0, v21, 1.0
	s_delay_alu instid0(VALU_DEP_2) | instskip(SKIP_2) | instid1(VALU_DEP_1)
	v_rcp_f32_e32 v23, v22
	s_waitcnt_depctr 0xfff
	v_fma_f32 v24, -v22, v23, 1.0
	v_fmac_f32_e32 v23, v24, v23
	s_delay_alu instid0(VALU_DEP_1) | instskip(NEXT) | instid1(VALU_DEP_1)
	v_mul_f32_e32 v24, v25, v23
	v_fma_f32 v26, -v22, v24, v25
	s_delay_alu instid0(VALU_DEP_1) | instskip(NEXT) | instid1(VALU_DEP_1)
	v_fmac_f32_e32 v24, v26, v23
	v_fma_f32 v22, -v22, v24, v25
	s_delay_alu instid0(VALU_DEP_1) | instskip(SKIP_1) | instid1(VALU_DEP_2)
	v_div_fmas_f32 v22, v22, v23, v24
	v_cmp_eq_u32_e32 vcc_lo, 5, v0
	v_div_fixup_f32 v21, v22, v21, 1.0
	s_delay_alu instid0(VALU_DEP_1)
	v_dual_cndmask_b32 v7, v7, v21 :: v_dual_add_nc_u32 v22, 32, v20
	v_cmp_eq_u32_e32 vcc_lo, 4, v0
	v_xor_b32_e32 v23, 0x80000000, v21
	v_cndmask_b32_e32 v6, v6, v21, vcc_lo
	v_cmp_eq_u32_e32 vcc_lo, 3, v0
	v_cndmask_b32_e32 v5, v5, v21, vcc_lo
	v_cmp_eq_u32_e32 vcc_lo, 1, v0
	v_cndmask_b32_e32 v3, v3, v21, vcc_lo
	v_cmp_eq_u32_e32 vcc_lo, 2, v0
	ds_store_2addr_b32 v20, v23, v3 offset1:8
	v_cndmask_b32_e32 v4, v4, v21, vcc_lo
	v_cmp_eq_u32_e32 vcc_lo, 0, v0
	s_waitcnt lgkmcnt(0)
	s_waitcnt_vscnt null, 0x0
	s_barrier
	buffer_gl0_inv
	v_cndmask_b32_e32 v2, v2, v21, vcc_lo
	s_and_saveexec_b32 s1, s0
	s_cbranch_execz .LBB5_19
; %bb.18:
	v_mov_b32_e32 v3, 0
	ds_load_b32 v20, v22
	ds_load_b32 v3, v3 offset:4
	s_waitcnt lgkmcnt(1)
	v_fma_f32 v20, v21, v20, 0
	s_waitcnt lgkmcnt(0)
	s_delay_alu instid0(VALU_DEP_1)
	v_mul_f32_e32 v3, v20, v3
.LBB5_19:
	s_or_b32 exec_lo, exec_lo, s1
	s_delay_alu instid0(SALU_CYCLE_1)
	s_mov_b32 s1, exec_lo
	s_barrier
	buffer_gl0_inv
	ds_store_b32 v22, v4
	s_waitcnt lgkmcnt(0)
	s_barrier
	buffer_gl0_inv
	v_cmpx_gt_u32_e32 2, v0
	s_cbranch_execz .LBB5_21
; %bb.20:
	v_cmp_eq_u32_e32 vcc_lo, 1, v0
	ds_load_b32 v23, v22
	v_cndmask_b32_e32 v20, v2, v3, vcc_lo
	v_cmp_eq_u32_e32 vcc_lo, 2, v0
	s_delay_alu instid0(VALU_DEP_2)
	v_cndmask_b32_e32 v4, v20, v4, vcc_lo
	v_mov_b32_e32 v20, 0
	v_cmp_eq_u32_e32 vcc_lo, 3, v0
	ds_load_2addr_b32 v[20:21], v20 offset0:2 offset1:9
	v_cndmask_b32_e32 v4, v4, v5, vcc_lo
	v_cmp_eq_u32_e32 vcc_lo, 4, v0
	s_delay_alu instid0(VALU_DEP_2) | instskip(SKIP_1) | instid1(VALU_DEP_2)
	v_cndmask_b32_e32 v4, v4, v6, vcc_lo
	v_cmp_eq_u32_e32 vcc_lo, 5, v0
	v_cndmask_b32_e32 v4, v4, v7, vcc_lo
	s_waitcnt lgkmcnt(1)
	s_delay_alu instid0(VALU_DEP_1) | instskip(SKIP_1) | instid1(VALU_DEP_1)
	v_fma_f32 v4, v4, v23, 0
	s_waitcnt lgkmcnt(0)
	v_fma_f32 v21, v3, v21, v4
	s_delay_alu instid0(VALU_DEP_1) | instskip(NEXT) | instid1(VALU_DEP_1)
	v_cndmask_b32_e64 v4, v4, v21, s0
	v_mul_f32_e32 v4, v4, v20
.LBB5_21:
	s_or_b32 exec_lo, exec_lo, s1
	s_delay_alu instid0(SALU_CYCLE_1)
	s_mov_b32 s1, exec_lo
	s_barrier
	buffer_gl0_inv
	ds_store_b32 v22, v5
	s_waitcnt lgkmcnt(0)
	s_barrier
	buffer_gl0_inv
	v_cmpx_gt_u32_e32 3, v0
	s_cbranch_execz .LBB5_25
; %bb.22:
	v_mov_b32_e32 v21, v1
	v_lshl_add_u32 v24, v0, 2, 32
	v_dual_mov_b32 v23, 0 :: v_dual_mov_b32 v20, v0
	s_mov_b32 s2, 0
	.p2align	6
.LBB5_23:                               ; =>This Inner Loop Header: Depth=1
	s_delay_alu instid0(VALU_DEP_1) | instskip(SKIP_3) | instid1(VALU_DEP_2)
	v_cmp_eq_u32_e32 vcc_lo, 1, v20
	ds_load_b32 v26, v24
	v_dual_cndmask_b32 v25, v2, v3 :: v_dual_add_nc_u32 v24, 4, v24
	v_cmp_eq_u32_e32 vcc_lo, 2, v20
	v_cndmask_b32_e32 v25, v25, v4, vcc_lo
	v_cmp_eq_u32_e32 vcc_lo, 3, v20
	s_delay_alu instid0(VALU_DEP_2) | instskip(SKIP_1) | instid1(VALU_DEP_2)
	v_cndmask_b32_e32 v25, v25, v5, vcc_lo
	v_cmp_eq_u32_e32 vcc_lo, 4, v20
	v_cndmask_b32_e32 v25, v25, v6, vcc_lo
	v_cmp_eq_u32_e32 vcc_lo, 5, v20
	v_add_co_u32 v20, s0, v20, 1
	s_delay_alu instid0(VALU_DEP_1) | instskip(NEXT) | instid1(VALU_DEP_4)
	v_add_co_ci_u32_e64 v21, s0, 0, v21, s0
	v_cndmask_b32_e32 v25, v25, v7, vcc_lo
	s_delay_alu instid0(VALU_DEP_3) | instskip(SKIP_1) | instid1(VALU_DEP_2)
	v_add_nc_u32_e32 v27, -1, v20
	s_waitcnt lgkmcnt(0)
	v_fmac_f32_e32 v23, v25, v26
	s_delay_alu instid0(VALU_DEP_2) | instskip(SKIP_1) | instid1(SALU_CYCLE_1)
	v_cmp_lt_u32_e32 vcc_lo, 1, v27
	s_or_b32 s2, vcc_lo, s2
	s_and_not1_b32 exec_lo, exec_lo, s2
	s_cbranch_execnz .LBB5_23
; %bb.24:
	s_or_b32 exec_lo, exec_lo, s2
	v_mov_b32_e32 v5, 0
	ds_load_b32 v5, v5 offset:12
	s_waitcnt lgkmcnt(0)
	v_mul_f32_e32 v5, v23, v5
.LBB5_25:
	s_or_b32 exec_lo, exec_lo, s1
	s_delay_alu instid0(SALU_CYCLE_1)
	s_mov_b32 s1, exec_lo
	s_barrier
	buffer_gl0_inv
	ds_store_b32 v22, v6
	s_waitcnt lgkmcnt(0)
	s_barrier
	buffer_gl0_inv
	v_cmpx_gt_u32_e32 4, v0
	s_cbranch_execz .LBB5_29
; %bb.26:
	v_mov_b32_e32 v21, v1
	v_lshl_add_u32 v24, v0, 2, 32
	v_dual_mov_b32 v23, 0 :: v_dual_mov_b32 v20, v0
	s_mov_b32 s2, 0
	.p2align	6
.LBB5_27:                               ; =>This Inner Loop Header: Depth=1
	s_delay_alu instid0(VALU_DEP_1) | instskip(SKIP_3) | instid1(VALU_DEP_2)
	v_cmp_eq_u32_e32 vcc_lo, 1, v20
	ds_load_b32 v26, v24
	v_dual_cndmask_b32 v25, v2, v3 :: v_dual_add_nc_u32 v24, 4, v24
	v_cmp_eq_u32_e32 vcc_lo, 2, v20
	v_cndmask_b32_e32 v25, v25, v4, vcc_lo
	v_cmp_eq_u32_e32 vcc_lo, 3, v20
	s_delay_alu instid0(VALU_DEP_2) | instskip(SKIP_1) | instid1(VALU_DEP_2)
	v_cndmask_b32_e32 v25, v25, v5, vcc_lo
	v_cmp_eq_u32_e32 vcc_lo, 4, v20
	v_cndmask_b32_e32 v25, v25, v6, vcc_lo
	v_cmp_eq_u32_e32 vcc_lo, 5, v20
	v_add_co_u32 v20, s0, v20, 1
	s_delay_alu instid0(VALU_DEP_1) | instskip(NEXT) | instid1(VALU_DEP_4)
	v_add_co_ci_u32_e64 v21, s0, 0, v21, s0
	v_cndmask_b32_e32 v25, v25, v7, vcc_lo
	s_delay_alu instid0(VALU_DEP_3) | instskip(SKIP_1) | instid1(VALU_DEP_2)
	v_add_nc_u32_e32 v27, -1, v20
	s_waitcnt lgkmcnt(0)
	v_fmac_f32_e32 v23, v25, v26
	s_delay_alu instid0(VALU_DEP_2) | instskip(SKIP_1) | instid1(SALU_CYCLE_1)
	v_cmp_lt_u32_e32 vcc_lo, 2, v27
	s_or_b32 s2, vcc_lo, s2
	s_and_not1_b32 exec_lo, exec_lo, s2
	s_cbranch_execnz .LBB5_27
; %bb.28:
	s_or_b32 exec_lo, exec_lo, s2
	v_mov_b32_e32 v6, 0
	ds_load_b32 v6, v6 offset:16
	s_waitcnt lgkmcnt(0)
	v_mul_f32_e32 v6, v23, v6
.LBB5_29:
	s_or_b32 exec_lo, exec_lo, s1
	s_delay_alu instid0(SALU_CYCLE_1)
	s_mov_b32 s1, exec_lo
	s_barrier
	buffer_gl0_inv
	ds_store_b32 v22, v7
	s_waitcnt lgkmcnt(0)
	s_barrier
	buffer_gl0_inv
	v_cmpx_ne_u32_e32 5, v0
	s_cbranch_execz .LBB5_33
; %bb.30:
	v_dual_mov_b32 v22, 0 :: v_dual_mov_b32 v21, v1
	v_lshl_add_u32 v23, v0, 2, 32
	v_mov_b32_e32 v20, v0
	s_mov_b32 s2, 0
	.p2align	6
.LBB5_31:                               ; =>This Inner Loop Header: Depth=1
	s_delay_alu instid0(VALU_DEP_1) | instskip(SKIP_3) | instid1(VALU_DEP_2)
	v_cmp_eq_u32_e32 vcc_lo, 1, v20
	ds_load_b32 v24, v23
	v_cndmask_b32_e32 v1, v2, v3, vcc_lo
	v_cmp_eq_u32_e32 vcc_lo, 2, v20
	v_cndmask_b32_e32 v1, v1, v4, vcc_lo
	v_cmp_eq_u32_e32 vcc_lo, 3, v20
	s_delay_alu instid0(VALU_DEP_2) | instskip(SKIP_1) | instid1(VALU_DEP_2)
	v_cndmask_b32_e32 v1, v1, v5, vcc_lo
	v_cmp_eq_u32_e32 vcc_lo, 4, v20
	v_cndmask_b32_e32 v1, v1, v6, vcc_lo
	v_cmp_eq_u32_e32 vcc_lo, 5, v20
	v_add_co_u32 v20, s0, v20, 1
	s_delay_alu instid0(VALU_DEP_1) | instskip(NEXT) | instid1(VALU_DEP_4)
	v_add_co_ci_u32_e64 v21, s0, 0, v21, s0
	v_cndmask_b32_e32 v1, v1, v7, vcc_lo
	s_delay_alu instid0(VALU_DEP_3) | instskip(SKIP_1) | instid1(VALU_DEP_2)
	v_add_nc_u32_e32 v25, -1, v20
	s_waitcnt lgkmcnt(0)
	v_dual_fmac_f32 v22, v1, v24 :: v_dual_add_nc_u32 v23, 4, v23
	s_delay_alu instid0(VALU_DEP_2) | instskip(SKIP_1) | instid1(SALU_CYCLE_1)
	v_cmp_lt_u32_e32 vcc_lo, 3, v25
	s_or_b32 s2, vcc_lo, s2
	s_and_not1_b32 exec_lo, exec_lo, s2
	s_cbranch_execnz .LBB5_31
; %bb.32:
	s_or_b32 exec_lo, exec_lo, s2
	v_mov_b32_e32 v1, 0
	ds_load_b32 v1, v1 offset:20
	s_waitcnt lgkmcnt(0)
	v_mul_f32_e32 v7, v22, v1
.LBB5_33:
	s_or_b32 exec_lo, exec_lo, s1
	s_barrier
	buffer_gl0_inv
	s_cbranch_execnz .LBB5_15
	s_branch .LBB5_16
.LBB5_34:
	v_lshl_add_u32 v1, v0, 2, 32
	s_mov_b32 s0, exec_lo
	v_cmpx_eq_u32_e32 5, v0
	s_cbranch_execz .LBB5_36
; %bb.35:
	s_mov_b32 s1, 0
	ds_store_b32 v1, v6
	v_mov_b32_e32 v6, s1
.LBB5_36:
	s_or_b32 exec_lo, exec_lo, s0
	v_mov_b32_e32 v20, 0
	s_waitcnt lgkmcnt(0)
	s_waitcnt_vscnt null, 0x0
	s_barrier
	buffer_gl0_inv
	s_mov_b32 s0, exec_lo
	ds_load_b32 v21, v20 offset:52
	s_waitcnt lgkmcnt(0)
	v_fma_f32 v21, v7, v21, 0
	s_delay_alu instid0(VALU_DEP_1)
	v_sub_f32_e32 v6, v6, v21
	v_cmpx_lt_u32_e32 3, v0
	s_cbranch_execz .LBB5_38
; %bb.37:
	s_mov_b32 s1, 0
	s_delay_alu instid0(VALU_DEP_2)
	v_dual_mov_b32 v26, v7 :: v_dual_mov_b32 v25, v6
	v_dual_mov_b32 v24, v5 :: v_dual_mov_b32 v23, v4
	;; [unrolled: 1-line block ×3, first 2 shown]
	v_mov_b32_e32 v24, s1
	ds_store_b32 v1, v5
	v_dual_mov_b32 v2, v21 :: v_dual_mov_b32 v3, v22
	v_dual_mov_b32 v4, v23 :: v_dual_mov_b32 v5, v24
	;; [unrolled: 1-line block ×3, first 2 shown]
.LBB5_38:
	s_or_b32 exec_lo, exec_lo, s0
	s_waitcnt lgkmcnt(0)
	s_barrier
	buffer_gl0_inv
	ds_load_b64 v[20:21], v20 offset:48
	s_mov_b32 s0, exec_lo
	s_waitcnt lgkmcnt(0)
	v_fma_f32 v20, v6, v20, 0
	s_delay_alu instid0(VALU_DEP_1) | instskip(NEXT) | instid1(VALU_DEP_1)
	v_fmac_f32_e32 v20, v7, v21
	v_sub_f32_e32 v5, v5, v20
	v_cmpx_lt_u32_e32 2, v0
	s_cbranch_execz .LBB5_40
; %bb.39:
	s_mov_b32 s1, 0
	v_dual_mov_b32 v25, v7 :: v_dual_mov_b32 v24, v6
	v_dual_mov_b32 v23, v5 :: v_dual_mov_b32 v22, v4
	;; [unrolled: 1-line block ×3, first 2 shown]
	v_mov_b32_e32 v22, s1
	ds_store_b32 v1, v4
	v_dual_mov_b32 v2, v20 :: v_dual_mov_b32 v3, v21
	v_dual_mov_b32 v4, v22 :: v_dual_mov_b32 v5, v23
	;; [unrolled: 1-line block ×3, first 2 shown]
.LBB5_40:
	s_or_b32 exec_lo, exec_lo, s0
	v_mov_b32_e32 v20, 0
	s_waitcnt lgkmcnt(0)
	s_barrier
	buffer_gl0_inv
	s_mov_b32 s0, exec_lo
	ds_load_2addr_b32 v[21:22], v20 offset0:11 offset1:12
	ds_load_b32 v23, v20 offset:52
	s_waitcnt lgkmcnt(1)
	v_fma_f32 v21, v5, v21, 0
	s_delay_alu instid0(VALU_DEP_1) | instskip(SKIP_1) | instid1(VALU_DEP_1)
	v_fmac_f32_e32 v21, v6, v22
	s_waitcnt lgkmcnt(0)
	v_fmac_f32_e32 v21, v7, v23
	s_delay_alu instid0(VALU_DEP_1)
	v_sub_f32_e32 v4, v4, v21
	v_cmpx_lt_u32_e32 1, v0
	s_cbranch_execz .LBB5_42
; %bb.41:
	s_mov_b32 s1, 0
	v_dual_mov_b32 v26, v7 :: v_dual_mov_b32 v25, v6
	v_dual_mov_b32 v22, v3 :: v_dual_mov_b32 v21, v2
	;; [unrolled: 1-line block ×3, first 2 shown]
	v_mov_b32_e32 v22, s1
	ds_store_b32 v1, v3
	v_dual_mov_b32 v2, v21 :: v_dual_mov_b32 v5, v24
	v_dual_mov_b32 v4, v23 :: v_dual_mov_b32 v3, v22
	;; [unrolled: 1-line block ×3, first 2 shown]
.LBB5_42:
	s_or_b32 exec_lo, exec_lo, s0
	s_waitcnt lgkmcnt(0)
	s_barrier
	buffer_gl0_inv
	ds_load_2addr_b64 v[20:23], v20 offset0:5 offset1:6
	s_mov_b32 s1, 0
	s_mov_b32 s0, exec_lo
	s_waitcnt lgkmcnt(0)
	v_fma_f32 v20, v4, v20, 0
	s_delay_alu instid0(VALU_DEP_1) | instskip(NEXT) | instid1(VALU_DEP_1)
	v_fmac_f32_e32 v20, v5, v21
	v_fmac_f32_e32 v20, v6, v22
	s_delay_alu instid0(VALU_DEP_1) | instskip(NEXT) | instid1(VALU_DEP_1)
	v_fmac_f32_e32 v20, v7, v23
	v_sub_f32_e32 v3, v3, v20
	v_cmpx_ne_u32_e32 0, v0
	s_cbranch_execz .LBB5_44
; %bb.43:
	v_dual_mov_b32 v25, v7 :: v_dual_mov_b32 v24, v6
	s_delay_alu instid0(VALU_DEP_3)
	v_dual_mov_b32 v21, v3 :: v_dual_mov_b32 v20, v2
	v_dual_mov_b32 v20, s1 :: v_dual_mov_b32 v23, v5
	v_mov_b32_e32 v22, v4
	ds_store_b32 v1, v2
	v_dual_mov_b32 v2, v20 :: v_dual_mov_b32 v3, v21
	v_dual_mov_b32 v4, v22 :: v_dual_mov_b32 v5, v23
	;; [unrolled: 1-line block ×3, first 2 shown]
.LBB5_44:
	s_or_b32 exec_lo, exec_lo, s0
	v_mov_b32_e32 v22, 0
	s_waitcnt lgkmcnt(0)
	s_barrier
	buffer_gl0_inv
	s_and_b32 vcc_lo, exec_lo, s16
	ds_load_2addr_b32 v[0:1], v22 offset0:9 offset1:10
	ds_load_2addr_b32 v[20:21], v22 offset0:11 offset1:12
	ds_load_b32 v22, v22 offset:52
	s_waitcnt lgkmcnt(2)
	v_fma_f32 v0, v3, v0, 0
	s_delay_alu instid0(VALU_DEP_1) | instskip(SKIP_1) | instid1(VALU_DEP_1)
	v_fmac_f32_e32 v0, v4, v1
	s_waitcnt lgkmcnt(1)
	v_fmac_f32_e32 v0, v5, v20
	s_delay_alu instid0(VALU_DEP_1) | instskip(SKIP_1) | instid1(VALU_DEP_1)
	v_fmac_f32_e32 v0, v6, v21
	s_waitcnt lgkmcnt(0)
	v_fmac_f32_e32 v0, v7, v22
	s_delay_alu instid0(VALU_DEP_1)
	v_sub_f32_e32 v2, v2, v0
	s_cbranch_vccz .LBB5_56
; %bb.45:
	v_dual_mov_b32 v0, s12 :: v_dual_mov_b32 v1, s13
	s_mov_b32 s4, exec_lo
	flat_load_b32 v0, v[0:1] offset:16
	s_waitcnt vmcnt(0) lgkmcnt(0)
	v_add_nc_u32_e32 v0, -1, v0
	s_delay_alu instid0(VALU_DEP_1)
	v_cmpx_ne_u32_e32 4, v0
	s_cbranch_execz .LBB5_47
; %bb.46:
	v_cmp_eq_u32_e32 vcc_lo, 1, v0
	v_cmp_eq_u32_e64 s0, 2, v0
	v_cmp_eq_u32_e64 s1, 3, v0
	;; [unrolled: 1-line block ×4, first 2 shown]
	v_cndmask_b32_e32 v21, v3, v6, vcc_lo
	v_cndmask_b32_e64 v22, v4, v6, s0
	v_cndmask_b32_e64 v23, v5, v6, s1
	;; [unrolled: 1-line block ×3, first 2 shown]
	v_cndmask_b32_e32 v1, v2, v3, vcc_lo
	v_cmp_eq_u32_e32 vcc_lo, 0, v0
	s_delay_alu instid0(VALU_DEP_2) | instskip(SKIP_1) | instid1(VALU_DEP_2)
	v_cndmask_b32_e64 v1, v1, v4, s0
	v_cndmask_b32_e32 v20, v2, v6, vcc_lo
	v_cndmask_b32_e64 v1, v1, v5, s1
	s_delay_alu instid0(VALU_DEP_1) | instskip(NEXT) | instid1(VALU_DEP_1)
	v_cndmask_b32_e64 v1, v1, v6, s2
	v_cndmask_b32_e64 v1, v1, v7, s3
	s_delay_alu instid0(VALU_DEP_1) | instskip(SKIP_2) | instid1(VALU_DEP_3)
	v_cndmask_b32_e64 v24, v1, v6, s2
	v_dual_mov_b32 v2, v20 :: v_dual_mov_b32 v3, v21
	v_dual_mov_b32 v4, v22 :: v_dual_mov_b32 v5, v23
	v_dual_mov_b32 v6, v24 :: v_dual_mov_b32 v7, v25
.LBB5_47:
	s_or_b32 exec_lo, exec_lo, s4
	v_dual_mov_b32 v0, s12 :: v_dual_mov_b32 v1, s13
	s_mov_b32 s4, exec_lo
	flat_load_b32 v0, v[0:1] offset:12
	s_waitcnt vmcnt(0) lgkmcnt(0)
	v_add_nc_u32_e32 v0, -1, v0
	s_delay_alu instid0(VALU_DEP_1)
	v_cmpx_ne_u32_e32 3, v0
	s_cbranch_execz .LBB5_49
; %bb.48:
	v_cmp_eq_u32_e32 vcc_lo, 1, v0
	v_cmp_eq_u32_e64 s0, 2, v0
	v_cmp_eq_u32_e64 s2, 4, v0
	;; [unrolled: 1-line block ×4, first 2 shown]
	v_cndmask_b32_e32 v21, v3, v5, vcc_lo
	v_cndmask_b32_e64 v22, v4, v5, s0
	v_cndmask_b32_e64 v24, v6, v5, s2
	;; [unrolled: 1-line block ×3, first 2 shown]
	v_cndmask_b32_e32 v1, v2, v3, vcc_lo
	v_cmp_eq_u32_e32 vcc_lo, 0, v0
	s_delay_alu instid0(VALU_DEP_2) | instskip(SKIP_1) | instid1(VALU_DEP_2)
	v_cndmask_b32_e64 v1, v1, v4, s0
	v_cndmask_b32_e32 v20, v2, v5, vcc_lo
	v_cndmask_b32_e64 v1, v1, v5, s1
	s_delay_alu instid0(VALU_DEP_1) | instskip(NEXT) | instid1(VALU_DEP_1)
	v_cndmask_b32_e64 v1, v1, v6, s2
	v_cndmask_b32_e64 v1, v1, v7, s3
	s_delay_alu instid0(VALU_DEP_1) | instskip(SKIP_2) | instid1(VALU_DEP_3)
	v_cndmask_b32_e64 v23, v1, v5, s1
	v_dual_mov_b32 v2, v20 :: v_dual_mov_b32 v3, v21
	v_mov_b32_e32 v4, v22
	v_dual_mov_b32 v6, v24 :: v_dual_mov_b32 v5, v23
	v_mov_b32_e32 v7, v25
.LBB5_49:
	s_or_b32 exec_lo, exec_lo, s4
	v_dual_mov_b32 v0, s12 :: v_dual_mov_b32 v1, s13
	s_mov_b32 s4, exec_lo
	flat_load_b32 v0, v[0:1] offset:8
	s_waitcnt vmcnt(0) lgkmcnt(0)
	v_add_nc_u32_e32 v0, -1, v0
	s_delay_alu instid0(VALU_DEP_1)
	v_cmpx_ne_u32_e32 2, v0
	s_cbranch_execz .LBB5_51
; %bb.50:
	v_cmp_eq_u32_e32 vcc_lo, 1, v0
	v_cmp_eq_u32_e64 s1, 3, v0
	v_cmp_eq_u32_e64 s2, 4, v0
	;; [unrolled: 1-line block ×4, first 2 shown]
	v_cndmask_b32_e32 v21, v3, v4, vcc_lo
	v_cndmask_b32_e64 v23, v5, v4, s1
	v_cndmask_b32_e64 v24, v6, v4, s2
	;; [unrolled: 1-line block ×3, first 2 shown]
	v_cndmask_b32_e32 v1, v2, v3, vcc_lo
	v_cmp_eq_u32_e32 vcc_lo, 0, v0
	s_delay_alu instid0(VALU_DEP_2) | instskip(SKIP_1) | instid1(VALU_DEP_2)
	v_cndmask_b32_e64 v1, v1, v4, s0
	v_cndmask_b32_e32 v20, v2, v4, vcc_lo
	v_cndmask_b32_e64 v1, v1, v5, s1
	s_delay_alu instid0(VALU_DEP_1) | instskip(NEXT) | instid1(VALU_DEP_1)
	v_cndmask_b32_e64 v1, v1, v6, s2
	v_cndmask_b32_e64 v1, v1, v7, s3
	s_delay_alu instid0(VALU_DEP_1) | instskip(SKIP_2) | instid1(VALU_DEP_3)
	v_cndmask_b32_e64 v22, v1, v4, s0
	v_dual_mov_b32 v2, v20 :: v_dual_mov_b32 v3, v21
	v_dual_mov_b32 v5, v23 :: v_dual_mov_b32 v6, v24
	;; [unrolled: 1-line block ×3, first 2 shown]
.LBB5_51:
	s_or_b32 exec_lo, exec_lo, s4
	v_dual_mov_b32 v0, s12 :: v_dual_mov_b32 v1, s13
	s_mov_b32 s4, exec_lo
	flat_load_b32 v0, v[0:1] offset:4
	s_waitcnt vmcnt(0) lgkmcnt(0)
	v_add_nc_u32_e32 v0, -1, v0
	s_delay_alu instid0(VALU_DEP_1)
	v_cmpx_ne_u32_e32 1, v0
	s_cbranch_execz .LBB5_53
; %bb.52:
	v_cmp_eq_u32_e32 vcc_lo, 1, v0
	v_cmp_eq_u32_e64 s0, 2, v0
	v_cmp_eq_u32_e64 s1, 3, v0
	;; [unrolled: 1-line block ×4, first 2 shown]
	s_delay_alu instid0(VALU_DEP_4) | instskip(NEXT) | instid1(VALU_DEP_4)
	v_cndmask_b32_e64 v22, v4, v3, s0
	v_cndmask_b32_e64 v23, v5, v3, s1
	s_delay_alu instid0(VALU_DEP_4) | instskip(NEXT) | instid1(VALU_DEP_4)
	v_cndmask_b32_e64 v24, v6, v3, s2
	v_cndmask_b32_e64 v25, v7, v3, s3
	v_cndmask_b32_e32 v1, v2, v3, vcc_lo
	s_delay_alu instid0(VALU_DEP_1) | instskip(NEXT) | instid1(VALU_DEP_1)
	v_cndmask_b32_e64 v1, v1, v4, s0
	v_cndmask_b32_e64 v1, v1, v5, s1
	s_delay_alu instid0(VALU_DEP_1) | instskip(NEXT) | instid1(VALU_DEP_1)
	v_cndmask_b32_e64 v1, v1, v6, s2
	v_cndmask_b32_e64 v1, v1, v7, s3
	s_delay_alu instid0(VALU_DEP_1) | instskip(SKIP_2) | instid1(VALU_DEP_1)
	v_cndmask_b32_e32 v21, v1, v3, vcc_lo
	v_cmp_eq_u32_e32 vcc_lo, 0, v0
	v_cndmask_b32_e32 v20, v2, v3, vcc_lo
	v_dual_mov_b32 v2, v20 :: v_dual_mov_b32 v3, v21
	v_dual_mov_b32 v4, v22 :: v_dual_mov_b32 v5, v23
	;; [unrolled: 1-line block ×3, first 2 shown]
.LBB5_53:
	s_or_b32 exec_lo, exec_lo, s4
	v_dual_mov_b32 v0, s12 :: v_dual_mov_b32 v1, s13
	s_mov_b32 s4, exec_lo
	flat_load_b32 v0, v[0:1]
	s_waitcnt vmcnt(0) lgkmcnt(0)
	v_add_nc_u32_e32 v0, -1, v0
	s_delay_alu instid0(VALU_DEP_1)
	v_cmpx_ne_u32_e32 0, v0
	s_cbranch_execz .LBB5_55
; %bb.54:
	v_cmp_eq_u32_e32 vcc_lo, 1, v0
	v_cmp_eq_u32_e64 s0, 2, v0
	v_cmp_eq_u32_e64 s1, 3, v0
	;; [unrolled: 1-line block ×4, first 2 shown]
	v_cndmask_b32_e32 v21, v3, v2, vcc_lo
	v_cndmask_b32_e64 v22, v4, v2, s0
	v_cndmask_b32_e64 v23, v5, v2, s1
	;; [unrolled: 1-line block ×4, first 2 shown]
	v_cndmask_b32_e32 v1, v2, v3, vcc_lo
	s_delay_alu instid0(VALU_DEP_1) | instskip(SKIP_1) | instid1(VALU_DEP_2)
	v_cndmask_b32_e64 v1, v1, v4, s0
	v_cmp_eq_u32_e64 s0, 0, v0
	v_cndmask_b32_e64 v1, v1, v5, s1
	s_delay_alu instid0(VALU_DEP_1) | instskip(NEXT) | instid1(VALU_DEP_1)
	v_cndmask_b32_e64 v1, v1, v6, s2
	v_cndmask_b32_e64 v1, v1, v7, s3
	s_delay_alu instid0(VALU_DEP_1) | instskip(NEXT) | instid1(VALU_DEP_1)
	v_cndmask_b32_e64 v20, v1, v2, s0
	v_dual_mov_b32 v2, v20 :: v_dual_mov_b32 v3, v21
	v_dual_mov_b32 v4, v22 :: v_dual_mov_b32 v5, v23
	;; [unrolled: 1-line block ×3, first 2 shown]
.LBB5_55:
	s_or_b32 exec_lo, exec_lo, s4
.LBB5_56:
	s_clause 0x5
	global_store_b32 v[8:9], v2, off
	global_store_b32 v[10:11], v3, off
	;; [unrolled: 1-line block ×6, first 2 shown]
	s_nop 0
	s_sendmsg sendmsg(MSG_DEALLOC_VGPRS)
	s_endpgm
	.section	.rodata,"a",@progbits
	.p2align	6, 0x0
	.amdhsa_kernel _ZN9rocsolver6v33100L18getri_kernel_smallILi6EfPfEEvT1_iilPiilS4_bb
		.amdhsa_group_segment_fixed_size 56
		.amdhsa_private_segment_fixed_size 0
		.amdhsa_kernarg_size 60
		.amdhsa_user_sgpr_count 15
		.amdhsa_user_sgpr_dispatch_ptr 0
		.amdhsa_user_sgpr_queue_ptr 0
		.amdhsa_user_sgpr_kernarg_segment_ptr 1
		.amdhsa_user_sgpr_dispatch_id 0
		.amdhsa_user_sgpr_private_segment_size 0
		.amdhsa_wavefront_size32 1
		.amdhsa_uses_dynamic_stack 0
		.amdhsa_enable_private_segment 0
		.amdhsa_system_sgpr_workgroup_id_x 1
		.amdhsa_system_sgpr_workgroup_id_y 0
		.amdhsa_system_sgpr_workgroup_id_z 0
		.amdhsa_system_sgpr_workgroup_info 0
		.amdhsa_system_vgpr_workitem_id 0
		.amdhsa_next_free_vgpr 28
		.amdhsa_next_free_sgpr 18
		.amdhsa_reserve_vcc 1
		.amdhsa_float_round_mode_32 0
		.amdhsa_float_round_mode_16_64 0
		.amdhsa_float_denorm_mode_32 3
		.amdhsa_float_denorm_mode_16_64 3
		.amdhsa_dx10_clamp 1
		.amdhsa_ieee_mode 1
		.amdhsa_fp16_overflow 0
		.amdhsa_workgroup_processor_mode 1
		.amdhsa_memory_ordered 1
		.amdhsa_forward_progress 0
		.amdhsa_shared_vgpr_count 0
		.amdhsa_exception_fp_ieee_invalid_op 0
		.amdhsa_exception_fp_denorm_src 0
		.amdhsa_exception_fp_ieee_div_zero 0
		.amdhsa_exception_fp_ieee_overflow 0
		.amdhsa_exception_fp_ieee_underflow 0
		.amdhsa_exception_fp_ieee_inexact 0
		.amdhsa_exception_int_div_zero 0
	.end_amdhsa_kernel
	.section	.text._ZN9rocsolver6v33100L18getri_kernel_smallILi6EfPfEEvT1_iilPiilS4_bb,"axG",@progbits,_ZN9rocsolver6v33100L18getri_kernel_smallILi6EfPfEEvT1_iilPiilS4_bb,comdat
.Lfunc_end5:
	.size	_ZN9rocsolver6v33100L18getri_kernel_smallILi6EfPfEEvT1_iilPiilS4_bb, .Lfunc_end5-_ZN9rocsolver6v33100L18getri_kernel_smallILi6EfPfEEvT1_iilPiilS4_bb
                                        ; -- End function
	.section	.AMDGPU.csdata,"",@progbits
; Kernel info:
; codeLenInByte = 3676
; NumSgprs: 20
; NumVgprs: 28
; ScratchSize: 0
; MemoryBound: 0
; FloatMode: 240
; IeeeMode: 1
; LDSByteSize: 56 bytes/workgroup (compile time only)
; SGPRBlocks: 2
; VGPRBlocks: 3
; NumSGPRsForWavesPerEU: 20
; NumVGPRsForWavesPerEU: 28
; Occupancy: 16
; WaveLimiterHint : 0
; COMPUTE_PGM_RSRC2:SCRATCH_EN: 0
; COMPUTE_PGM_RSRC2:USER_SGPR: 15
; COMPUTE_PGM_RSRC2:TRAP_HANDLER: 0
; COMPUTE_PGM_RSRC2:TGID_X_EN: 1
; COMPUTE_PGM_RSRC2:TGID_Y_EN: 0
; COMPUTE_PGM_RSRC2:TGID_Z_EN: 0
; COMPUTE_PGM_RSRC2:TIDIG_COMP_CNT: 0
	.section	.text._ZN9rocsolver6v33100L18getri_kernel_smallILi7EfPfEEvT1_iilPiilS4_bb,"axG",@progbits,_ZN9rocsolver6v33100L18getri_kernel_smallILi7EfPfEEvT1_iilPiilS4_bb,comdat
	.globl	_ZN9rocsolver6v33100L18getri_kernel_smallILi7EfPfEEvT1_iilPiilS4_bb ; -- Begin function _ZN9rocsolver6v33100L18getri_kernel_smallILi7EfPfEEvT1_iilPiilS4_bb
	.p2align	8
	.type	_ZN9rocsolver6v33100L18getri_kernel_smallILi7EfPfEEvT1_iilPiilS4_bb,@function
_ZN9rocsolver6v33100L18getri_kernel_smallILi7EfPfEEvT1_iilPiilS4_bb: ; @_ZN9rocsolver6v33100L18getri_kernel_smallILi7EfPfEEvT1_iilPiilS4_bb
; %bb.0:
	s_mov_b32 s2, exec_lo
	v_cmpx_gt_u32_e32 7, v0
	s_cbranch_execz .LBB6_16
; %bb.1:
	s_clause 0x2
	s_load_b32 s17, s[0:1], 0x38
	s_load_b128 s[8:11], s[0:1], 0x10
	s_load_b128 s[4:7], s[0:1], 0x28
	s_mov_b32 s14, s15
                                        ; implicit-def: $sgpr12_sgpr13
	s_waitcnt lgkmcnt(0)
	s_bitcmp1_b32 s17, 8
	s_cselect_b32 s16, -1, 0
	s_bfe_u32 s2, s17, 0x10008
	s_ashr_i32 s15, s15, 31
	s_cmp_eq_u32 s2, 0
	s_cbranch_scc1 .LBB6_3
; %bb.2:
	s_load_b32 s2, s[0:1], 0x20
	s_mul_i32 s3, s14, s5
	s_mul_hi_u32 s5, s14, s4
	s_mul_i32 s12, s15, s4
	s_add_i32 s3, s5, s3
	s_mul_i32 s4, s14, s4
	s_add_i32 s5, s3, s12
	s_delay_alu instid0(SALU_CYCLE_1)
	s_lshl_b64 s[4:5], s[4:5], 2
	s_waitcnt lgkmcnt(0)
	s_ashr_i32 s3, s2, 31
	s_add_u32 s4, s10, s4
	s_addc_u32 s5, s11, s5
	s_lshl_b64 s[2:3], s[2:3], 2
	s_delay_alu instid0(SALU_CYCLE_1)
	s_add_u32 s12, s4, s2
	s_addc_u32 s13, s5, s3
.LBB6_3:
	s_load_b128 s[0:3], s[0:1], 0x0
	s_mul_i32 s4, s14, s9
	s_mul_hi_u32 s5, s14, s8
	s_mul_i32 s9, s15, s8
	s_add_i32 s5, s5, s4
	s_mul_i32 s4, s14, s8
	s_add_i32 s5, s5, s9
	v_lshlrev_b32_e32 v23, 2, v0
	s_lshl_b64 s[4:5], s[4:5], 2
	s_waitcnt lgkmcnt(0)
	v_add3_u32 v1, s3, s3, v0
	s_ashr_i32 s9, s2, 31
	s_mov_b32 s8, s2
	s_add_u32 s2, s0, s4
	s_addc_u32 s5, s1, s5
	v_add_nc_u32_e32 v3, s3, v1
	s_lshl_b64 s[0:1], s[8:9], 2
	v_ashrrev_i32_e32 v2, 31, v1
	s_add_u32 s0, s2, s0
	s_addc_u32 s1, s5, s1
	v_add_co_u32 v9, s2, s0, v23
	v_add_nc_u32_e32 v5, s3, v3
	s_mov_b32 s4, s3
	s_ashr_i32 s5, s3, 31
	v_add_co_ci_u32_e64 v10, null, s1, 0, s2
	v_lshlrev_b64 v[1:2], 2, v[1:2]
	s_lshl_b64 s[4:5], s[4:5], 2
	v_ashrrev_i32_e32 v4, 31, v3
	v_add_co_u32 v11, vcc_lo, v9, s4
	v_ashrrev_i32_e32 v6, 31, v5
	v_add_nc_u32_e32 v7, s3, v5
	v_add_co_ci_u32_e32 v12, vcc_lo, s5, v10, vcc_lo
	v_add_co_u32 v13, vcc_lo, s0, v1
	v_lshlrev_b64 v[3:4], 2, v[3:4]
	v_add_co_ci_u32_e32 v14, vcc_lo, s1, v2, vcc_lo
	v_lshlrev_b64 v[1:2], 2, v[5:6]
	v_add_nc_u32_e32 v5, s3, v7
	v_ashrrev_i32_e32 v8, 31, v7
	v_add_co_u32 v15, vcc_lo, s0, v3
	v_add_co_ci_u32_e32 v16, vcc_lo, s1, v4, vcc_lo
	s_delay_alu instid0(VALU_DEP_4) | instskip(NEXT) | instid1(VALU_DEP_4)
	v_ashrrev_i32_e32 v6, 31, v5
	v_lshlrev_b64 v[3:4], 2, v[7:8]
	v_add_co_u32 v17, vcc_lo, s0, v1
	v_add_co_ci_u32_e32 v18, vcc_lo, s1, v2, vcc_lo
	s_delay_alu instid0(VALU_DEP_4) | instskip(NEXT) | instid1(VALU_DEP_4)
	v_lshlrev_b64 v[1:2], 2, v[5:6]
	v_add_co_u32 v19, vcc_lo, s0, v3
	v_add_co_ci_u32_e32 v20, vcc_lo, s1, v4, vcc_lo
	s_bitcmp0_b32 s17, 0
	s_delay_alu instid0(VALU_DEP_3) | instskip(NEXT) | instid1(VALU_DEP_4)
	v_add_co_u32 v21, vcc_lo, s0, v1
	v_add_co_ci_u32_e32 v22, vcc_lo, s1, v2, vcc_lo
	s_clause 0x6
	global_load_b32 v3, v[11:12], off
	global_load_b32 v4, v[13:14], off
	global_load_b32 v5, v[15:16], off
	global_load_b32 v6, v[17:18], off
	global_load_b32 v7, v[19:20], off
	global_load_b32 v2, v23, s[0:1]
	global_load_b32 v8, v[21:22], off
	v_mov_b32_e32 v1, 0
	s_mov_b32 s0, -1
	s_cbranch_scc1 .LBB6_14
; %bb.4:
	v_cmp_eq_u32_e64 s0, 0, v0
	s_delay_alu instid0(VALU_DEP_1)
	s_and_saveexec_b32 s1, s0
	s_cbranch_execz .LBB6_6
; %bb.5:
	v_mov_b32_e32 v24, 0
	ds_store_b32 v24, v24 offset:28
.LBB6_6:
	s_or_b32 exec_lo, exec_lo, s1
	v_cmp_eq_u32_e32 vcc_lo, 1, v0
	s_mov_b32 s2, exec_lo
	s_waitcnt vmcnt(0) lgkmcnt(0)
	s_barrier
	buffer_gl0_inv
	v_cndmask_b32_e32 v24, v2, v3, vcc_lo
	v_cmp_eq_u32_e32 vcc_lo, 2, v0
	s_delay_alu instid0(VALU_DEP_2) | instskip(SKIP_1) | instid1(VALU_DEP_2)
	v_cndmask_b32_e32 v24, v24, v4, vcc_lo
	v_cmp_eq_u32_e32 vcc_lo, 3, v0
	v_cndmask_b32_e32 v24, v24, v5, vcc_lo
	v_cmp_eq_u32_e32 vcc_lo, 4, v0
	s_delay_alu instid0(VALU_DEP_2) | instskip(SKIP_1) | instid1(VALU_DEP_2)
	v_cndmask_b32_e32 v24, v24, v6, vcc_lo
	v_cmp_eq_u32_e32 vcc_lo, 5, v0
	v_cndmask_b32_e32 v24, v24, v7, vcc_lo
	v_cmp_eq_u32_e32 vcc_lo, 6, v0
	s_delay_alu instid0(VALU_DEP_2) | instskip(NEXT) | instid1(VALU_DEP_1)
	v_cndmask_b32_e32 v24, v24, v8, vcc_lo
	v_cmpx_eq_f32_e32 0, v24
	s_cbranch_execz .LBB6_10
; %bb.7:
	v_mov_b32_e32 v25, 0
	ds_load_b32 v26, v25 offset:28
	s_waitcnt lgkmcnt(0)
	v_readfirstlane_b32 s1, v26
	v_add_nc_u32_e32 v26, 1, v0
	s_delay_alu instid0(VALU_DEP_2) | instskip(NEXT) | instid1(VALU_DEP_1)
	s_cmp_eq_u32 s1, 0
	v_cmp_gt_i32_e32 vcc_lo, s1, v26
	s_cselect_b32 s3, -1, 0
	s_delay_alu instid0(SALU_CYCLE_1) | instskip(NEXT) | instid1(SALU_CYCLE_1)
	s_or_b32 s3, s3, vcc_lo
	s_and_b32 exec_lo, exec_lo, s3
	s_cbranch_execz .LBB6_10
; %bb.8:
	v_mov_b32_e32 v27, s1
	s_mov_b32 s3, 0
.LBB6_9:                                ; =>This Inner Loop Header: Depth=1
	ds_cmpstore_rtn_b32 v27, v25, v26, v27 offset:28
	s_waitcnt lgkmcnt(0)
	v_cmp_ne_u32_e32 vcc_lo, 0, v27
	v_cmp_le_i32_e64 s1, v27, v26
	s_delay_alu instid0(VALU_DEP_1) | instskip(NEXT) | instid1(SALU_CYCLE_1)
	s_and_b32 s1, vcc_lo, s1
	s_and_b32 s1, exec_lo, s1
	s_delay_alu instid0(SALU_CYCLE_1) | instskip(NEXT) | instid1(SALU_CYCLE_1)
	s_or_b32 s3, s1, s3
	s_and_not1_b32 exec_lo, exec_lo, s3
	s_cbranch_execnz .LBB6_9
.LBB6_10:
	s_or_b32 exec_lo, exec_lo, s2
	v_mov_b32_e32 v25, 0
	s_barrier
	buffer_gl0_inv
	ds_load_b32 v26, v25 offset:28
	s_and_saveexec_b32 s1, s0
	s_cbranch_execz .LBB6_12
; %bb.11:
	s_lshl_b64 s[2:3], s[14:15], 2
	s_delay_alu instid0(SALU_CYCLE_1)
	s_add_u32 s2, s6, s2
	s_addc_u32 s3, s7, s3
	s_waitcnt lgkmcnt(0)
	global_store_b32 v25, v26, s[2:3]
.LBB6_12:
	s_or_b32 exec_lo, exec_lo, s1
	s_waitcnt lgkmcnt(0)
	v_cmp_ne_u32_e32 vcc_lo, 0, v26
	s_cbranch_vccz .LBB6_17
; %bb.13:
	s_mov_b32 s0, 0
                                        ; implicit-def: $vgpr2_vgpr3_vgpr4_vgpr5_vgpr6_vgpr7_vgpr8
.LBB6_14:
	s_delay_alu instid0(SALU_CYCLE_1)
	s_and_b32 vcc_lo, exec_lo, s0
	s_cbranch_vccz .LBB6_16
.LBB6_15:
	s_lshl_b64 s[0:1], s[14:15], 2
	v_mov_b32_e32 v1, 0
	s_add_u32 s0, s6, s0
	s_addc_u32 s1, s7, s1
	global_load_b32 v1, v1, s[0:1]
	s_waitcnt vmcnt(0)
	v_cmp_ne_u32_e32 vcc_lo, 0, v1
	s_cbranch_vccz .LBB6_38
.LBB6_16:
	s_nop 0
	s_sendmsg sendmsg(MSG_DEALLOC_VGPRS)
	s_endpgm
.LBB6_17:
	v_div_scale_f32 v25, null, v24, v24, 1.0
	v_div_scale_f32 v28, vcc_lo, 1.0, v24, 1.0
	s_delay_alu instid0(VALU_DEP_2) | instskip(SKIP_2) | instid1(VALU_DEP_1)
	v_rcp_f32_e32 v26, v25
	s_waitcnt_depctr 0xfff
	v_fma_f32 v27, -v25, v26, 1.0
	v_fmac_f32_e32 v26, v27, v26
	s_delay_alu instid0(VALU_DEP_1) | instskip(NEXT) | instid1(VALU_DEP_1)
	v_mul_f32_e32 v27, v28, v26
	v_fma_f32 v29, -v25, v27, v28
	s_delay_alu instid0(VALU_DEP_1) | instskip(NEXT) | instid1(VALU_DEP_1)
	v_fmac_f32_e32 v27, v29, v26
	v_fma_f32 v25, -v25, v27, v28
	s_delay_alu instid0(VALU_DEP_1) | instskip(SKIP_1) | instid1(VALU_DEP_2)
	v_div_fmas_f32 v25, v25, v26, v27
	v_cmp_eq_u32_e32 vcc_lo, 6, v0
	v_div_fixup_f32 v24, v25, v24, 1.0
	s_delay_alu instid0(VALU_DEP_1)
	v_dual_cndmask_b32 v8, v8, v24 :: v_dual_add_nc_u32 v25, 32, v23
	v_cmp_eq_u32_e32 vcc_lo, 5, v0
	v_xor_b32_e32 v26, 0x80000000, v24
	v_cndmask_b32_e32 v7, v7, v24, vcc_lo
	v_cmp_eq_u32_e32 vcc_lo, 4, v0
	v_cndmask_b32_e32 v6, v6, v24, vcc_lo
	v_cmp_eq_u32_e32 vcc_lo, 3, v0
	;; [unrolled: 2-line block ×4, first 2 shown]
	ds_store_2addr_b32 v23, v26, v3 offset1:8
	v_cndmask_b32_e32 v4, v4, v24, vcc_lo
	v_cmp_eq_u32_e32 vcc_lo, 0, v0
	s_waitcnt lgkmcnt(0)
	s_waitcnt_vscnt null, 0x0
	s_barrier
	buffer_gl0_inv
	v_cndmask_b32_e32 v2, v2, v24, vcc_lo
	s_and_saveexec_b32 s1, s0
	s_cbranch_execz .LBB6_19
; %bb.18:
	v_mov_b32_e32 v3, 0
	ds_load_b32 v23, v25
	ds_load_b32 v3, v3 offset:4
	s_waitcnt lgkmcnt(1)
	v_fma_f32 v23, v24, v23, 0
	s_waitcnt lgkmcnt(0)
	s_delay_alu instid0(VALU_DEP_1)
	v_mul_f32_e32 v3, v23, v3
.LBB6_19:
	s_or_b32 exec_lo, exec_lo, s1
	s_delay_alu instid0(SALU_CYCLE_1)
	s_mov_b32 s1, exec_lo
	s_barrier
	buffer_gl0_inv
	ds_store_b32 v25, v4
	s_waitcnt lgkmcnt(0)
	s_barrier
	buffer_gl0_inv
	v_cmpx_gt_u32_e32 2, v0
	s_cbranch_execz .LBB6_21
; %bb.20:
	v_cmp_eq_u32_e32 vcc_lo, 1, v0
	ds_load_b32 v26, v25
	v_cndmask_b32_e32 v23, v2, v3, vcc_lo
	v_cmp_eq_u32_e32 vcc_lo, 2, v0
	s_delay_alu instid0(VALU_DEP_2) | instskip(SKIP_4) | instid1(VALU_DEP_2)
	v_dual_cndmask_b32 v4, v23, v4 :: v_dual_mov_b32 v23, 0
	v_cmp_eq_u32_e32 vcc_lo, 3, v0
	ds_load_2addr_b32 v[23:24], v23 offset0:2 offset1:9
	v_cndmask_b32_e32 v4, v4, v5, vcc_lo
	v_cmp_eq_u32_e32 vcc_lo, 4, v0
	v_cndmask_b32_e32 v4, v4, v6, vcc_lo
	v_cmp_eq_u32_e32 vcc_lo, 5, v0
	s_delay_alu instid0(VALU_DEP_2) | instskip(SKIP_1) | instid1(VALU_DEP_2)
	v_cndmask_b32_e32 v4, v4, v7, vcc_lo
	v_cmp_eq_u32_e32 vcc_lo, 6, v0
	v_cndmask_b32_e32 v4, v4, v8, vcc_lo
	s_waitcnt lgkmcnt(1)
	s_delay_alu instid0(VALU_DEP_1) | instskip(SKIP_1) | instid1(VALU_DEP_1)
	v_fma_f32 v4, v4, v26, 0
	s_waitcnt lgkmcnt(0)
	v_fma_f32 v24, v3, v24, v4
	s_delay_alu instid0(VALU_DEP_1) | instskip(NEXT) | instid1(VALU_DEP_1)
	v_cndmask_b32_e64 v4, v4, v24, s0
	v_mul_f32_e32 v4, v4, v23
.LBB6_21:
	s_or_b32 exec_lo, exec_lo, s1
	s_delay_alu instid0(SALU_CYCLE_1)
	s_mov_b32 s1, exec_lo
	s_barrier
	buffer_gl0_inv
	ds_store_b32 v25, v5
	s_waitcnt lgkmcnt(0)
	s_barrier
	buffer_gl0_inv
	v_cmpx_gt_u32_e32 3, v0
	s_cbranch_execz .LBB6_25
; %bb.22:
	v_mov_b32_e32 v24, v1
	v_lshl_add_u32 v27, v0, 2, 32
	v_dual_mov_b32 v26, 0 :: v_dual_mov_b32 v23, v0
	s_mov_b32 s2, 0
	.p2align	6
.LBB6_23:                               ; =>This Inner Loop Header: Depth=1
	s_delay_alu instid0(VALU_DEP_1) | instskip(SKIP_4) | instid1(VALU_DEP_2)
	v_cmp_eq_u32_e32 vcc_lo, 1, v23
	ds_load_b32 v29, v27
	v_add_nc_u32_e32 v27, 4, v27
	v_cndmask_b32_e32 v28, v2, v3, vcc_lo
	v_cmp_eq_u32_e32 vcc_lo, 2, v23
	v_cndmask_b32_e32 v28, v28, v4, vcc_lo
	v_cmp_eq_u32_e32 vcc_lo, 3, v23
	s_delay_alu instid0(VALU_DEP_2) | instskip(SKIP_1) | instid1(VALU_DEP_2)
	v_cndmask_b32_e32 v28, v28, v5, vcc_lo
	v_cmp_eq_u32_e32 vcc_lo, 4, v23
	v_cndmask_b32_e32 v28, v28, v6, vcc_lo
	v_cmp_eq_u32_e32 vcc_lo, 5, v23
	s_delay_alu instid0(VALU_DEP_2) | instskip(SKIP_2) | instid1(VALU_DEP_1)
	v_cndmask_b32_e32 v28, v28, v7, vcc_lo
	v_cmp_eq_u32_e32 vcc_lo, 6, v23
	v_add_co_u32 v23, s0, v23, 1
	v_add_co_ci_u32_e64 v24, s0, 0, v24, s0
	s_delay_alu instid0(VALU_DEP_4) | instskip(NEXT) | instid1(VALU_DEP_3)
	v_cndmask_b32_e32 v28, v28, v8, vcc_lo
	v_add_nc_u32_e32 v30, -1, v23
	s_waitcnt lgkmcnt(0)
	s_delay_alu instid0(VALU_DEP_2) | instskip(NEXT) | instid1(VALU_DEP_2)
	v_fmac_f32_e32 v26, v28, v29
	v_cmp_lt_u32_e32 vcc_lo, 1, v30
	s_or_b32 s2, vcc_lo, s2
	s_delay_alu instid0(SALU_CYCLE_1)
	s_and_not1_b32 exec_lo, exec_lo, s2
	s_cbranch_execnz .LBB6_23
; %bb.24:
	s_or_b32 exec_lo, exec_lo, s2
	v_mov_b32_e32 v5, 0
	ds_load_b32 v5, v5 offset:12
	s_waitcnt lgkmcnt(0)
	v_mul_f32_e32 v5, v26, v5
.LBB6_25:
	s_or_b32 exec_lo, exec_lo, s1
	s_delay_alu instid0(SALU_CYCLE_1)
	s_mov_b32 s1, exec_lo
	s_barrier
	buffer_gl0_inv
	ds_store_b32 v25, v6
	s_waitcnt lgkmcnt(0)
	s_barrier
	buffer_gl0_inv
	v_cmpx_gt_u32_e32 4, v0
	s_cbranch_execz .LBB6_29
; %bb.26:
	v_mov_b32_e32 v24, v1
	v_lshl_add_u32 v27, v0, 2, 32
	v_dual_mov_b32 v26, 0 :: v_dual_mov_b32 v23, v0
	s_mov_b32 s2, 0
	.p2align	6
.LBB6_27:                               ; =>This Inner Loop Header: Depth=1
	s_delay_alu instid0(VALU_DEP_1) | instskip(SKIP_4) | instid1(VALU_DEP_2)
	v_cmp_eq_u32_e32 vcc_lo, 1, v23
	ds_load_b32 v29, v27
	v_add_nc_u32_e32 v27, 4, v27
	v_cndmask_b32_e32 v28, v2, v3, vcc_lo
	v_cmp_eq_u32_e32 vcc_lo, 2, v23
	v_cndmask_b32_e32 v28, v28, v4, vcc_lo
	v_cmp_eq_u32_e32 vcc_lo, 3, v23
	s_delay_alu instid0(VALU_DEP_2) | instskip(SKIP_1) | instid1(VALU_DEP_2)
	v_cndmask_b32_e32 v28, v28, v5, vcc_lo
	v_cmp_eq_u32_e32 vcc_lo, 4, v23
	v_cndmask_b32_e32 v28, v28, v6, vcc_lo
	v_cmp_eq_u32_e32 vcc_lo, 5, v23
	s_delay_alu instid0(VALU_DEP_2) | instskip(SKIP_2) | instid1(VALU_DEP_1)
	v_cndmask_b32_e32 v28, v28, v7, vcc_lo
	v_cmp_eq_u32_e32 vcc_lo, 6, v23
	v_add_co_u32 v23, s0, v23, 1
	v_add_co_ci_u32_e64 v24, s0, 0, v24, s0
	s_delay_alu instid0(VALU_DEP_4) | instskip(NEXT) | instid1(VALU_DEP_3)
	v_cndmask_b32_e32 v28, v28, v8, vcc_lo
	v_add_nc_u32_e32 v30, -1, v23
	s_waitcnt lgkmcnt(0)
	s_delay_alu instid0(VALU_DEP_2) | instskip(NEXT) | instid1(VALU_DEP_2)
	v_fmac_f32_e32 v26, v28, v29
	v_cmp_lt_u32_e32 vcc_lo, 2, v30
	s_or_b32 s2, vcc_lo, s2
	s_delay_alu instid0(SALU_CYCLE_1)
	s_and_not1_b32 exec_lo, exec_lo, s2
	s_cbranch_execnz .LBB6_27
; %bb.28:
	s_or_b32 exec_lo, exec_lo, s2
	v_mov_b32_e32 v6, 0
	ds_load_b32 v6, v6 offset:16
	s_waitcnt lgkmcnt(0)
	v_mul_f32_e32 v6, v26, v6
.LBB6_29:
	s_or_b32 exec_lo, exec_lo, s1
	s_delay_alu instid0(SALU_CYCLE_1)
	s_mov_b32 s1, exec_lo
	s_barrier
	buffer_gl0_inv
	ds_store_b32 v25, v7
	s_waitcnt lgkmcnt(0)
	s_barrier
	buffer_gl0_inv
	v_cmpx_gt_u32_e32 5, v0
	s_cbranch_execz .LBB6_33
; %bb.30:
	v_mov_b32_e32 v24, v1
	v_lshl_add_u32 v27, v0, 2, 32
	v_dual_mov_b32 v26, 0 :: v_dual_mov_b32 v23, v0
	s_mov_b32 s2, 0
	.p2align	6
.LBB6_31:                               ; =>This Inner Loop Header: Depth=1
	s_delay_alu instid0(VALU_DEP_1) | instskip(SKIP_4) | instid1(VALU_DEP_2)
	v_cmp_eq_u32_e32 vcc_lo, 1, v23
	ds_load_b32 v29, v27
	v_add_nc_u32_e32 v27, 4, v27
	v_cndmask_b32_e32 v28, v2, v3, vcc_lo
	v_cmp_eq_u32_e32 vcc_lo, 2, v23
	v_cndmask_b32_e32 v28, v28, v4, vcc_lo
	v_cmp_eq_u32_e32 vcc_lo, 3, v23
	s_delay_alu instid0(VALU_DEP_2) | instskip(SKIP_1) | instid1(VALU_DEP_2)
	v_cndmask_b32_e32 v28, v28, v5, vcc_lo
	v_cmp_eq_u32_e32 vcc_lo, 4, v23
	v_cndmask_b32_e32 v28, v28, v6, vcc_lo
	v_cmp_eq_u32_e32 vcc_lo, 5, v23
	s_delay_alu instid0(VALU_DEP_2) | instskip(SKIP_2) | instid1(VALU_DEP_1)
	v_cndmask_b32_e32 v28, v28, v7, vcc_lo
	v_cmp_eq_u32_e32 vcc_lo, 6, v23
	v_add_co_u32 v23, s0, v23, 1
	v_add_co_ci_u32_e64 v24, s0, 0, v24, s0
	s_delay_alu instid0(VALU_DEP_4) | instskip(NEXT) | instid1(VALU_DEP_3)
	v_cndmask_b32_e32 v28, v28, v8, vcc_lo
	v_add_nc_u32_e32 v30, -1, v23
	s_waitcnt lgkmcnt(0)
	s_delay_alu instid0(VALU_DEP_2) | instskip(NEXT) | instid1(VALU_DEP_2)
	v_fmac_f32_e32 v26, v28, v29
	v_cmp_lt_u32_e32 vcc_lo, 3, v30
	s_or_b32 s2, vcc_lo, s2
	s_delay_alu instid0(SALU_CYCLE_1)
	s_and_not1_b32 exec_lo, exec_lo, s2
	s_cbranch_execnz .LBB6_31
; %bb.32:
	s_or_b32 exec_lo, exec_lo, s2
	v_mov_b32_e32 v7, 0
	ds_load_b32 v7, v7 offset:20
	s_waitcnt lgkmcnt(0)
	v_mul_f32_e32 v7, v26, v7
.LBB6_33:
	s_or_b32 exec_lo, exec_lo, s1
	s_delay_alu instid0(SALU_CYCLE_1)
	s_mov_b32 s1, exec_lo
	s_barrier
	buffer_gl0_inv
	ds_store_b32 v25, v8
	s_waitcnt lgkmcnt(0)
	s_barrier
	buffer_gl0_inv
	v_cmpx_ne_u32_e32 6, v0
	s_cbranch_execz .LBB6_37
; %bb.34:
	v_dual_mov_b32 v25, 0 :: v_dual_mov_b32 v24, v1
	v_lshl_add_u32 v26, v0, 2, 32
	v_mov_b32_e32 v23, v0
	s_mov_b32 s2, 0
	.p2align	6
.LBB6_35:                               ; =>This Inner Loop Header: Depth=1
	s_delay_alu instid0(VALU_DEP_1) | instskip(SKIP_3) | instid1(VALU_DEP_2)
	v_cmp_eq_u32_e32 vcc_lo, 1, v23
	ds_load_b32 v27, v26
	v_dual_cndmask_b32 v1, v2, v3 :: v_dual_add_nc_u32 v26, 4, v26
	v_cmp_eq_u32_e32 vcc_lo, 2, v23
	v_cndmask_b32_e32 v1, v1, v4, vcc_lo
	v_cmp_eq_u32_e32 vcc_lo, 3, v23
	s_delay_alu instid0(VALU_DEP_2) | instskip(SKIP_1) | instid1(VALU_DEP_2)
	v_cndmask_b32_e32 v1, v1, v5, vcc_lo
	v_cmp_eq_u32_e32 vcc_lo, 4, v23
	v_cndmask_b32_e32 v1, v1, v6, vcc_lo
	v_cmp_eq_u32_e32 vcc_lo, 5, v23
	s_delay_alu instid0(VALU_DEP_2) | instskip(SKIP_2) | instid1(VALU_DEP_1)
	v_cndmask_b32_e32 v1, v1, v7, vcc_lo
	v_cmp_eq_u32_e32 vcc_lo, 6, v23
	v_add_co_u32 v23, s0, v23, 1
	v_add_co_ci_u32_e64 v24, s0, 0, v24, s0
	s_delay_alu instid0(VALU_DEP_2) | instskip(SKIP_1) | instid1(VALU_DEP_1)
	v_dual_cndmask_b32 v1, v1, v8 :: v_dual_add_nc_u32 v28, -1, v23
	s_waitcnt lgkmcnt(0)
	v_fmac_f32_e32 v25, v1, v27
	s_delay_alu instid0(VALU_DEP_2) | instskip(SKIP_1) | instid1(SALU_CYCLE_1)
	v_cmp_lt_u32_e32 vcc_lo, 4, v28
	s_or_b32 s2, vcc_lo, s2
	s_and_not1_b32 exec_lo, exec_lo, s2
	s_cbranch_execnz .LBB6_35
; %bb.36:
	s_or_b32 exec_lo, exec_lo, s2
	v_mov_b32_e32 v1, 0
	ds_load_b32 v1, v1 offset:24
	s_waitcnt lgkmcnt(0)
	v_mul_f32_e32 v8, v25, v1
.LBB6_37:
	s_or_b32 exec_lo, exec_lo, s1
	s_barrier
	buffer_gl0_inv
	s_cbranch_execnz .LBB6_15
	s_branch .LBB6_16
.LBB6_38:
	v_lshl_add_u32 v1, v0, 2, 32
	s_mov_b32 s0, exec_lo
	v_cmpx_eq_u32_e32 6, v0
	s_cbranch_execz .LBB6_40
; %bb.39:
	s_mov_b32 s1, 0
	ds_store_b32 v1, v7
	v_mov_b32_e32 v7, s1
.LBB6_40:
	s_or_b32 exec_lo, exec_lo, s0
	v_mov_b32_e32 v23, 0
	s_waitcnt lgkmcnt(0)
	s_waitcnt_vscnt null, 0x0
	s_barrier
	buffer_gl0_inv
	s_mov_b32 s0, exec_lo
	ds_load_b32 v24, v23 offset:56
	s_waitcnt lgkmcnt(0)
	v_fma_f32 v24, v8, v24, 0
	s_delay_alu instid0(VALU_DEP_1)
	v_sub_f32_e32 v7, v7, v24
	v_cmpx_lt_u32_e32 4, v0
	s_cbranch_execz .LBB6_42
; %bb.41:
	s_mov_b32 s1, 0
	s_delay_alu instid0(VALU_DEP_2)
	v_dual_mov_b32 v30, v8 :: v_dual_mov_b32 v29, v7
	v_dual_mov_b32 v28, v6 :: v_dual_mov_b32 v27, v5
	v_mov_b32_e32 v24, v2
	v_dual_mov_b32 v26, v4 :: v_dual_mov_b32 v25, v3
	v_mov_b32_e32 v28, s1
	ds_store_b32 v1, v6
	v_mov_b32_e32 v2, v24
	v_dual_mov_b32 v4, v26 :: v_dual_mov_b32 v5, v27
	v_dual_mov_b32 v3, v25 :: v_dual_mov_b32 v6, v28
	;; [unrolled: 1-line block ×3, first 2 shown]
.LBB6_42:
	s_or_b32 exec_lo, exec_lo, s0
	s_waitcnt lgkmcnt(0)
	s_barrier
	buffer_gl0_inv
	ds_load_2addr_b32 v[23:24], v23 offset0:13 offset1:14
	s_mov_b32 s0, exec_lo
	s_waitcnt lgkmcnt(0)
	v_fma_f32 v23, v7, v23, 0
	s_delay_alu instid0(VALU_DEP_1) | instskip(NEXT) | instid1(VALU_DEP_1)
	v_fmac_f32_e32 v23, v8, v24
	v_sub_f32_e32 v6, v6, v23
	v_cmpx_lt_u32_e32 3, v0
	s_cbranch_execz .LBB6_44
; %bb.43:
	s_mov_b32 s1, 0
	v_dual_mov_b32 v29, v8 :: v_dual_mov_b32 v28, v7
	v_dual_mov_b32 v27, v6 :: v_dual_mov_b32 v26, v5
	;; [unrolled: 1-line block ×4, first 2 shown]
	ds_store_b32 v1, v5
	v_dual_mov_b32 v2, v23 :: v_dual_mov_b32 v5, v26
	v_dual_mov_b32 v4, v25 :: v_dual_mov_b32 v3, v24
	;; [unrolled: 1-line block ×3, first 2 shown]
	v_mov_b32_e32 v8, v29
.LBB6_44:
	s_or_b32 exec_lo, exec_lo, s0
	v_mov_b32_e32 v23, 0
	s_waitcnt lgkmcnt(0)
	s_barrier
	buffer_gl0_inv
	s_mov_b32 s0, exec_lo
	ds_load_b96 v[24:26], v23 offset:48
	s_waitcnt lgkmcnt(0)
	v_fma_f32 v24, v6, v24, 0
	s_delay_alu instid0(VALU_DEP_1) | instskip(NEXT) | instid1(VALU_DEP_1)
	v_fmac_f32_e32 v24, v7, v25
	v_fmac_f32_e32 v24, v8, v26
	s_delay_alu instid0(VALU_DEP_1)
	v_sub_f32_e32 v5, v5, v24
	v_cmpx_lt_u32_e32 2, v0
	s_cbranch_execz .LBB6_46
; %bb.45:
	s_mov_b32 s1, 0
	v_dual_mov_b32 v30, v8 :: v_dual_mov_b32 v29, v7
	v_dual_mov_b32 v26, v4 :: v_dual_mov_b32 v25, v3
	v_mov_b32_e32 v24, v2
	v_dual_mov_b32 v28, v6 :: v_dual_mov_b32 v27, v5
	v_mov_b32_e32 v26, s1
	ds_store_b32 v1, v4
	v_dual_mov_b32 v2, v24 :: v_dual_mov_b32 v3, v25
	v_dual_mov_b32 v5, v27 :: v_dual_mov_b32 v4, v26
	;; [unrolled: 1-line block ×3, first 2 shown]
	v_mov_b32_e32 v8, v30
.LBB6_46:
	s_or_b32 exec_lo, exec_lo, s0
	s_waitcnt lgkmcnt(0)
	s_barrier
	buffer_gl0_inv
	ds_load_2addr_b32 v[24:25], v23 offset0:11 offset1:12
	ds_load_2addr_b32 v[26:27], v23 offset0:13 offset1:14
	s_mov_b32 s0, exec_lo
	s_waitcnt lgkmcnt(1)
	v_fma_f32 v23, v5, v24, 0
	s_delay_alu instid0(VALU_DEP_1) | instskip(SKIP_1) | instid1(VALU_DEP_1)
	v_fmac_f32_e32 v23, v6, v25
	s_waitcnt lgkmcnt(0)
	v_fmac_f32_e32 v23, v7, v26
	s_delay_alu instid0(VALU_DEP_1) | instskip(NEXT) | instid1(VALU_DEP_1)
	v_fmac_f32_e32 v23, v8, v27
	v_sub_f32_e32 v4, v4, v23
	v_cmpx_lt_u32_e32 1, v0
	s_cbranch_execz .LBB6_48
; %bb.47:
	s_mov_b32 s1, 0
	v_dual_mov_b32 v29, v8 :: v_dual_mov_b32 v28, v7
	v_dual_mov_b32 v25, v4 :: v_dual_mov_b32 v24, v3
	;; [unrolled: 1-line block ×4, first 2 shown]
	ds_store_b32 v1, v3
	v_dual_mov_b32 v2, v23 :: v_dual_mov_b32 v3, v24
	v_dual_mov_b32 v4, v25 :: v_dual_mov_b32 v5, v26
	;; [unrolled: 1-line block ×3, first 2 shown]
	v_mov_b32_e32 v8, v29
.LBB6_48:
	s_or_b32 exec_lo, exec_lo, s0
	v_mov_b32_e32 v23, 0
	s_waitcnt lgkmcnt(0)
	s_barrier
	buffer_gl0_inv
	s_mov_b32 s1, 0
	ds_load_2addr_b64 v[24:27], v23 offset0:5 offset1:6
	ds_load_b32 v28, v23 offset:56
	s_mov_b32 s0, exec_lo
	s_waitcnt lgkmcnt(1)
	v_fma_f32 v24, v4, v24, 0
	s_delay_alu instid0(VALU_DEP_1) | instskip(NEXT) | instid1(VALU_DEP_1)
	v_fmac_f32_e32 v24, v5, v25
	v_fmac_f32_e32 v24, v6, v26
	s_delay_alu instid0(VALU_DEP_1) | instskip(SKIP_1) | instid1(VALU_DEP_1)
	v_fmac_f32_e32 v24, v7, v27
	s_waitcnt lgkmcnt(0)
	v_fmac_f32_e32 v24, v8, v28
	s_delay_alu instid0(VALU_DEP_1)
	v_sub_f32_e32 v3, v3, v24
	v_cmpx_ne_u32_e32 0, v0
	s_cbranch_execz .LBB6_50
; %bb.49:
	v_dual_mov_b32 v30, v8 :: v_dual_mov_b32 v29, v7
	v_mov_b32_e32 v24, v2
	v_mov_b32_e32 v24, s1
	v_dual_mov_b32 v28, v6 :: v_dual_mov_b32 v27, v5
	v_dual_mov_b32 v26, v4 :: v_dual_mov_b32 v25, v3
	ds_store_b32 v1, v2
	v_dual_mov_b32 v2, v24 :: v_dual_mov_b32 v5, v27
	v_dual_mov_b32 v4, v26 :: v_dual_mov_b32 v3, v25
	;; [unrolled: 1-line block ×3, first 2 shown]
	v_mov_b32_e32 v8, v30
.LBB6_50:
	s_or_b32 exec_lo, exec_lo, s0
	s_waitcnt lgkmcnt(0)
	s_barrier
	buffer_gl0_inv
	ds_load_2addr_b32 v[0:1], v23 offset0:9 offset1:10
	ds_load_2addr_b32 v[24:25], v23 offset0:11 offset1:12
	;; [unrolled: 1-line block ×3, first 2 shown]
	s_and_b32 vcc_lo, exec_lo, s16
	s_waitcnt lgkmcnt(2)
	v_fma_f32 v0, v3, v0, 0
	s_delay_alu instid0(VALU_DEP_1) | instskip(SKIP_1) | instid1(VALU_DEP_1)
	v_fmac_f32_e32 v0, v4, v1
	s_waitcnt lgkmcnt(1)
	v_fmac_f32_e32 v0, v5, v24
	s_delay_alu instid0(VALU_DEP_1) | instskip(SKIP_1) | instid1(VALU_DEP_1)
	v_fmac_f32_e32 v0, v6, v25
	s_waitcnt lgkmcnt(0)
	v_fmac_f32_e32 v0, v7, v26
	s_delay_alu instid0(VALU_DEP_1) | instskip(NEXT) | instid1(VALU_DEP_1)
	v_fmac_f32_e32 v0, v8, v27
	v_sub_f32_e32 v2, v2, v0
	s_cbranch_vccz .LBB6_64
; %bb.51:
	v_dual_mov_b32 v0, s12 :: v_dual_mov_b32 v1, s13
	s_mov_b32 s4, exec_lo
	flat_load_b32 v0, v[0:1] offset:20
	s_waitcnt vmcnt(0) lgkmcnt(0)
	v_add_nc_u32_e32 v0, -1, v0
	s_delay_alu instid0(VALU_DEP_1)
	v_cmpx_ne_u32_e32 5, v0
	s_cbranch_execz .LBB6_53
; %bb.52:
	v_cmp_eq_u32_e32 vcc_lo, 1, v0
	v_cmp_eq_u32_e64 s0, 2, v0
	v_cmp_eq_u32_e64 s1, 3, v0
	;; [unrolled: 1-line block ×4, first 2 shown]
	v_cndmask_b32_e32 v24, v3, v7, vcc_lo
	v_cndmask_b32_e64 v25, v4, v7, s0
	v_cndmask_b32_e64 v26, v5, v7, s1
	;; [unrolled: 1-line block ×3, first 2 shown]
	v_cndmask_b32_e32 v1, v2, v3, vcc_lo
	v_cmp_eq_u32_e32 vcc_lo, 0, v0
	s_delay_alu instid0(VALU_DEP_2) | instskip(SKIP_2) | instid1(VALU_DEP_3)
	v_cndmask_b32_e64 v1, v1, v4, s0
	v_cmp_eq_u32_e64 s0, 6, v0
	v_cndmask_b32_e32 v23, v2, v7, vcc_lo
	v_cndmask_b32_e64 v1, v1, v5, s1
	s_delay_alu instid0(VALU_DEP_3) | instskip(NEXT) | instid1(VALU_DEP_2)
	v_cndmask_b32_e64 v29, v8, v7, s0
	v_cndmask_b32_e64 v1, v1, v6, s2
	s_delay_alu instid0(VALU_DEP_1) | instskip(NEXT) | instid1(VALU_DEP_1)
	v_cndmask_b32_e64 v1, v1, v7, s3
	v_cndmask_b32_e64 v1, v1, v8, s0
	s_delay_alu instid0(VALU_DEP_1) | instskip(SKIP_2) | instid1(VALU_DEP_3)
	v_cndmask_b32_e64 v28, v1, v7, s3
	v_dual_mov_b32 v2, v23 :: v_dual_mov_b32 v3, v24
	v_dual_mov_b32 v4, v25 :: v_dual_mov_b32 v5, v26
	;; [unrolled: 1-line block ×3, first 2 shown]
	v_mov_b32_e32 v8, v29
.LBB6_53:
	s_or_b32 exec_lo, exec_lo, s4
	v_dual_mov_b32 v0, s12 :: v_dual_mov_b32 v1, s13
	s_mov_b32 s4, exec_lo
	flat_load_b32 v0, v[0:1] offset:16
	s_waitcnt vmcnt(0) lgkmcnt(0)
	v_add_nc_u32_e32 v0, -1, v0
	s_delay_alu instid0(VALU_DEP_1)
	v_cmpx_ne_u32_e32 4, v0
	s_cbranch_execz .LBB6_55
; %bb.54:
	v_cmp_eq_u32_e32 vcc_lo, 1, v0
	v_cmp_eq_u32_e64 s0, 2, v0
	v_cmp_eq_u32_e64 s1, 3, v0
	;; [unrolled: 1-line block ×4, first 2 shown]
	v_dual_cndmask_b32 v1, v2, v3 :: v_dual_cndmask_b32 v24, v3, v6
	v_cndmask_b32_e64 v25, v4, v6, s0
	v_cmp_eq_u32_e32 vcc_lo, 0, v0
	v_cndmask_b32_e64 v26, v5, v6, s1
	s_delay_alu instid0(VALU_DEP_4) | instskip(SKIP_3) | instid1(VALU_DEP_4)
	v_cndmask_b32_e64 v1, v1, v4, s0
	v_cmp_eq_u32_e64 s0, 6, v0
	v_cndmask_b32_e64 v28, v7, v6, s3
	v_cndmask_b32_e32 v23, v2, v6, vcc_lo
	v_cndmask_b32_e64 v1, v1, v5, s1
	s_delay_alu instid0(VALU_DEP_4) | instskip(NEXT) | instid1(VALU_DEP_2)
	v_cndmask_b32_e64 v29, v8, v6, s0
	v_cndmask_b32_e64 v1, v1, v6, s2
	s_delay_alu instid0(VALU_DEP_1) | instskip(NEXT) | instid1(VALU_DEP_1)
	v_cndmask_b32_e64 v1, v1, v7, s3
	v_cndmask_b32_e64 v1, v1, v8, s0
	s_delay_alu instid0(VALU_DEP_1) | instskip(SKIP_2) | instid1(VALU_DEP_3)
	v_cndmask_b32_e64 v27, v1, v6, s2
	v_dual_mov_b32 v2, v23 :: v_dual_mov_b32 v3, v24
	v_dual_mov_b32 v4, v25 :: v_dual_mov_b32 v5, v26
	;; [unrolled: 1-line block ×3, first 2 shown]
	v_mov_b32_e32 v8, v29
.LBB6_55:
	s_or_b32 exec_lo, exec_lo, s4
	v_dual_mov_b32 v0, s12 :: v_dual_mov_b32 v1, s13
	s_mov_b32 s4, exec_lo
	flat_load_b32 v0, v[0:1] offset:12
	s_waitcnt vmcnt(0) lgkmcnt(0)
	v_add_nc_u32_e32 v0, -1, v0
	s_delay_alu instid0(VALU_DEP_1)
	v_cmpx_ne_u32_e32 3, v0
	s_cbranch_execz .LBB6_57
; %bb.56:
	v_cmp_eq_u32_e32 vcc_lo, 1, v0
	v_cmp_eq_u32_e64 s0, 2, v0
	v_cmp_eq_u32_e64 s1, 3, v0
	;; [unrolled: 1-line block ×4, first 2 shown]
	v_dual_cndmask_b32 v1, v2, v3 :: v_dual_cndmask_b32 v24, v3, v5
	v_cndmask_b32_e64 v25, v4, v5, s0
	v_cmp_eq_u32_e32 vcc_lo, 0, v0
	v_cndmask_b32_e64 v27, v6, v5, s2
	s_delay_alu instid0(VALU_DEP_4) | instskip(SKIP_3) | instid1(VALU_DEP_4)
	v_cndmask_b32_e64 v1, v1, v4, s0
	v_cmp_eq_u32_e64 s0, 6, v0
	v_cndmask_b32_e64 v28, v7, v5, s3
	v_cndmask_b32_e32 v23, v2, v5, vcc_lo
	v_cndmask_b32_e64 v1, v1, v5, s1
	s_delay_alu instid0(VALU_DEP_4) | instskip(NEXT) | instid1(VALU_DEP_2)
	v_cndmask_b32_e64 v29, v8, v5, s0
	v_cndmask_b32_e64 v1, v1, v6, s2
	s_delay_alu instid0(VALU_DEP_1) | instskip(NEXT) | instid1(VALU_DEP_1)
	v_cndmask_b32_e64 v1, v1, v7, s3
	v_cndmask_b32_e64 v1, v1, v8, s0
	s_delay_alu instid0(VALU_DEP_1) | instskip(SKIP_3) | instid1(VALU_DEP_4)
	v_cndmask_b32_e64 v26, v1, v5, s1
	v_dual_mov_b32 v2, v23 :: v_dual_mov_b32 v3, v24
	v_mov_b32_e32 v4, v25
	v_dual_mov_b32 v6, v27 :: v_dual_mov_b32 v7, v28
	v_dual_mov_b32 v5, v26 :: v_dual_mov_b32 v8, v29
.LBB6_57:
	s_or_b32 exec_lo, exec_lo, s4
	v_dual_mov_b32 v0, s12 :: v_dual_mov_b32 v1, s13
	s_mov_b32 s4, exec_lo
	flat_load_b32 v0, v[0:1] offset:8
	s_waitcnt vmcnt(0) lgkmcnt(0)
	v_add_nc_u32_e32 v0, -1, v0
	s_delay_alu instid0(VALU_DEP_1)
	v_cmpx_ne_u32_e32 2, v0
	s_cbranch_execz .LBB6_59
; %bb.58:
	v_cmp_eq_u32_e32 vcc_lo, 1, v0
	v_cmp_eq_u32_e64 s0, 2, v0
	v_cmp_eq_u32_e64 s1, 3, v0
	;; [unrolled: 1-line block ×4, first 2 shown]
	v_dual_cndmask_b32 v1, v2, v3 :: v_dual_cndmask_b32 v24, v3, v4
	v_cmp_eq_u32_e32 vcc_lo, 6, v0
	v_cndmask_b32_e64 v26, v5, v4, s1
	v_cndmask_b32_e64 v27, v6, v4, s2
	s_delay_alu instid0(VALU_DEP_4) | instskip(SKIP_2) | instid1(VALU_DEP_3)
	v_cndmask_b32_e64 v1, v1, v4, s0
	v_cndmask_b32_e64 v28, v7, v4, s3
	v_cndmask_b32_e32 v29, v8, v4, vcc_lo
	v_cndmask_b32_e64 v1, v1, v5, s1
	s_delay_alu instid0(VALU_DEP_1) | instskip(NEXT) | instid1(VALU_DEP_1)
	v_cndmask_b32_e64 v1, v1, v6, s2
	v_cndmask_b32_e64 v1, v1, v7, s3
	s_delay_alu instid0(VALU_DEP_1) | instskip(SKIP_1) | instid1(VALU_DEP_2)
	v_cndmask_b32_e32 v1, v1, v8, vcc_lo
	v_cmp_eq_u32_e32 vcc_lo, 0, v0
	v_cndmask_b32_e64 v25, v1, v4, s0
	v_cndmask_b32_e32 v23, v2, v4, vcc_lo
	s_delay_alu instid0(VALU_DEP_1) | instskip(NEXT) | instid1(VALU_DEP_3)
	v_dual_mov_b32 v2, v23 :: v_dual_mov_b32 v3, v24
	v_dual_mov_b32 v4, v25 :: v_dual_mov_b32 v5, v26
	;; [unrolled: 1-line block ×3, first 2 shown]
	v_mov_b32_e32 v8, v29
.LBB6_59:
	s_or_b32 exec_lo, exec_lo, s4
	v_dual_mov_b32 v0, s12 :: v_dual_mov_b32 v1, s13
	s_mov_b32 s4, exec_lo
	flat_load_b32 v0, v[0:1] offset:4
	s_waitcnt vmcnt(0) lgkmcnt(0)
	v_add_nc_u32_e32 v0, -1, v0
	s_delay_alu instid0(VALU_DEP_1)
	v_cmpx_ne_u32_e32 1, v0
	s_cbranch_execz .LBB6_61
; %bb.60:
	v_cmp_eq_u32_e32 vcc_lo, 1, v0
	v_cmp_eq_u32_e64 s0, 2, v0
	v_cmp_eq_u32_e64 s1, 3, v0
	;; [unrolled: 1-line block ×4, first 2 shown]
	s_delay_alu instid0(VALU_DEP_4) | instskip(NEXT) | instid1(VALU_DEP_4)
	v_cndmask_b32_e64 v25, v4, v3, s0
	v_cndmask_b32_e64 v26, v5, v3, s1
	s_delay_alu instid0(VALU_DEP_4) | instskip(NEXT) | instid1(VALU_DEP_4)
	v_cndmask_b32_e64 v27, v6, v3, s2
	v_cndmask_b32_e64 v28, v7, v3, s3
	v_cndmask_b32_e32 v1, v2, v3, vcc_lo
	s_delay_alu instid0(VALU_DEP_1) | instskip(SKIP_1) | instid1(VALU_DEP_2)
	v_cndmask_b32_e64 v1, v1, v4, s0
	v_cmp_eq_u32_e64 s0, 6, v0
	v_cndmask_b32_e64 v1, v1, v5, s1
	s_delay_alu instid0(VALU_DEP_2) | instskip(NEXT) | instid1(VALU_DEP_2)
	v_cndmask_b32_e64 v29, v8, v3, s0
	v_cndmask_b32_e64 v1, v1, v6, s2
	s_delay_alu instid0(VALU_DEP_1) | instskip(NEXT) | instid1(VALU_DEP_1)
	v_cndmask_b32_e64 v1, v1, v7, s3
	v_cndmask_b32_e64 v1, v1, v8, s0
	s_delay_alu instid0(VALU_DEP_1) | instskip(SKIP_2) | instid1(VALU_DEP_1)
	v_cndmask_b32_e32 v24, v1, v3, vcc_lo
	v_cmp_eq_u32_e32 vcc_lo, 0, v0
	v_cndmask_b32_e32 v23, v2, v3, vcc_lo
	v_dual_mov_b32 v2, v23 :: v_dual_mov_b32 v3, v24
	v_dual_mov_b32 v4, v25 :: v_dual_mov_b32 v5, v26
	;; [unrolled: 1-line block ×3, first 2 shown]
	v_mov_b32_e32 v8, v29
.LBB6_61:
	s_or_b32 exec_lo, exec_lo, s4
	v_dual_mov_b32 v0, s12 :: v_dual_mov_b32 v1, s13
	s_mov_b32 s4, exec_lo
	flat_load_b32 v0, v[0:1]
	s_waitcnt vmcnt(0) lgkmcnt(0)
	v_add_nc_u32_e32 v0, -1, v0
	s_delay_alu instid0(VALU_DEP_1)
	v_cmpx_ne_u32_e32 0, v0
	s_cbranch_execz .LBB6_63
; %bb.62:
	v_cmp_eq_u32_e32 vcc_lo, 1, v0
	v_cmp_eq_u32_e64 s0, 2, v0
	v_cmp_eq_u32_e64 s1, 3, v0
	;; [unrolled: 1-line block ×4, first 2 shown]
	v_dual_cndmask_b32 v1, v2, v3 :: v_dual_cndmask_b32 v24, v3, v2
	v_cndmask_b32_e64 v25, v4, v2, s0
	v_cndmask_b32_e64 v26, v5, v2, s1
	;; [unrolled: 1-line block ×3, first 2 shown]
	s_delay_alu instid0(VALU_DEP_4) | instskip(SKIP_2) | instid1(VALU_DEP_3)
	v_cndmask_b32_e64 v1, v1, v4, s0
	v_cmp_eq_u32_e64 s0, 6, v0
	v_cndmask_b32_e64 v28, v7, v2, s3
	v_cndmask_b32_e64 v1, v1, v5, s1
	s_delay_alu instid0(VALU_DEP_3) | instskip(NEXT) | instid1(VALU_DEP_2)
	v_cndmask_b32_e64 v29, v8, v2, s0
	v_cndmask_b32_e64 v1, v1, v6, s2
	s_delay_alu instid0(VALU_DEP_1) | instskip(NEXT) | instid1(VALU_DEP_1)
	v_cndmask_b32_e64 v1, v1, v7, s3
	v_cndmask_b32_e64 v1, v1, v8, s0
	v_cmp_eq_u32_e64 s0, 0, v0
	s_delay_alu instid0(VALU_DEP_1) | instskip(NEXT) | instid1(VALU_DEP_1)
	v_cndmask_b32_e64 v23, v1, v2, s0
	v_dual_mov_b32 v2, v23 :: v_dual_mov_b32 v3, v24
	v_dual_mov_b32 v4, v25 :: v_dual_mov_b32 v5, v26
	v_dual_mov_b32 v6, v27 :: v_dual_mov_b32 v7, v28
	v_mov_b32_e32 v8, v29
.LBB6_63:
	s_or_b32 exec_lo, exec_lo, s4
.LBB6_64:
	s_clause 0x6
	global_store_b32 v[9:10], v2, off
	global_store_b32 v[11:12], v3, off
	;; [unrolled: 1-line block ×7, first 2 shown]
	s_nop 0
	s_sendmsg sendmsg(MSG_DEALLOC_VGPRS)
	s_endpgm
	.section	.rodata,"a",@progbits
	.p2align	6, 0x0
	.amdhsa_kernel _ZN9rocsolver6v33100L18getri_kernel_smallILi7EfPfEEvT1_iilPiilS4_bb
		.amdhsa_group_segment_fixed_size 60
		.amdhsa_private_segment_fixed_size 0
		.amdhsa_kernarg_size 60
		.amdhsa_user_sgpr_count 15
		.amdhsa_user_sgpr_dispatch_ptr 0
		.amdhsa_user_sgpr_queue_ptr 0
		.amdhsa_user_sgpr_kernarg_segment_ptr 1
		.amdhsa_user_sgpr_dispatch_id 0
		.amdhsa_user_sgpr_private_segment_size 0
		.amdhsa_wavefront_size32 1
		.amdhsa_uses_dynamic_stack 0
		.amdhsa_enable_private_segment 0
		.amdhsa_system_sgpr_workgroup_id_x 1
		.amdhsa_system_sgpr_workgroup_id_y 0
		.amdhsa_system_sgpr_workgroup_id_z 0
		.amdhsa_system_sgpr_workgroup_info 0
		.amdhsa_system_vgpr_workitem_id 0
		.amdhsa_next_free_vgpr 31
		.amdhsa_next_free_sgpr 18
		.amdhsa_reserve_vcc 1
		.amdhsa_float_round_mode_32 0
		.amdhsa_float_round_mode_16_64 0
		.amdhsa_float_denorm_mode_32 3
		.amdhsa_float_denorm_mode_16_64 3
		.amdhsa_dx10_clamp 1
		.amdhsa_ieee_mode 1
		.amdhsa_fp16_overflow 0
		.amdhsa_workgroup_processor_mode 1
		.amdhsa_memory_ordered 1
		.amdhsa_forward_progress 0
		.amdhsa_shared_vgpr_count 0
		.amdhsa_exception_fp_ieee_invalid_op 0
		.amdhsa_exception_fp_denorm_src 0
		.amdhsa_exception_fp_ieee_div_zero 0
		.amdhsa_exception_fp_ieee_overflow 0
		.amdhsa_exception_fp_ieee_underflow 0
		.amdhsa_exception_fp_ieee_inexact 0
		.amdhsa_exception_int_div_zero 0
	.end_amdhsa_kernel
	.section	.text._ZN9rocsolver6v33100L18getri_kernel_smallILi7EfPfEEvT1_iilPiilS4_bb,"axG",@progbits,_ZN9rocsolver6v33100L18getri_kernel_smallILi7EfPfEEvT1_iilPiilS4_bb,comdat
.Lfunc_end6:
	.size	_ZN9rocsolver6v33100L18getri_kernel_smallILi7EfPfEEvT1_iilPiilS4_bb, .Lfunc_end6-_ZN9rocsolver6v33100L18getri_kernel_smallILi7EfPfEEvT1_iilPiilS4_bb
                                        ; -- End function
	.section	.AMDGPU.csdata,"",@progbits
; Kernel info:
; codeLenInByte = 4592
; NumSgprs: 20
; NumVgprs: 31
; ScratchSize: 0
; MemoryBound: 0
; FloatMode: 240
; IeeeMode: 1
; LDSByteSize: 60 bytes/workgroup (compile time only)
; SGPRBlocks: 2
; VGPRBlocks: 3
; NumSGPRsForWavesPerEU: 20
; NumVGPRsForWavesPerEU: 31
; Occupancy: 16
; WaveLimiterHint : 0
; COMPUTE_PGM_RSRC2:SCRATCH_EN: 0
; COMPUTE_PGM_RSRC2:USER_SGPR: 15
; COMPUTE_PGM_RSRC2:TRAP_HANDLER: 0
; COMPUTE_PGM_RSRC2:TGID_X_EN: 1
; COMPUTE_PGM_RSRC2:TGID_Y_EN: 0
; COMPUTE_PGM_RSRC2:TGID_Z_EN: 0
; COMPUTE_PGM_RSRC2:TIDIG_COMP_CNT: 0
	.section	.text._ZN9rocsolver6v33100L18getri_kernel_smallILi8EfPfEEvT1_iilPiilS4_bb,"axG",@progbits,_ZN9rocsolver6v33100L18getri_kernel_smallILi8EfPfEEvT1_iilPiilS4_bb,comdat
	.globl	_ZN9rocsolver6v33100L18getri_kernel_smallILi8EfPfEEvT1_iilPiilS4_bb ; -- Begin function _ZN9rocsolver6v33100L18getri_kernel_smallILi8EfPfEEvT1_iilPiilS4_bb
	.p2align	8
	.type	_ZN9rocsolver6v33100L18getri_kernel_smallILi8EfPfEEvT1_iilPiilS4_bb,@function
_ZN9rocsolver6v33100L18getri_kernel_smallILi8EfPfEEvT1_iilPiilS4_bb: ; @_ZN9rocsolver6v33100L18getri_kernel_smallILi8EfPfEEvT1_iilPiilS4_bb
; %bb.0:
	s_mov_b32 s2, exec_lo
	v_cmpx_gt_u32_e32 8, v0
	s_cbranch_execz .LBB7_16
; %bb.1:
	s_clause 0x2
	s_load_b32 s17, s[0:1], 0x38
	s_load_b128 s[8:11], s[0:1], 0x10
	s_load_b128 s[4:7], s[0:1], 0x28
	s_mov_b32 s14, s15
                                        ; implicit-def: $sgpr12_sgpr13
	s_waitcnt lgkmcnt(0)
	s_bitcmp1_b32 s17, 8
	s_cselect_b32 s16, -1, 0
	s_bfe_u32 s2, s17, 0x10008
	s_ashr_i32 s15, s15, 31
	s_cmp_eq_u32 s2, 0
	s_cbranch_scc1 .LBB7_3
; %bb.2:
	s_load_b32 s2, s[0:1], 0x20
	s_mul_i32 s3, s14, s5
	s_mul_hi_u32 s5, s14, s4
	s_mul_i32 s12, s15, s4
	s_add_i32 s3, s5, s3
	s_mul_i32 s4, s14, s4
	s_add_i32 s5, s3, s12
	s_delay_alu instid0(SALU_CYCLE_1)
	s_lshl_b64 s[4:5], s[4:5], 2
	s_waitcnt lgkmcnt(0)
	s_ashr_i32 s3, s2, 31
	s_add_u32 s4, s10, s4
	s_addc_u32 s5, s11, s5
	s_lshl_b64 s[2:3], s[2:3], 2
	s_delay_alu instid0(SALU_CYCLE_1)
	s_add_u32 s12, s4, s2
	s_addc_u32 s13, s5, s3
.LBB7_3:
	s_load_b128 s[0:3], s[0:1], 0x0
	s_mul_i32 s4, s14, s9
	s_mul_hi_u32 s5, s14, s8
	s_mul_i32 s9, s15, s8
	s_add_i32 s5, s5, s4
	s_mul_i32 s4, s14, s8
	s_add_i32 s5, s5, s9
	v_lshlrev_b32_e32 v26, 2, v0
	s_lshl_b64 s[4:5], s[4:5], 2
	s_waitcnt lgkmcnt(0)
	v_add3_u32 v1, s3, s3, v0
	s_ashr_i32 s9, s2, 31
	s_mov_b32 s8, s2
	s_add_u32 s2, s0, s4
	s_addc_u32 s5, s1, s5
	v_add_nc_u32_e32 v3, s3, v1
	s_lshl_b64 s[0:1], s[8:9], 2
	v_ashrrev_i32_e32 v2, 31, v1
	s_add_u32 s0, s2, s0
	s_addc_u32 s1, s5, s1
	v_add_co_u32 v10, s2, s0, v26
	v_add_nc_u32_e32 v5, s3, v3
	s_mov_b32 s4, s3
	s_ashr_i32 s5, s3, 31
	v_add_co_ci_u32_e64 v11, null, s1, 0, s2
	v_lshlrev_b64 v[1:2], 2, v[1:2]
	v_ashrrev_i32_e32 v4, 31, v3
	s_lshl_b64 s[4:5], s[4:5], 2
	v_ashrrev_i32_e32 v6, 31, v5
	v_add_co_u32 v12, vcc_lo, v10, s4
	v_add_nc_u32_e32 v7, s3, v5
	v_add_co_ci_u32_e32 v13, vcc_lo, s5, v11, vcc_lo
	v_lshlrev_b64 v[3:4], 2, v[3:4]
	v_add_co_u32 v14, vcc_lo, s0, v1
	v_add_co_ci_u32_e32 v15, vcc_lo, s1, v2, vcc_lo
	v_lshlrev_b64 v[1:2], 2, v[5:6]
	v_ashrrev_i32_e32 v8, 31, v7
	v_add_nc_u32_e32 v5, s3, v7
	v_add_co_u32 v16, vcc_lo, s0, v3
	v_add_co_ci_u32_e32 v17, vcc_lo, s1, v4, vcc_lo
	s_delay_alu instid0(VALU_DEP_4) | instskip(NEXT) | instid1(VALU_DEP_4)
	v_lshlrev_b64 v[3:4], 2, v[7:8]
	v_add_nc_u32_e32 v7, s3, v5
	v_ashrrev_i32_e32 v6, 31, v5
	v_add_co_u32 v18, vcc_lo, s0, v1
	v_add_co_ci_u32_e32 v19, vcc_lo, s1, v2, vcc_lo
	s_delay_alu instid0(VALU_DEP_4) | instskip(NEXT) | instid1(VALU_DEP_4)
	v_ashrrev_i32_e32 v8, 31, v7
	v_lshlrev_b64 v[1:2], 2, v[5:6]
	v_add_co_u32 v20, vcc_lo, s0, v3
	v_add_co_ci_u32_e32 v21, vcc_lo, s1, v4, vcc_lo
	s_delay_alu instid0(VALU_DEP_4) | instskip(NEXT) | instid1(VALU_DEP_4)
	v_lshlrev_b64 v[3:4], 2, v[7:8]
	v_add_co_u32 v22, vcc_lo, s0, v1
	v_mov_b32_e32 v1, 0
	v_add_co_ci_u32_e32 v23, vcc_lo, s1, v2, vcc_lo
	s_delay_alu instid0(VALU_DEP_4)
	v_add_co_u32 v24, vcc_lo, s0, v3
	v_add_co_ci_u32_e32 v25, vcc_lo, s1, v4, vcc_lo
	s_clause 0x7
	global_load_b32 v3, v[12:13], off
	global_load_b32 v4, v[14:15], off
	;; [unrolled: 1-line block ×6, first 2 shown]
	global_load_b32 v2, v26, s[0:1]
	global_load_b32 v9, v[24:25], off
	s_bitcmp0_b32 s17, 0
	s_mov_b32 s0, -1
	s_cbranch_scc1 .LBB7_14
; %bb.4:
	v_cmp_eq_u32_e64 s0, 0, v0
	s_delay_alu instid0(VALU_DEP_1)
	s_and_saveexec_b32 s1, s0
	s_cbranch_execz .LBB7_6
; %bb.5:
	v_mov_b32_e32 v27, 0
	ds_store_b32 v27, v27 offset:64
.LBB7_6:
	s_or_b32 exec_lo, exec_lo, s1
	v_cmp_eq_u32_e32 vcc_lo, 1, v0
	s_mov_b32 s2, exec_lo
	s_waitcnt vmcnt(0) lgkmcnt(0)
	s_barrier
	buffer_gl0_inv
	v_cndmask_b32_e32 v27, v2, v3, vcc_lo
	v_cmp_eq_u32_e32 vcc_lo, 2, v0
	s_delay_alu instid0(VALU_DEP_2) | instskip(SKIP_1) | instid1(VALU_DEP_2)
	v_cndmask_b32_e32 v27, v27, v4, vcc_lo
	v_cmp_eq_u32_e32 vcc_lo, 3, v0
	v_cndmask_b32_e32 v27, v27, v5, vcc_lo
	v_cmp_eq_u32_e32 vcc_lo, 4, v0
	s_delay_alu instid0(VALU_DEP_2) | instskip(SKIP_1) | instid1(VALU_DEP_2)
	v_cndmask_b32_e32 v27, v27, v6, vcc_lo
	v_cmp_eq_u32_e32 vcc_lo, 5, v0
	;; [unrolled: 5-line block ×3, first 2 shown]
	v_cndmask_b32_e32 v27, v27, v9, vcc_lo
	s_delay_alu instid0(VALU_DEP_1)
	v_cmpx_eq_f32_e32 0, v27
	s_cbranch_execz .LBB7_10
; %bb.7:
	v_mov_b32_e32 v28, 0
	ds_load_b32 v29, v28 offset:64
	s_waitcnt lgkmcnt(0)
	v_readfirstlane_b32 s1, v29
	v_add_nc_u32_e32 v29, 1, v0
	s_delay_alu instid0(VALU_DEP_2) | instskip(NEXT) | instid1(VALU_DEP_1)
	s_cmp_eq_u32 s1, 0
	v_cmp_gt_i32_e32 vcc_lo, s1, v29
	s_cselect_b32 s3, -1, 0
	s_delay_alu instid0(SALU_CYCLE_1) | instskip(NEXT) | instid1(SALU_CYCLE_1)
	s_or_b32 s3, s3, vcc_lo
	s_and_b32 exec_lo, exec_lo, s3
	s_cbranch_execz .LBB7_10
; %bb.8:
	v_mov_b32_e32 v30, s1
	s_mov_b32 s3, 0
.LBB7_9:                                ; =>This Inner Loop Header: Depth=1
	ds_cmpstore_rtn_b32 v30, v28, v29, v30 offset:64
	s_waitcnt lgkmcnt(0)
	v_cmp_ne_u32_e32 vcc_lo, 0, v30
	v_cmp_le_i32_e64 s1, v30, v29
	s_delay_alu instid0(VALU_DEP_1) | instskip(NEXT) | instid1(SALU_CYCLE_1)
	s_and_b32 s1, vcc_lo, s1
	s_and_b32 s1, exec_lo, s1
	s_delay_alu instid0(SALU_CYCLE_1) | instskip(NEXT) | instid1(SALU_CYCLE_1)
	s_or_b32 s3, s1, s3
	s_and_not1_b32 exec_lo, exec_lo, s3
	s_cbranch_execnz .LBB7_9
.LBB7_10:
	s_or_b32 exec_lo, exec_lo, s2
	v_mov_b32_e32 v28, 0
	s_barrier
	buffer_gl0_inv
	ds_load_b32 v29, v28 offset:64
	s_and_saveexec_b32 s1, s0
	s_cbranch_execz .LBB7_12
; %bb.11:
	s_lshl_b64 s[2:3], s[14:15], 2
	s_delay_alu instid0(SALU_CYCLE_1)
	s_add_u32 s2, s6, s2
	s_addc_u32 s3, s7, s3
	s_waitcnt lgkmcnt(0)
	global_store_b32 v28, v29, s[2:3]
.LBB7_12:
	s_or_b32 exec_lo, exec_lo, s1
	s_waitcnt lgkmcnt(0)
	v_cmp_ne_u32_e32 vcc_lo, 0, v29
	s_cbranch_vccz .LBB7_17
; %bb.13:
	s_mov_b32 s0, 0
                                        ; implicit-def: $vgpr2_vgpr3_vgpr4_vgpr5_vgpr6_vgpr7_vgpr8_vgpr9
.LBB7_14:
	s_delay_alu instid0(SALU_CYCLE_1)
	s_and_b32 vcc_lo, exec_lo, s0
	s_cbranch_vccz .LBB7_16
.LBB7_15:
	s_lshl_b64 s[0:1], s[14:15], 2
	v_mov_b32_e32 v1, 0
	s_add_u32 s0, s6, s0
	s_addc_u32 s1, s7, s1
	global_load_b32 v1, v1, s[0:1]
	s_waitcnt vmcnt(0)
	v_cmp_ne_u32_e32 vcc_lo, 0, v1
	s_cbranch_vccz .LBB7_42
.LBB7_16:
	s_nop 0
	s_sendmsg sendmsg(MSG_DEALLOC_VGPRS)
	s_endpgm
.LBB7_17:
	v_div_scale_f32 v28, null, v27, v27, 1.0
	v_div_scale_f32 v31, vcc_lo, 1.0, v27, 1.0
	s_delay_alu instid0(VALU_DEP_2) | instskip(SKIP_2) | instid1(VALU_DEP_1)
	v_rcp_f32_e32 v29, v28
	s_waitcnt_depctr 0xfff
	v_fma_f32 v30, -v28, v29, 1.0
	v_fmac_f32_e32 v29, v30, v29
	s_delay_alu instid0(VALU_DEP_1) | instskip(NEXT) | instid1(VALU_DEP_1)
	v_mul_f32_e32 v30, v31, v29
	v_fma_f32 v32, -v28, v30, v31
	s_delay_alu instid0(VALU_DEP_1) | instskip(NEXT) | instid1(VALU_DEP_1)
	v_fmac_f32_e32 v30, v32, v29
	v_fma_f32 v28, -v28, v30, v31
	s_delay_alu instid0(VALU_DEP_1) | instskip(SKIP_1) | instid1(VALU_DEP_2)
	v_div_fmas_f32 v28, v28, v29, v30
	v_cmp_eq_u32_e32 vcc_lo, 7, v0
	v_div_fixup_f32 v27, v28, v27, 1.0
	s_delay_alu instid0(VALU_DEP_1)
	v_dual_cndmask_b32 v9, v9, v27 :: v_dual_add_nc_u32 v28, 32, v26
	v_cmp_eq_u32_e32 vcc_lo, 6, v0
	v_xor_b32_e32 v29, 0x80000000, v27
	v_cndmask_b32_e32 v8, v8, v27, vcc_lo
	v_cmp_eq_u32_e32 vcc_lo, 5, v0
	v_cndmask_b32_e32 v7, v7, v27, vcc_lo
	v_cmp_eq_u32_e32 vcc_lo, 4, v0
	;; [unrolled: 2-line block ×5, first 2 shown]
	ds_store_2addr_b32 v26, v29, v3 offset1:8
	v_cndmask_b32_e32 v4, v4, v27, vcc_lo
	v_cmp_eq_u32_e32 vcc_lo, 0, v0
	s_waitcnt lgkmcnt(0)
	s_waitcnt_vscnt null, 0x0
	s_barrier
	buffer_gl0_inv
	v_cndmask_b32_e32 v2, v2, v27, vcc_lo
	s_and_saveexec_b32 s1, s0
	s_cbranch_execz .LBB7_19
; %bb.18:
	v_mov_b32_e32 v3, 0
	ds_load_b32 v26, v28
	ds_load_b32 v3, v3 offset:4
	s_waitcnt lgkmcnt(1)
	v_fma_f32 v26, v27, v26, 0
	s_waitcnt lgkmcnt(0)
	s_delay_alu instid0(VALU_DEP_1)
	v_mul_f32_e32 v3, v26, v3
.LBB7_19:
	s_or_b32 exec_lo, exec_lo, s1
	s_delay_alu instid0(SALU_CYCLE_1)
	s_mov_b32 s1, exec_lo
	s_barrier
	buffer_gl0_inv
	ds_store_b32 v28, v4
	s_waitcnt lgkmcnt(0)
	s_barrier
	buffer_gl0_inv
	v_cmpx_gt_u32_e32 2, v0
	s_cbranch_execz .LBB7_21
; %bb.20:
	v_cmp_eq_u32_e32 vcc_lo, 1, v0
	ds_load_b32 v29, v28
	v_cndmask_b32_e32 v26, v2, v3, vcc_lo
	v_cmp_eq_u32_e32 vcc_lo, 2, v0
	s_delay_alu instid0(VALU_DEP_2) | instskip(SKIP_2) | instid1(VALU_DEP_3)
	v_cndmask_b32_e32 v4, v26, v4, vcc_lo
	v_cmp_eq_u32_e32 vcc_lo, 3, v0
	v_mov_b32_e32 v26, 0
	v_cndmask_b32_e32 v4, v4, v5, vcc_lo
	v_cmp_eq_u32_e32 vcc_lo, 4, v0
	ds_load_2addr_b32 v[26:27], v26 offset0:2 offset1:9
	v_cndmask_b32_e32 v4, v4, v6, vcc_lo
	v_cmp_eq_u32_e32 vcc_lo, 5, v0
	s_delay_alu instid0(VALU_DEP_2) | instskip(SKIP_1) | instid1(VALU_DEP_2)
	v_cndmask_b32_e32 v4, v4, v7, vcc_lo
	v_cmp_eq_u32_e32 vcc_lo, 6, v0
	v_cndmask_b32_e32 v4, v4, v8, vcc_lo
	v_cmp_eq_u32_e32 vcc_lo, 7, v0
	s_delay_alu instid0(VALU_DEP_2) | instskip(SKIP_1) | instid1(VALU_DEP_1)
	v_cndmask_b32_e32 v4, v4, v9, vcc_lo
	s_waitcnt lgkmcnt(1)
	v_fma_f32 v4, v4, v29, 0
	s_waitcnt lgkmcnt(0)
	s_delay_alu instid0(VALU_DEP_1) | instskip(NEXT) | instid1(VALU_DEP_1)
	v_fma_f32 v27, v3, v27, v4
	v_cndmask_b32_e64 v4, v4, v27, s0
	s_delay_alu instid0(VALU_DEP_1)
	v_mul_f32_e32 v4, v4, v26
.LBB7_21:
	s_or_b32 exec_lo, exec_lo, s1
	s_delay_alu instid0(SALU_CYCLE_1)
	s_mov_b32 s1, exec_lo
	s_barrier
	buffer_gl0_inv
	ds_store_b32 v28, v5
	s_waitcnt lgkmcnt(0)
	s_barrier
	buffer_gl0_inv
	v_cmpx_gt_u32_e32 3, v0
	s_cbranch_execz .LBB7_25
; %bb.22:
	v_mov_b32_e32 v27, v1
	v_lshl_add_u32 v30, v0, 2, 32
	v_dual_mov_b32 v29, 0 :: v_dual_mov_b32 v26, v0
	s_mov_b32 s2, 0
	.p2align	6
.LBB7_23:                               ; =>This Inner Loop Header: Depth=1
	s_delay_alu instid0(VALU_DEP_1) | instskip(SKIP_3) | instid1(VALU_DEP_2)
	v_cmp_eq_u32_e32 vcc_lo, 1, v26
	ds_load_b32 v32, v30
	v_dual_cndmask_b32 v31, v2, v3 :: v_dual_add_nc_u32 v30, 4, v30
	v_cmp_eq_u32_e32 vcc_lo, 2, v26
	v_cndmask_b32_e32 v31, v31, v4, vcc_lo
	v_cmp_eq_u32_e32 vcc_lo, 3, v26
	s_delay_alu instid0(VALU_DEP_2) | instskip(SKIP_1) | instid1(VALU_DEP_2)
	v_cndmask_b32_e32 v31, v31, v5, vcc_lo
	v_cmp_eq_u32_e32 vcc_lo, 4, v26
	v_cndmask_b32_e32 v31, v31, v6, vcc_lo
	v_cmp_eq_u32_e32 vcc_lo, 5, v26
	s_delay_alu instid0(VALU_DEP_2) | instskip(SKIP_1) | instid1(VALU_DEP_2)
	v_cndmask_b32_e32 v31, v31, v7, vcc_lo
	v_cmp_eq_u32_e32 vcc_lo, 6, v26
	v_cndmask_b32_e32 v31, v31, v8, vcc_lo
	v_cmp_eq_u32_e32 vcc_lo, 7, v26
	v_add_co_u32 v26, s0, v26, 1
	s_delay_alu instid0(VALU_DEP_1) | instskip(NEXT) | instid1(VALU_DEP_4)
	v_add_co_ci_u32_e64 v27, s0, 0, v27, s0
	v_cndmask_b32_e32 v31, v31, v9, vcc_lo
	s_delay_alu instid0(VALU_DEP_3) | instskip(SKIP_1) | instid1(VALU_DEP_2)
	v_add_nc_u32_e32 v33, -1, v26
	s_waitcnt lgkmcnt(0)
	v_fmac_f32_e32 v29, v31, v32
	s_delay_alu instid0(VALU_DEP_2) | instskip(SKIP_1) | instid1(SALU_CYCLE_1)
	v_cmp_lt_u32_e32 vcc_lo, 1, v33
	s_or_b32 s2, vcc_lo, s2
	s_and_not1_b32 exec_lo, exec_lo, s2
	s_cbranch_execnz .LBB7_23
; %bb.24:
	s_or_b32 exec_lo, exec_lo, s2
	v_mov_b32_e32 v5, 0
	ds_load_b32 v5, v5 offset:12
	s_waitcnt lgkmcnt(0)
	v_mul_f32_e32 v5, v29, v5
.LBB7_25:
	s_or_b32 exec_lo, exec_lo, s1
	s_delay_alu instid0(SALU_CYCLE_1)
	s_mov_b32 s1, exec_lo
	s_barrier
	buffer_gl0_inv
	ds_store_b32 v28, v6
	s_waitcnt lgkmcnt(0)
	s_barrier
	buffer_gl0_inv
	v_cmpx_gt_u32_e32 4, v0
	s_cbranch_execz .LBB7_29
; %bb.26:
	v_mov_b32_e32 v27, v1
	v_lshl_add_u32 v30, v0, 2, 32
	v_dual_mov_b32 v29, 0 :: v_dual_mov_b32 v26, v0
	s_mov_b32 s2, 0
	.p2align	6
.LBB7_27:                               ; =>This Inner Loop Header: Depth=1
	s_delay_alu instid0(VALU_DEP_1) | instskip(SKIP_3) | instid1(VALU_DEP_2)
	v_cmp_eq_u32_e32 vcc_lo, 1, v26
	ds_load_b32 v32, v30
	v_dual_cndmask_b32 v31, v2, v3 :: v_dual_add_nc_u32 v30, 4, v30
	v_cmp_eq_u32_e32 vcc_lo, 2, v26
	v_cndmask_b32_e32 v31, v31, v4, vcc_lo
	v_cmp_eq_u32_e32 vcc_lo, 3, v26
	s_delay_alu instid0(VALU_DEP_2) | instskip(SKIP_1) | instid1(VALU_DEP_2)
	v_cndmask_b32_e32 v31, v31, v5, vcc_lo
	v_cmp_eq_u32_e32 vcc_lo, 4, v26
	v_cndmask_b32_e32 v31, v31, v6, vcc_lo
	v_cmp_eq_u32_e32 vcc_lo, 5, v26
	s_delay_alu instid0(VALU_DEP_2) | instskip(SKIP_1) | instid1(VALU_DEP_2)
	v_cndmask_b32_e32 v31, v31, v7, vcc_lo
	v_cmp_eq_u32_e32 vcc_lo, 6, v26
	v_cndmask_b32_e32 v31, v31, v8, vcc_lo
	v_cmp_eq_u32_e32 vcc_lo, 7, v26
	v_add_co_u32 v26, s0, v26, 1
	s_delay_alu instid0(VALU_DEP_1) | instskip(NEXT) | instid1(VALU_DEP_4)
	v_add_co_ci_u32_e64 v27, s0, 0, v27, s0
	v_cndmask_b32_e32 v31, v31, v9, vcc_lo
	s_delay_alu instid0(VALU_DEP_3) | instskip(SKIP_1) | instid1(VALU_DEP_2)
	v_add_nc_u32_e32 v33, -1, v26
	s_waitcnt lgkmcnt(0)
	v_fmac_f32_e32 v29, v31, v32
	s_delay_alu instid0(VALU_DEP_2) | instskip(SKIP_1) | instid1(SALU_CYCLE_1)
	v_cmp_lt_u32_e32 vcc_lo, 2, v33
	s_or_b32 s2, vcc_lo, s2
	s_and_not1_b32 exec_lo, exec_lo, s2
	s_cbranch_execnz .LBB7_27
; %bb.28:
	s_or_b32 exec_lo, exec_lo, s2
	v_mov_b32_e32 v6, 0
	ds_load_b32 v6, v6 offset:16
	s_waitcnt lgkmcnt(0)
	v_mul_f32_e32 v6, v29, v6
.LBB7_29:
	s_or_b32 exec_lo, exec_lo, s1
	s_delay_alu instid0(SALU_CYCLE_1)
	s_mov_b32 s1, exec_lo
	s_barrier
	buffer_gl0_inv
	ds_store_b32 v28, v7
	s_waitcnt lgkmcnt(0)
	s_barrier
	buffer_gl0_inv
	v_cmpx_gt_u32_e32 5, v0
	s_cbranch_execz .LBB7_33
; %bb.30:
	v_mov_b32_e32 v27, v1
	v_lshl_add_u32 v30, v0, 2, 32
	v_dual_mov_b32 v29, 0 :: v_dual_mov_b32 v26, v0
	s_mov_b32 s2, 0
	.p2align	6
.LBB7_31:                               ; =>This Inner Loop Header: Depth=1
	s_delay_alu instid0(VALU_DEP_1) | instskip(SKIP_3) | instid1(VALU_DEP_2)
	v_cmp_eq_u32_e32 vcc_lo, 1, v26
	ds_load_b32 v32, v30
	v_dual_cndmask_b32 v31, v2, v3 :: v_dual_add_nc_u32 v30, 4, v30
	v_cmp_eq_u32_e32 vcc_lo, 2, v26
	v_cndmask_b32_e32 v31, v31, v4, vcc_lo
	v_cmp_eq_u32_e32 vcc_lo, 3, v26
	s_delay_alu instid0(VALU_DEP_2) | instskip(SKIP_1) | instid1(VALU_DEP_2)
	v_cndmask_b32_e32 v31, v31, v5, vcc_lo
	v_cmp_eq_u32_e32 vcc_lo, 4, v26
	v_cndmask_b32_e32 v31, v31, v6, vcc_lo
	v_cmp_eq_u32_e32 vcc_lo, 5, v26
	s_delay_alu instid0(VALU_DEP_2) | instskip(SKIP_1) | instid1(VALU_DEP_2)
	v_cndmask_b32_e32 v31, v31, v7, vcc_lo
	v_cmp_eq_u32_e32 vcc_lo, 6, v26
	v_cndmask_b32_e32 v31, v31, v8, vcc_lo
	v_cmp_eq_u32_e32 vcc_lo, 7, v26
	v_add_co_u32 v26, s0, v26, 1
	s_delay_alu instid0(VALU_DEP_1) | instskip(NEXT) | instid1(VALU_DEP_4)
	v_add_co_ci_u32_e64 v27, s0, 0, v27, s0
	v_cndmask_b32_e32 v31, v31, v9, vcc_lo
	s_delay_alu instid0(VALU_DEP_3) | instskip(SKIP_1) | instid1(VALU_DEP_2)
	v_add_nc_u32_e32 v33, -1, v26
	s_waitcnt lgkmcnt(0)
	v_fmac_f32_e32 v29, v31, v32
	s_delay_alu instid0(VALU_DEP_2) | instskip(SKIP_1) | instid1(SALU_CYCLE_1)
	v_cmp_lt_u32_e32 vcc_lo, 3, v33
	s_or_b32 s2, vcc_lo, s2
	s_and_not1_b32 exec_lo, exec_lo, s2
	s_cbranch_execnz .LBB7_31
; %bb.32:
	s_or_b32 exec_lo, exec_lo, s2
	v_mov_b32_e32 v7, 0
	ds_load_b32 v7, v7 offset:20
	s_waitcnt lgkmcnt(0)
	v_mul_f32_e32 v7, v29, v7
.LBB7_33:
	s_or_b32 exec_lo, exec_lo, s1
	s_delay_alu instid0(SALU_CYCLE_1)
	s_mov_b32 s1, exec_lo
	s_barrier
	buffer_gl0_inv
	ds_store_b32 v28, v8
	s_waitcnt lgkmcnt(0)
	s_barrier
	buffer_gl0_inv
	v_cmpx_gt_u32_e32 6, v0
	s_cbranch_execz .LBB7_37
; %bb.34:
	v_mov_b32_e32 v27, v1
	v_lshl_add_u32 v30, v0, 2, 32
	v_dual_mov_b32 v29, 0 :: v_dual_mov_b32 v26, v0
	s_mov_b32 s2, 0
	.p2align	6
.LBB7_35:                               ; =>This Inner Loop Header: Depth=1
	s_delay_alu instid0(VALU_DEP_1) | instskip(SKIP_3) | instid1(VALU_DEP_2)
	v_cmp_eq_u32_e32 vcc_lo, 1, v26
	ds_load_b32 v32, v30
	v_dual_cndmask_b32 v31, v2, v3 :: v_dual_add_nc_u32 v30, 4, v30
	v_cmp_eq_u32_e32 vcc_lo, 2, v26
	v_cndmask_b32_e32 v31, v31, v4, vcc_lo
	v_cmp_eq_u32_e32 vcc_lo, 3, v26
	s_delay_alu instid0(VALU_DEP_2) | instskip(SKIP_1) | instid1(VALU_DEP_2)
	v_cndmask_b32_e32 v31, v31, v5, vcc_lo
	v_cmp_eq_u32_e32 vcc_lo, 4, v26
	v_cndmask_b32_e32 v31, v31, v6, vcc_lo
	v_cmp_eq_u32_e32 vcc_lo, 5, v26
	s_delay_alu instid0(VALU_DEP_2) | instskip(SKIP_1) | instid1(VALU_DEP_2)
	v_cndmask_b32_e32 v31, v31, v7, vcc_lo
	v_cmp_eq_u32_e32 vcc_lo, 6, v26
	v_cndmask_b32_e32 v31, v31, v8, vcc_lo
	v_cmp_eq_u32_e32 vcc_lo, 7, v26
	v_add_co_u32 v26, s0, v26, 1
	s_delay_alu instid0(VALU_DEP_1) | instskip(NEXT) | instid1(VALU_DEP_4)
	v_add_co_ci_u32_e64 v27, s0, 0, v27, s0
	v_cndmask_b32_e32 v31, v31, v9, vcc_lo
	s_delay_alu instid0(VALU_DEP_3) | instskip(SKIP_1) | instid1(VALU_DEP_2)
	v_add_nc_u32_e32 v33, -1, v26
	s_waitcnt lgkmcnt(0)
	v_fmac_f32_e32 v29, v31, v32
	s_delay_alu instid0(VALU_DEP_2) | instskip(SKIP_1) | instid1(SALU_CYCLE_1)
	v_cmp_lt_u32_e32 vcc_lo, 4, v33
	s_or_b32 s2, vcc_lo, s2
	s_and_not1_b32 exec_lo, exec_lo, s2
	s_cbranch_execnz .LBB7_35
; %bb.36:
	s_or_b32 exec_lo, exec_lo, s2
	v_mov_b32_e32 v8, 0
	ds_load_b32 v8, v8 offset:24
	s_waitcnt lgkmcnt(0)
	v_mul_f32_e32 v8, v29, v8
.LBB7_37:
	s_or_b32 exec_lo, exec_lo, s1
	s_delay_alu instid0(SALU_CYCLE_1)
	s_mov_b32 s1, exec_lo
	s_barrier
	buffer_gl0_inv
	ds_store_b32 v28, v9
	s_waitcnt lgkmcnt(0)
	s_barrier
	buffer_gl0_inv
	v_cmpx_ne_u32_e32 7, v0
	s_cbranch_execz .LBB7_41
; %bb.38:
	v_dual_mov_b32 v28, 0 :: v_dual_mov_b32 v27, v1
	v_lshl_add_u32 v29, v0, 2, 32
	v_mov_b32_e32 v26, v0
	s_mov_b32 s2, 0
	.p2align	6
.LBB7_39:                               ; =>This Inner Loop Header: Depth=1
	s_delay_alu instid0(VALU_DEP_1) | instskip(SKIP_3) | instid1(VALU_DEP_2)
	v_cmp_eq_u32_e32 vcc_lo, 1, v26
	ds_load_b32 v30, v29
	v_cndmask_b32_e32 v1, v2, v3, vcc_lo
	v_cmp_eq_u32_e32 vcc_lo, 2, v26
	v_cndmask_b32_e32 v1, v1, v4, vcc_lo
	v_cmp_eq_u32_e32 vcc_lo, 3, v26
	s_delay_alu instid0(VALU_DEP_2) | instskip(SKIP_1) | instid1(VALU_DEP_2)
	v_cndmask_b32_e32 v1, v1, v5, vcc_lo
	v_cmp_eq_u32_e32 vcc_lo, 4, v26
	v_cndmask_b32_e32 v1, v1, v6, vcc_lo
	v_cmp_eq_u32_e32 vcc_lo, 5, v26
	s_delay_alu instid0(VALU_DEP_2) | instskip(SKIP_1) | instid1(VALU_DEP_2)
	v_cndmask_b32_e32 v1, v1, v7, vcc_lo
	v_cmp_eq_u32_e32 vcc_lo, 6, v26
	v_cndmask_b32_e32 v1, v1, v8, vcc_lo
	v_cmp_eq_u32_e32 vcc_lo, 7, v26
	v_add_co_u32 v26, s0, v26, 1
	s_delay_alu instid0(VALU_DEP_1) | instskip(NEXT) | instid1(VALU_DEP_4)
	v_add_co_ci_u32_e64 v27, s0, 0, v27, s0
	v_cndmask_b32_e32 v1, v1, v9, vcc_lo
	s_delay_alu instid0(VALU_DEP_3) | instskip(SKIP_1) | instid1(VALU_DEP_2)
	v_add_nc_u32_e32 v31, -1, v26
	s_waitcnt lgkmcnt(0)
	v_dual_fmac_f32 v28, v1, v30 :: v_dual_add_nc_u32 v29, 4, v29
	s_delay_alu instid0(VALU_DEP_2) | instskip(SKIP_1) | instid1(SALU_CYCLE_1)
	v_cmp_lt_u32_e32 vcc_lo, 5, v31
	s_or_b32 s2, vcc_lo, s2
	s_and_not1_b32 exec_lo, exec_lo, s2
	s_cbranch_execnz .LBB7_39
; %bb.40:
	s_or_b32 exec_lo, exec_lo, s2
	v_mov_b32_e32 v1, 0
	ds_load_b32 v1, v1 offset:28
	s_waitcnt lgkmcnt(0)
	v_mul_f32_e32 v9, v28, v1
.LBB7_41:
	s_or_b32 exec_lo, exec_lo, s1
	s_barrier
	buffer_gl0_inv
	s_cbranch_execnz .LBB7_15
	s_branch .LBB7_16
.LBB7_42:
	v_lshl_add_u32 v1, v0, 2, 32
	s_mov_b32 s0, exec_lo
	v_cmpx_eq_u32_e32 7, v0
	s_cbranch_execz .LBB7_44
; %bb.43:
	s_mov_b32 s1, 0
	ds_store_b32 v1, v8
	v_mov_b32_e32 v8, s1
.LBB7_44:
	s_or_b32 exec_lo, exec_lo, s0
	v_mov_b32_e32 v26, 0
	s_waitcnt lgkmcnt(0)
	s_waitcnt_vscnt null, 0x0
	s_barrier
	buffer_gl0_inv
	s_mov_b32 s0, exec_lo
	ds_load_b32 v27, v26 offset:60
	s_waitcnt lgkmcnt(0)
	v_fma_f32 v27, v9, v27, 0
	s_delay_alu instid0(VALU_DEP_1)
	v_sub_f32_e32 v8, v8, v27
	v_cmpx_lt_u32_e32 5, v0
	s_cbranch_execz .LBB7_46
; %bb.45:
	s_mov_b32 s1, 0
	s_delay_alu instid0(VALU_DEP_2)
	v_dual_mov_b32 v34, v9 :: v_dual_mov_b32 v33, v8
	v_dual_mov_b32 v32, v7 :: v_dual_mov_b32 v31, v6
	;; [unrolled: 1-line block ×4, first 2 shown]
	v_mov_b32_e32 v32, s1
	ds_store_b32 v1, v7
	v_dual_mov_b32 v2, v27 :: v_dual_mov_b32 v3, v28
	v_dual_mov_b32 v4, v29 :: v_dual_mov_b32 v5, v30
	;; [unrolled: 1-line block ×4, first 2 shown]
.LBB7_46:
	s_or_b32 exec_lo, exec_lo, s0
	s_waitcnt lgkmcnt(0)
	s_barrier
	buffer_gl0_inv
	ds_load_b64 v[26:27], v26 offset:56
	s_mov_b32 s0, exec_lo
	s_waitcnt lgkmcnt(0)
	v_fma_f32 v26, v8, v26, 0
	s_delay_alu instid0(VALU_DEP_1) | instskip(NEXT) | instid1(VALU_DEP_1)
	v_fmac_f32_e32 v26, v9, v27
	v_sub_f32_e32 v7, v7, v26
	v_cmpx_lt_u32_e32 4, v0
	s_cbranch_execz .LBB7_48
; %bb.47:
	s_mov_b32 s1, 0
	v_dual_mov_b32 v33, v9 :: v_dual_mov_b32 v32, v8
	v_dual_mov_b32 v31, v7 :: v_dual_mov_b32 v30, v6
	;; [unrolled: 1-line block ×4, first 2 shown]
	v_mov_b32_e32 v30, s1
	ds_store_b32 v1, v6
	v_dual_mov_b32 v2, v26 :: v_dual_mov_b32 v3, v27
	v_dual_mov_b32 v4, v28 :: v_dual_mov_b32 v5, v29
	;; [unrolled: 1-line block ×4, first 2 shown]
.LBB7_48:
	s_or_b32 exec_lo, exec_lo, s0
	v_mov_b32_e32 v26, 0
	s_waitcnt lgkmcnt(0)
	s_barrier
	buffer_gl0_inv
	s_mov_b32 s0, exec_lo
	ds_load_2addr_b32 v[27:28], v26 offset0:13 offset1:14
	ds_load_b32 v29, v26 offset:60
	s_waitcnt lgkmcnt(1)
	v_fma_f32 v27, v7, v27, 0
	s_delay_alu instid0(VALU_DEP_1) | instskip(SKIP_1) | instid1(VALU_DEP_1)
	v_fmac_f32_e32 v27, v8, v28
	s_waitcnt lgkmcnt(0)
	v_fmac_f32_e32 v27, v9, v29
	s_delay_alu instid0(VALU_DEP_1)
	v_sub_f32_e32 v6, v6, v27
	v_cmpx_lt_u32_e32 3, v0
	s_cbranch_execz .LBB7_50
; %bb.49:
	s_mov_b32 s1, 0
	v_dual_mov_b32 v34, v9 :: v_dual_mov_b32 v33, v8
	v_dual_mov_b32 v30, v5 :: v_dual_mov_b32 v29, v4
	;; [unrolled: 1-line block ×4, first 2 shown]
	v_mov_b32_e32 v30, s1
	ds_store_b32 v1, v5
	v_dual_mov_b32 v2, v27 :: v_dual_mov_b32 v3, v28
	v_dual_mov_b32 v4, v29 :: v_dual_mov_b32 v5, v30
	;; [unrolled: 1-line block ×4, first 2 shown]
.LBB7_50:
	s_or_b32 exec_lo, exec_lo, s0
	s_waitcnt lgkmcnt(0)
	s_barrier
	buffer_gl0_inv
	ds_load_b128 v[26:29], v26 offset:48
	s_mov_b32 s0, exec_lo
	s_waitcnt lgkmcnt(0)
	v_fma_f32 v26, v6, v26, 0
	s_delay_alu instid0(VALU_DEP_1) | instskip(NEXT) | instid1(VALU_DEP_1)
	v_fmac_f32_e32 v26, v7, v27
	v_fmac_f32_e32 v26, v8, v28
	s_delay_alu instid0(VALU_DEP_1) | instskip(NEXT) | instid1(VALU_DEP_1)
	v_fmac_f32_e32 v26, v9, v29
	v_sub_f32_e32 v5, v5, v26
	v_cmpx_lt_u32_e32 2, v0
	s_cbranch_execz .LBB7_52
; %bb.51:
	s_mov_b32 s1, 0
	v_dual_mov_b32 v33, v9 :: v_dual_mov_b32 v32, v8
	v_dual_mov_b32 v29, v5 :: v_dual_mov_b32 v28, v4
	;; [unrolled: 1-line block ×4, first 2 shown]
	v_mov_b32_e32 v28, s1
	ds_store_b32 v1, v4
	v_dual_mov_b32 v2, v26 :: v_dual_mov_b32 v3, v27
	v_dual_mov_b32 v5, v29 :: v_dual_mov_b32 v4, v28
	;; [unrolled: 1-line block ×4, first 2 shown]
.LBB7_52:
	s_or_b32 exec_lo, exec_lo, s0
	v_mov_b32_e32 v26, 0
	s_waitcnt lgkmcnt(0)
	s_barrier
	buffer_gl0_inv
	s_mov_b32 s0, exec_lo
	ds_load_2addr_b32 v[27:28], v26 offset0:11 offset1:12
	ds_load_2addr_b32 v[29:30], v26 offset0:13 offset1:14
	ds_load_b32 v31, v26 offset:60
	s_waitcnt lgkmcnt(2)
	v_fma_f32 v27, v5, v27, 0
	s_delay_alu instid0(VALU_DEP_1) | instskip(SKIP_1) | instid1(VALU_DEP_1)
	v_fmac_f32_e32 v27, v6, v28
	s_waitcnt lgkmcnt(1)
	v_fmac_f32_e32 v27, v7, v29
	s_delay_alu instid0(VALU_DEP_1) | instskip(SKIP_1) | instid1(VALU_DEP_1)
	v_fmac_f32_e32 v27, v8, v30
	s_waitcnt lgkmcnt(0)
	v_fmac_f32_e32 v27, v9, v31
	s_delay_alu instid0(VALU_DEP_1)
	v_sub_f32_e32 v4, v4, v27
	v_cmpx_lt_u32_e32 1, v0
	s_cbranch_execz .LBB7_54
; %bb.53:
	s_mov_b32 s1, 0
	v_dual_mov_b32 v34, v9 :: v_dual_mov_b32 v33, v8
	v_dual_mov_b32 v28, v3 :: v_dual_mov_b32 v27, v2
	;; [unrolled: 1-line block ×4, first 2 shown]
	v_mov_b32_e32 v28, s1
	ds_store_b32 v1, v3
	v_dual_mov_b32 v2, v27 :: v_dual_mov_b32 v5, v30
	v_dual_mov_b32 v4, v29 :: v_dual_mov_b32 v3, v28
	;; [unrolled: 1-line block ×4, first 2 shown]
.LBB7_54:
	s_or_b32 exec_lo, exec_lo, s0
	s_waitcnt lgkmcnt(0)
	s_barrier
	buffer_gl0_inv
	ds_load_2addr_b64 v[27:30], v26 offset0:5 offset1:6
	ds_load_b64 v[31:32], v26 offset:56
	s_mov_b32 s1, 0
	s_mov_b32 s0, exec_lo
	s_waitcnt lgkmcnt(1)
	v_fma_f32 v26, v4, v27, 0
	s_delay_alu instid0(VALU_DEP_1) | instskip(NEXT) | instid1(VALU_DEP_1)
	v_fmac_f32_e32 v26, v5, v28
	v_fmac_f32_e32 v26, v6, v29
	s_delay_alu instid0(VALU_DEP_1) | instskip(SKIP_1) | instid1(VALU_DEP_1)
	v_fmac_f32_e32 v26, v7, v30
	s_waitcnt lgkmcnt(0)
	v_fmac_f32_e32 v26, v8, v31
	s_delay_alu instid0(VALU_DEP_1) | instskip(NEXT) | instid1(VALU_DEP_1)
	v_fmac_f32_e32 v26, v9, v32
	v_sub_f32_e32 v3, v3, v26
	v_cmpx_ne_u32_e32 0, v0
	s_cbranch_execz .LBB7_56
; %bb.55:
	v_dual_mov_b32 v33, v9 :: v_dual_mov_b32 v32, v8
	s_delay_alu instid0(VALU_DEP_3)
	v_dual_mov_b32 v27, v3 :: v_dual_mov_b32 v26, v2
	v_dual_mov_b32 v26, s1 :: v_dual_mov_b32 v31, v7
	;; [unrolled: 1-line block ×3, first 2 shown]
	v_mov_b32_e32 v28, v4
	ds_store_b32 v1, v2
	v_dual_mov_b32 v2, v26 :: v_dual_mov_b32 v3, v27
	v_dual_mov_b32 v5, v29 :: v_dual_mov_b32 v4, v28
	v_dual_mov_b32 v6, v30 :: v_dual_mov_b32 v7, v31
	v_dual_mov_b32 v8, v32 :: v_dual_mov_b32 v9, v33
.LBB7_56:
	s_or_b32 exec_lo, exec_lo, s0
	v_mov_b32_e32 v30, 0
	s_waitcnt lgkmcnt(0)
	s_barrier
	buffer_gl0_inv
	s_and_b32 vcc_lo, exec_lo, s16
	ds_load_2addr_b32 v[0:1], v30 offset0:9 offset1:10
	ds_load_2addr_b32 v[26:27], v30 offset0:11 offset1:12
	ds_load_2addr_b32 v[28:29], v30 offset0:13 offset1:14
	ds_load_b32 v30, v30 offset:60
	s_waitcnt lgkmcnt(3)
	v_fma_f32 v0, v3, v0, 0
	s_delay_alu instid0(VALU_DEP_1) | instskip(SKIP_1) | instid1(VALU_DEP_1)
	v_fmac_f32_e32 v0, v4, v1
	s_waitcnt lgkmcnt(2)
	v_fmac_f32_e32 v0, v5, v26
	s_delay_alu instid0(VALU_DEP_1) | instskip(SKIP_1) | instid1(VALU_DEP_1)
	v_fmac_f32_e32 v0, v6, v27
	s_waitcnt lgkmcnt(1)
	v_fmac_f32_e32 v0, v7, v28
	;; [unrolled: 4-line block ×3, first 2 shown]
	s_delay_alu instid0(VALU_DEP_1)
	v_sub_f32_e32 v2, v2, v0
	s_cbranch_vccz .LBB7_72
; %bb.57:
	v_dual_mov_b32 v0, s12 :: v_dual_mov_b32 v1, s13
	s_mov_b32 s5, exec_lo
	flat_load_b32 v0, v[0:1] offset:24
	s_waitcnt vmcnt(0) lgkmcnt(0)
	v_add_nc_u32_e32 v0, -1, v0
	s_delay_alu instid0(VALU_DEP_1)
	v_cmpx_ne_u32_e32 6, v0
	s_cbranch_execz .LBB7_59
; %bb.58:
	v_cmp_eq_u32_e32 vcc_lo, 1, v0
	v_cmp_eq_u32_e64 s0, 2, v0
	v_cmp_eq_u32_e64 s1, 3, v0
	;; [unrolled: 1-line block ×4, first 2 shown]
	v_cndmask_b32_e32 v27, v3, v8, vcc_lo
	v_cndmask_b32_e64 v28, v4, v8, s0
	v_cndmask_b32_e64 v29, v5, v8, s1
	;; [unrolled: 1-line block ×4, first 2 shown]
	v_cndmask_b32_e32 v1, v2, v3, vcc_lo
	v_cmp_eq_u32_e64 s4, 6, v0
	v_cmp_eq_u32_e32 vcc_lo, 7, v0
	s_delay_alu instid0(VALU_DEP_3) | instskip(SKIP_1) | instid1(VALU_DEP_2)
	v_cndmask_b32_e64 v1, v1, v4, s0
	v_cndmask_b32_e32 v33, v9, v8, vcc_lo
	v_cndmask_b32_e64 v1, v1, v5, s1
	s_delay_alu instid0(VALU_DEP_1) | instskip(NEXT) | instid1(VALU_DEP_1)
	v_cndmask_b32_e64 v1, v1, v6, s2
	v_cndmask_b32_e64 v1, v1, v7, s3
	s_delay_alu instid0(VALU_DEP_1) | instskip(NEXT) | instid1(VALU_DEP_1)
	v_cndmask_b32_e64 v1, v1, v8, s4
	v_cndmask_b32_e32 v1, v1, v9, vcc_lo
	v_cmp_eq_u32_e32 vcc_lo, 0, v0
	v_cndmask_b32_e32 v26, v2, v8, vcc_lo
	s_delay_alu instid0(VALU_DEP_3) | instskip(NEXT) | instid1(VALU_DEP_2)
	v_cndmask_b32_e64 v32, v1, v8, s4
	v_dual_mov_b32 v2, v26 :: v_dual_mov_b32 v3, v27
	v_dual_mov_b32 v4, v28 :: v_dual_mov_b32 v5, v29
	;; [unrolled: 1-line block ×3, first 2 shown]
	s_delay_alu instid0(VALU_DEP_4)
	v_dual_mov_b32 v8, v32 :: v_dual_mov_b32 v9, v33
.LBB7_59:
	s_or_b32 exec_lo, exec_lo, s5
	v_dual_mov_b32 v0, s12 :: v_dual_mov_b32 v1, s13
	s_mov_b32 s5, exec_lo
	flat_load_b32 v0, v[0:1] offset:20
	s_waitcnt vmcnt(0) lgkmcnt(0)
	v_add_nc_u32_e32 v0, -1, v0
	s_delay_alu instid0(VALU_DEP_1)
	v_cmpx_ne_u32_e32 5, v0
	s_cbranch_execz .LBB7_61
; %bb.60:
	v_cmp_eq_u32_e32 vcc_lo, 1, v0
	v_cmp_eq_u32_e64 s0, 2, v0
	v_cmp_eq_u32_e64 s1, 3, v0
	;; [unrolled: 1-line block ×4, first 2 shown]
	v_cndmask_b32_e32 v27, v3, v7, vcc_lo
	v_cndmask_b32_e64 v28, v4, v7, s0
	v_cndmask_b32_e64 v29, v5, v7, s1
	;; [unrolled: 1-line block ×4, first 2 shown]
	v_cndmask_b32_e32 v1, v2, v3, vcc_lo
	v_cmp_eq_u32_e64 s3, 5, v0
	v_cmp_eq_u32_e32 vcc_lo, 7, v0
	s_delay_alu instid0(VALU_DEP_3) | instskip(SKIP_1) | instid1(VALU_DEP_2)
	v_cndmask_b32_e64 v1, v1, v4, s0
	v_cndmask_b32_e32 v33, v9, v7, vcc_lo
	v_cndmask_b32_e64 v1, v1, v5, s1
	s_delay_alu instid0(VALU_DEP_1) | instskip(NEXT) | instid1(VALU_DEP_1)
	v_cndmask_b32_e64 v1, v1, v6, s2
	v_cndmask_b32_e64 v1, v1, v7, s3
	s_delay_alu instid0(VALU_DEP_1) | instskip(NEXT) | instid1(VALU_DEP_1)
	v_cndmask_b32_e64 v1, v1, v8, s4
	v_cndmask_b32_e32 v1, v1, v9, vcc_lo
	v_cmp_eq_u32_e32 vcc_lo, 0, v0
	v_cndmask_b32_e32 v26, v2, v7, vcc_lo
	s_delay_alu instid0(VALU_DEP_3) | instskip(NEXT) | instid1(VALU_DEP_2)
	v_cndmask_b32_e64 v31, v1, v7, s3
	v_dual_mov_b32 v2, v26 :: v_dual_mov_b32 v3, v27
	v_dual_mov_b32 v4, v28 :: v_dual_mov_b32 v5, v29
	s_delay_alu instid0(VALU_DEP_3)
	v_dual_mov_b32 v6, v30 :: v_dual_mov_b32 v7, v31
	v_dual_mov_b32 v8, v32 :: v_dual_mov_b32 v9, v33
.LBB7_61:
	s_or_b32 exec_lo, exec_lo, s5
	v_dual_mov_b32 v0, s12 :: v_dual_mov_b32 v1, s13
	s_mov_b32 s5, exec_lo
	flat_load_b32 v0, v[0:1] offset:16
	s_waitcnt vmcnt(0) lgkmcnt(0)
	v_add_nc_u32_e32 v0, -1, v0
	s_delay_alu instid0(VALU_DEP_1)
	v_cmpx_ne_u32_e32 4, v0
	s_cbranch_execz .LBB7_63
; %bb.62:
	v_cmp_eq_u32_e32 vcc_lo, 1, v0
	v_cmp_eq_u32_e64 s0, 2, v0
	v_cmp_eq_u32_e64 s1, 3, v0
	;; [unrolled: 1-line block ×4, first 2 shown]
	v_cndmask_b32_e32 v27, v3, v6, vcc_lo
	v_cndmask_b32_e64 v28, v4, v6, s0
	v_cndmask_b32_e64 v29, v5, v6, s1
	;; [unrolled: 1-line block ×4, first 2 shown]
	v_cndmask_b32_e32 v1, v2, v3, vcc_lo
	v_cmp_eq_u32_e64 s2, 4, v0
	v_cmp_eq_u32_e32 vcc_lo, 7, v0
	s_delay_alu instid0(VALU_DEP_3) | instskip(SKIP_1) | instid1(VALU_DEP_2)
	v_cndmask_b32_e64 v1, v1, v4, s0
	v_cndmask_b32_e32 v33, v9, v6, vcc_lo
	v_cndmask_b32_e64 v1, v1, v5, s1
	s_delay_alu instid0(VALU_DEP_1) | instskip(NEXT) | instid1(VALU_DEP_1)
	v_cndmask_b32_e64 v1, v1, v6, s2
	v_cndmask_b32_e64 v1, v1, v7, s3
	s_delay_alu instid0(VALU_DEP_1) | instskip(NEXT) | instid1(VALU_DEP_1)
	v_cndmask_b32_e64 v1, v1, v8, s4
	v_cndmask_b32_e32 v1, v1, v9, vcc_lo
	v_cmp_eq_u32_e32 vcc_lo, 0, v0
	v_cndmask_b32_e32 v26, v2, v6, vcc_lo
	s_delay_alu instid0(VALU_DEP_3) | instskip(NEXT) | instid1(VALU_DEP_2)
	v_cndmask_b32_e64 v30, v1, v6, s2
	v_dual_mov_b32 v2, v26 :: v_dual_mov_b32 v3, v27
	v_dual_mov_b32 v4, v28 :: v_dual_mov_b32 v5, v29
	s_delay_alu instid0(VALU_DEP_3)
	v_dual_mov_b32 v6, v30 :: v_dual_mov_b32 v7, v31
	v_dual_mov_b32 v8, v32 :: v_dual_mov_b32 v9, v33
.LBB7_63:
	s_or_b32 exec_lo, exec_lo, s5
	v_dual_mov_b32 v0, s12 :: v_dual_mov_b32 v1, s13
	s_mov_b32 s5, exec_lo
	flat_load_b32 v0, v[0:1] offset:12
	s_waitcnt vmcnt(0) lgkmcnt(0)
	v_add_nc_u32_e32 v0, -1, v0
	s_delay_alu instid0(VALU_DEP_1)
	v_cmpx_ne_u32_e32 3, v0
	s_cbranch_execz .LBB7_65
; %bb.64:
	v_cmp_eq_u32_e32 vcc_lo, 1, v0
	v_cmp_eq_u32_e64 s0, 2, v0
	v_cmp_eq_u32_e64 s2, 4, v0
	;; [unrolled: 1-line block ×4, first 2 shown]
	v_cndmask_b32_e32 v27, v3, v5, vcc_lo
	v_cndmask_b32_e64 v28, v4, v5, s0
	v_cndmask_b32_e64 v30, v6, v5, s2
	;; [unrolled: 1-line block ×4, first 2 shown]
	v_cndmask_b32_e32 v1, v2, v3, vcc_lo
	v_cmp_eq_u32_e64 s1, 3, v0
	v_cmp_eq_u32_e32 vcc_lo, 7, v0
	s_delay_alu instid0(VALU_DEP_3) | instskip(SKIP_1) | instid1(VALU_DEP_2)
	v_cndmask_b32_e64 v1, v1, v4, s0
	v_cndmask_b32_e32 v33, v9, v5, vcc_lo
	v_cndmask_b32_e64 v1, v1, v5, s1
	s_delay_alu instid0(VALU_DEP_1) | instskip(NEXT) | instid1(VALU_DEP_1)
	v_cndmask_b32_e64 v1, v1, v6, s2
	v_cndmask_b32_e64 v1, v1, v7, s3
	s_delay_alu instid0(VALU_DEP_1) | instskip(NEXT) | instid1(VALU_DEP_1)
	v_cndmask_b32_e64 v1, v1, v8, s4
	v_cndmask_b32_e32 v1, v1, v9, vcc_lo
	v_cmp_eq_u32_e32 vcc_lo, 0, v0
	s_delay_alu instid0(VALU_DEP_2) | instskip(SKIP_1) | instid1(VALU_DEP_1)
	v_cndmask_b32_e64 v29, v1, v5, s1
	v_cndmask_b32_e32 v26, v2, v5, vcc_lo
	v_dual_mov_b32 v2, v26 :: v_dual_mov_b32 v3, v27
	v_mov_b32_e32 v6, v30
	s_delay_alu instid0(VALU_DEP_4)
	v_dual_mov_b32 v4, v28 :: v_dual_mov_b32 v5, v29
	v_dual_mov_b32 v8, v32 :: v_dual_mov_b32 v7, v31
	v_mov_b32_e32 v9, v33
.LBB7_65:
	s_or_b32 exec_lo, exec_lo, s5
	v_dual_mov_b32 v0, s12 :: v_dual_mov_b32 v1, s13
	s_mov_b32 s5, exec_lo
	flat_load_b32 v0, v[0:1] offset:8
	s_waitcnt vmcnt(0) lgkmcnt(0)
	v_add_nc_u32_e32 v0, -1, v0
	s_delay_alu instid0(VALU_DEP_1)
	v_cmpx_ne_u32_e32 2, v0
	s_cbranch_execz .LBB7_67
; %bb.66:
	v_cmp_eq_u32_e32 vcc_lo, 1, v0
	v_cmp_eq_u32_e64 s1, 3, v0
	v_cmp_eq_u32_e64 s2, 4, v0
	;; [unrolled: 1-line block ×5, first 2 shown]
	v_cndmask_b32_e32 v27, v3, v4, vcc_lo
	v_cndmask_b32_e64 v29, v5, v4, s1
	v_cndmask_b32_e64 v30, v6, v4, s2
	;; [unrolled: 1-line block ×4, first 2 shown]
	v_cndmask_b32_e32 v1, v2, v3, vcc_lo
	v_cmp_eq_u32_e32 vcc_lo, 7, v0
	s_delay_alu instid0(VALU_DEP_2) | instskip(SKIP_1) | instid1(VALU_DEP_2)
	v_cndmask_b32_e64 v1, v1, v4, s0
	v_cndmask_b32_e32 v33, v9, v4, vcc_lo
	v_cndmask_b32_e64 v1, v1, v5, s1
	s_delay_alu instid0(VALU_DEP_1) | instskip(NEXT) | instid1(VALU_DEP_1)
	v_cndmask_b32_e64 v1, v1, v6, s2
	v_cndmask_b32_e64 v1, v1, v7, s3
	s_delay_alu instid0(VALU_DEP_1) | instskip(NEXT) | instid1(VALU_DEP_1)
	v_cndmask_b32_e64 v1, v1, v8, s4
	v_cndmask_b32_e32 v1, v1, v9, vcc_lo
	v_cmp_eq_u32_e32 vcc_lo, 0, v0
	v_cndmask_b32_e32 v26, v2, v4, vcc_lo
	s_delay_alu instid0(VALU_DEP_3) | instskip(NEXT) | instid1(VALU_DEP_2)
	v_cndmask_b32_e64 v28, v1, v4, s0
	v_dual_mov_b32 v2, v26 :: v_dual_mov_b32 v3, v27
	s_delay_alu instid0(VALU_DEP_2)
	v_dual_mov_b32 v4, v28 :: v_dual_mov_b32 v5, v29
	v_dual_mov_b32 v6, v30 :: v_dual_mov_b32 v7, v31
	;; [unrolled: 1-line block ×3, first 2 shown]
.LBB7_67:
	s_or_b32 exec_lo, exec_lo, s5
	v_dual_mov_b32 v0, s12 :: v_dual_mov_b32 v1, s13
	s_mov_b32 s5, exec_lo
	flat_load_b32 v0, v[0:1] offset:4
	s_waitcnt vmcnt(0) lgkmcnt(0)
	v_add_nc_u32_e32 v0, -1, v0
	s_delay_alu instid0(VALU_DEP_1)
	v_cmpx_ne_u32_e32 1, v0
	s_cbranch_execz .LBB7_69
; %bb.68:
	v_cmp_eq_u32_e32 vcc_lo, 1, v0
	v_cmp_eq_u32_e64 s0, 2, v0
	v_cmp_eq_u32_e64 s1, 3, v0
	;; [unrolled: 1-line block ×5, first 2 shown]
	v_cndmask_b32_e64 v28, v4, v3, s0
	v_cndmask_b32_e64 v29, v5, v3, s1
	;; [unrolled: 1-line block ×5, first 2 shown]
	v_cndmask_b32_e32 v1, v2, v3, vcc_lo
	s_delay_alu instid0(VALU_DEP_1) | instskip(SKIP_1) | instid1(VALU_DEP_2)
	v_cndmask_b32_e64 v1, v1, v4, s0
	v_cmp_eq_u32_e64 s0, 7, v0
	v_cndmask_b32_e64 v1, v1, v5, s1
	s_delay_alu instid0(VALU_DEP_2) | instskip(NEXT) | instid1(VALU_DEP_2)
	v_cndmask_b32_e64 v33, v9, v3, s0
	v_cndmask_b32_e64 v1, v1, v6, s2
	s_delay_alu instid0(VALU_DEP_1) | instskip(NEXT) | instid1(VALU_DEP_1)
	v_cndmask_b32_e64 v1, v1, v7, s3
	v_cndmask_b32_e64 v1, v1, v8, s4
	s_delay_alu instid0(VALU_DEP_1) | instskip(NEXT) | instid1(VALU_DEP_1)
	v_cndmask_b32_e64 v1, v1, v9, s0
	v_cndmask_b32_e32 v27, v1, v3, vcc_lo
	v_cmp_eq_u32_e32 vcc_lo, 0, v0
	v_cndmask_b32_e32 v26, v2, v3, vcc_lo
	s_delay_alu instid0(VALU_DEP_1)
	v_dual_mov_b32 v2, v26 :: v_dual_mov_b32 v3, v27
	v_dual_mov_b32 v4, v28 :: v_dual_mov_b32 v5, v29
	v_dual_mov_b32 v6, v30 :: v_dual_mov_b32 v7, v31
	v_dual_mov_b32 v8, v32 :: v_dual_mov_b32 v9, v33
.LBB7_69:
	s_or_b32 exec_lo, exec_lo, s5
	v_dual_mov_b32 v0, s12 :: v_dual_mov_b32 v1, s13
	s_mov_b32 s5, exec_lo
	flat_load_b32 v0, v[0:1]
	s_waitcnt vmcnt(0) lgkmcnt(0)
	v_add_nc_u32_e32 v0, -1, v0
	s_delay_alu instid0(VALU_DEP_1)
	v_cmpx_ne_u32_e32 0, v0
	s_cbranch_execz .LBB7_71
; %bb.70:
	v_cmp_eq_u32_e32 vcc_lo, 1, v0
	v_cmp_eq_u32_e64 s0, 2, v0
	v_cmp_eq_u32_e64 s1, 3, v0
	;; [unrolled: 1-line block ×5, first 2 shown]
	v_cndmask_b32_e64 v28, v4, v2, s0
	v_cndmask_b32_e64 v29, v5, v2, s1
	;; [unrolled: 1-line block ×5, first 2 shown]
	v_cndmask_b32_e32 v27, v3, v2, vcc_lo
	v_cndmask_b32_e32 v1, v2, v3, vcc_lo
	s_delay_alu instid0(VALU_DEP_1) | instskip(SKIP_1) | instid1(VALU_DEP_2)
	v_cndmask_b32_e64 v1, v1, v4, s0
	v_cmp_eq_u32_e64 s0, 7, v0
	v_cndmask_b32_e64 v1, v1, v5, s1
	s_delay_alu instid0(VALU_DEP_2) | instskip(NEXT) | instid1(VALU_DEP_2)
	v_cndmask_b32_e64 v33, v9, v2, s0
	v_cndmask_b32_e64 v1, v1, v6, s2
	s_delay_alu instid0(VALU_DEP_1) | instskip(NEXT) | instid1(VALU_DEP_1)
	v_cndmask_b32_e64 v1, v1, v7, s3
	v_cndmask_b32_e64 v1, v1, v8, s4
	s_delay_alu instid0(VALU_DEP_1) | instskip(SKIP_1) | instid1(VALU_DEP_1)
	v_cndmask_b32_e64 v1, v1, v9, s0
	v_cmp_eq_u32_e64 s0, 0, v0
	v_cndmask_b32_e64 v26, v1, v2, s0
	s_delay_alu instid0(VALU_DEP_1)
	v_dual_mov_b32 v2, v26 :: v_dual_mov_b32 v3, v27
	v_dual_mov_b32 v4, v28 :: v_dual_mov_b32 v5, v29
	;; [unrolled: 1-line block ×4, first 2 shown]
.LBB7_71:
	s_or_b32 exec_lo, exec_lo, s5
.LBB7_72:
	s_clause 0x7
	global_store_b32 v[10:11], v2, off
	global_store_b32 v[12:13], v3, off
	;; [unrolled: 1-line block ×8, first 2 shown]
	s_nop 0
	s_sendmsg sendmsg(MSG_DEALLOC_VGPRS)
	s_endpgm
	.section	.rodata,"a",@progbits
	.p2align	6, 0x0
	.amdhsa_kernel _ZN9rocsolver6v33100L18getri_kernel_smallILi8EfPfEEvT1_iilPiilS4_bb
		.amdhsa_group_segment_fixed_size 68
		.amdhsa_private_segment_fixed_size 0
		.amdhsa_kernarg_size 60
		.amdhsa_user_sgpr_count 15
		.amdhsa_user_sgpr_dispatch_ptr 0
		.amdhsa_user_sgpr_queue_ptr 0
		.amdhsa_user_sgpr_kernarg_segment_ptr 1
		.amdhsa_user_sgpr_dispatch_id 0
		.amdhsa_user_sgpr_private_segment_size 0
		.amdhsa_wavefront_size32 1
		.amdhsa_uses_dynamic_stack 0
		.amdhsa_enable_private_segment 0
		.amdhsa_system_sgpr_workgroup_id_x 1
		.amdhsa_system_sgpr_workgroup_id_y 0
		.amdhsa_system_sgpr_workgroup_id_z 0
		.amdhsa_system_sgpr_workgroup_info 0
		.amdhsa_system_vgpr_workitem_id 0
		.amdhsa_next_free_vgpr 35
		.amdhsa_next_free_sgpr 18
		.amdhsa_reserve_vcc 1
		.amdhsa_float_round_mode_32 0
		.amdhsa_float_round_mode_16_64 0
		.amdhsa_float_denorm_mode_32 3
		.amdhsa_float_denorm_mode_16_64 3
		.amdhsa_dx10_clamp 1
		.amdhsa_ieee_mode 1
		.amdhsa_fp16_overflow 0
		.amdhsa_workgroup_processor_mode 1
		.amdhsa_memory_ordered 1
		.amdhsa_forward_progress 0
		.amdhsa_shared_vgpr_count 0
		.amdhsa_exception_fp_ieee_invalid_op 0
		.amdhsa_exception_fp_denorm_src 0
		.amdhsa_exception_fp_ieee_div_zero 0
		.amdhsa_exception_fp_ieee_overflow 0
		.amdhsa_exception_fp_ieee_underflow 0
		.amdhsa_exception_fp_ieee_inexact 0
		.amdhsa_exception_int_div_zero 0
	.end_amdhsa_kernel
	.section	.text._ZN9rocsolver6v33100L18getri_kernel_smallILi8EfPfEEvT1_iilPiilS4_bb,"axG",@progbits,_ZN9rocsolver6v33100L18getri_kernel_smallILi8EfPfEEvT1_iilPiilS4_bb,comdat
.Lfunc_end7:
	.size	_ZN9rocsolver6v33100L18getri_kernel_smallILi8EfPfEEvT1_iilPiilS4_bb, .Lfunc_end7-_ZN9rocsolver6v33100L18getri_kernel_smallILi8EfPfEEvT1_iilPiilS4_bb
                                        ; -- End function
	.section	.AMDGPU.csdata,"",@progbits
; Kernel info:
; codeLenInByte = 5604
; NumSgprs: 20
; NumVgprs: 35
; ScratchSize: 0
; MemoryBound: 0
; FloatMode: 240
; IeeeMode: 1
; LDSByteSize: 68 bytes/workgroup (compile time only)
; SGPRBlocks: 2
; VGPRBlocks: 4
; NumSGPRsForWavesPerEU: 20
; NumVGPRsForWavesPerEU: 35
; Occupancy: 16
; WaveLimiterHint : 0
; COMPUTE_PGM_RSRC2:SCRATCH_EN: 0
; COMPUTE_PGM_RSRC2:USER_SGPR: 15
; COMPUTE_PGM_RSRC2:TRAP_HANDLER: 0
; COMPUTE_PGM_RSRC2:TGID_X_EN: 1
; COMPUTE_PGM_RSRC2:TGID_Y_EN: 0
; COMPUTE_PGM_RSRC2:TGID_Z_EN: 0
; COMPUTE_PGM_RSRC2:TIDIG_COMP_CNT: 0
	.section	.text._ZN9rocsolver6v33100L18getri_kernel_smallILi9EfPfEEvT1_iilPiilS4_bb,"axG",@progbits,_ZN9rocsolver6v33100L18getri_kernel_smallILi9EfPfEEvT1_iilPiilS4_bb,comdat
	.globl	_ZN9rocsolver6v33100L18getri_kernel_smallILi9EfPfEEvT1_iilPiilS4_bb ; -- Begin function _ZN9rocsolver6v33100L18getri_kernel_smallILi9EfPfEEvT1_iilPiilS4_bb
	.p2align	8
	.type	_ZN9rocsolver6v33100L18getri_kernel_smallILi9EfPfEEvT1_iilPiilS4_bb,@function
_ZN9rocsolver6v33100L18getri_kernel_smallILi9EfPfEEvT1_iilPiilS4_bb: ; @_ZN9rocsolver6v33100L18getri_kernel_smallILi9EfPfEEvT1_iilPiilS4_bb
; %bb.0:
	s_mov_b32 s2, exec_lo
	v_cmpx_gt_u32_e32 9, v0
	s_cbranch_execz .LBB8_16
; %bb.1:
	s_clause 0x2
	s_load_b32 s17, s[0:1], 0x38
	s_load_b128 s[8:11], s[0:1], 0x10
	s_load_b128 s[4:7], s[0:1], 0x28
	s_mov_b32 s14, s15
                                        ; implicit-def: $sgpr12_sgpr13
	s_waitcnt lgkmcnt(0)
	s_bitcmp1_b32 s17, 8
	s_cselect_b32 s16, -1, 0
	s_bfe_u32 s2, s17, 0x10008
	s_ashr_i32 s15, s15, 31
	s_cmp_eq_u32 s2, 0
	s_cbranch_scc1 .LBB8_3
; %bb.2:
	s_load_b32 s2, s[0:1], 0x20
	s_mul_i32 s3, s14, s5
	s_mul_hi_u32 s5, s14, s4
	s_mul_i32 s12, s15, s4
	s_add_i32 s3, s5, s3
	s_mul_i32 s4, s14, s4
	s_add_i32 s5, s3, s12
	s_delay_alu instid0(SALU_CYCLE_1)
	s_lshl_b64 s[4:5], s[4:5], 2
	s_waitcnt lgkmcnt(0)
	s_ashr_i32 s3, s2, 31
	s_add_u32 s4, s10, s4
	s_addc_u32 s5, s11, s5
	s_lshl_b64 s[2:3], s[2:3], 2
	s_delay_alu instid0(SALU_CYCLE_1)
	s_add_u32 s12, s4, s2
	s_addc_u32 s13, s5, s3
.LBB8_3:
	s_load_b128 s[0:3], s[0:1], 0x0
	s_mul_i32 s4, s14, s9
	s_mul_hi_u32 s5, s14, s8
	s_mul_i32 s9, s15, s8
	s_add_i32 s5, s5, s4
	s_mul_i32 s4, s14, s8
	s_add_i32 s5, s5, s9
	v_lshlrev_b32_e32 v29, 2, v0
	s_lshl_b64 s[4:5], s[4:5], 2
	v_mov_b32_e32 v1, 0
	s_waitcnt lgkmcnt(0)
	v_add3_u32 v3, s3, s3, v0
	s_ashr_i32 s9, s2, 31
	s_mov_b32 s8, s2
	s_add_u32 s2, s0, s4
	s_addc_u32 s5, s1, s5
	v_add_nc_u32_e32 v5, s3, v3
	s_lshl_b64 s[0:1], s[8:9], 2
	v_ashrrev_i32_e32 v4, 31, v3
	s_add_u32 s0, s2, s0
	s_addc_u32 s1, s5, s1
	v_add_co_u32 v11, s2, s0, v29
	v_add_nc_u32_e32 v7, s3, v5
	s_mov_b32 s4, s3
	s_ashr_i32 s5, s3, 31
	v_add_co_ci_u32_e64 v12, null, s1, 0, s2
	v_lshlrev_b64 v[3:4], 2, v[3:4]
	v_ashrrev_i32_e32 v6, 31, v5
	s_lshl_b64 s[4:5], s[4:5], 2
	v_ashrrev_i32_e32 v8, 31, v7
	v_add_co_u32 v13, vcc_lo, v11, s4
	v_add_nc_u32_e32 v9, s3, v7
	v_add_co_ci_u32_e32 v14, vcc_lo, s5, v12, vcc_lo
	v_lshlrev_b64 v[5:6], 2, v[5:6]
	v_add_co_u32 v15, vcc_lo, s0, v3
	v_add_co_ci_u32_e32 v16, vcc_lo, s1, v4, vcc_lo
	v_lshlrev_b64 v[3:4], 2, v[7:8]
	v_ashrrev_i32_e32 v10, 31, v9
	v_add_nc_u32_e32 v7, s3, v9
	v_add_co_u32 v17, vcc_lo, s0, v5
	v_add_co_ci_u32_e32 v18, vcc_lo, s1, v6, vcc_lo
	s_delay_alu instid0(VALU_DEP_4) | instskip(NEXT) | instid1(VALU_DEP_4)
	v_lshlrev_b64 v[5:6], 2, v[9:10]
	v_ashrrev_i32_e32 v8, 31, v7
	v_add_nc_u32_e32 v9, s3, v7
	v_add_co_u32 v19, vcc_lo, s0, v3
	v_add_co_ci_u32_e32 v20, vcc_lo, s1, v4, vcc_lo
	s_delay_alu instid0(VALU_DEP_4) | instskip(NEXT) | instid1(VALU_DEP_4)
	v_lshlrev_b64 v[3:4], 2, v[7:8]
	v_add_nc_u32_e32 v7, s3, v9
	v_ashrrev_i32_e32 v10, 31, v9
	v_add_co_u32 v21, vcc_lo, s0, v5
	v_add_co_ci_u32_e32 v22, vcc_lo, s1, v6, vcc_lo
	s_delay_alu instid0(VALU_DEP_4) | instskip(NEXT) | instid1(VALU_DEP_4)
	v_ashrrev_i32_e32 v8, 31, v7
	v_lshlrev_b64 v[5:6], 2, v[9:10]
	v_add_co_u32 v23, vcc_lo, s0, v3
	v_add_co_ci_u32_e32 v24, vcc_lo, s1, v4, vcc_lo
	s_delay_alu instid0(VALU_DEP_4) | instskip(NEXT) | instid1(VALU_DEP_4)
	v_lshlrev_b64 v[3:4], 2, v[7:8]
	v_add_co_u32 v25, vcc_lo, s0, v5
	v_add_co_ci_u32_e32 v26, vcc_lo, s1, v6, vcc_lo
	global_load_b32 v2, v29, s[0:1]
	v_add_co_u32 v27, vcc_lo, s0, v3
	v_add_co_ci_u32_e32 v28, vcc_lo, s1, v4, vcc_lo
	s_clause 0x7
	global_load_b32 v3, v[13:14], off
	global_load_b32 v4, v[15:16], off
	;; [unrolled: 1-line block ×8, first 2 shown]
	s_bitcmp0_b32 s17, 0
	s_mov_b32 s0, -1
	s_cbranch_scc1 .LBB8_14
; %bb.4:
	v_cmp_eq_u32_e64 s0, 0, v0
	s_delay_alu instid0(VALU_DEP_1)
	s_and_saveexec_b32 s1, s0
	s_cbranch_execz .LBB8_6
; %bb.5:
	v_mov_b32_e32 v30, 0
	ds_store_b32 v30, v30 offset:36
.LBB8_6:
	s_or_b32 exec_lo, exec_lo, s1
	v_cmp_eq_u32_e32 vcc_lo, 1, v0
	s_mov_b32 s2, exec_lo
	s_waitcnt vmcnt(0) lgkmcnt(0)
	s_barrier
	buffer_gl0_inv
	v_cndmask_b32_e32 v30, v2, v3, vcc_lo
	v_cmp_eq_u32_e32 vcc_lo, 2, v0
	s_delay_alu instid0(VALU_DEP_2) | instskip(SKIP_1) | instid1(VALU_DEP_2)
	v_cndmask_b32_e32 v30, v30, v4, vcc_lo
	v_cmp_eq_u32_e32 vcc_lo, 3, v0
	v_cndmask_b32_e32 v30, v30, v5, vcc_lo
	v_cmp_eq_u32_e32 vcc_lo, 4, v0
	s_delay_alu instid0(VALU_DEP_2) | instskip(SKIP_1) | instid1(VALU_DEP_2)
	v_cndmask_b32_e32 v30, v30, v6, vcc_lo
	v_cmp_eq_u32_e32 vcc_lo, 5, v0
	v_cndmask_b32_e32 v30, v30, v7, vcc_lo
	v_cmp_eq_u32_e32 vcc_lo, 6, v0
	s_delay_alu instid0(VALU_DEP_2) | instskip(SKIP_1) | instid1(VALU_DEP_2)
	v_cndmask_b32_e32 v30, v30, v8, vcc_lo
	v_cmp_eq_u32_e32 vcc_lo, 7, v0
	v_cndmask_b32_e32 v30, v30, v9, vcc_lo
	v_cmp_eq_u32_e32 vcc_lo, 8, v0
	s_delay_alu instid0(VALU_DEP_2) | instskip(NEXT) | instid1(VALU_DEP_1)
	v_cndmask_b32_e32 v30, v30, v10, vcc_lo
	v_cmpx_eq_f32_e32 0, v30
	s_cbranch_execz .LBB8_10
; %bb.7:
	v_mov_b32_e32 v31, 0
	ds_load_b32 v32, v31 offset:36
	s_waitcnt lgkmcnt(0)
	v_readfirstlane_b32 s1, v32
	v_add_nc_u32_e32 v32, 1, v0
	s_delay_alu instid0(VALU_DEP_2) | instskip(NEXT) | instid1(VALU_DEP_1)
	s_cmp_eq_u32 s1, 0
	v_cmp_gt_i32_e32 vcc_lo, s1, v32
	s_cselect_b32 s3, -1, 0
	s_delay_alu instid0(SALU_CYCLE_1) | instskip(NEXT) | instid1(SALU_CYCLE_1)
	s_or_b32 s3, s3, vcc_lo
	s_and_b32 exec_lo, exec_lo, s3
	s_cbranch_execz .LBB8_10
; %bb.8:
	v_mov_b32_e32 v33, s1
	s_mov_b32 s3, 0
.LBB8_9:                                ; =>This Inner Loop Header: Depth=1
	ds_cmpstore_rtn_b32 v33, v31, v32, v33 offset:36
	s_waitcnt lgkmcnt(0)
	v_cmp_ne_u32_e32 vcc_lo, 0, v33
	v_cmp_le_i32_e64 s1, v33, v32
	s_delay_alu instid0(VALU_DEP_1) | instskip(NEXT) | instid1(SALU_CYCLE_1)
	s_and_b32 s1, vcc_lo, s1
	s_and_b32 s1, exec_lo, s1
	s_delay_alu instid0(SALU_CYCLE_1) | instskip(NEXT) | instid1(SALU_CYCLE_1)
	s_or_b32 s3, s1, s3
	s_and_not1_b32 exec_lo, exec_lo, s3
	s_cbranch_execnz .LBB8_9
.LBB8_10:
	s_or_b32 exec_lo, exec_lo, s2
	v_mov_b32_e32 v31, 0
	s_barrier
	buffer_gl0_inv
	ds_load_b32 v32, v31 offset:36
	s_and_saveexec_b32 s1, s0
	s_cbranch_execz .LBB8_12
; %bb.11:
	s_lshl_b64 s[2:3], s[14:15], 2
	s_delay_alu instid0(SALU_CYCLE_1)
	s_add_u32 s2, s6, s2
	s_addc_u32 s3, s7, s3
	s_waitcnt lgkmcnt(0)
	global_store_b32 v31, v32, s[2:3]
.LBB8_12:
	s_or_b32 exec_lo, exec_lo, s1
	s_waitcnt lgkmcnt(0)
	v_cmp_ne_u32_e32 vcc_lo, 0, v32
	s_cbranch_vccz .LBB8_17
; %bb.13:
	s_mov_b32 s0, 0
                                        ; implicit-def: $vgpr2_vgpr3_vgpr4_vgpr5_vgpr6_vgpr7_vgpr8_vgpr9_vgpr10
.LBB8_14:
	s_delay_alu instid0(SALU_CYCLE_1)
	s_and_b32 vcc_lo, exec_lo, s0
	s_cbranch_vccz .LBB8_16
.LBB8_15:
	s_lshl_b64 s[0:1], s[14:15], 2
	v_mov_b32_e32 v1, 0
	s_add_u32 s0, s6, s0
	s_addc_u32 s1, s7, s1
	global_load_b32 v1, v1, s[0:1]
	s_waitcnt vmcnt(0)
	v_cmp_ne_u32_e32 vcc_lo, 0, v1
	s_cbranch_vccz .LBB8_58
.LBB8_16:
	s_nop 0
	s_sendmsg sendmsg(MSG_DEALLOC_VGPRS)
	s_endpgm
.LBB8_17:
	v_div_scale_f32 v31, null, v30, v30, 1.0
	v_div_scale_f32 v34, vcc_lo, 1.0, v30, 1.0
	s_delay_alu instid0(VALU_DEP_2) | instskip(SKIP_2) | instid1(VALU_DEP_1)
	v_rcp_f32_e32 v32, v31
	s_waitcnt_depctr 0xfff
	v_fma_f32 v33, -v31, v32, 1.0
	v_fmac_f32_e32 v32, v33, v32
	s_delay_alu instid0(VALU_DEP_1) | instskip(NEXT) | instid1(VALU_DEP_1)
	v_mul_f32_e32 v33, v34, v32
	v_fma_f32 v35, -v31, v33, v34
	s_delay_alu instid0(VALU_DEP_1) | instskip(NEXT) | instid1(VALU_DEP_1)
	v_fmac_f32_e32 v33, v35, v32
	v_fma_f32 v31, -v31, v33, v34
	s_delay_alu instid0(VALU_DEP_1) | instskip(SKIP_1) | instid1(VALU_DEP_2)
	v_div_fmas_f32 v31, v31, v32, v33
	v_cmp_eq_u32_e32 vcc_lo, 8, v0
	v_div_fixup_f32 v30, v31, v30, 1.0
	s_delay_alu instid0(VALU_DEP_1)
	v_dual_cndmask_b32 v10, v10, v30 :: v_dual_add_nc_u32 v31, 48, v29
	v_cmp_eq_u32_e32 vcc_lo, 7, v0
	v_xor_b32_e32 v32, 0x80000000, v30
	v_cndmask_b32_e32 v9, v9, v30, vcc_lo
	v_cmp_eq_u32_e32 vcc_lo, 6, v0
	v_cndmask_b32_e32 v8, v8, v30, vcc_lo
	v_cmp_eq_u32_e32 vcc_lo, 5, v0
	;; [unrolled: 2-line block ×6, first 2 shown]
	ds_store_2addr_b32 v29, v32, v3 offset1:12
	v_cndmask_b32_e32 v4, v4, v30, vcc_lo
	v_cmp_eq_u32_e32 vcc_lo, 0, v0
	s_waitcnt lgkmcnt(0)
	s_waitcnt_vscnt null, 0x0
	s_barrier
	buffer_gl0_inv
	v_cndmask_b32_e32 v2, v2, v30, vcc_lo
	s_and_saveexec_b32 s1, s0
	s_cbranch_execz .LBB8_19
; %bb.18:
	v_mov_b32_e32 v3, 0
	ds_load_b32 v29, v31
	ds_load_b32 v3, v3 offset:4
	s_waitcnt lgkmcnt(1)
	v_fma_f32 v29, v30, v29, 0
	s_waitcnt lgkmcnt(0)
	s_delay_alu instid0(VALU_DEP_1)
	v_mul_f32_e32 v3, v29, v3
.LBB8_19:
	s_or_b32 exec_lo, exec_lo, s1
	s_delay_alu instid0(SALU_CYCLE_1)
	s_mov_b32 s1, exec_lo
	s_barrier
	buffer_gl0_inv
	ds_store_b32 v31, v4
	s_waitcnt lgkmcnt(0)
	s_barrier
	buffer_gl0_inv
	v_cmpx_gt_u32_e32 2, v0
	s_cbranch_execz .LBB8_21
; %bb.20:
	v_cmp_eq_u32_e32 vcc_lo, 1, v0
	ds_load_b32 v32, v31
	v_cndmask_b32_e32 v29, v2, v3, vcc_lo
	v_cmp_eq_u32_e32 vcc_lo, 2, v0
	s_delay_alu instid0(VALU_DEP_2) | instskip(SKIP_4) | instid1(VALU_DEP_2)
	v_dual_cndmask_b32 v4, v29, v4 :: v_dual_mov_b32 v29, 0
	v_cmp_eq_u32_e32 vcc_lo, 3, v0
	ds_load_2addr_b32 v[29:30], v29 offset0:2 offset1:13
	v_cndmask_b32_e32 v4, v4, v5, vcc_lo
	v_cmp_eq_u32_e32 vcc_lo, 4, v0
	v_cndmask_b32_e32 v4, v4, v6, vcc_lo
	v_cmp_eq_u32_e32 vcc_lo, 5, v0
	s_delay_alu instid0(VALU_DEP_2) | instskip(SKIP_1) | instid1(VALU_DEP_2)
	v_cndmask_b32_e32 v4, v4, v7, vcc_lo
	v_cmp_eq_u32_e32 vcc_lo, 6, v0
	v_cndmask_b32_e32 v4, v4, v8, vcc_lo
	v_cmp_eq_u32_e32 vcc_lo, 7, v0
	s_delay_alu instid0(VALU_DEP_2) | instskip(SKIP_1) | instid1(VALU_DEP_2)
	v_cndmask_b32_e32 v4, v4, v9, vcc_lo
	v_cmp_eq_u32_e32 vcc_lo, 8, v0
	v_cndmask_b32_e32 v4, v4, v10, vcc_lo
	s_waitcnt lgkmcnt(1)
	s_delay_alu instid0(VALU_DEP_1) | instskip(SKIP_1) | instid1(VALU_DEP_1)
	v_fma_f32 v4, v4, v32, 0
	s_waitcnt lgkmcnt(0)
	v_fma_f32 v30, v3, v30, v4
	s_delay_alu instid0(VALU_DEP_1) | instskip(NEXT) | instid1(VALU_DEP_1)
	v_cndmask_b32_e64 v4, v4, v30, s0
	v_mul_f32_e32 v4, v4, v29
.LBB8_21:
	s_or_b32 exec_lo, exec_lo, s1
	v_cmp_gt_u32_e32 vcc_lo, 3, v0
	s_barrier
	buffer_gl0_inv
	ds_store_b32 v31, v5
	s_waitcnt lgkmcnt(0)
	s_barrier
	buffer_gl0_inv
	s_and_saveexec_b32 s3, vcc_lo
	s_cbranch_execz .LBB8_25
; %bb.22:
	v_mov_b32_e32 v30, v1
	v_lshl_add_u32 v33, v0, 2, 48
	v_dual_mov_b32 v32, 0 :: v_dual_mov_b32 v29, v0
	s_mov_b32 s4, 0
	s_set_inst_prefetch_distance 0x1
	.p2align	6
.LBB8_23:                               ; =>This Inner Loop Header: Depth=1
	s_delay_alu instid0(VALU_DEP_1) | instskip(SKIP_3) | instid1(VALU_DEP_1)
	v_cmp_eq_u32_e64 s1, 1, v29
	ds_load_b32 v35, v33
	v_cndmask_b32_e64 v34, v2, v3, s1
	v_cmp_eq_u32_e64 s1, 2, v29
	v_cndmask_b32_e64 v34, v34, v4, s1
	v_cmp_eq_u32_e64 s1, 3, v29
	s_delay_alu instid0(VALU_DEP_1) | instskip(SKIP_1) | instid1(VALU_DEP_1)
	v_cndmask_b32_e64 v34, v34, v5, s1
	v_cmp_eq_u32_e64 s1, 4, v29
	v_cndmask_b32_e64 v34, v34, v6, s1
	v_cmp_eq_u32_e64 s1, 5, v29
	s_delay_alu instid0(VALU_DEP_1) | instskip(SKIP_1) | instid1(VALU_DEP_1)
	v_cndmask_b32_e64 v34, v34, v7, s1
	v_cmp_eq_u32_e64 s1, 6, v29
	v_cndmask_b32_e64 v34, v34, v8, s1
	v_cmp_eq_u32_e64 s1, 7, v29
	s_delay_alu instid0(VALU_DEP_1) | instskip(SKIP_2) | instid1(VALU_DEP_1)
	v_cndmask_b32_e64 v34, v34, v9, s1
	v_cmp_eq_u32_e64 s1, 8, v29
	v_add_co_u32 v29, s2, v29, 1
	v_add_co_ci_u32_e64 v30, s2, 0, v30, s2
	s_delay_alu instid0(VALU_DEP_3) | instskip(NEXT) | instid1(VALU_DEP_3)
	v_cndmask_b32_e64 v34, v34, v10, s1
	v_add_nc_u32_e32 v36, -1, v29
	s_waitcnt lgkmcnt(0)
	s_delay_alu instid0(VALU_DEP_2) | instskip(NEXT) | instid1(VALU_DEP_2)
	v_dual_fmac_f32 v32, v34, v35 :: v_dual_add_nc_u32 v33, 4, v33
	v_cmp_lt_u32_e64 s1, 1, v36
	s_delay_alu instid0(VALU_DEP_1) | instskip(NEXT) | instid1(SALU_CYCLE_1)
	s_or_b32 s4, s1, s4
	s_and_not1_b32 exec_lo, exec_lo, s4
	s_cbranch_execnz .LBB8_23
; %bb.24:
	s_set_inst_prefetch_distance 0x2
	s_or_b32 exec_lo, exec_lo, s4
	v_mov_b32_e32 v5, 0
	ds_load_b32 v5, v5 offset:12
	s_waitcnt lgkmcnt(0)
	v_mul_f32_e32 v5, v32, v5
.LBB8_25:
	s_or_b32 exec_lo, exec_lo, s3
	s_delay_alu instid0(SALU_CYCLE_1)
	s_mov_b32 s3, exec_lo
	s_barrier
	buffer_gl0_inv
	ds_store_b32 v31, v6
	s_waitcnt lgkmcnt(0)
	s_barrier
	buffer_gl0_inv
	v_cmpx_gt_u32_e32 4, v0
	s_cbranch_execz .LBB8_29
; %bb.26:
	v_mov_b32_e32 v30, v1
	v_lshl_add_u32 v33, v0, 2, 48
	v_dual_mov_b32 v32, 0 :: v_dual_mov_b32 v29, v0
	s_mov_b32 s4, 0
	s_set_inst_prefetch_distance 0x1
	.p2align	6
.LBB8_27:                               ; =>This Inner Loop Header: Depth=1
	s_delay_alu instid0(VALU_DEP_1) | instskip(SKIP_3) | instid1(VALU_DEP_1)
	v_cmp_eq_u32_e64 s1, 1, v29
	ds_load_b32 v35, v33
	v_cndmask_b32_e64 v34, v2, v3, s1
	v_cmp_eq_u32_e64 s1, 2, v29
	v_cndmask_b32_e64 v34, v34, v4, s1
	v_cmp_eq_u32_e64 s1, 3, v29
	s_delay_alu instid0(VALU_DEP_1) | instskip(SKIP_1) | instid1(VALU_DEP_1)
	v_cndmask_b32_e64 v34, v34, v5, s1
	v_cmp_eq_u32_e64 s1, 4, v29
	v_cndmask_b32_e64 v34, v34, v6, s1
	v_cmp_eq_u32_e64 s1, 5, v29
	s_delay_alu instid0(VALU_DEP_1) | instskip(SKIP_1) | instid1(VALU_DEP_1)
	v_cndmask_b32_e64 v34, v34, v7, s1
	v_cmp_eq_u32_e64 s1, 6, v29
	v_cndmask_b32_e64 v34, v34, v8, s1
	v_cmp_eq_u32_e64 s1, 7, v29
	s_delay_alu instid0(VALU_DEP_1) | instskip(SKIP_2) | instid1(VALU_DEP_1)
	v_cndmask_b32_e64 v34, v34, v9, s1
	v_cmp_eq_u32_e64 s1, 8, v29
	v_add_co_u32 v29, s2, v29, 1
	v_add_co_ci_u32_e64 v30, s2, 0, v30, s2
	s_delay_alu instid0(VALU_DEP_3) | instskip(NEXT) | instid1(VALU_DEP_3)
	v_cndmask_b32_e64 v34, v34, v10, s1
	v_add_nc_u32_e32 v36, -1, v29
	s_waitcnt lgkmcnt(0)
	s_delay_alu instid0(VALU_DEP_2) | instskip(NEXT) | instid1(VALU_DEP_2)
	v_dual_fmac_f32 v32, v34, v35 :: v_dual_add_nc_u32 v33, 4, v33
	v_cmp_lt_u32_e64 s1, 2, v36
	s_delay_alu instid0(VALU_DEP_1) | instskip(NEXT) | instid1(SALU_CYCLE_1)
	s_or_b32 s4, s1, s4
	s_and_not1_b32 exec_lo, exec_lo, s4
	s_cbranch_execnz .LBB8_27
; %bb.28:
	s_set_inst_prefetch_distance 0x2
	s_or_b32 exec_lo, exec_lo, s4
	v_mov_b32_e32 v6, 0
	ds_load_b32 v6, v6 offset:16
	s_waitcnt lgkmcnt(0)
	v_mul_f32_e32 v6, v32, v6
.LBB8_29:
	s_or_b32 exec_lo, exec_lo, s3
	v_cmp_gt_u32_e64 s1, 5, v0
	s_barrier
	buffer_gl0_inv
	ds_store_b32 v31, v7
	s_waitcnt lgkmcnt(0)
	s_barrier
	buffer_gl0_inv
	s_and_saveexec_b32 s4, s1
	s_cbranch_execz .LBB8_33
; %bb.30:
	v_mov_b32_e32 v30, v1
	v_lshl_add_u32 v33, v0, 2, 48
	v_dual_mov_b32 v32, 0 :: v_dual_mov_b32 v29, v0
	s_mov_b32 s5, 0
	s_set_inst_prefetch_distance 0x1
	.p2align	6
.LBB8_31:                               ; =>This Inner Loop Header: Depth=1
	s_delay_alu instid0(VALU_DEP_1) | instskip(SKIP_3) | instid1(VALU_DEP_1)
	v_cmp_eq_u32_e64 s2, 1, v29
	ds_load_b32 v35, v33
	v_cndmask_b32_e64 v34, v2, v3, s2
	v_cmp_eq_u32_e64 s2, 2, v29
	v_cndmask_b32_e64 v34, v34, v4, s2
	v_cmp_eq_u32_e64 s2, 3, v29
	s_delay_alu instid0(VALU_DEP_1) | instskip(SKIP_1) | instid1(VALU_DEP_1)
	v_cndmask_b32_e64 v34, v34, v5, s2
	v_cmp_eq_u32_e64 s2, 4, v29
	v_cndmask_b32_e64 v34, v34, v6, s2
	v_cmp_eq_u32_e64 s2, 5, v29
	s_delay_alu instid0(VALU_DEP_1) | instskip(SKIP_1) | instid1(VALU_DEP_1)
	v_cndmask_b32_e64 v34, v34, v7, s2
	v_cmp_eq_u32_e64 s2, 6, v29
	v_cndmask_b32_e64 v34, v34, v8, s2
	v_cmp_eq_u32_e64 s2, 7, v29
	s_delay_alu instid0(VALU_DEP_1) | instskip(SKIP_2) | instid1(VALU_DEP_1)
	v_cndmask_b32_e64 v34, v34, v9, s2
	v_cmp_eq_u32_e64 s2, 8, v29
	v_add_co_u32 v29, s3, v29, 1
	v_add_co_ci_u32_e64 v30, s3, 0, v30, s3
	s_delay_alu instid0(VALU_DEP_3) | instskip(NEXT) | instid1(VALU_DEP_3)
	v_cndmask_b32_e64 v34, v34, v10, s2
	v_add_nc_u32_e32 v36, -1, v29
	s_waitcnt lgkmcnt(0)
	s_delay_alu instid0(VALU_DEP_2) | instskip(NEXT) | instid1(VALU_DEP_2)
	v_dual_fmac_f32 v32, v34, v35 :: v_dual_add_nc_u32 v33, 4, v33
	v_cmp_lt_u32_e64 s2, 3, v36
	s_delay_alu instid0(VALU_DEP_1) | instskip(NEXT) | instid1(SALU_CYCLE_1)
	s_or_b32 s5, s2, s5
	s_and_not1_b32 exec_lo, exec_lo, s5
	s_cbranch_execnz .LBB8_31
; %bb.32:
	s_set_inst_prefetch_distance 0x2
	s_or_b32 exec_lo, exec_lo, s5
	v_mov_b32_e32 v7, 0
	ds_load_b32 v7, v7 offset:20
	s_waitcnt lgkmcnt(0)
	v_mul_f32_e32 v7, v32, v7
.LBB8_33:
	s_or_b32 exec_lo, exec_lo, s4
	s_delay_alu instid0(SALU_CYCLE_1)
	s_mov_b32 s4, exec_lo
	s_barrier
	buffer_gl0_inv
	ds_store_b32 v31, v8
	s_waitcnt lgkmcnt(0)
	s_barrier
	buffer_gl0_inv
	v_cmpx_gt_u32_e32 6, v0
	s_cbranch_execz .LBB8_37
; %bb.34:
	v_mov_b32_e32 v30, v1
	v_lshl_add_u32 v33, v0, 2, 48
	v_dual_mov_b32 v32, 0 :: v_dual_mov_b32 v29, v0
	s_mov_b32 s5, 0
	s_set_inst_prefetch_distance 0x1
	.p2align	6
.LBB8_35:                               ; =>This Inner Loop Header: Depth=1
	s_delay_alu instid0(VALU_DEP_1) | instskip(SKIP_3) | instid1(VALU_DEP_1)
	v_cmp_eq_u32_e64 s2, 1, v29
	ds_load_b32 v35, v33
	v_cndmask_b32_e64 v34, v2, v3, s2
	v_cmp_eq_u32_e64 s2, 2, v29
	v_cndmask_b32_e64 v34, v34, v4, s2
	v_cmp_eq_u32_e64 s2, 3, v29
	s_delay_alu instid0(VALU_DEP_1) | instskip(SKIP_1) | instid1(VALU_DEP_1)
	v_cndmask_b32_e64 v34, v34, v5, s2
	v_cmp_eq_u32_e64 s2, 4, v29
	v_cndmask_b32_e64 v34, v34, v6, s2
	v_cmp_eq_u32_e64 s2, 5, v29
	s_delay_alu instid0(VALU_DEP_1) | instskip(SKIP_1) | instid1(VALU_DEP_1)
	v_cndmask_b32_e64 v34, v34, v7, s2
	v_cmp_eq_u32_e64 s2, 6, v29
	v_cndmask_b32_e64 v34, v34, v8, s2
	v_cmp_eq_u32_e64 s2, 7, v29
	s_delay_alu instid0(VALU_DEP_1) | instskip(SKIP_2) | instid1(VALU_DEP_1)
	v_cndmask_b32_e64 v34, v34, v9, s2
	v_cmp_eq_u32_e64 s2, 8, v29
	v_add_co_u32 v29, s3, v29, 1
	v_add_co_ci_u32_e64 v30, s3, 0, v30, s3
	s_delay_alu instid0(VALU_DEP_3) | instskip(NEXT) | instid1(VALU_DEP_3)
	v_cndmask_b32_e64 v34, v34, v10, s2
	v_add_nc_u32_e32 v36, -1, v29
	s_waitcnt lgkmcnt(0)
	s_delay_alu instid0(VALU_DEP_2) | instskip(NEXT) | instid1(VALU_DEP_2)
	v_dual_fmac_f32 v32, v34, v35 :: v_dual_add_nc_u32 v33, 4, v33
	v_cmp_lt_u32_e64 s2, 4, v36
	s_delay_alu instid0(VALU_DEP_1) | instskip(NEXT) | instid1(SALU_CYCLE_1)
	s_or_b32 s5, s2, s5
	s_and_not1_b32 exec_lo, exec_lo, s5
	s_cbranch_execnz .LBB8_35
; %bb.36:
	s_set_inst_prefetch_distance 0x2
	s_or_b32 exec_lo, exec_lo, s5
	v_mov_b32_e32 v8, 0
	ds_load_b32 v8, v8 offset:24
	s_waitcnt lgkmcnt(0)
	v_mul_f32_e32 v8, v32, v8
.LBB8_37:
	s_or_b32 exec_lo, exec_lo, s4
	v_cmp_gt_u32_e64 s2, 7, v0
	s_barrier
	buffer_gl0_inv
	ds_store_b32 v31, v9
	s_waitcnt lgkmcnt(0)
	s_barrier
	buffer_gl0_inv
	s_and_saveexec_b32 s5, s2
	s_cbranch_execz .LBB8_41
; %bb.38:
	v_mov_b32_e32 v30, v1
	v_lshl_add_u32 v33, v0, 2, 48
	v_dual_mov_b32 v32, 0 :: v_dual_mov_b32 v29, v0
	s_mov_b32 s8, 0
	s_set_inst_prefetch_distance 0x1
	.p2align	6
.LBB8_39:                               ; =>This Inner Loop Header: Depth=1
	s_delay_alu instid0(VALU_DEP_1) | instskip(SKIP_4) | instid1(VALU_DEP_1)
	v_cmp_eq_u32_e64 s3, 1, v29
	ds_load_b32 v34, v33
	v_add_nc_u32_e32 v33, 4, v33
	v_cndmask_b32_e64 v1, v2, v3, s3
	v_cmp_eq_u32_e64 s3, 2, v29
	v_cndmask_b32_e64 v1, v1, v4, s3
	v_cmp_eq_u32_e64 s3, 3, v29
	s_delay_alu instid0(VALU_DEP_1) | instskip(SKIP_1) | instid1(VALU_DEP_1)
	v_cndmask_b32_e64 v1, v1, v5, s3
	v_cmp_eq_u32_e64 s3, 4, v29
	v_cndmask_b32_e64 v1, v1, v6, s3
	v_cmp_eq_u32_e64 s3, 5, v29
	s_delay_alu instid0(VALU_DEP_1) | instskip(SKIP_1) | instid1(VALU_DEP_1)
	v_cndmask_b32_e64 v1, v1, v7, s3
	v_cmp_eq_u32_e64 s3, 6, v29
	v_cndmask_b32_e64 v1, v1, v8, s3
	v_cmp_eq_u32_e64 s3, 7, v29
	s_delay_alu instid0(VALU_DEP_1) | instskip(SKIP_2) | instid1(VALU_DEP_1)
	v_cndmask_b32_e64 v1, v1, v9, s3
	v_cmp_eq_u32_e64 s3, 8, v29
	v_add_co_u32 v29, s4, v29, 1
	v_add_co_ci_u32_e64 v30, s4, 0, v30, s4
	s_delay_alu instid0(VALU_DEP_3) | instskip(SKIP_1) | instid1(VALU_DEP_1)
	v_cndmask_b32_e64 v1, v1, v10, s3
	s_waitcnt lgkmcnt(0)
	v_dual_fmac_f32 v32, v1, v34 :: v_dual_add_nc_u32 v35, -1, v29
	s_delay_alu instid0(VALU_DEP_1) | instskip(NEXT) | instid1(VALU_DEP_1)
	v_cmp_lt_u32_e64 s3, 5, v35
	s_or_b32 s8, s3, s8
	s_delay_alu instid0(SALU_CYCLE_1)
	s_and_not1_b32 exec_lo, exec_lo, s8
	s_cbranch_execnz .LBB8_39
; %bb.40:
	s_set_inst_prefetch_distance 0x2
	s_or_b32 exec_lo, exec_lo, s8
	v_mov_b32_e32 v1, 0
	ds_load_b32 v1, v1 offset:28
	s_waitcnt lgkmcnt(0)
	v_mul_f32_e32 v9, v32, v1
.LBB8_41:
	s_or_b32 exec_lo, exec_lo, s5
	s_delay_alu instid0(SALU_CYCLE_1)
	s_mov_b32 s4, exec_lo
	s_barrier
	buffer_gl0_inv
	ds_store_b32 v31, v10
	s_waitcnt lgkmcnt(0)
	s_barrier
	buffer_gl0_inv
	v_cmpx_ne_u32_e32 8, v0
	s_cbranch_execz .LBB8_57
; %bb.42:
	v_cmp_eq_u32_e64 s3, 1, v0
	ds_load_b32 v29, v31
	v_cndmask_b32_e64 v1, v2, v3, s3
	v_cmp_eq_u32_e64 s3, 2, v0
	s_delay_alu instid0(VALU_DEP_1) | instskip(SKIP_1) | instid1(VALU_DEP_1)
	v_cndmask_b32_e64 v1, v1, v4, s3
	v_cmp_eq_u32_e64 s3, 3, v0
	v_cndmask_b32_e64 v1, v1, v5, s3
	v_cmp_eq_u32_e64 s3, 4, v0
	s_delay_alu instid0(VALU_DEP_1) | instskip(SKIP_1) | instid1(VALU_DEP_1)
	v_cndmask_b32_e64 v1, v1, v6, s3
	v_cmp_eq_u32_e64 s3, 5, v0
	;; [unrolled: 5-line block ×3, first 2 shown]
	v_cndmask_b32_e64 v1, v1, v9, s3
	v_cmp_eq_u32_e64 s3, 8, v0
	s_delay_alu instid0(VALU_DEP_1) | instskip(SKIP_2) | instid1(VALU_DEP_2)
	v_cndmask_b32_e64 v30, v1, v10, s3
	v_mov_b32_e32 v1, 0
	s_waitcnt lgkmcnt(0)
	v_fma_f32 v29, v30, v29, 0
	s_and_saveexec_b32 s3, s2
	s_cbranch_execz .LBB8_56
; %bb.43:
	v_add_nc_u32_e32 v30, 1, v0
	ds_load_b32 v33, v31 offset:4
	s_mov_b32 s5, exec_lo
	v_cmp_eq_u32_e64 s2, 1, v30
	s_delay_alu instid0(VALU_DEP_1) | instskip(SKIP_1) | instid1(VALU_DEP_1)
	v_cndmask_b32_e64 v32, v2, v3, s2
	v_cmp_eq_u32_e64 s2, 2, v30
	v_cndmask_b32_e64 v32, v32, v4, s2
	v_cmp_eq_u32_e64 s2, 3, v30
	s_delay_alu instid0(VALU_DEP_1) | instskip(SKIP_1) | instid1(VALU_DEP_1)
	v_cndmask_b32_e64 v32, v32, v5, s2
	v_cmp_eq_u32_e64 s2, 4, v30
	v_cndmask_b32_e64 v32, v32, v6, s2
	;; [unrolled: 5-line block ×4, first 2 shown]
	s_waitcnt lgkmcnt(0)
	s_delay_alu instid0(VALU_DEP_1)
	v_fmac_f32_e32 v29, v30, v33
	v_cmpx_ne_u32_e32 6, v0
	s_cbranch_execz .LBB8_55
; %bb.44:
	v_add_nc_u32_e32 v30, 2, v0
	ds_load_b32 v33, v31 offset:8
	v_cmp_eq_u32_e64 s2, 1, v30
	s_delay_alu instid0(VALU_DEP_1) | instskip(SKIP_1) | instid1(VALU_DEP_1)
	v_cndmask_b32_e64 v32, v2, v3, s2
	v_cmp_eq_u32_e64 s2, 2, v30
	v_cndmask_b32_e64 v32, v32, v4, s2
	v_cmp_eq_u32_e64 s2, 3, v30
	s_delay_alu instid0(VALU_DEP_1) | instskip(SKIP_1) | instid1(VALU_DEP_1)
	v_cndmask_b32_e64 v32, v32, v5, s2
	v_cmp_eq_u32_e64 s2, 4, v30
	v_cndmask_b32_e64 v32, v32, v6, s2
	;; [unrolled: 5-line block ×4, first 2 shown]
	s_waitcnt lgkmcnt(0)
	s_delay_alu instid0(VALU_DEP_1)
	v_fmac_f32_e32 v29, v30, v33
	s_and_saveexec_b32 s2, s1
	s_cbranch_execz .LBB8_54
; %bb.45:
	v_add_nc_u32_e32 v30, 3, v0
	ds_load_b32 v33, v31 offset:12
	s_mov_b32 s8, exec_lo
	v_cmp_eq_u32_e64 s1, 1, v30
	s_delay_alu instid0(VALU_DEP_1) | instskip(SKIP_1) | instid1(VALU_DEP_1)
	v_cndmask_b32_e64 v32, v2, v3, s1
	v_cmp_eq_u32_e64 s1, 2, v30
	v_cndmask_b32_e64 v32, v32, v4, s1
	v_cmp_eq_u32_e64 s1, 3, v30
	s_delay_alu instid0(VALU_DEP_1) | instskip(SKIP_1) | instid1(VALU_DEP_1)
	v_cndmask_b32_e64 v32, v32, v5, s1
	v_cmp_eq_u32_e64 s1, 4, v30
	v_cndmask_b32_e64 v32, v32, v6, s1
	;; [unrolled: 5-line block ×4, first 2 shown]
	s_waitcnt lgkmcnt(0)
	s_delay_alu instid0(VALU_DEP_1)
	v_fmac_f32_e32 v29, v30, v33
	v_cmpx_ne_u32_e32 4, v0
	s_cbranch_execz .LBB8_53
; %bb.46:
	v_add_nc_u32_e32 v30, 4, v0
	ds_load_b32 v33, v31 offset:16
	v_cmp_eq_u32_e64 s1, 1, v30
	s_delay_alu instid0(VALU_DEP_1) | instskip(SKIP_1) | instid1(VALU_DEP_1)
	v_cndmask_b32_e64 v32, v2, v3, s1
	v_cmp_eq_u32_e64 s1, 2, v30
	v_cndmask_b32_e64 v32, v32, v4, s1
	v_cmp_eq_u32_e64 s1, 3, v30
	s_delay_alu instid0(VALU_DEP_1) | instskip(SKIP_1) | instid1(VALU_DEP_1)
	v_cndmask_b32_e64 v32, v32, v5, s1
	v_cmp_eq_u32_e64 s1, 4, v30
	v_cndmask_b32_e64 v32, v32, v6, s1
	;; [unrolled: 5-line block ×4, first 2 shown]
	s_waitcnt lgkmcnt(0)
	s_delay_alu instid0(VALU_DEP_1)
	v_fmac_f32_e32 v29, v30, v33
	s_and_saveexec_b32 s1, vcc_lo
	s_cbranch_execz .LBB8_52
; %bb.47:
	v_add_nc_u32_e32 v30, 5, v0
	ds_load_b32 v33, v31 offset:20
	s_mov_b32 s9, exec_lo
	v_cmp_eq_u32_e32 vcc_lo, 1, v30
	v_cndmask_b32_e32 v32, v2, v3, vcc_lo
	v_cmp_eq_u32_e32 vcc_lo, 2, v30
	s_delay_alu instid0(VALU_DEP_2) | instskip(SKIP_1) | instid1(VALU_DEP_2)
	v_cndmask_b32_e32 v32, v32, v4, vcc_lo
	v_cmp_eq_u32_e32 vcc_lo, 3, v30
	v_cndmask_b32_e32 v32, v32, v5, vcc_lo
	v_cmp_eq_u32_e32 vcc_lo, 4, v30
	s_delay_alu instid0(VALU_DEP_2) | instskip(SKIP_1) | instid1(VALU_DEP_2)
	v_cndmask_b32_e32 v32, v32, v6, vcc_lo
	;; [unrolled: 5-line block ×3, first 2 shown]
	v_cmp_eq_u32_e32 vcc_lo, 7, v30
	v_cndmask_b32_e32 v32, v32, v9, vcc_lo
	v_cmp_eq_u32_e32 vcc_lo, 8, v30
	s_delay_alu instid0(VALU_DEP_2) | instskip(SKIP_1) | instid1(VALU_DEP_1)
	v_cndmask_b32_e32 v30, v32, v10, vcc_lo
	s_waitcnt lgkmcnt(0)
	v_fmac_f32_e32 v29, v30, v33
	v_cmpx_ne_u32_e32 2, v0
	s_cbranch_execz .LBB8_51
; %bb.48:
	ds_load_b32 v33, v31 offset:24
	v_add_nc_u32_e32 v30, 6, v0
	s_delay_alu instid0(VALU_DEP_1) | instskip(SKIP_2) | instid1(VALU_DEP_2)
	v_cmp_eq_u32_e32 vcc_lo, 1, v30
	v_cndmask_b32_e32 v32, v2, v3, vcc_lo
	v_cmp_eq_u32_e32 vcc_lo, 2, v30
	v_cndmask_b32_e32 v32, v32, v4, vcc_lo
	v_cmp_eq_u32_e32 vcc_lo, 3, v30
	s_delay_alu instid0(VALU_DEP_2) | instskip(SKIP_1) | instid1(VALU_DEP_2)
	v_cndmask_b32_e32 v32, v32, v5, vcc_lo
	v_cmp_eq_u32_e32 vcc_lo, 4, v30
	v_cndmask_b32_e32 v32, v32, v6, vcc_lo
	v_cmp_eq_u32_e32 vcc_lo, 5, v30
	s_delay_alu instid0(VALU_DEP_2) | instskip(SKIP_1) | instid1(VALU_DEP_2)
	;; [unrolled: 5-line block ×3, first 2 shown]
	v_cndmask_b32_e32 v32, v32, v9, vcc_lo
	v_cmp_eq_u32_e32 vcc_lo, 8, v30
	v_cndmask_b32_e32 v10, v32, v10, vcc_lo
	s_waitcnt lgkmcnt(0)
	s_delay_alu instid0(VALU_DEP_1)
	v_fmac_f32_e32 v29, v10, v33
	s_and_saveexec_b32 s10, s0
	s_cbranch_execz .LBB8_50
; %bb.49:
	ds_load_b32 v10, v31 offset:28
	s_waitcnt lgkmcnt(0)
	v_fmac_f32_e32 v29, v9, v10
.LBB8_50:
	s_or_b32 exec_lo, exec_lo, s10
.LBB8_51:
	s_delay_alu instid0(SALU_CYCLE_1)
	s_or_b32 exec_lo, exec_lo, s9
.LBB8_52:
	s_delay_alu instid0(SALU_CYCLE_1)
	s_or_b32 exec_lo, exec_lo, s1
.LBB8_53:
	s_delay_alu instid0(SALU_CYCLE_1)
	s_or_b32 exec_lo, exec_lo, s8
.LBB8_54:
	s_delay_alu instid0(SALU_CYCLE_1)
	s_or_b32 exec_lo, exec_lo, s2
.LBB8_55:
	s_delay_alu instid0(SALU_CYCLE_1)
	s_or_b32 exec_lo, exec_lo, s5
.LBB8_56:
	s_delay_alu instid0(SALU_CYCLE_1)
	s_or_b32 exec_lo, exec_lo, s3
	ds_load_b32 v1, v1 offset:32
	s_waitcnt lgkmcnt(0)
	v_mul_f32_e32 v10, v29, v1
.LBB8_57:
	s_or_b32 exec_lo, exec_lo, s4
	s_barrier
	buffer_gl0_inv
	s_cbranch_execnz .LBB8_15
	s_branch .LBB8_16
.LBB8_58:
	v_lshl_add_u32 v1, v0, 2, 48
	s_mov_b32 s0, exec_lo
	v_cmpx_eq_u32_e32 8, v0
	s_cbranch_execz .LBB8_60
; %bb.59:
	s_mov_b32 s1, 0
	ds_store_b32 v1, v9
	v_mov_b32_e32 v9, s1
.LBB8_60:
	s_or_b32 exec_lo, exec_lo, s0
	v_mov_b32_e32 v29, 0
	s_waitcnt lgkmcnt(0)
	s_waitcnt_vscnt null, 0x0
	s_barrier
	buffer_gl0_inv
	s_mov_b32 s0, exec_lo
	ds_load_b32 v30, v29 offset:80
	s_waitcnt lgkmcnt(0)
	v_fma_f32 v30, v10, v30, 0
	s_delay_alu instid0(VALU_DEP_1)
	v_sub_f32_e32 v9, v9, v30
	v_cmpx_lt_u32_e32 6, v0
	s_cbranch_execz .LBB8_62
; %bb.61:
	s_mov_b32 s1, 0
	s_delay_alu instid0(VALU_DEP_2)
	v_dual_mov_b32 v38, v10 :: v_dual_mov_b32 v37, v9
	v_dual_mov_b32 v36, v8 :: v_dual_mov_b32 v35, v7
	v_mov_b32_e32 v30, v2
	v_dual_mov_b32 v34, v6 :: v_dual_mov_b32 v33, v5
	v_dual_mov_b32 v32, v4 :: v_dual_mov_b32 v31, v3
	v_mov_b32_e32 v36, s1
	ds_store_b32 v1, v8
	v_mov_b32_e32 v2, v30
	v_dual_mov_b32 v4, v32 :: v_dual_mov_b32 v5, v33
	v_dual_mov_b32 v3, v31 :: v_dual_mov_b32 v6, v34
	;; [unrolled: 1-line block ×4, first 2 shown]
.LBB8_62:
	s_or_b32 exec_lo, exec_lo, s0
	s_waitcnt lgkmcnt(0)
	s_barrier
	buffer_gl0_inv
	ds_load_2addr_b32 v[29:30], v29 offset0:19 offset1:20
	s_mov_b32 s0, exec_lo
	s_waitcnt lgkmcnt(0)
	v_fma_f32 v29, v9, v29, 0
	s_delay_alu instid0(VALU_DEP_1) | instskip(NEXT) | instid1(VALU_DEP_1)
	v_fmac_f32_e32 v29, v10, v30
	v_sub_f32_e32 v8, v8, v29
	v_cmpx_lt_u32_e32 5, v0
	s_cbranch_execz .LBB8_64
; %bb.63:
	s_mov_b32 s1, 0
	v_dual_mov_b32 v37, v10 :: v_dual_mov_b32 v36, v9
	v_dual_mov_b32 v35, v8 :: v_dual_mov_b32 v34, v7
	;; [unrolled: 1-line block ×5, first 2 shown]
	ds_store_b32 v1, v7
	v_dual_mov_b32 v2, v29 :: v_dual_mov_b32 v5, v32
	v_dual_mov_b32 v4, v31 :: v_dual_mov_b32 v3, v30
	v_dual_mov_b32 v6, v33 :: v_dual_mov_b32 v7, v34
	v_dual_mov_b32 v8, v35 :: v_dual_mov_b32 v9, v36
	v_mov_b32_e32 v10, v37
.LBB8_64:
	s_or_b32 exec_lo, exec_lo, s0
	v_mov_b32_e32 v29, 0
	s_waitcnt lgkmcnt(0)
	s_barrier
	buffer_gl0_inv
	s_mov_b32 s0, exec_lo
	ds_load_b64 v[30:31], v29 offset:72
	ds_load_b32 v32, v29 offset:80
	s_waitcnt lgkmcnt(1)
	v_fma_f32 v30, v8, v30, 0
	s_delay_alu instid0(VALU_DEP_1) | instskip(SKIP_1) | instid1(VALU_DEP_1)
	v_fmac_f32_e32 v30, v9, v31
	s_waitcnt lgkmcnt(0)
	v_fmac_f32_e32 v30, v10, v32
	s_delay_alu instid0(VALU_DEP_1)
	v_sub_f32_e32 v7, v7, v30
	v_cmpx_lt_u32_e32 4, v0
	s_cbranch_execz .LBB8_66
; %bb.65:
	s_mov_b32 s1, 0
	v_dual_mov_b32 v38, v10 :: v_dual_mov_b32 v37, v9
	v_dual_mov_b32 v34, v6 :: v_dual_mov_b32 v33, v5
	v_mov_b32_e32 v30, v2
	v_dual_mov_b32 v36, v8 :: v_dual_mov_b32 v35, v7
	v_dual_mov_b32 v32, v4 :: v_dual_mov_b32 v31, v3
	v_mov_b32_e32 v34, s1
	ds_store_b32 v1, v6
	v_mov_b32_e32 v2, v30
	v_dual_mov_b32 v4, v32 :: v_dual_mov_b32 v5, v33
	v_dual_mov_b32 v3, v31 :: v_dual_mov_b32 v6, v34
	;; [unrolled: 1-line block ×4, first 2 shown]
.LBB8_66:
	s_or_b32 exec_lo, exec_lo, s0
	s_waitcnt lgkmcnt(0)
	s_barrier
	buffer_gl0_inv
	ds_load_2addr_b32 v[30:31], v29 offset0:17 offset1:18
	ds_load_2addr_b32 v[32:33], v29 offset0:19 offset1:20
	s_mov_b32 s0, exec_lo
	s_waitcnt lgkmcnt(1)
	v_fma_f32 v29, v7, v30, 0
	s_delay_alu instid0(VALU_DEP_1) | instskip(SKIP_1) | instid1(VALU_DEP_1)
	v_fmac_f32_e32 v29, v8, v31
	s_waitcnt lgkmcnt(0)
	v_fmac_f32_e32 v29, v9, v32
	s_delay_alu instid0(VALU_DEP_1) | instskip(NEXT) | instid1(VALU_DEP_1)
	v_fmac_f32_e32 v29, v10, v33
	v_sub_f32_e32 v6, v6, v29
	v_cmpx_lt_u32_e32 3, v0
	s_cbranch_execz .LBB8_68
; %bb.67:
	s_mov_b32 s1, 0
	v_dual_mov_b32 v37, v10 :: v_dual_mov_b32 v36, v9
	v_dual_mov_b32 v33, v6 :: v_dual_mov_b32 v32, v5
	v_dual_mov_b32 v29, v2 :: v_dual_mov_b32 v32, s1
	v_dual_mov_b32 v35, v8 :: v_dual_mov_b32 v34, v7
	v_dual_mov_b32 v31, v4 :: v_dual_mov_b32 v30, v3
	ds_store_b32 v1, v5
	v_dual_mov_b32 v2, v29 :: v_dual_mov_b32 v5, v32
	v_dual_mov_b32 v4, v31 :: v_dual_mov_b32 v3, v30
	;; [unrolled: 1-line block ×4, first 2 shown]
	v_mov_b32_e32 v10, v37
.LBB8_68:
	s_or_b32 exec_lo, exec_lo, s0
	v_mov_b32_e32 v29, 0
	s_waitcnt lgkmcnt(0)
	s_barrier
	buffer_gl0_inv
	s_mov_b32 s0, exec_lo
	ds_load_b128 v[30:33], v29 offset:64
	ds_load_b32 v34, v29 offset:80
	s_waitcnt lgkmcnt(1)
	v_fma_f32 v30, v6, v30, 0
	s_delay_alu instid0(VALU_DEP_1) | instskip(NEXT) | instid1(VALU_DEP_1)
	v_fmac_f32_e32 v30, v7, v31
	v_fmac_f32_e32 v30, v8, v32
	s_delay_alu instid0(VALU_DEP_1) | instskip(SKIP_1) | instid1(VALU_DEP_1)
	v_fmac_f32_e32 v30, v9, v33
	s_waitcnt lgkmcnt(0)
	v_fmac_f32_e32 v30, v10, v34
	s_delay_alu instid0(VALU_DEP_1)
	v_sub_f32_e32 v5, v5, v30
	v_cmpx_lt_u32_e32 2, v0
	s_cbranch_execz .LBB8_70
; %bb.69:
	s_mov_b32 s1, 0
	v_dual_mov_b32 v38, v10 :: v_dual_mov_b32 v37, v9
	v_dual_mov_b32 v32, v4 :: v_dual_mov_b32 v31, v3
	v_mov_b32_e32 v30, v2
	v_dual_mov_b32 v36, v8 :: v_dual_mov_b32 v35, v7
	v_dual_mov_b32 v34, v6 :: v_dual_mov_b32 v33, v5
	v_mov_b32_e32 v32, s1
	ds_store_b32 v1, v4
	v_dual_mov_b32 v2, v30 :: v_dual_mov_b32 v3, v31
	v_dual_mov_b32 v5, v33 :: v_dual_mov_b32 v4, v32
	;; [unrolled: 1-line block ×4, first 2 shown]
	v_mov_b32_e32 v10, v38
.LBB8_70:
	s_or_b32 exec_lo, exec_lo, s0
	s_waitcnt lgkmcnt(0)
	s_barrier
	buffer_gl0_inv
	ds_load_2addr_b32 v[30:31], v29 offset0:15 offset1:16
	ds_load_2addr_b32 v[32:33], v29 offset0:17 offset1:18
	;; [unrolled: 1-line block ×3, first 2 shown]
	s_mov_b32 s0, exec_lo
	s_waitcnt lgkmcnt(2)
	v_fma_f32 v29, v5, v30, 0
	s_delay_alu instid0(VALU_DEP_1) | instskip(SKIP_1) | instid1(VALU_DEP_1)
	v_fmac_f32_e32 v29, v6, v31
	s_waitcnt lgkmcnt(1)
	v_fmac_f32_e32 v29, v7, v32
	s_delay_alu instid0(VALU_DEP_1) | instskip(SKIP_1) | instid1(VALU_DEP_1)
	v_fmac_f32_e32 v29, v8, v33
	s_waitcnt lgkmcnt(0)
	v_fmac_f32_e32 v29, v9, v34
	s_delay_alu instid0(VALU_DEP_1) | instskip(NEXT) | instid1(VALU_DEP_1)
	v_fmac_f32_e32 v29, v10, v35
	v_sub_f32_e32 v4, v4, v29
	v_cmpx_lt_u32_e32 1, v0
	s_cbranch_execz .LBB8_72
; %bb.71:
	s_mov_b32 s1, 0
	v_dual_mov_b32 v37, v10 :: v_dual_mov_b32 v36, v9
	v_dual_mov_b32 v31, v4 :: v_dual_mov_b32 v30, v3
	;; [unrolled: 1-line block ×5, first 2 shown]
	ds_store_b32 v1, v3
	v_dual_mov_b32 v2, v29 :: v_dual_mov_b32 v3, v30
	v_dual_mov_b32 v4, v31 :: v_dual_mov_b32 v5, v32
	;; [unrolled: 1-line block ×4, first 2 shown]
	v_mov_b32_e32 v10, v37
.LBB8_72:
	s_or_b32 exec_lo, exec_lo, s0
	v_mov_b32_e32 v29, 0
	s_waitcnt lgkmcnt(0)
	s_barrier
	buffer_gl0_inv
	s_mov_b32 s1, 0
	ds_load_2addr_b64 v[30:33], v29 offset0:7 offset1:8
	ds_load_b64 v[34:35], v29 offset:72
	s_mov_b32 s0, exec_lo
	s_waitcnt lgkmcnt(1)
	v_fma_f32 v30, v4, v30, 0
	s_delay_alu instid0(VALU_DEP_1) | instskip(SKIP_2) | instid1(VALU_DEP_1)
	v_fmac_f32_e32 v30, v5, v31
	ds_load_b32 v31, v29 offset:80
	v_fmac_f32_e32 v30, v6, v32
	v_fmac_f32_e32 v30, v7, v33
	s_waitcnt lgkmcnt(1)
	s_delay_alu instid0(VALU_DEP_1) | instskip(NEXT) | instid1(VALU_DEP_1)
	v_fmac_f32_e32 v30, v8, v34
	v_fmac_f32_e32 v30, v9, v35
	s_waitcnt lgkmcnt(0)
	s_delay_alu instid0(VALU_DEP_1) | instskip(NEXT) | instid1(VALU_DEP_1)
	v_fmac_f32_e32 v30, v10, v31
	v_sub_f32_e32 v3, v3, v30
	v_cmpx_ne_u32_e32 0, v0
	s_cbranch_execz .LBB8_74
; %bb.73:
	v_dual_mov_b32 v38, v10 :: v_dual_mov_b32 v37, v9
	v_mov_b32_e32 v30, v2
	v_mov_b32_e32 v30, s1
	v_dual_mov_b32 v36, v8 :: v_dual_mov_b32 v35, v7
	v_dual_mov_b32 v34, v6 :: v_dual_mov_b32 v33, v5
	;; [unrolled: 1-line block ×3, first 2 shown]
	ds_store_b32 v1, v2
	v_dual_mov_b32 v2, v30 :: v_dual_mov_b32 v5, v33
	v_dual_mov_b32 v4, v32 :: v_dual_mov_b32 v3, v31
	;; [unrolled: 1-line block ×4, first 2 shown]
	v_mov_b32_e32 v10, v38
.LBB8_74:
	s_or_b32 exec_lo, exec_lo, s0
	s_waitcnt lgkmcnt(0)
	s_barrier
	buffer_gl0_inv
	ds_load_2addr_b32 v[0:1], v29 offset0:13 offset1:14
	ds_load_2addr_b32 v[30:31], v29 offset0:15 offset1:16
	;; [unrolled: 1-line block ×4, first 2 shown]
	s_and_b32 vcc_lo, exec_lo, s16
	s_waitcnt lgkmcnt(3)
	v_fma_f32 v0, v3, v0, 0
	s_delay_alu instid0(VALU_DEP_1) | instskip(SKIP_1) | instid1(VALU_DEP_1)
	v_fmac_f32_e32 v0, v4, v1
	s_waitcnt lgkmcnt(2)
	v_fmac_f32_e32 v0, v5, v30
	s_delay_alu instid0(VALU_DEP_1) | instskip(SKIP_1) | instid1(VALU_DEP_1)
	v_fmac_f32_e32 v0, v6, v31
	s_waitcnt lgkmcnt(1)
	v_fmac_f32_e32 v0, v7, v32
	;; [unrolled: 4-line block ×3, first 2 shown]
	s_delay_alu instid0(VALU_DEP_1) | instskip(NEXT) | instid1(VALU_DEP_1)
	v_fmac_f32_e32 v0, v10, v35
	v_sub_f32_e32 v2, v2, v0
	s_cbranch_vccz .LBB8_92
; %bb.75:
	v_dual_mov_b32 v0, s12 :: v_dual_mov_b32 v1, s13
	s_mov_b32 s6, exec_lo
	flat_load_b32 v0, v[0:1] offset:28
	s_waitcnt vmcnt(0) lgkmcnt(0)
	v_add_nc_u32_e32 v0, -1, v0
	s_delay_alu instid0(VALU_DEP_1)
	v_cmpx_ne_u32_e32 7, v0
	s_cbranch_execz .LBB8_77
; %bb.76:
	v_cmp_eq_u32_e32 vcc_lo, 1, v0
	v_cmp_eq_u32_e64 s0, 2, v0
	v_cmp_eq_u32_e64 s1, 3, v0
	;; [unrolled: 1-line block ×4, first 2 shown]
	v_dual_cndmask_b32 v1, v2, v3 :: v_dual_cndmask_b32 v30, v3, v9
	v_cmp_eq_u32_e64 s4, 6, v0
	v_cmp_eq_u32_e64 s5, 7, v0
	v_cmp_eq_u32_e32 vcc_lo, 8, v0
	s_delay_alu instid0(VALU_DEP_4)
	v_cndmask_b32_e64 v1, v1, v4, s0
	v_cndmask_b32_e64 v31, v4, v9, s0
	;; [unrolled: 1-line block ×7, first 2 shown]
	v_cndmask_b32_e32 v37, v10, v9, vcc_lo
	s_delay_alu instid0(VALU_DEP_3) | instskip(NEXT) | instid1(VALU_DEP_1)
	v_cndmask_b32_e64 v1, v1, v6, s2
	v_cndmask_b32_e64 v1, v1, v7, s3
	s_delay_alu instid0(VALU_DEP_1) | instskip(NEXT) | instid1(VALU_DEP_1)
	v_cndmask_b32_e64 v1, v1, v8, s4
	v_cndmask_b32_e64 v1, v1, v9, s5
	s_delay_alu instid0(VALU_DEP_1) | instskip(SKIP_1) | instid1(VALU_DEP_2)
	v_cndmask_b32_e32 v1, v1, v10, vcc_lo
	v_cmp_eq_u32_e32 vcc_lo, 0, v0
	v_cndmask_b32_e64 v36, v1, v9, s5
	v_cndmask_b32_e32 v29, v2, v9, vcc_lo
	s_delay_alu instid0(VALU_DEP_1)
	v_dual_mov_b32 v2, v29 :: v_dual_mov_b32 v3, v30
	v_dual_mov_b32 v4, v31 :: v_dual_mov_b32 v5, v32
	v_dual_mov_b32 v6, v33 :: v_dual_mov_b32 v7, v34
	v_dual_mov_b32 v8, v35 :: v_dual_mov_b32 v9, v36
	v_mov_b32_e32 v10, v37
.LBB8_77:
	s_or_b32 exec_lo, exec_lo, s6
	v_dual_mov_b32 v0, s12 :: v_dual_mov_b32 v1, s13
	s_mov_b32 s6, exec_lo
	flat_load_b32 v0, v[0:1] offset:24
	s_waitcnt vmcnt(0) lgkmcnt(0)
	v_add_nc_u32_e32 v0, -1, v0
	s_delay_alu instid0(VALU_DEP_1)
	v_cmpx_ne_u32_e32 6, v0
	s_cbranch_execz .LBB8_79
; %bb.78:
	v_cmp_eq_u32_e32 vcc_lo, 1, v0
	v_cmp_eq_u32_e64 s0, 2, v0
	v_cmp_eq_u32_e64 s1, 3, v0
	;; [unrolled: 1-line block ×4, first 2 shown]
	v_dual_cndmask_b32 v1, v2, v3 :: v_dual_cndmask_b32 v30, v3, v8
	v_cmp_eq_u32_e64 s4, 6, v0
	v_cmp_eq_u32_e64 s5, 7, v0
	v_cmp_eq_u32_e32 vcc_lo, 8, v0
	s_delay_alu instid0(VALU_DEP_4)
	v_cndmask_b32_e64 v1, v1, v4, s0
	v_cndmask_b32_e64 v31, v4, v8, s0
	;; [unrolled: 1-line block ×7, first 2 shown]
	v_cndmask_b32_e32 v37, v10, v8, vcc_lo
	s_delay_alu instid0(VALU_DEP_3) | instskip(NEXT) | instid1(VALU_DEP_1)
	v_cndmask_b32_e64 v1, v1, v6, s2
	v_cndmask_b32_e64 v1, v1, v7, s3
	s_delay_alu instid0(VALU_DEP_1) | instskip(NEXT) | instid1(VALU_DEP_1)
	v_cndmask_b32_e64 v1, v1, v8, s4
	v_cndmask_b32_e64 v1, v1, v9, s5
	s_delay_alu instid0(VALU_DEP_1) | instskip(SKIP_1) | instid1(VALU_DEP_2)
	v_cndmask_b32_e32 v1, v1, v10, vcc_lo
	v_cmp_eq_u32_e32 vcc_lo, 0, v0
	v_cndmask_b32_e64 v35, v1, v8, s4
	v_cndmask_b32_e32 v29, v2, v8, vcc_lo
	s_delay_alu instid0(VALU_DEP_1)
	v_dual_mov_b32 v2, v29 :: v_dual_mov_b32 v3, v30
	v_dual_mov_b32 v4, v31 :: v_dual_mov_b32 v5, v32
	;; [unrolled: 1-line block ×4, first 2 shown]
	v_mov_b32_e32 v10, v37
.LBB8_79:
	s_or_b32 exec_lo, exec_lo, s6
	v_dual_mov_b32 v0, s12 :: v_dual_mov_b32 v1, s13
	s_mov_b32 s6, exec_lo
	flat_load_b32 v0, v[0:1] offset:20
	s_waitcnt vmcnt(0) lgkmcnt(0)
	v_add_nc_u32_e32 v0, -1, v0
	s_delay_alu instid0(VALU_DEP_1)
	v_cmpx_ne_u32_e32 5, v0
	s_cbranch_execz .LBB8_81
; %bb.80:
	v_cmp_eq_u32_e32 vcc_lo, 1, v0
	v_cmp_eq_u32_e64 s0, 2, v0
	v_cmp_eq_u32_e64 s1, 3, v0
	;; [unrolled: 1-line block ×5, first 2 shown]
	v_cndmask_b32_e64 v31, v4, v7, s0
	v_cndmask_b32_e32 v30, v3, v7, vcc_lo
	v_cndmask_b32_e64 v32, v5, v7, s1
	v_cndmask_b32_e64 v33, v6, v7, s2
	;; [unrolled: 1-line block ×4, first 2 shown]
	v_cndmask_b32_e32 v1, v2, v3, vcc_lo
	v_cmp_eq_u32_e64 s3, 5, v0
	v_cmp_eq_u32_e32 vcc_lo, 8, v0
	s_delay_alu instid0(VALU_DEP_3) | instskip(SKIP_1) | instid1(VALU_DEP_2)
	v_cndmask_b32_e64 v1, v1, v4, s0
	v_cndmask_b32_e32 v37, v10, v7, vcc_lo
	v_cndmask_b32_e64 v1, v1, v5, s1
	s_delay_alu instid0(VALU_DEP_1) | instskip(NEXT) | instid1(VALU_DEP_1)
	v_cndmask_b32_e64 v1, v1, v6, s2
	v_cndmask_b32_e64 v1, v1, v7, s3
	s_delay_alu instid0(VALU_DEP_1) | instskip(NEXT) | instid1(VALU_DEP_1)
	v_cndmask_b32_e64 v1, v1, v8, s4
	v_cndmask_b32_e64 v1, v1, v9, s5
	s_delay_alu instid0(VALU_DEP_1) | instskip(SKIP_1) | instid1(VALU_DEP_2)
	v_cndmask_b32_e32 v1, v1, v10, vcc_lo
	v_cmp_eq_u32_e32 vcc_lo, 0, v0
	v_cndmask_b32_e64 v34, v1, v7, s3
	v_cndmask_b32_e32 v29, v2, v7, vcc_lo
	s_delay_alu instid0(VALU_DEP_1) | instskip(SKIP_1) | instid1(VALU_DEP_4)
	v_dual_mov_b32 v2, v29 :: v_dual_mov_b32 v3, v30
	v_dual_mov_b32 v4, v31 :: v_dual_mov_b32 v5, v32
	;; [unrolled: 1-line block ×4, first 2 shown]
	v_mov_b32_e32 v10, v37
.LBB8_81:
	s_or_b32 exec_lo, exec_lo, s6
	v_dual_mov_b32 v0, s12 :: v_dual_mov_b32 v1, s13
	s_mov_b32 s6, exec_lo
	flat_load_b32 v0, v[0:1] offset:16
	s_waitcnt vmcnt(0) lgkmcnt(0)
	v_add_nc_u32_e32 v0, -1, v0
	s_delay_alu instid0(VALU_DEP_1)
	v_cmpx_ne_u32_e32 4, v0
	s_cbranch_execz .LBB8_83
; %bb.82:
	v_cmp_eq_u32_e32 vcc_lo, 1, v0
	v_cmp_eq_u32_e64 s0, 2, v0
	v_cmp_eq_u32_e64 s1, 3, v0
	;; [unrolled: 1-line block ×4, first 2 shown]
	v_dual_cndmask_b32 v1, v2, v3 :: v_dual_cndmask_b32 v30, v3, v6
	v_cmp_eq_u32_e64 s4, 6, v0
	v_cmp_eq_u32_e64 s5, 7, v0
	v_cmp_eq_u32_e32 vcc_lo, 8, v0
	s_delay_alu instid0(VALU_DEP_4)
	v_cndmask_b32_e64 v1, v1, v4, s0
	v_cndmask_b32_e64 v31, v4, v6, s0
	;; [unrolled: 1-line block ×7, first 2 shown]
	v_cndmask_b32_e32 v37, v10, v6, vcc_lo
	s_delay_alu instid0(VALU_DEP_3) | instskip(NEXT) | instid1(VALU_DEP_1)
	v_cndmask_b32_e64 v1, v1, v6, s2
	v_cndmask_b32_e64 v1, v1, v7, s3
	s_delay_alu instid0(VALU_DEP_1) | instskip(NEXT) | instid1(VALU_DEP_1)
	v_cndmask_b32_e64 v1, v1, v8, s4
	v_cndmask_b32_e64 v1, v1, v9, s5
	s_delay_alu instid0(VALU_DEP_1) | instskip(SKIP_1) | instid1(VALU_DEP_2)
	v_cndmask_b32_e32 v1, v1, v10, vcc_lo
	v_cmp_eq_u32_e32 vcc_lo, 0, v0
	v_cndmask_b32_e64 v33, v1, v6, s2
	v_cndmask_b32_e32 v29, v2, v6, vcc_lo
	s_delay_alu instid0(VALU_DEP_1) | instskip(SKIP_1) | instid1(VALU_DEP_4)
	v_dual_mov_b32 v2, v29 :: v_dual_mov_b32 v3, v30
	v_dual_mov_b32 v4, v31 :: v_dual_mov_b32 v5, v32
	;; [unrolled: 1-line block ×4, first 2 shown]
	v_mov_b32_e32 v10, v37
.LBB8_83:
	s_or_b32 exec_lo, exec_lo, s6
	v_dual_mov_b32 v0, s12 :: v_dual_mov_b32 v1, s13
	s_mov_b32 s6, exec_lo
	flat_load_b32 v0, v[0:1] offset:12
	s_waitcnt vmcnt(0) lgkmcnt(0)
	v_add_nc_u32_e32 v0, -1, v0
	s_delay_alu instid0(VALU_DEP_1)
	v_cmpx_ne_u32_e32 3, v0
	s_cbranch_execz .LBB8_85
; %bb.84:
	v_cmp_eq_u32_e32 vcc_lo, 1, v0
	v_cmp_eq_u32_e64 s0, 2, v0
	v_cmp_eq_u32_e64 s1, 3, v0
	;; [unrolled: 1-line block ×4, first 2 shown]
	v_dual_cndmask_b32 v1, v2, v3 :: v_dual_cndmask_b32 v30, v3, v5
	v_cmp_eq_u32_e64 s4, 6, v0
	v_cmp_eq_u32_e64 s5, 7, v0
	v_cmp_eq_u32_e32 vcc_lo, 8, v0
	s_delay_alu instid0(VALU_DEP_4)
	v_cndmask_b32_e64 v1, v1, v4, s0
	v_cndmask_b32_e64 v31, v4, v5, s0
	;; [unrolled: 1-line block ×7, first 2 shown]
	v_cndmask_b32_e32 v37, v10, v5, vcc_lo
	s_delay_alu instid0(VALU_DEP_3) | instskip(NEXT) | instid1(VALU_DEP_1)
	v_cndmask_b32_e64 v1, v1, v6, s2
	v_cndmask_b32_e64 v1, v1, v7, s3
	s_delay_alu instid0(VALU_DEP_1) | instskip(NEXT) | instid1(VALU_DEP_1)
	v_cndmask_b32_e64 v1, v1, v8, s4
	v_cndmask_b32_e64 v1, v1, v9, s5
	s_delay_alu instid0(VALU_DEP_1) | instskip(SKIP_1) | instid1(VALU_DEP_2)
	v_cndmask_b32_e32 v1, v1, v10, vcc_lo
	v_cmp_eq_u32_e32 vcc_lo, 0, v0
	v_cndmask_b32_e64 v32, v1, v5, s1
	v_cndmask_b32_e32 v29, v2, v5, vcc_lo
	s_delay_alu instid0(VALU_DEP_1) | instskip(NEXT) | instid1(VALU_DEP_3)
	v_dual_mov_b32 v2, v29 :: v_dual_mov_b32 v3, v30
	v_dual_mov_b32 v4, v31 :: v_dual_mov_b32 v5, v32
	;; [unrolled: 1-line block ×4, first 2 shown]
	v_mov_b32_e32 v10, v37
.LBB8_85:
	s_or_b32 exec_lo, exec_lo, s6
	v_dual_mov_b32 v0, s12 :: v_dual_mov_b32 v1, s13
	s_mov_b32 s6, exec_lo
	flat_load_b32 v0, v[0:1] offset:8
	s_waitcnt vmcnt(0) lgkmcnt(0)
	v_add_nc_u32_e32 v0, -1, v0
	s_delay_alu instid0(VALU_DEP_1)
	v_cmpx_ne_u32_e32 2, v0
	s_cbranch_execz .LBB8_87
; %bb.86:
	v_cmp_eq_u32_e32 vcc_lo, 1, v0
	v_cmp_eq_u32_e64 s0, 2, v0
	v_cmp_eq_u32_e64 s1, 3, v0
	;; [unrolled: 1-line block ×4, first 2 shown]
	v_dual_cndmask_b32 v1, v2, v3 :: v_dual_cndmask_b32 v30, v3, v4
	v_cmp_eq_u32_e64 s4, 6, v0
	v_cmp_eq_u32_e64 s5, 7, v0
	v_cmp_eq_u32_e32 vcc_lo, 8, v0
	s_delay_alu instid0(VALU_DEP_4)
	v_cndmask_b32_e64 v1, v1, v4, s0
	v_cndmask_b32_e64 v32, v5, v4, s1
	;; [unrolled: 1-line block ×7, first 2 shown]
	v_cndmask_b32_e32 v37, v10, v4, vcc_lo
	s_delay_alu instid0(VALU_DEP_3) | instskip(NEXT) | instid1(VALU_DEP_1)
	v_cndmask_b32_e64 v1, v1, v6, s2
	v_cndmask_b32_e64 v1, v1, v7, s3
	s_delay_alu instid0(VALU_DEP_1) | instskip(NEXT) | instid1(VALU_DEP_1)
	v_cndmask_b32_e64 v1, v1, v8, s4
	v_cndmask_b32_e64 v1, v1, v9, s5
	s_delay_alu instid0(VALU_DEP_1) | instskip(SKIP_1) | instid1(VALU_DEP_2)
	v_cndmask_b32_e32 v1, v1, v10, vcc_lo
	v_cmp_eq_u32_e32 vcc_lo, 0, v0
	v_cndmask_b32_e64 v31, v1, v4, s0
	v_cndmask_b32_e32 v29, v2, v4, vcc_lo
	s_delay_alu instid0(VALU_DEP_1) | instskip(NEXT) | instid1(VALU_DEP_3)
	v_dual_mov_b32 v2, v29 :: v_dual_mov_b32 v3, v30
	v_dual_mov_b32 v4, v31 :: v_dual_mov_b32 v5, v32
	;; [unrolled: 1-line block ×4, first 2 shown]
	v_mov_b32_e32 v10, v37
.LBB8_87:
	s_or_b32 exec_lo, exec_lo, s6
	v_dual_mov_b32 v0, s12 :: v_dual_mov_b32 v1, s13
	s_mov_b32 s6, exec_lo
	flat_load_b32 v0, v[0:1] offset:4
	s_waitcnt vmcnt(0) lgkmcnt(0)
	v_add_nc_u32_e32 v0, -1, v0
	s_delay_alu instid0(VALU_DEP_1)
	v_cmpx_ne_u32_e32 1, v0
	s_cbranch_execz .LBB8_89
; %bb.88:
	v_cmp_eq_u32_e32 vcc_lo, 1, v0
	v_cmp_eq_u32_e64 s0, 2, v0
	v_cmp_eq_u32_e64 s1, 3, v0
	;; [unrolled: 1-line block ×6, first 2 shown]
	v_cndmask_b32_e64 v31, v4, v3, s0
	v_cndmask_b32_e64 v32, v5, v3, s1
	;; [unrolled: 1-line block ×6, first 2 shown]
	v_cndmask_b32_e32 v1, v2, v3, vcc_lo
	s_delay_alu instid0(VALU_DEP_1) | instskip(SKIP_1) | instid1(VALU_DEP_2)
	v_cndmask_b32_e64 v1, v1, v4, s0
	v_cmp_eq_u32_e64 s0, 8, v0
	v_cndmask_b32_e64 v1, v1, v5, s1
	s_delay_alu instid0(VALU_DEP_2) | instskip(NEXT) | instid1(VALU_DEP_2)
	v_cndmask_b32_e64 v37, v10, v3, s0
	v_cndmask_b32_e64 v1, v1, v6, s2
	s_delay_alu instid0(VALU_DEP_1) | instskip(NEXT) | instid1(VALU_DEP_1)
	v_cndmask_b32_e64 v1, v1, v7, s3
	v_cndmask_b32_e64 v1, v1, v8, s4
	s_delay_alu instid0(VALU_DEP_1) | instskip(NEXT) | instid1(VALU_DEP_1)
	v_cndmask_b32_e64 v1, v1, v9, s5
	v_cndmask_b32_e64 v1, v1, v10, s0
	s_delay_alu instid0(VALU_DEP_1) | instskip(SKIP_2) | instid1(VALU_DEP_1)
	v_cndmask_b32_e32 v30, v1, v3, vcc_lo
	v_cmp_eq_u32_e32 vcc_lo, 0, v0
	v_cndmask_b32_e32 v29, v2, v3, vcc_lo
	v_dual_mov_b32 v2, v29 :: v_dual_mov_b32 v3, v30
	v_dual_mov_b32 v4, v31 :: v_dual_mov_b32 v5, v32
	;; [unrolled: 1-line block ×4, first 2 shown]
	v_mov_b32_e32 v10, v37
.LBB8_89:
	s_or_b32 exec_lo, exec_lo, s6
	v_dual_mov_b32 v0, s12 :: v_dual_mov_b32 v1, s13
	s_mov_b32 s5, exec_lo
	flat_load_b32 v0, v[0:1]
	s_waitcnt vmcnt(0) lgkmcnt(0)
	v_add_nc_u32_e32 v0, -1, v0
	s_delay_alu instid0(VALU_DEP_1)
	v_cmpx_ne_u32_e32 0, v0
	s_cbranch_execz .LBB8_91
; %bb.90:
	v_cmp_eq_u32_e32 vcc_lo, 1, v0
	v_cmp_eq_u32_e64 s0, 2, v0
	v_cmp_eq_u32_e64 s1, 3, v0
	;; [unrolled: 1-line block ×4, first 2 shown]
	v_dual_cndmask_b32 v1, v2, v3 :: v_dual_cndmask_b32 v30, v3, v2
	v_cmp_eq_u32_e64 s4, 6, v0
	v_cndmask_b32_e64 v31, v4, v2, s0
	v_cndmask_b32_e64 v32, v5, v2, s1
	s_delay_alu instid0(VALU_DEP_4)
	v_cndmask_b32_e64 v1, v1, v4, s0
	v_cmp_eq_u32_e64 s0, 7, v0
	v_cndmask_b32_e64 v33, v6, v2, s2
	v_cndmask_b32_e64 v34, v7, v2, s3
	;; [unrolled: 1-line block ×4, first 2 shown]
	v_cmp_eq_u32_e64 s1, 8, v0
	v_cndmask_b32_e64 v36, v9, v2, s0
	s_delay_alu instid0(VALU_DEP_3) | instskip(NEXT) | instid1(VALU_DEP_3)
	v_cndmask_b32_e64 v1, v1, v6, s2
	v_cndmask_b32_e64 v37, v10, v2, s1
	s_delay_alu instid0(VALU_DEP_2) | instskip(NEXT) | instid1(VALU_DEP_1)
	v_cndmask_b32_e64 v1, v1, v7, s3
	v_cndmask_b32_e64 v1, v1, v8, s4
	s_delay_alu instid0(VALU_DEP_1) | instskip(SKIP_1) | instid1(VALU_DEP_2)
	v_cndmask_b32_e64 v1, v1, v9, s0
	v_cmp_eq_u32_e64 s0, 0, v0
	v_cndmask_b32_e64 v1, v1, v10, s1
	s_delay_alu instid0(VALU_DEP_1) | instskip(NEXT) | instid1(VALU_DEP_1)
	v_cndmask_b32_e64 v29, v1, v2, s0
	v_dual_mov_b32 v2, v29 :: v_dual_mov_b32 v3, v30
	v_dual_mov_b32 v4, v31 :: v_dual_mov_b32 v5, v32
	;; [unrolled: 1-line block ×4, first 2 shown]
	v_mov_b32_e32 v10, v37
.LBB8_91:
	s_or_b32 exec_lo, exec_lo, s5
.LBB8_92:
	s_clause 0x8
	global_store_b32 v[11:12], v2, off
	global_store_b32 v[13:14], v3, off
	;; [unrolled: 1-line block ×9, first 2 shown]
	s_nop 0
	s_sendmsg sendmsg(MSG_DEALLOC_VGPRS)
	s_endpgm
	.section	.rodata,"a",@progbits
	.p2align	6, 0x0
	.amdhsa_kernel _ZN9rocsolver6v33100L18getri_kernel_smallILi9EfPfEEvT1_iilPiilS4_bb
		.amdhsa_group_segment_fixed_size 84
		.amdhsa_private_segment_fixed_size 0
		.amdhsa_kernarg_size 60
		.amdhsa_user_sgpr_count 15
		.amdhsa_user_sgpr_dispatch_ptr 0
		.amdhsa_user_sgpr_queue_ptr 0
		.amdhsa_user_sgpr_kernarg_segment_ptr 1
		.amdhsa_user_sgpr_dispatch_id 0
		.amdhsa_user_sgpr_private_segment_size 0
		.amdhsa_wavefront_size32 1
		.amdhsa_uses_dynamic_stack 0
		.amdhsa_enable_private_segment 0
		.amdhsa_system_sgpr_workgroup_id_x 1
		.amdhsa_system_sgpr_workgroup_id_y 0
		.amdhsa_system_sgpr_workgroup_id_z 0
		.amdhsa_system_sgpr_workgroup_info 0
		.amdhsa_system_vgpr_workitem_id 0
		.amdhsa_next_free_vgpr 39
		.amdhsa_next_free_sgpr 18
		.amdhsa_reserve_vcc 1
		.amdhsa_float_round_mode_32 0
		.amdhsa_float_round_mode_16_64 0
		.amdhsa_float_denorm_mode_32 3
		.amdhsa_float_denorm_mode_16_64 3
		.amdhsa_dx10_clamp 1
		.amdhsa_ieee_mode 1
		.amdhsa_fp16_overflow 0
		.amdhsa_workgroup_processor_mode 1
		.amdhsa_memory_ordered 1
		.amdhsa_forward_progress 0
		.amdhsa_shared_vgpr_count 0
		.amdhsa_exception_fp_ieee_invalid_op 0
		.amdhsa_exception_fp_denorm_src 0
		.amdhsa_exception_fp_ieee_div_zero 0
		.amdhsa_exception_fp_ieee_overflow 0
		.amdhsa_exception_fp_ieee_underflow 0
		.amdhsa_exception_fp_ieee_inexact 0
		.amdhsa_exception_int_div_zero 0
	.end_amdhsa_kernel
	.section	.text._ZN9rocsolver6v33100L18getri_kernel_smallILi9EfPfEEvT1_iilPiilS4_bb,"axG",@progbits,_ZN9rocsolver6v33100L18getri_kernel_smallILi9EfPfEEvT1_iilPiilS4_bb,comdat
.Lfunc_end8:
	.size	_ZN9rocsolver6v33100L18getri_kernel_smallILi9EfPfEEvT1_iilPiilS4_bb, .Lfunc_end8-_ZN9rocsolver6v33100L18getri_kernel_smallILi9EfPfEEvT1_iilPiilS4_bb
                                        ; -- End function
	.section	.AMDGPU.csdata,"",@progbits
; Kernel info:
; codeLenInByte = 8096
; NumSgprs: 20
; NumVgprs: 39
; ScratchSize: 0
; MemoryBound: 0
; FloatMode: 240
; IeeeMode: 1
; LDSByteSize: 84 bytes/workgroup (compile time only)
; SGPRBlocks: 2
; VGPRBlocks: 4
; NumSGPRsForWavesPerEU: 20
; NumVGPRsForWavesPerEU: 39
; Occupancy: 16
; WaveLimiterHint : 0
; COMPUTE_PGM_RSRC2:SCRATCH_EN: 0
; COMPUTE_PGM_RSRC2:USER_SGPR: 15
; COMPUTE_PGM_RSRC2:TRAP_HANDLER: 0
; COMPUTE_PGM_RSRC2:TGID_X_EN: 1
; COMPUTE_PGM_RSRC2:TGID_Y_EN: 0
; COMPUTE_PGM_RSRC2:TGID_Z_EN: 0
; COMPUTE_PGM_RSRC2:TIDIG_COMP_CNT: 0
	.section	.text._ZN9rocsolver6v33100L18getri_kernel_smallILi10EfPfEEvT1_iilPiilS4_bb,"axG",@progbits,_ZN9rocsolver6v33100L18getri_kernel_smallILi10EfPfEEvT1_iilPiilS4_bb,comdat
	.globl	_ZN9rocsolver6v33100L18getri_kernel_smallILi10EfPfEEvT1_iilPiilS4_bb ; -- Begin function _ZN9rocsolver6v33100L18getri_kernel_smallILi10EfPfEEvT1_iilPiilS4_bb
	.p2align	8
	.type	_ZN9rocsolver6v33100L18getri_kernel_smallILi10EfPfEEvT1_iilPiilS4_bb,@function
_ZN9rocsolver6v33100L18getri_kernel_smallILi10EfPfEEvT1_iilPiilS4_bb: ; @_ZN9rocsolver6v33100L18getri_kernel_smallILi10EfPfEEvT1_iilPiilS4_bb
; %bb.0:
	s_mov_b32 s2, exec_lo
	v_cmpx_gt_u32_e32 10, v0
	s_cbranch_execz .LBB9_16
; %bb.1:
	s_clause 0x2
	s_load_b32 s17, s[0:1], 0x38
	s_load_b128 s[8:11], s[0:1], 0x10
	s_load_b128 s[4:7], s[0:1], 0x28
	s_mov_b32 s14, s15
                                        ; implicit-def: $sgpr12_sgpr13
	s_waitcnt lgkmcnt(0)
	s_bitcmp1_b32 s17, 8
	s_cselect_b32 s16, -1, 0
	s_bfe_u32 s2, s17, 0x10008
	s_ashr_i32 s15, s15, 31
	s_cmp_eq_u32 s2, 0
	s_cbranch_scc1 .LBB9_3
; %bb.2:
	s_load_b32 s2, s[0:1], 0x20
	s_mul_i32 s3, s14, s5
	s_mul_hi_u32 s5, s14, s4
	s_mul_i32 s12, s15, s4
	s_add_i32 s3, s5, s3
	s_mul_i32 s4, s14, s4
	s_add_i32 s5, s3, s12
	s_delay_alu instid0(SALU_CYCLE_1)
	s_lshl_b64 s[4:5], s[4:5], 2
	s_waitcnt lgkmcnt(0)
	s_ashr_i32 s3, s2, 31
	s_add_u32 s4, s10, s4
	s_addc_u32 s5, s11, s5
	s_lshl_b64 s[2:3], s[2:3], 2
	s_delay_alu instid0(SALU_CYCLE_1)
	s_add_u32 s12, s4, s2
	s_addc_u32 s13, s5, s3
.LBB9_3:
	s_load_b128 s[0:3], s[0:1], 0x0
	s_mul_i32 s4, s14, s9
	s_mul_hi_u32 s5, s14, s8
	s_mul_i32 s9, s15, s8
	s_add_i32 s5, s5, s4
	s_mul_i32 s4, s14, s8
	s_add_i32 s5, s5, s9
	v_lshlrev_b32_e32 v32, 2, v0
	s_lshl_b64 s[4:5], s[4:5], 2
	s_waitcnt lgkmcnt(0)
	v_add3_u32 v1, s3, s3, v0
	s_ashr_i32 s9, s2, 31
	s_mov_b32 s8, s2
	s_add_u32 s2, s0, s4
	s_addc_u32 s5, s1, s5
	v_add_nc_u32_e32 v3, s3, v1
	s_lshl_b64 s[0:1], s[8:9], 2
	v_ashrrev_i32_e32 v2, 31, v1
	s_add_u32 s0, s2, s0
	s_addc_u32 s1, s5, s1
	v_add_co_u32 v12, s2, s0, v32
	v_add_nc_u32_e32 v5, s3, v3
	s_mov_b32 s4, s3
	s_ashr_i32 s5, s3, 31
	v_add_co_ci_u32_e64 v13, null, s1, 0, s2
	v_lshlrev_b64 v[1:2], 2, v[1:2]
	v_ashrrev_i32_e32 v4, 31, v3
	s_lshl_b64 s[4:5], s[4:5], 2
	v_ashrrev_i32_e32 v6, 31, v5
	v_add_co_u32 v14, vcc_lo, v12, s4
	v_add_nc_u32_e32 v7, s3, v5
	v_add_co_ci_u32_e32 v15, vcc_lo, s5, v13, vcc_lo
	v_lshlrev_b64 v[3:4], 2, v[3:4]
	v_add_co_u32 v16, vcc_lo, s0, v1
	v_add_co_ci_u32_e32 v17, vcc_lo, s1, v2, vcc_lo
	v_lshlrev_b64 v[1:2], 2, v[5:6]
	v_ashrrev_i32_e32 v8, 31, v7
	v_add_nc_u32_e32 v5, s3, v7
	v_add_co_u32 v18, vcc_lo, s0, v3
	v_add_co_ci_u32_e32 v19, vcc_lo, s1, v4, vcc_lo
	s_delay_alu instid0(VALU_DEP_4) | instskip(NEXT) | instid1(VALU_DEP_4)
	v_lshlrev_b64 v[3:4], 2, v[7:8]
	v_ashrrev_i32_e32 v6, 31, v5
	v_add_nc_u32_e32 v7, s3, v5
	v_add_co_u32 v20, vcc_lo, s0, v1
	v_add_co_ci_u32_e32 v21, vcc_lo, s1, v2, vcc_lo
	s_delay_alu instid0(VALU_DEP_4) | instskip(NEXT) | instid1(VALU_DEP_4)
	;; [unrolled: 6-line block ×3, first 2 shown]
	v_lshlrev_b64 v[3:4], 2, v[7:8]
	v_add_nc_u32_e32 v7, s3, v5
	v_ashrrev_i32_e32 v6, 31, v5
	v_add_co_u32 v24, vcc_lo, s0, v1
	v_add_co_ci_u32_e32 v25, vcc_lo, s1, v2, vcc_lo
	s_delay_alu instid0(VALU_DEP_4) | instskip(NEXT) | instid1(VALU_DEP_4)
	v_ashrrev_i32_e32 v8, 31, v7
	v_lshlrev_b64 v[1:2], 2, v[5:6]
	v_add_co_u32 v26, vcc_lo, s0, v3
	v_add_co_ci_u32_e32 v27, vcc_lo, s1, v4, vcc_lo
	s_delay_alu instid0(VALU_DEP_4) | instskip(NEXT) | instid1(VALU_DEP_4)
	v_lshlrev_b64 v[3:4], 2, v[7:8]
	v_add_co_u32 v28, vcc_lo, s0, v1
	v_mov_b32_e32 v1, 0
	v_add_co_ci_u32_e32 v29, vcc_lo, s1, v2, vcc_lo
	s_delay_alu instid0(VALU_DEP_4)
	v_add_co_u32 v30, vcc_lo, s0, v3
	v_add_co_ci_u32_e32 v31, vcc_lo, s1, v4, vcc_lo
	s_clause 0x9
	global_load_b32 v3, v[14:15], off
	global_load_b32 v4, v[16:17], off
	global_load_b32 v5, v[18:19], off
	global_load_b32 v6, v[20:21], off
	global_load_b32 v7, v[22:23], off
	global_load_b32 v8, v[24:25], off
	global_load_b32 v9, v[26:27], off
	global_load_b32 v10, v[28:29], off
	global_load_b32 v2, v32, s[0:1]
	global_load_b32 v11, v[30:31], off
	s_bitcmp0_b32 s17, 0
	s_mov_b32 s0, -1
	s_cbranch_scc1 .LBB9_14
; %bb.4:
	v_cmp_eq_u32_e64 s0, 0, v0
	s_delay_alu instid0(VALU_DEP_1)
	s_and_saveexec_b32 s1, s0
	s_cbranch_execz .LBB9_6
; %bb.5:
	v_mov_b32_e32 v33, 0
	ds_store_b32 v33, v33 offset:40
.LBB9_6:
	s_or_b32 exec_lo, exec_lo, s1
	v_cmp_eq_u32_e32 vcc_lo, 1, v0
	s_mov_b32 s2, exec_lo
	s_waitcnt vmcnt(0) lgkmcnt(0)
	s_barrier
	buffer_gl0_inv
	v_cndmask_b32_e32 v33, v2, v3, vcc_lo
	v_cmp_eq_u32_e32 vcc_lo, 2, v0
	s_delay_alu instid0(VALU_DEP_2) | instskip(SKIP_1) | instid1(VALU_DEP_2)
	v_cndmask_b32_e32 v33, v33, v4, vcc_lo
	v_cmp_eq_u32_e32 vcc_lo, 3, v0
	v_cndmask_b32_e32 v33, v33, v5, vcc_lo
	v_cmp_eq_u32_e32 vcc_lo, 4, v0
	s_delay_alu instid0(VALU_DEP_2) | instskip(SKIP_1) | instid1(VALU_DEP_2)
	v_cndmask_b32_e32 v33, v33, v6, vcc_lo
	v_cmp_eq_u32_e32 vcc_lo, 5, v0
	;; [unrolled: 5-line block ×4, first 2 shown]
	v_cndmask_b32_e32 v33, v33, v11, vcc_lo
	s_delay_alu instid0(VALU_DEP_1)
	v_cmpx_eq_f32_e32 0, v33
	s_cbranch_execz .LBB9_10
; %bb.7:
	v_mov_b32_e32 v34, 0
	ds_load_b32 v35, v34 offset:40
	s_waitcnt lgkmcnt(0)
	v_readfirstlane_b32 s1, v35
	v_add_nc_u32_e32 v35, 1, v0
	s_delay_alu instid0(VALU_DEP_2) | instskip(NEXT) | instid1(VALU_DEP_1)
	s_cmp_eq_u32 s1, 0
	v_cmp_gt_i32_e32 vcc_lo, s1, v35
	s_cselect_b32 s3, -1, 0
	s_delay_alu instid0(SALU_CYCLE_1) | instskip(NEXT) | instid1(SALU_CYCLE_1)
	s_or_b32 s3, s3, vcc_lo
	s_and_b32 exec_lo, exec_lo, s3
	s_cbranch_execz .LBB9_10
; %bb.8:
	v_mov_b32_e32 v36, s1
	s_mov_b32 s3, 0
.LBB9_9:                                ; =>This Inner Loop Header: Depth=1
	ds_cmpstore_rtn_b32 v36, v34, v35, v36 offset:40
	s_waitcnt lgkmcnt(0)
	v_cmp_ne_u32_e32 vcc_lo, 0, v36
	v_cmp_le_i32_e64 s1, v36, v35
	s_delay_alu instid0(VALU_DEP_1) | instskip(NEXT) | instid1(SALU_CYCLE_1)
	s_and_b32 s1, vcc_lo, s1
	s_and_b32 s1, exec_lo, s1
	s_delay_alu instid0(SALU_CYCLE_1) | instskip(NEXT) | instid1(SALU_CYCLE_1)
	s_or_b32 s3, s1, s3
	s_and_not1_b32 exec_lo, exec_lo, s3
	s_cbranch_execnz .LBB9_9
.LBB9_10:
	s_or_b32 exec_lo, exec_lo, s2
	v_mov_b32_e32 v34, 0
	s_barrier
	buffer_gl0_inv
	ds_load_b32 v35, v34 offset:40
	s_and_saveexec_b32 s1, s0
	s_cbranch_execz .LBB9_12
; %bb.11:
	s_lshl_b64 s[2:3], s[14:15], 2
	s_delay_alu instid0(SALU_CYCLE_1)
	s_add_u32 s2, s6, s2
	s_addc_u32 s3, s7, s3
	s_waitcnt lgkmcnt(0)
	global_store_b32 v34, v35, s[2:3]
.LBB9_12:
	s_or_b32 exec_lo, exec_lo, s1
	s_waitcnt lgkmcnt(0)
	v_cmp_ne_u32_e32 vcc_lo, 0, v35
	s_cbranch_vccz .LBB9_17
; %bb.13:
	s_mov_b32 s0, 0
                                        ; implicit-def: $vgpr2_vgpr3_vgpr4_vgpr5_vgpr6_vgpr7_vgpr8_vgpr9_vgpr10_vgpr11
.LBB9_14:
	s_delay_alu instid0(SALU_CYCLE_1)
	s_and_b32 vcc_lo, exec_lo, s0
	s_cbranch_vccz .LBB9_16
.LBB9_15:
	s_lshl_b64 s[0:1], s[14:15], 2
	v_mov_b32_e32 v1, 0
	s_add_u32 s0, s6, s0
	s_addc_u32 s1, s7, s1
	global_load_b32 v1, v1, s[0:1]
	s_waitcnt vmcnt(0)
	v_cmp_ne_u32_e32 vcc_lo, 0, v1
	s_cbranch_vccz .LBB9_62
.LBB9_16:
	s_nop 0
	s_sendmsg sendmsg(MSG_DEALLOC_VGPRS)
	s_endpgm
.LBB9_17:
	v_div_scale_f32 v34, null, v33, v33, 1.0
	v_div_scale_f32 v37, vcc_lo, 1.0, v33, 1.0
	s_delay_alu instid0(VALU_DEP_2) | instskip(SKIP_2) | instid1(VALU_DEP_1)
	v_rcp_f32_e32 v35, v34
	s_waitcnt_depctr 0xfff
	v_fma_f32 v36, -v34, v35, 1.0
	v_fmac_f32_e32 v35, v36, v35
	s_delay_alu instid0(VALU_DEP_1) | instskip(NEXT) | instid1(VALU_DEP_1)
	v_mul_f32_e32 v36, v37, v35
	v_fma_f32 v38, -v34, v36, v37
	s_delay_alu instid0(VALU_DEP_1) | instskip(NEXT) | instid1(VALU_DEP_1)
	v_fmac_f32_e32 v36, v38, v35
	v_fma_f32 v34, -v34, v36, v37
	s_delay_alu instid0(VALU_DEP_1) | instskip(SKIP_1) | instid1(VALU_DEP_2)
	v_div_fmas_f32 v34, v34, v35, v36
	v_cmp_eq_u32_e32 vcc_lo, 9, v0
	v_div_fixup_f32 v33, v34, v33, 1.0
	s_delay_alu instid0(VALU_DEP_1)
	v_dual_cndmask_b32 v11, v11, v33 :: v_dual_add_nc_u32 v34, 48, v32
	v_cmp_eq_u32_e32 vcc_lo, 8, v0
	v_xor_b32_e32 v35, 0x80000000, v33
	v_cndmask_b32_e32 v10, v10, v33, vcc_lo
	v_cmp_eq_u32_e32 vcc_lo, 7, v0
	v_cndmask_b32_e32 v9, v9, v33, vcc_lo
	v_cmp_eq_u32_e32 vcc_lo, 6, v0
	;; [unrolled: 2-line block ×7, first 2 shown]
	ds_store_2addr_b32 v32, v35, v3 offset1:12
	v_cndmask_b32_e32 v4, v4, v33, vcc_lo
	v_cmp_eq_u32_e32 vcc_lo, 0, v0
	s_waitcnt lgkmcnt(0)
	s_waitcnt_vscnt null, 0x0
	s_barrier
	buffer_gl0_inv
	v_cndmask_b32_e32 v2, v2, v33, vcc_lo
	s_and_saveexec_b32 s1, s0
	s_cbranch_execz .LBB9_19
; %bb.18:
	v_mov_b32_e32 v3, 0
	ds_load_b32 v32, v34
	ds_load_b32 v3, v3 offset:4
	s_waitcnt lgkmcnt(1)
	v_fma_f32 v32, v33, v32, 0
	s_waitcnt lgkmcnt(0)
	s_delay_alu instid0(VALU_DEP_1)
	v_mul_f32_e32 v3, v32, v3
.LBB9_19:
	s_or_b32 exec_lo, exec_lo, s1
	v_cmp_gt_u32_e32 vcc_lo, 2, v0
	s_barrier
	buffer_gl0_inv
	ds_store_b32 v34, v4
	s_waitcnt lgkmcnt(0)
	s_barrier
	buffer_gl0_inv
	s_and_saveexec_b32 s2, vcc_lo
	s_cbranch_execz .LBB9_21
; %bb.20:
	v_cmp_eq_u32_e64 s1, 1, v0
	ds_load_b32 v35, v34
	v_cndmask_b32_e64 v32, v2, v3, s1
	v_cmp_eq_u32_e64 s1, 2, v0
	s_delay_alu instid0(VALU_DEP_1) | instskip(SKIP_2) | instid1(VALU_DEP_2)
	v_cndmask_b32_e64 v4, v32, v4, s1
	v_cmp_eq_u32_e64 s1, 3, v0
	v_mov_b32_e32 v32, 0
	v_cndmask_b32_e64 v4, v4, v5, s1
	v_cmp_eq_u32_e64 s1, 4, v0
	ds_load_2addr_b32 v[32:33], v32 offset0:2 offset1:13
	v_cndmask_b32_e64 v4, v4, v6, s1
	v_cmp_eq_u32_e64 s1, 5, v0
	s_delay_alu instid0(VALU_DEP_1) | instskip(SKIP_1) | instid1(VALU_DEP_1)
	v_cndmask_b32_e64 v4, v4, v7, s1
	v_cmp_eq_u32_e64 s1, 6, v0
	v_cndmask_b32_e64 v4, v4, v8, s1
	v_cmp_eq_u32_e64 s1, 7, v0
	s_delay_alu instid0(VALU_DEP_1) | instskip(SKIP_1) | instid1(VALU_DEP_1)
	v_cndmask_b32_e64 v4, v4, v9, s1
	v_cmp_eq_u32_e64 s1, 8, v0
	v_cndmask_b32_e64 v4, v4, v10, s1
	v_cmp_eq_u32_e64 s1, 9, v0
	s_delay_alu instid0(VALU_DEP_1) | instskip(SKIP_1) | instid1(VALU_DEP_1)
	v_cndmask_b32_e64 v4, v4, v11, s1
	s_waitcnt lgkmcnt(1)
	v_fma_f32 v4, v4, v35, 0
	s_waitcnt lgkmcnt(0)
	s_delay_alu instid0(VALU_DEP_1) | instskip(NEXT) | instid1(VALU_DEP_1)
	v_fma_f32 v33, v3, v33, v4
	v_cndmask_b32_e64 v4, v4, v33, s0
	s_delay_alu instid0(VALU_DEP_1)
	v_mul_f32_e32 v4, v4, v32
.LBB9_21:
	s_or_b32 exec_lo, exec_lo, s2
	s_delay_alu instid0(SALU_CYCLE_1)
	s_mov_b32 s3, exec_lo
	s_barrier
	buffer_gl0_inv
	ds_store_b32 v34, v5
	s_waitcnt lgkmcnt(0)
	s_barrier
	buffer_gl0_inv
	v_cmpx_gt_u32_e32 3, v0
	s_cbranch_execz .LBB9_25
; %bb.22:
	v_mov_b32_e32 v33, v1
	v_lshl_add_u32 v36, v0, 2, 48
	v_dual_mov_b32 v35, 0 :: v_dual_mov_b32 v32, v0
	s_mov_b32 s4, 0
.LBB9_23:                               ; =>This Inner Loop Header: Depth=1
	s_delay_alu instid0(VALU_DEP_1) | instskip(SKIP_3) | instid1(VALU_DEP_1)
	v_cmp_eq_u32_e64 s1, 1, v32
	ds_load_b32 v38, v36
	v_cndmask_b32_e64 v37, v2, v3, s1
	v_cmp_eq_u32_e64 s1, 2, v32
	v_cndmask_b32_e64 v37, v37, v4, s1
	v_cmp_eq_u32_e64 s1, 3, v32
	s_delay_alu instid0(VALU_DEP_1) | instskip(SKIP_1) | instid1(VALU_DEP_1)
	v_cndmask_b32_e64 v37, v37, v5, s1
	v_cmp_eq_u32_e64 s1, 4, v32
	v_cndmask_b32_e64 v37, v37, v6, s1
	v_cmp_eq_u32_e64 s1, 5, v32
	s_delay_alu instid0(VALU_DEP_1) | instskip(SKIP_1) | instid1(VALU_DEP_1)
	;; [unrolled: 5-line block ×3, first 2 shown]
	v_cndmask_b32_e64 v37, v37, v9, s1
	v_cmp_eq_u32_e64 s1, 8, v32
	v_cndmask_b32_e64 v37, v37, v10, s1
	v_cmp_eq_u32_e64 s1, 9, v32
	v_add_co_u32 v32, s2, v32, 1
	s_delay_alu instid0(VALU_DEP_1) | instskip(NEXT) | instid1(VALU_DEP_3)
	v_add_co_ci_u32_e64 v33, s2, 0, v33, s2
	v_cndmask_b32_e64 v37, v37, v11, s1
	s_delay_alu instid0(VALU_DEP_3) | instskip(SKIP_1) | instid1(VALU_DEP_2)
	v_add_nc_u32_e32 v39, -1, v32
	s_waitcnt lgkmcnt(0)
	v_dual_fmac_f32 v35, v37, v38 :: v_dual_add_nc_u32 v36, 4, v36
	s_delay_alu instid0(VALU_DEP_2) | instskip(NEXT) | instid1(VALU_DEP_1)
	v_cmp_lt_u32_e64 s1, 1, v39
	s_or_b32 s4, s1, s4
	s_delay_alu instid0(SALU_CYCLE_1)
	s_and_not1_b32 exec_lo, exec_lo, s4
	s_cbranch_execnz .LBB9_23
; %bb.24:
	s_or_b32 exec_lo, exec_lo, s4
	v_mov_b32_e32 v5, 0
	ds_load_b32 v5, v5 offset:12
	s_waitcnt lgkmcnt(0)
	v_mul_f32_e32 v5, v35, v5
.LBB9_25:
	s_or_b32 exec_lo, exec_lo, s3
	v_cmp_gt_u32_e64 s1, 4, v0
	s_barrier
	buffer_gl0_inv
	ds_store_b32 v34, v6
	s_waitcnt lgkmcnt(0)
	s_barrier
	buffer_gl0_inv
	s_and_saveexec_b32 s4, s1
	s_cbranch_execz .LBB9_29
; %bb.26:
	v_mov_b32_e32 v33, v1
	v_lshl_add_u32 v36, v0, 2, 48
	v_dual_mov_b32 v35, 0 :: v_dual_mov_b32 v32, v0
	s_mov_b32 s5, 0
.LBB9_27:                               ; =>This Inner Loop Header: Depth=1
	s_delay_alu instid0(VALU_DEP_1) | instskip(SKIP_3) | instid1(VALU_DEP_1)
	v_cmp_eq_u32_e64 s2, 1, v32
	ds_load_b32 v38, v36
	v_cndmask_b32_e64 v37, v2, v3, s2
	v_cmp_eq_u32_e64 s2, 2, v32
	v_cndmask_b32_e64 v37, v37, v4, s2
	v_cmp_eq_u32_e64 s2, 3, v32
	s_delay_alu instid0(VALU_DEP_1) | instskip(SKIP_1) | instid1(VALU_DEP_1)
	v_cndmask_b32_e64 v37, v37, v5, s2
	v_cmp_eq_u32_e64 s2, 4, v32
	v_cndmask_b32_e64 v37, v37, v6, s2
	v_cmp_eq_u32_e64 s2, 5, v32
	s_delay_alu instid0(VALU_DEP_1) | instskip(SKIP_1) | instid1(VALU_DEP_1)
	;; [unrolled: 5-line block ×3, first 2 shown]
	v_cndmask_b32_e64 v37, v37, v9, s2
	v_cmp_eq_u32_e64 s2, 8, v32
	v_cndmask_b32_e64 v37, v37, v10, s2
	v_cmp_eq_u32_e64 s2, 9, v32
	v_add_co_u32 v32, s3, v32, 1
	s_delay_alu instid0(VALU_DEP_1) | instskip(NEXT) | instid1(VALU_DEP_3)
	v_add_co_ci_u32_e64 v33, s3, 0, v33, s3
	v_cndmask_b32_e64 v37, v37, v11, s2
	s_delay_alu instid0(VALU_DEP_3) | instskip(SKIP_1) | instid1(VALU_DEP_2)
	v_add_nc_u32_e32 v39, -1, v32
	s_waitcnt lgkmcnt(0)
	v_dual_fmac_f32 v35, v37, v38 :: v_dual_add_nc_u32 v36, 4, v36
	s_delay_alu instid0(VALU_DEP_2) | instskip(NEXT) | instid1(VALU_DEP_1)
	v_cmp_lt_u32_e64 s2, 2, v39
	s_or_b32 s5, s2, s5
	s_delay_alu instid0(SALU_CYCLE_1)
	s_and_not1_b32 exec_lo, exec_lo, s5
	s_cbranch_execnz .LBB9_27
; %bb.28:
	s_or_b32 exec_lo, exec_lo, s5
	v_mov_b32_e32 v6, 0
	ds_load_b32 v6, v6 offset:16
	s_waitcnt lgkmcnt(0)
	v_mul_f32_e32 v6, v35, v6
.LBB9_29:
	s_or_b32 exec_lo, exec_lo, s4
	s_delay_alu instid0(SALU_CYCLE_1)
	s_mov_b32 s4, exec_lo
	s_barrier
	buffer_gl0_inv
	ds_store_b32 v34, v7
	s_waitcnt lgkmcnt(0)
	s_barrier
	buffer_gl0_inv
	v_cmpx_gt_u32_e32 5, v0
	s_cbranch_execz .LBB9_33
; %bb.30:
	v_mov_b32_e32 v33, v1
	v_lshl_add_u32 v36, v0, 2, 48
	v_dual_mov_b32 v35, 0 :: v_dual_mov_b32 v32, v0
	s_mov_b32 s5, 0
.LBB9_31:                               ; =>This Inner Loop Header: Depth=1
	s_delay_alu instid0(VALU_DEP_1) | instskip(SKIP_3) | instid1(VALU_DEP_1)
	v_cmp_eq_u32_e64 s2, 1, v32
	ds_load_b32 v38, v36
	v_cndmask_b32_e64 v37, v2, v3, s2
	v_cmp_eq_u32_e64 s2, 2, v32
	v_cndmask_b32_e64 v37, v37, v4, s2
	v_cmp_eq_u32_e64 s2, 3, v32
	s_delay_alu instid0(VALU_DEP_1) | instskip(SKIP_1) | instid1(VALU_DEP_1)
	v_cndmask_b32_e64 v37, v37, v5, s2
	v_cmp_eq_u32_e64 s2, 4, v32
	v_cndmask_b32_e64 v37, v37, v6, s2
	v_cmp_eq_u32_e64 s2, 5, v32
	s_delay_alu instid0(VALU_DEP_1) | instskip(SKIP_1) | instid1(VALU_DEP_1)
	;; [unrolled: 5-line block ×3, first 2 shown]
	v_cndmask_b32_e64 v37, v37, v9, s2
	v_cmp_eq_u32_e64 s2, 8, v32
	v_cndmask_b32_e64 v37, v37, v10, s2
	v_cmp_eq_u32_e64 s2, 9, v32
	v_add_co_u32 v32, s3, v32, 1
	s_delay_alu instid0(VALU_DEP_1) | instskip(NEXT) | instid1(VALU_DEP_3)
	v_add_co_ci_u32_e64 v33, s3, 0, v33, s3
	v_cndmask_b32_e64 v37, v37, v11, s2
	s_delay_alu instid0(VALU_DEP_3) | instskip(SKIP_1) | instid1(VALU_DEP_2)
	v_add_nc_u32_e32 v39, -1, v32
	s_waitcnt lgkmcnt(0)
	v_dual_fmac_f32 v35, v37, v38 :: v_dual_add_nc_u32 v36, 4, v36
	s_delay_alu instid0(VALU_DEP_2) | instskip(NEXT) | instid1(VALU_DEP_1)
	v_cmp_lt_u32_e64 s2, 3, v39
	s_or_b32 s5, s2, s5
	s_delay_alu instid0(SALU_CYCLE_1)
	s_and_not1_b32 exec_lo, exec_lo, s5
	s_cbranch_execnz .LBB9_31
; %bb.32:
	s_or_b32 exec_lo, exec_lo, s5
	v_mov_b32_e32 v7, 0
	ds_load_b32 v7, v7 offset:20
	s_waitcnt lgkmcnt(0)
	v_mul_f32_e32 v7, v35, v7
.LBB9_33:
	s_or_b32 exec_lo, exec_lo, s4
	v_cmp_gt_u32_e64 s2, 6, v0
	s_barrier
	buffer_gl0_inv
	ds_store_b32 v34, v8
	s_waitcnt lgkmcnt(0)
	s_barrier
	buffer_gl0_inv
	s_and_saveexec_b32 s5, s2
	s_cbranch_execz .LBB9_37
; %bb.34:
	v_mov_b32_e32 v33, v1
	v_lshl_add_u32 v36, v0, 2, 48
	v_dual_mov_b32 v35, 0 :: v_dual_mov_b32 v32, v0
	s_mov_b32 s8, 0
.LBB9_35:                               ; =>This Inner Loop Header: Depth=1
	s_delay_alu instid0(VALU_DEP_1) | instskip(SKIP_3) | instid1(VALU_DEP_1)
	v_cmp_eq_u32_e64 s3, 1, v32
	ds_load_b32 v38, v36
	v_cndmask_b32_e64 v37, v2, v3, s3
	v_cmp_eq_u32_e64 s3, 2, v32
	v_cndmask_b32_e64 v37, v37, v4, s3
	v_cmp_eq_u32_e64 s3, 3, v32
	s_delay_alu instid0(VALU_DEP_1) | instskip(SKIP_1) | instid1(VALU_DEP_1)
	v_cndmask_b32_e64 v37, v37, v5, s3
	v_cmp_eq_u32_e64 s3, 4, v32
	v_cndmask_b32_e64 v37, v37, v6, s3
	v_cmp_eq_u32_e64 s3, 5, v32
	s_delay_alu instid0(VALU_DEP_1) | instskip(SKIP_1) | instid1(VALU_DEP_1)
	v_cndmask_b32_e64 v37, v37, v7, s3
	v_cmp_eq_u32_e64 s3, 6, v32
	v_cndmask_b32_e64 v37, v37, v8, s3
	v_cmp_eq_u32_e64 s3, 7, v32
	s_delay_alu instid0(VALU_DEP_1) | instskip(SKIP_1) | instid1(VALU_DEP_1)
	v_cndmask_b32_e64 v37, v37, v9, s3
	v_cmp_eq_u32_e64 s3, 8, v32
	v_cndmask_b32_e64 v37, v37, v10, s3
	v_cmp_eq_u32_e64 s3, 9, v32
	v_add_co_u32 v32, s4, v32, 1
	s_delay_alu instid0(VALU_DEP_1) | instskip(NEXT) | instid1(VALU_DEP_3)
	v_add_co_ci_u32_e64 v33, s4, 0, v33, s4
	v_cndmask_b32_e64 v37, v37, v11, s3
	s_delay_alu instid0(VALU_DEP_3) | instskip(SKIP_1) | instid1(VALU_DEP_2)
	v_add_nc_u32_e32 v39, -1, v32
	s_waitcnt lgkmcnt(0)
	v_dual_fmac_f32 v35, v37, v38 :: v_dual_add_nc_u32 v36, 4, v36
	s_delay_alu instid0(VALU_DEP_2) | instskip(NEXT) | instid1(VALU_DEP_1)
	v_cmp_lt_u32_e64 s3, 4, v39
	s_or_b32 s8, s3, s8
	s_delay_alu instid0(SALU_CYCLE_1)
	s_and_not1_b32 exec_lo, exec_lo, s8
	s_cbranch_execnz .LBB9_35
; %bb.36:
	s_or_b32 exec_lo, exec_lo, s8
	v_mov_b32_e32 v8, 0
	ds_load_b32 v8, v8 offset:24
	s_waitcnt lgkmcnt(0)
	v_mul_f32_e32 v8, v35, v8
.LBB9_37:
	s_or_b32 exec_lo, exec_lo, s5
	s_delay_alu instid0(SALU_CYCLE_1)
	s_mov_b32 s5, exec_lo
	s_barrier
	buffer_gl0_inv
	ds_store_b32 v34, v9
	s_waitcnt lgkmcnt(0)
	s_barrier
	buffer_gl0_inv
	v_cmpx_gt_u32_e32 7, v0
	s_cbranch_execz .LBB9_41
; %bb.38:
	v_mov_b32_e32 v33, v1
	v_lshl_add_u32 v36, v0, 2, 48
	v_dual_mov_b32 v35, 0 :: v_dual_mov_b32 v32, v0
	s_mov_b32 s8, 0
.LBB9_39:                               ; =>This Inner Loop Header: Depth=1
	s_delay_alu instid0(VALU_DEP_1) | instskip(SKIP_3) | instid1(VALU_DEP_1)
	v_cmp_eq_u32_e64 s3, 1, v32
	ds_load_b32 v38, v36
	v_cndmask_b32_e64 v37, v2, v3, s3
	v_cmp_eq_u32_e64 s3, 2, v32
	v_cndmask_b32_e64 v37, v37, v4, s3
	v_cmp_eq_u32_e64 s3, 3, v32
	s_delay_alu instid0(VALU_DEP_1) | instskip(SKIP_1) | instid1(VALU_DEP_1)
	v_cndmask_b32_e64 v37, v37, v5, s3
	v_cmp_eq_u32_e64 s3, 4, v32
	v_cndmask_b32_e64 v37, v37, v6, s3
	v_cmp_eq_u32_e64 s3, 5, v32
	s_delay_alu instid0(VALU_DEP_1) | instskip(SKIP_1) | instid1(VALU_DEP_1)
	;; [unrolled: 5-line block ×3, first 2 shown]
	v_cndmask_b32_e64 v37, v37, v9, s3
	v_cmp_eq_u32_e64 s3, 8, v32
	v_cndmask_b32_e64 v37, v37, v10, s3
	v_cmp_eq_u32_e64 s3, 9, v32
	v_add_co_u32 v32, s4, v32, 1
	s_delay_alu instid0(VALU_DEP_1) | instskip(NEXT) | instid1(VALU_DEP_3)
	v_add_co_ci_u32_e64 v33, s4, 0, v33, s4
	v_cndmask_b32_e64 v37, v37, v11, s3
	s_delay_alu instid0(VALU_DEP_3) | instskip(SKIP_1) | instid1(VALU_DEP_2)
	v_add_nc_u32_e32 v39, -1, v32
	s_waitcnt lgkmcnt(0)
	v_dual_fmac_f32 v35, v37, v38 :: v_dual_add_nc_u32 v36, 4, v36
	s_delay_alu instid0(VALU_DEP_2) | instskip(NEXT) | instid1(VALU_DEP_1)
	v_cmp_lt_u32_e64 s3, 5, v39
	s_or_b32 s8, s3, s8
	s_delay_alu instid0(SALU_CYCLE_1)
	s_and_not1_b32 exec_lo, exec_lo, s8
	s_cbranch_execnz .LBB9_39
; %bb.40:
	s_or_b32 exec_lo, exec_lo, s8
	v_mov_b32_e32 v9, 0
	ds_load_b32 v9, v9 offset:28
	s_waitcnt lgkmcnt(0)
	v_mul_f32_e32 v9, v35, v9
.LBB9_41:
	s_or_b32 exec_lo, exec_lo, s5
	s_delay_alu instid0(SALU_CYCLE_1)
	s_mov_b32 s4, exec_lo
	s_barrier
	buffer_gl0_inv
	ds_store_b32 v34, v10
	s_waitcnt lgkmcnt(0)
	s_barrier
	buffer_gl0_inv
	v_cmpx_gt_u32_e32 8, v0
	s_cbranch_execz .LBB9_57
; %bb.42:
	v_cmp_eq_u32_e64 s3, 1, v0
	ds_load_b32 v33, v34
	s_mov_b32 s5, exec_lo
	v_cndmask_b32_e64 v32, v2, v3, s3
	v_cmp_eq_u32_e64 s3, 2, v0
	s_delay_alu instid0(VALU_DEP_1) | instskip(SKIP_1) | instid1(VALU_DEP_1)
	v_cndmask_b32_e64 v32, v32, v4, s3
	v_cmp_eq_u32_e64 s3, 3, v0
	v_cndmask_b32_e64 v32, v32, v5, s3
	v_cmp_eq_u32_e64 s3, 4, v0
	s_delay_alu instid0(VALU_DEP_1) | instskip(SKIP_1) | instid1(VALU_DEP_1)
	v_cndmask_b32_e64 v32, v32, v6, s3
	v_cmp_eq_u32_e64 s3, 5, v0
	;; [unrolled: 5-line block ×4, first 2 shown]
	v_cndmask_b32_e64 v35, v32, v11, s3
	v_mov_b32_e32 v32, 0
	s_waitcnt lgkmcnt(0)
	s_delay_alu instid0(VALU_DEP_2)
	v_fma_f32 v33, v35, v33, 0
	v_cmpx_ne_u32_e32 7, v0
	s_cbranch_execz .LBB9_56
; %bb.43:
	v_add_nc_u32_e32 v35, 1, v0
	ds_load_b32 v37, v34 offset:4
	v_cmp_eq_u32_e64 s3, 1, v35
	s_delay_alu instid0(VALU_DEP_1) | instskip(SKIP_1) | instid1(VALU_DEP_1)
	v_cndmask_b32_e64 v36, v2, v3, s3
	v_cmp_eq_u32_e64 s3, 2, v35
	v_cndmask_b32_e64 v36, v36, v4, s3
	v_cmp_eq_u32_e64 s3, 3, v35
	s_delay_alu instid0(VALU_DEP_1) | instskip(SKIP_1) | instid1(VALU_DEP_1)
	v_cndmask_b32_e64 v36, v36, v5, s3
	v_cmp_eq_u32_e64 s3, 4, v35
	v_cndmask_b32_e64 v36, v36, v6, s3
	;; [unrolled: 5-line block ×4, first 2 shown]
	v_cmp_eq_u32_e64 s3, 9, v35
	s_delay_alu instid0(VALU_DEP_1) | instskip(SKIP_1) | instid1(VALU_DEP_1)
	v_cndmask_b32_e64 v35, v36, v11, s3
	s_waitcnt lgkmcnt(0)
	v_fmac_f32_e32 v33, v35, v37
	s_and_saveexec_b32 s3, s2
	s_cbranch_execz .LBB9_55
; %bb.44:
	v_add_nc_u32_e32 v35, 2, v0
	ds_load_b32 v37, v34 offset:8
	s_mov_b32 s8, exec_lo
	v_cmp_eq_u32_e64 s2, 1, v35
	s_delay_alu instid0(VALU_DEP_1) | instskip(SKIP_1) | instid1(VALU_DEP_1)
	v_cndmask_b32_e64 v36, v2, v3, s2
	v_cmp_eq_u32_e64 s2, 2, v35
	v_cndmask_b32_e64 v36, v36, v4, s2
	v_cmp_eq_u32_e64 s2, 3, v35
	s_delay_alu instid0(VALU_DEP_1) | instskip(SKIP_1) | instid1(VALU_DEP_1)
	v_cndmask_b32_e64 v36, v36, v5, s2
	v_cmp_eq_u32_e64 s2, 4, v35
	v_cndmask_b32_e64 v36, v36, v6, s2
	;; [unrolled: 5-line block ×4, first 2 shown]
	v_cmp_eq_u32_e64 s2, 9, v35
	s_delay_alu instid0(VALU_DEP_1) | instskip(SKIP_1) | instid1(VALU_DEP_1)
	v_cndmask_b32_e64 v35, v36, v11, s2
	s_waitcnt lgkmcnt(0)
	v_fmac_f32_e32 v33, v35, v37
	v_cmpx_ne_u32_e32 5, v0
	s_cbranch_execz .LBB9_54
; %bb.45:
	v_add_nc_u32_e32 v35, 3, v0
	ds_load_b32 v37, v34 offset:12
	v_cmp_eq_u32_e64 s2, 1, v35
	s_delay_alu instid0(VALU_DEP_1) | instskip(SKIP_1) | instid1(VALU_DEP_1)
	v_cndmask_b32_e64 v36, v2, v3, s2
	v_cmp_eq_u32_e64 s2, 2, v35
	v_cndmask_b32_e64 v36, v36, v4, s2
	v_cmp_eq_u32_e64 s2, 3, v35
	s_delay_alu instid0(VALU_DEP_1) | instskip(SKIP_1) | instid1(VALU_DEP_1)
	v_cndmask_b32_e64 v36, v36, v5, s2
	v_cmp_eq_u32_e64 s2, 4, v35
	v_cndmask_b32_e64 v36, v36, v6, s2
	;; [unrolled: 5-line block ×4, first 2 shown]
	v_cmp_eq_u32_e64 s2, 9, v35
	s_delay_alu instid0(VALU_DEP_1) | instskip(SKIP_1) | instid1(VALU_DEP_1)
	v_cndmask_b32_e64 v35, v36, v11, s2
	s_waitcnt lgkmcnt(0)
	v_fmac_f32_e32 v33, v35, v37
	s_and_saveexec_b32 s2, s1
	s_cbranch_execz .LBB9_53
; %bb.46:
	v_or_b32_e32 v35, 4, v0
	ds_load_b32 v37, v34 offset:16
	s_mov_b32 s9, exec_lo
	v_cmp_eq_u32_e64 s1, 1, v35
	s_delay_alu instid0(VALU_DEP_1) | instskip(SKIP_1) | instid1(VALU_DEP_1)
	v_cndmask_b32_e64 v36, v2, v3, s1
	v_cmp_eq_u32_e64 s1, 2, v35
	v_cndmask_b32_e64 v36, v36, v4, s1
	v_cmp_eq_u32_e64 s1, 3, v35
	s_delay_alu instid0(VALU_DEP_1) | instskip(SKIP_1) | instid1(VALU_DEP_1)
	v_cndmask_b32_e64 v36, v36, v5, s1
	v_cmp_eq_u32_e64 s1, 4, v35
	v_cndmask_b32_e64 v36, v36, v6, s1
	;; [unrolled: 5-line block ×4, first 2 shown]
	v_cmp_eq_u32_e64 s1, 9, v35
	s_delay_alu instid0(VALU_DEP_1) | instskip(SKIP_1) | instid1(VALU_DEP_1)
	v_cndmask_b32_e64 v35, v36, v11, s1
	s_waitcnt lgkmcnt(0)
	v_fmac_f32_e32 v33, v35, v37
	v_cmpx_ne_u32_e32 3, v0
	s_cbranch_execz .LBB9_52
; %bb.47:
	v_add_nc_u32_e32 v35, 5, v0
	ds_load_b32 v37, v34 offset:20
	v_cmp_eq_u32_e64 s1, 1, v35
	s_delay_alu instid0(VALU_DEP_1) | instskip(SKIP_1) | instid1(VALU_DEP_1)
	v_cndmask_b32_e64 v36, v2, v3, s1
	v_cmp_eq_u32_e64 s1, 2, v35
	v_cndmask_b32_e64 v36, v36, v4, s1
	v_cmp_eq_u32_e64 s1, 3, v35
	s_delay_alu instid0(VALU_DEP_1) | instskip(SKIP_1) | instid1(VALU_DEP_1)
	v_cndmask_b32_e64 v36, v36, v5, s1
	v_cmp_eq_u32_e64 s1, 4, v35
	v_cndmask_b32_e64 v36, v36, v6, s1
	;; [unrolled: 5-line block ×4, first 2 shown]
	v_cmp_eq_u32_e64 s1, 9, v35
	s_delay_alu instid0(VALU_DEP_1) | instskip(SKIP_1) | instid1(VALU_DEP_1)
	v_cndmask_b32_e64 v35, v36, v11, s1
	s_waitcnt lgkmcnt(0)
	v_fmac_f32_e32 v33, v35, v37
	s_and_saveexec_b32 s1, vcc_lo
	s_cbranch_execz .LBB9_51
; %bb.48:
	v_or_b32_e32 v35, 6, v0
	ds_load_b32 v37, v34 offset:24
	v_cmp_eq_u32_e32 vcc_lo, 1, v35
	v_cndmask_b32_e32 v36, v2, v3, vcc_lo
	v_cmp_eq_u32_e32 vcc_lo, 2, v35
	s_delay_alu instid0(VALU_DEP_2) | instskip(SKIP_1) | instid1(VALU_DEP_2)
	v_cndmask_b32_e32 v36, v36, v4, vcc_lo
	v_cmp_eq_u32_e32 vcc_lo, 3, v35
	v_cndmask_b32_e32 v36, v36, v5, vcc_lo
	v_cmp_eq_u32_e32 vcc_lo, 4, v35
	s_delay_alu instid0(VALU_DEP_2) | instskip(SKIP_1) | instid1(VALU_DEP_2)
	v_cndmask_b32_e32 v36, v36, v6, vcc_lo
	;; [unrolled: 5-line block ×4, first 2 shown]
	v_cmp_eq_u32_e32 vcc_lo, 9, v35
	v_cndmask_b32_e32 v10, v10, v11, vcc_lo
	s_waitcnt lgkmcnt(0)
	s_delay_alu instid0(VALU_DEP_1)
	v_fmac_f32_e32 v33, v10, v37
	s_and_saveexec_b32 s10, s0
	s_cbranch_execz .LBB9_50
; %bb.49:
	ds_load_b32 v10, v34 offset:28
	s_waitcnt lgkmcnt(0)
	v_fmac_f32_e32 v33, v9, v10
.LBB9_50:
	s_or_b32 exec_lo, exec_lo, s10
.LBB9_51:
	s_delay_alu instid0(SALU_CYCLE_1)
	s_or_b32 exec_lo, exec_lo, s1
.LBB9_52:
	s_delay_alu instid0(SALU_CYCLE_1)
	s_or_b32 exec_lo, exec_lo, s9
.LBB9_53:
	s_delay_alu instid0(SALU_CYCLE_1)
	s_or_b32 exec_lo, exec_lo, s2
.LBB9_54:
	s_delay_alu instid0(SALU_CYCLE_1)
	s_or_b32 exec_lo, exec_lo, s8
.LBB9_55:
	s_delay_alu instid0(SALU_CYCLE_1)
	s_or_b32 exec_lo, exec_lo, s3
.LBB9_56:
	s_delay_alu instid0(SALU_CYCLE_1)
	s_or_b32 exec_lo, exec_lo, s5
	ds_load_b32 v10, v32 offset:32
	s_waitcnt lgkmcnt(0)
	v_mul_f32_e32 v10, v33, v10
.LBB9_57:
	s_or_b32 exec_lo, exec_lo, s4
	s_delay_alu instid0(SALU_CYCLE_1)
	s_mov_b32 s1, exec_lo
	s_barrier
	buffer_gl0_inv
	ds_store_b32 v34, v11
	s_waitcnt lgkmcnt(0)
	s_barrier
	buffer_gl0_inv
	v_cmpx_ne_u32_e32 9, v0
	s_cbranch_execz .LBB9_61
; %bb.58:
	v_dual_mov_b32 v34, 0 :: v_dual_mov_b32 v33, v1
	v_lshl_add_u32 v35, v0, 2, 48
	v_mov_b32_e32 v32, v0
	s_mov_b32 s2, 0
	.p2align	6
.LBB9_59:                               ; =>This Inner Loop Header: Depth=1
	s_delay_alu instid0(VALU_DEP_1) | instskip(SKIP_3) | instid1(VALU_DEP_2)
	v_cmp_eq_u32_e32 vcc_lo, 1, v32
	ds_load_b32 v36, v35
	v_cndmask_b32_e32 v1, v2, v3, vcc_lo
	v_cmp_eq_u32_e32 vcc_lo, 2, v32
	v_cndmask_b32_e32 v1, v1, v4, vcc_lo
	v_cmp_eq_u32_e32 vcc_lo, 3, v32
	s_delay_alu instid0(VALU_DEP_2) | instskip(SKIP_1) | instid1(VALU_DEP_2)
	v_cndmask_b32_e32 v1, v1, v5, vcc_lo
	v_cmp_eq_u32_e32 vcc_lo, 4, v32
	v_cndmask_b32_e32 v1, v1, v6, vcc_lo
	v_cmp_eq_u32_e32 vcc_lo, 5, v32
	s_delay_alu instid0(VALU_DEP_2) | instskip(SKIP_1) | instid1(VALU_DEP_2)
	;; [unrolled: 5-line block ×3, first 2 shown]
	v_cndmask_b32_e32 v1, v1, v9, vcc_lo
	v_cmp_eq_u32_e32 vcc_lo, 8, v32
	v_cndmask_b32_e32 v1, v1, v10, vcc_lo
	v_cmp_eq_u32_e32 vcc_lo, 9, v32
	v_add_co_u32 v32, s0, v32, 1
	s_delay_alu instid0(VALU_DEP_1) | instskip(NEXT) | instid1(VALU_DEP_4)
	v_add_co_ci_u32_e64 v33, s0, 0, v33, s0
	v_cndmask_b32_e32 v1, v1, v11, vcc_lo
	s_delay_alu instid0(VALU_DEP_3) | instskip(SKIP_1) | instid1(VALU_DEP_2)
	v_add_nc_u32_e32 v37, -1, v32
	s_waitcnt lgkmcnt(0)
	v_dual_fmac_f32 v34, v1, v36 :: v_dual_add_nc_u32 v35, 4, v35
	s_delay_alu instid0(VALU_DEP_2) | instskip(SKIP_1) | instid1(SALU_CYCLE_1)
	v_cmp_lt_u32_e32 vcc_lo, 7, v37
	s_or_b32 s2, vcc_lo, s2
	s_and_not1_b32 exec_lo, exec_lo, s2
	s_cbranch_execnz .LBB9_59
; %bb.60:
	s_or_b32 exec_lo, exec_lo, s2
	v_mov_b32_e32 v1, 0
	ds_load_b32 v1, v1 offset:36
	s_waitcnt lgkmcnt(0)
	v_mul_f32_e32 v11, v34, v1
.LBB9_61:
	s_or_b32 exec_lo, exec_lo, s1
	s_barrier
	buffer_gl0_inv
	s_cbranch_execnz .LBB9_15
	s_branch .LBB9_16
.LBB9_62:
	v_lshl_add_u32 v1, v0, 2, 48
	s_mov_b32 s0, exec_lo
	v_cmpx_eq_u32_e32 9, v0
	s_cbranch_execz .LBB9_64
; %bb.63:
	s_mov_b32 s1, 0
	ds_store_b32 v1, v10
	v_mov_b32_e32 v10, s1
.LBB9_64:
	s_or_b32 exec_lo, exec_lo, s0
	v_mov_b32_e32 v32, 0
	s_waitcnt lgkmcnt(0)
	s_waitcnt_vscnt null, 0x0
	s_barrier
	buffer_gl0_inv
	s_mov_b32 s0, exec_lo
	ds_load_b32 v33, v32 offset:84
	s_waitcnt lgkmcnt(0)
	v_fma_f32 v33, v11, v33, 0
	s_delay_alu instid0(VALU_DEP_1)
	v_sub_f32_e32 v10, v10, v33
	v_cmpx_lt_u32_e32 7, v0
	s_cbranch_execz .LBB9_66
; %bb.65:
	s_mov_b32 s1, 0
	s_delay_alu instid0(VALU_DEP_2)
	v_dual_mov_b32 v42, v11 :: v_dual_mov_b32 v41, v10
	v_dual_mov_b32 v40, v9 :: v_dual_mov_b32 v39, v8
	;; [unrolled: 1-line block ×5, first 2 shown]
	v_mov_b32_e32 v40, s1
	ds_store_b32 v1, v9
	v_dual_mov_b32 v2, v33 :: v_dual_mov_b32 v3, v34
	v_dual_mov_b32 v4, v35 :: v_dual_mov_b32 v5, v36
	;; [unrolled: 1-line block ×5, first 2 shown]
.LBB9_66:
	s_or_b32 exec_lo, exec_lo, s0
	s_waitcnt lgkmcnt(0)
	s_barrier
	buffer_gl0_inv
	ds_load_b64 v[32:33], v32 offset:80
	s_mov_b32 s0, exec_lo
	s_waitcnt lgkmcnt(0)
	v_fma_f32 v32, v10, v32, 0
	s_delay_alu instid0(VALU_DEP_1) | instskip(NEXT) | instid1(VALU_DEP_1)
	v_fmac_f32_e32 v32, v11, v33
	v_sub_f32_e32 v9, v9, v32
	v_cmpx_lt_u32_e32 6, v0
	s_cbranch_execz .LBB9_68
; %bb.67:
	s_mov_b32 s1, 0
	v_dual_mov_b32 v41, v11 :: v_dual_mov_b32 v40, v10
	v_dual_mov_b32 v39, v9 :: v_dual_mov_b32 v38, v8
	;; [unrolled: 1-line block ×5, first 2 shown]
	v_mov_b32_e32 v38, s1
	ds_store_b32 v1, v8
	v_dual_mov_b32 v2, v32 :: v_dual_mov_b32 v3, v33
	v_dual_mov_b32 v4, v34 :: v_dual_mov_b32 v5, v35
	;; [unrolled: 1-line block ×5, first 2 shown]
.LBB9_68:
	s_or_b32 exec_lo, exec_lo, s0
	v_mov_b32_e32 v32, 0
	s_waitcnt lgkmcnt(0)
	s_barrier
	buffer_gl0_inv
	s_mov_b32 s0, exec_lo
	ds_load_2addr_b32 v[33:34], v32 offset0:19 offset1:20
	ds_load_b32 v35, v32 offset:84
	s_waitcnt lgkmcnt(1)
	v_fma_f32 v33, v9, v33, 0
	s_delay_alu instid0(VALU_DEP_1) | instskip(SKIP_1) | instid1(VALU_DEP_1)
	v_fmac_f32_e32 v33, v10, v34
	s_waitcnt lgkmcnt(0)
	v_fmac_f32_e32 v33, v11, v35
	s_delay_alu instid0(VALU_DEP_1)
	v_sub_f32_e32 v8, v8, v33
	v_cmpx_lt_u32_e32 5, v0
	s_cbranch_execz .LBB9_70
; %bb.69:
	s_mov_b32 s1, 0
	v_dual_mov_b32 v42, v11 :: v_dual_mov_b32 v41, v10
	v_dual_mov_b32 v38, v7 :: v_dual_mov_b32 v37, v6
	;; [unrolled: 1-line block ×5, first 2 shown]
	v_mov_b32_e32 v38, s1
	ds_store_b32 v1, v7
	v_dual_mov_b32 v2, v33 :: v_dual_mov_b32 v3, v34
	v_dual_mov_b32 v4, v35 :: v_dual_mov_b32 v5, v36
	;; [unrolled: 1-line block ×5, first 2 shown]
.LBB9_70:
	s_or_b32 exec_lo, exec_lo, s0
	s_waitcnt lgkmcnt(0)
	s_barrier
	buffer_gl0_inv
	ds_load_2addr_b64 v[32:35], v32 offset0:9 offset1:10
	s_mov_b32 s0, exec_lo
	s_waitcnt lgkmcnt(0)
	v_fma_f32 v32, v8, v32, 0
	s_delay_alu instid0(VALU_DEP_1) | instskip(NEXT) | instid1(VALU_DEP_1)
	v_fmac_f32_e32 v32, v9, v33
	v_fmac_f32_e32 v32, v10, v34
	s_delay_alu instid0(VALU_DEP_1) | instskip(NEXT) | instid1(VALU_DEP_1)
	v_fmac_f32_e32 v32, v11, v35
	v_sub_f32_e32 v7, v7, v32
	v_cmpx_lt_u32_e32 4, v0
	s_cbranch_execz .LBB9_72
; %bb.71:
	s_mov_b32 s1, 0
	v_dual_mov_b32 v41, v11 :: v_dual_mov_b32 v40, v10
	v_dual_mov_b32 v37, v7 :: v_dual_mov_b32 v36, v6
	;; [unrolled: 1-line block ×5, first 2 shown]
	v_mov_b32_e32 v36, s1
	ds_store_b32 v1, v6
	v_dual_mov_b32 v2, v32 :: v_dual_mov_b32 v3, v33
	v_dual_mov_b32 v4, v34 :: v_dual_mov_b32 v5, v35
	;; [unrolled: 1-line block ×5, first 2 shown]
.LBB9_72:
	s_or_b32 exec_lo, exec_lo, s0
	v_mov_b32_e32 v32, 0
	s_waitcnt lgkmcnt(0)
	s_barrier
	buffer_gl0_inv
	s_mov_b32 s0, exec_lo
	ds_load_2addr_b32 v[33:34], v32 offset0:17 offset1:18
	ds_load_2addr_b32 v[35:36], v32 offset0:19 offset1:20
	ds_load_b32 v37, v32 offset:84
	s_waitcnt lgkmcnt(2)
	v_fma_f32 v33, v7, v33, 0
	s_delay_alu instid0(VALU_DEP_1) | instskip(SKIP_1) | instid1(VALU_DEP_1)
	v_fmac_f32_e32 v33, v8, v34
	s_waitcnt lgkmcnt(1)
	v_fmac_f32_e32 v33, v9, v35
	s_delay_alu instid0(VALU_DEP_1) | instskip(SKIP_1) | instid1(VALU_DEP_1)
	v_fmac_f32_e32 v33, v10, v36
	s_waitcnt lgkmcnt(0)
	v_fmac_f32_e32 v33, v11, v37
	s_delay_alu instid0(VALU_DEP_1)
	v_sub_f32_e32 v6, v6, v33
	v_cmpx_lt_u32_e32 3, v0
	s_cbranch_execz .LBB9_74
; %bb.73:
	s_mov_b32 s1, 0
	v_dual_mov_b32 v42, v11 :: v_dual_mov_b32 v41, v10
	v_dual_mov_b32 v36, v5 :: v_dual_mov_b32 v35, v4
	;; [unrolled: 1-line block ×5, first 2 shown]
	v_mov_b32_e32 v36, s1
	ds_store_b32 v1, v5
	v_dual_mov_b32 v2, v33 :: v_dual_mov_b32 v3, v34
	v_dual_mov_b32 v4, v35 :: v_dual_mov_b32 v5, v36
	;; [unrolled: 1-line block ×5, first 2 shown]
.LBB9_74:
	s_or_b32 exec_lo, exec_lo, s0
	s_waitcnt lgkmcnt(0)
	s_barrier
	buffer_gl0_inv
	ds_load_b128 v[33:36], v32 offset:64
	ds_load_b64 v[37:38], v32 offset:80
	s_mov_b32 s0, exec_lo
	s_waitcnt lgkmcnt(1)
	v_fma_f32 v32, v6, v33, 0
	s_delay_alu instid0(VALU_DEP_1) | instskip(NEXT) | instid1(VALU_DEP_1)
	v_fmac_f32_e32 v32, v7, v34
	v_fmac_f32_e32 v32, v8, v35
	s_delay_alu instid0(VALU_DEP_1) | instskip(SKIP_1) | instid1(VALU_DEP_1)
	v_fmac_f32_e32 v32, v9, v36
	s_waitcnt lgkmcnt(0)
	v_fmac_f32_e32 v32, v10, v37
	s_delay_alu instid0(VALU_DEP_1) | instskip(NEXT) | instid1(VALU_DEP_1)
	v_fmac_f32_e32 v32, v11, v38
	v_sub_f32_e32 v5, v5, v32
	v_cmpx_lt_u32_e32 2, v0
	s_cbranch_execz .LBB9_76
; %bb.75:
	s_mov_b32 s1, 0
	v_dual_mov_b32 v41, v11 :: v_dual_mov_b32 v40, v10
	v_dual_mov_b32 v35, v5 :: v_dual_mov_b32 v34, v4
	;; [unrolled: 1-line block ×5, first 2 shown]
	v_mov_b32_e32 v34, s1
	ds_store_b32 v1, v4
	v_dual_mov_b32 v2, v32 :: v_dual_mov_b32 v3, v33
	v_dual_mov_b32 v5, v35 :: v_dual_mov_b32 v4, v34
	;; [unrolled: 1-line block ×5, first 2 shown]
.LBB9_76:
	s_or_b32 exec_lo, exec_lo, s0
	v_mov_b32_e32 v32, 0
	s_waitcnt lgkmcnt(0)
	s_barrier
	buffer_gl0_inv
	s_mov_b32 s0, exec_lo
	ds_load_2addr_b32 v[33:34], v32 offset0:15 offset1:16
	ds_load_2addr_b32 v[35:36], v32 offset0:17 offset1:18
	;; [unrolled: 1-line block ×3, first 2 shown]
	ds_load_b32 v39, v32 offset:84
	s_waitcnt lgkmcnt(3)
	v_fma_f32 v33, v5, v33, 0
	s_delay_alu instid0(VALU_DEP_1) | instskip(SKIP_1) | instid1(VALU_DEP_1)
	v_fmac_f32_e32 v33, v6, v34
	s_waitcnt lgkmcnt(2)
	v_fmac_f32_e32 v33, v7, v35
	s_delay_alu instid0(VALU_DEP_1) | instskip(SKIP_1) | instid1(VALU_DEP_1)
	v_fmac_f32_e32 v33, v8, v36
	s_waitcnt lgkmcnt(1)
	v_fmac_f32_e32 v33, v9, v37
	;; [unrolled: 4-line block ×3, first 2 shown]
	s_delay_alu instid0(VALU_DEP_1)
	v_sub_f32_e32 v4, v4, v33
	v_cmpx_lt_u32_e32 1, v0
	s_cbranch_execz .LBB9_78
; %bb.77:
	s_mov_b32 s1, 0
	v_dual_mov_b32 v42, v11 :: v_dual_mov_b32 v41, v10
	v_dual_mov_b32 v34, v3 :: v_dual_mov_b32 v33, v2
	v_dual_mov_b32 v40, v9 :: v_dual_mov_b32 v39, v8
	v_dual_mov_b32 v38, v7 :: v_dual_mov_b32 v37, v6
	v_dual_mov_b32 v36, v5 :: v_dual_mov_b32 v35, v4
	v_mov_b32_e32 v34, s1
	ds_store_b32 v1, v3
	v_dual_mov_b32 v2, v33 :: v_dual_mov_b32 v5, v36
	v_dual_mov_b32 v4, v35 :: v_dual_mov_b32 v3, v34
	;; [unrolled: 1-line block ×5, first 2 shown]
.LBB9_78:
	s_or_b32 exec_lo, exec_lo, s0
	s_waitcnt lgkmcnt(0)
	s_barrier
	buffer_gl0_inv
	ds_load_2addr_b64 v[33:36], v32 offset0:7 offset1:8
	ds_load_2addr_b64 v[37:40], v32 offset0:9 offset1:10
	s_mov_b32 s1, 0
	s_mov_b32 s0, exec_lo
	s_waitcnt lgkmcnt(1)
	v_fma_f32 v32, v4, v33, 0
	s_delay_alu instid0(VALU_DEP_1) | instskip(NEXT) | instid1(VALU_DEP_1)
	v_fmac_f32_e32 v32, v5, v34
	v_fmac_f32_e32 v32, v6, v35
	s_delay_alu instid0(VALU_DEP_1) | instskip(SKIP_1) | instid1(VALU_DEP_1)
	v_fmac_f32_e32 v32, v7, v36
	s_waitcnt lgkmcnt(0)
	v_fmac_f32_e32 v32, v8, v37
	s_delay_alu instid0(VALU_DEP_1) | instskip(NEXT) | instid1(VALU_DEP_1)
	v_fmac_f32_e32 v32, v9, v38
	v_fmac_f32_e32 v32, v10, v39
	s_delay_alu instid0(VALU_DEP_1) | instskip(NEXT) | instid1(VALU_DEP_1)
	v_fmac_f32_e32 v32, v11, v40
	v_sub_f32_e32 v3, v3, v32
	v_cmpx_ne_u32_e32 0, v0
	s_cbranch_execz .LBB9_80
; %bb.79:
	v_dual_mov_b32 v41, v11 :: v_dual_mov_b32 v40, v10
	s_delay_alu instid0(VALU_DEP_3)
	v_dual_mov_b32 v33, v3 :: v_dual_mov_b32 v32, v2
	v_dual_mov_b32 v32, s1 :: v_dual_mov_b32 v39, v9
	v_dual_mov_b32 v38, v8 :: v_dual_mov_b32 v37, v7
	v_dual_mov_b32 v36, v6 :: v_dual_mov_b32 v35, v5
	v_mov_b32_e32 v34, v4
	ds_store_b32 v1, v2
	v_dual_mov_b32 v2, v32 :: v_dual_mov_b32 v3, v33
	v_dual_mov_b32 v5, v35 :: v_dual_mov_b32 v4, v34
	;; [unrolled: 1-line block ×5, first 2 shown]
.LBB9_80:
	s_or_b32 exec_lo, exec_lo, s0
	v_mov_b32_e32 v38, 0
	s_waitcnt lgkmcnt(0)
	s_barrier
	buffer_gl0_inv
	s_and_b32 vcc_lo, exec_lo, s16
	ds_load_2addr_b32 v[0:1], v38 offset0:13 offset1:14
	ds_load_2addr_b32 v[32:33], v38 offset0:15 offset1:16
	;; [unrolled: 1-line block ×4, first 2 shown]
	s_waitcnt lgkmcnt(3)
	v_fma_f32 v0, v3, v0, 0
	s_delay_alu instid0(VALU_DEP_1) | instskip(SKIP_3) | instid1(VALU_DEP_1)
	v_fmac_f32_e32 v0, v4, v1
	ds_load_b32 v1, v38 offset:84
	s_waitcnt lgkmcnt(3)
	v_fmac_f32_e32 v0, v5, v32
	v_fmac_f32_e32 v0, v6, v33
	s_waitcnt lgkmcnt(2)
	s_delay_alu instid0(VALU_DEP_1) | instskip(NEXT) | instid1(VALU_DEP_1)
	v_fmac_f32_e32 v0, v7, v34
	v_fmac_f32_e32 v0, v8, v35
	s_waitcnt lgkmcnt(1)
	s_delay_alu instid0(VALU_DEP_1) | instskip(NEXT) | instid1(VALU_DEP_1)
	v_fmac_f32_e32 v0, v9, v36
	v_fmac_f32_e32 v0, v10, v37
	s_waitcnt lgkmcnt(0)
	s_delay_alu instid0(VALU_DEP_1) | instskip(NEXT) | instid1(VALU_DEP_1)
	v_fmac_f32_e32 v0, v11, v1
	v_sub_f32_e32 v2, v2, v0
	s_cbranch_vccz .LBB9_100
; %bb.81:
	v_dual_mov_b32 v0, s12 :: v_dual_mov_b32 v1, s13
	s_mov_b32 s6, exec_lo
	flat_load_b32 v0, v[0:1] offset:32
	s_waitcnt vmcnt(0) lgkmcnt(0)
	v_add_nc_u32_e32 v0, -1, v0
	s_delay_alu instid0(VALU_DEP_1)
	v_cmpx_ne_u32_e32 8, v0
	s_cbranch_execz .LBB9_83
; %bb.82:
	v_cmp_eq_u32_e32 vcc_lo, 1, v0
	v_cmp_eq_u32_e64 s0, 2, v0
	v_cmp_eq_u32_e64 s1, 3, v0
	;; [unrolled: 1-line block ×6, first 2 shown]
	v_cndmask_b32_e64 v34, v4, v10, s0
	v_cndmask_b32_e32 v33, v3, v10, vcc_lo
	v_cndmask_b32_e64 v35, v5, v10, s1
	v_cndmask_b32_e64 v36, v6, v10, s2
	;; [unrolled: 1-line block ×5, first 2 shown]
	v_cndmask_b32_e32 v1, v2, v3, vcc_lo
	v_cmp_eq_u32_e32 vcc_lo, 9, v0
	s_delay_alu instid0(VALU_DEP_2) | instskip(SKIP_2) | instid1(VALU_DEP_3)
	v_cndmask_b32_e64 v1, v1, v4, s0
	v_cmp_eq_u32_e64 s0, 8, v0
	v_cndmask_b32_e32 v41, v11, v10, vcc_lo
	v_cndmask_b32_e64 v1, v1, v5, s1
	s_delay_alu instid0(VALU_DEP_1) | instskip(NEXT) | instid1(VALU_DEP_1)
	v_cndmask_b32_e64 v1, v1, v6, s2
	v_cndmask_b32_e64 v1, v1, v7, s3
	s_delay_alu instid0(VALU_DEP_1) | instskip(NEXT) | instid1(VALU_DEP_1)
	v_cndmask_b32_e64 v1, v1, v8, s4
	;; [unrolled: 3-line block ×3, first 2 shown]
	v_cndmask_b32_e32 v1, v1, v11, vcc_lo
	v_cmp_eq_u32_e32 vcc_lo, 0, v0
	v_cndmask_b32_e32 v32, v2, v10, vcc_lo
	s_delay_alu instid0(VALU_DEP_3) | instskip(NEXT) | instid1(VALU_DEP_2)
	v_cndmask_b32_e64 v40, v1, v10, s0
	v_dual_mov_b32 v2, v32 :: v_dual_mov_b32 v3, v33
	v_dual_mov_b32 v4, v34 :: v_dual_mov_b32 v5, v35
	;; [unrolled: 1-line block ×5, first 2 shown]
.LBB9_83:
	s_or_b32 exec_lo, exec_lo, s6
	v_dual_mov_b32 v0, s12 :: v_dual_mov_b32 v1, s13
	s_mov_b32 s6, exec_lo
	flat_load_b32 v0, v[0:1] offset:28
	s_waitcnt vmcnt(0) lgkmcnt(0)
	v_add_nc_u32_e32 v0, -1, v0
	s_delay_alu instid0(VALU_DEP_1)
	v_cmpx_ne_u32_e32 7, v0
	s_cbranch_execz .LBB9_85
; %bb.84:
	v_cmp_eq_u32_e32 vcc_lo, 1, v0
	v_cmp_eq_u32_e64 s0, 2, v0
	v_cmp_eq_u32_e64 s1, 3, v0
	v_cmp_eq_u32_e64 s2, 4, v0
	v_cmp_eq_u32_e64 s3, 5, v0
	v_cmp_eq_u32_e64 s4, 6, v0
	v_cndmask_b32_e64 v34, v4, v9, s0
	v_cndmask_b32_e32 v33, v3, v9, vcc_lo
	v_cndmask_b32_e64 v35, v5, v9, s1
	v_cndmask_b32_e64 v36, v6, v9, s2
	;; [unrolled: 1-line block ×4, first 2 shown]
	v_cndmask_b32_e32 v1, v2, v3, vcc_lo
	v_cmp_eq_u32_e64 s5, 7, v0
	v_cmp_eq_u32_e32 vcc_lo, 9, v0
	s_delay_alu instid0(VALU_DEP_3) | instskip(SKIP_2) | instid1(VALU_DEP_3)
	v_cndmask_b32_e64 v1, v1, v4, s0
	v_cmp_eq_u32_e64 s0, 8, v0
	v_cndmask_b32_e32 v41, v11, v9, vcc_lo
	v_cndmask_b32_e64 v1, v1, v5, s1
	s_delay_alu instid0(VALU_DEP_3) | instskip(NEXT) | instid1(VALU_DEP_2)
	v_cndmask_b32_e64 v40, v10, v9, s0
	v_cndmask_b32_e64 v1, v1, v6, s2
	s_delay_alu instid0(VALU_DEP_1) | instskip(NEXT) | instid1(VALU_DEP_1)
	v_cndmask_b32_e64 v1, v1, v7, s3
	v_cndmask_b32_e64 v1, v1, v8, s4
	s_delay_alu instid0(VALU_DEP_1) | instskip(NEXT) | instid1(VALU_DEP_1)
	v_cndmask_b32_e64 v1, v1, v9, s5
	v_cndmask_b32_e64 v1, v1, v10, s0
	s_delay_alu instid0(VALU_DEP_1) | instskip(SKIP_2) | instid1(VALU_DEP_3)
	v_cndmask_b32_e32 v1, v1, v11, vcc_lo
	v_cmp_eq_u32_e32 vcc_lo, 0, v0
	v_cndmask_b32_e32 v32, v2, v9, vcc_lo
	v_cndmask_b32_e64 v39, v1, v9, s5
	s_delay_alu instid0(VALU_DEP_2) | instskip(SKIP_2) | instid1(VALU_DEP_4)
	v_dual_mov_b32 v2, v32 :: v_dual_mov_b32 v3, v33
	v_dual_mov_b32 v4, v34 :: v_dual_mov_b32 v5, v35
	;; [unrolled: 1-line block ×5, first 2 shown]
.LBB9_85:
	s_or_b32 exec_lo, exec_lo, s6
	v_dual_mov_b32 v0, s12 :: v_dual_mov_b32 v1, s13
	s_mov_b32 s6, exec_lo
	flat_load_b32 v0, v[0:1] offset:24
	s_waitcnt vmcnt(0) lgkmcnt(0)
	v_add_nc_u32_e32 v0, -1, v0
	s_delay_alu instid0(VALU_DEP_1)
	v_cmpx_ne_u32_e32 6, v0
	s_cbranch_execz .LBB9_87
; %bb.86:
	v_cmp_eq_u32_e32 vcc_lo, 1, v0
	v_cmp_eq_u32_e64 s0, 2, v0
	v_cmp_eq_u32_e64 s1, 3, v0
	;; [unrolled: 1-line block ×5, first 2 shown]
	v_cndmask_b32_e64 v34, v4, v8, s0
	v_cndmask_b32_e32 v33, v3, v8, vcc_lo
	v_cndmask_b32_e64 v35, v5, v8, s1
	v_cndmask_b32_e64 v36, v6, v8, s2
	;; [unrolled: 1-line block ×4, first 2 shown]
	v_cndmask_b32_e32 v1, v2, v3, vcc_lo
	v_cmp_eq_u32_e64 s4, 6, v0
	v_cmp_eq_u32_e32 vcc_lo, 9, v0
	s_delay_alu instid0(VALU_DEP_3) | instskip(SKIP_2) | instid1(VALU_DEP_3)
	v_cndmask_b32_e64 v1, v1, v4, s0
	v_cmp_eq_u32_e64 s0, 8, v0
	v_cndmask_b32_e32 v41, v11, v8, vcc_lo
	v_cndmask_b32_e64 v1, v1, v5, s1
	s_delay_alu instid0(VALU_DEP_3) | instskip(NEXT) | instid1(VALU_DEP_2)
	v_cndmask_b32_e64 v40, v10, v8, s0
	v_cndmask_b32_e64 v1, v1, v6, s2
	s_delay_alu instid0(VALU_DEP_1) | instskip(NEXT) | instid1(VALU_DEP_1)
	v_cndmask_b32_e64 v1, v1, v7, s3
	v_cndmask_b32_e64 v1, v1, v8, s4
	s_delay_alu instid0(VALU_DEP_1) | instskip(NEXT) | instid1(VALU_DEP_1)
	v_cndmask_b32_e64 v1, v1, v9, s5
	v_cndmask_b32_e64 v1, v1, v10, s0
	s_delay_alu instid0(VALU_DEP_1) | instskip(SKIP_2) | instid1(VALU_DEP_3)
	v_cndmask_b32_e32 v1, v1, v11, vcc_lo
	v_cmp_eq_u32_e32 vcc_lo, 0, v0
	v_cndmask_b32_e32 v32, v2, v8, vcc_lo
	v_cndmask_b32_e64 v38, v1, v8, s4
	s_delay_alu instid0(VALU_DEP_2) | instskip(SKIP_2) | instid1(VALU_DEP_4)
	v_dual_mov_b32 v2, v32 :: v_dual_mov_b32 v3, v33
	v_dual_mov_b32 v4, v34 :: v_dual_mov_b32 v5, v35
	;; [unrolled: 1-line block ×5, first 2 shown]
.LBB9_87:
	s_or_b32 exec_lo, exec_lo, s6
	v_dual_mov_b32 v0, s12 :: v_dual_mov_b32 v1, s13
	s_mov_b32 s6, exec_lo
	flat_load_b32 v0, v[0:1] offset:20
	s_waitcnt vmcnt(0) lgkmcnt(0)
	v_add_nc_u32_e32 v0, -1, v0
	s_delay_alu instid0(VALU_DEP_1)
	v_cmpx_ne_u32_e32 5, v0
	s_cbranch_execz .LBB9_89
; %bb.88:
	v_cmp_eq_u32_e32 vcc_lo, 1, v0
	v_cmp_eq_u32_e64 s0, 2, v0
	v_cmp_eq_u32_e64 s1, 3, v0
	;; [unrolled: 1-line block ×5, first 2 shown]
	v_cndmask_b32_e64 v34, v4, v7, s0
	v_cndmask_b32_e32 v33, v3, v7, vcc_lo
	v_cndmask_b32_e64 v35, v5, v7, s1
	v_cndmask_b32_e64 v36, v6, v7, s2
	;; [unrolled: 1-line block ×4, first 2 shown]
	v_cndmask_b32_e32 v1, v2, v3, vcc_lo
	v_cmp_eq_u32_e64 s3, 5, v0
	v_cmp_eq_u32_e32 vcc_lo, 9, v0
	s_delay_alu instid0(VALU_DEP_3) | instskip(SKIP_2) | instid1(VALU_DEP_3)
	v_cndmask_b32_e64 v1, v1, v4, s0
	v_cmp_eq_u32_e64 s0, 8, v0
	v_cndmask_b32_e32 v41, v11, v7, vcc_lo
	v_cndmask_b32_e64 v1, v1, v5, s1
	s_delay_alu instid0(VALU_DEP_3) | instskip(NEXT) | instid1(VALU_DEP_2)
	v_cndmask_b32_e64 v40, v10, v7, s0
	v_cndmask_b32_e64 v1, v1, v6, s2
	s_delay_alu instid0(VALU_DEP_1) | instskip(NEXT) | instid1(VALU_DEP_1)
	v_cndmask_b32_e64 v1, v1, v7, s3
	v_cndmask_b32_e64 v1, v1, v8, s4
	s_delay_alu instid0(VALU_DEP_1) | instskip(NEXT) | instid1(VALU_DEP_1)
	v_cndmask_b32_e64 v1, v1, v9, s5
	v_cndmask_b32_e64 v1, v1, v10, s0
	s_delay_alu instid0(VALU_DEP_1) | instskip(SKIP_1) | instid1(VALU_DEP_2)
	v_cndmask_b32_e32 v1, v1, v11, vcc_lo
	v_cmp_eq_u32_e32 vcc_lo, 0, v0
	v_cndmask_b32_e64 v37, v1, v7, s3
	v_cndmask_b32_e32 v32, v2, v7, vcc_lo
	s_delay_alu instid0(VALU_DEP_1)
	v_mov_b32_e32 v2, v32
	v_dual_mov_b32 v4, v34 :: v_dual_mov_b32 v3, v33
	v_dual_mov_b32 v6, v36 :: v_dual_mov_b32 v5, v35
	;; [unrolled: 1-line block ×4, first 2 shown]
	v_mov_b32_e32 v11, v41
.LBB9_89:
	s_or_b32 exec_lo, exec_lo, s6
	v_dual_mov_b32 v0, s12 :: v_dual_mov_b32 v1, s13
	s_mov_b32 s6, exec_lo
	flat_load_b32 v0, v[0:1] offset:16
	s_waitcnt vmcnt(0) lgkmcnt(0)
	v_add_nc_u32_e32 v0, -1, v0
	s_delay_alu instid0(VALU_DEP_1)
	v_cmpx_ne_u32_e32 4, v0
	s_cbranch_execz .LBB9_91
; %bb.90:
	v_cmp_eq_u32_e32 vcc_lo, 1, v0
	v_cmp_eq_u32_e64 s0, 2, v0
	v_cmp_eq_u32_e64 s1, 3, v0
	;; [unrolled: 1-line block ×5, first 2 shown]
	v_cndmask_b32_e64 v34, v4, v6, s0
	v_cndmask_b32_e32 v33, v3, v6, vcc_lo
	v_cndmask_b32_e64 v35, v5, v6, s1
	v_cndmask_b32_e64 v37, v7, v6, s3
	;; [unrolled: 1-line block ×4, first 2 shown]
	v_cndmask_b32_e32 v1, v2, v3, vcc_lo
	v_cmp_eq_u32_e64 s2, 4, v0
	v_cmp_eq_u32_e32 vcc_lo, 9, v0
	s_delay_alu instid0(VALU_DEP_3) | instskip(SKIP_2) | instid1(VALU_DEP_3)
	v_cndmask_b32_e64 v1, v1, v4, s0
	v_cmp_eq_u32_e64 s0, 8, v0
	v_cndmask_b32_e32 v41, v11, v6, vcc_lo
	v_cndmask_b32_e64 v1, v1, v5, s1
	s_delay_alu instid0(VALU_DEP_3) | instskip(NEXT) | instid1(VALU_DEP_2)
	v_cndmask_b32_e64 v40, v10, v6, s0
	v_cndmask_b32_e64 v1, v1, v6, s2
	s_delay_alu instid0(VALU_DEP_1) | instskip(NEXT) | instid1(VALU_DEP_1)
	v_cndmask_b32_e64 v1, v1, v7, s3
	v_cndmask_b32_e64 v1, v1, v8, s4
	s_delay_alu instid0(VALU_DEP_1) | instskip(NEXT) | instid1(VALU_DEP_1)
	v_cndmask_b32_e64 v1, v1, v9, s5
	v_cndmask_b32_e64 v1, v1, v10, s0
	s_delay_alu instid0(VALU_DEP_1) | instskip(SKIP_2) | instid1(VALU_DEP_3)
	v_cndmask_b32_e32 v1, v1, v11, vcc_lo
	v_cmp_eq_u32_e32 vcc_lo, 0, v0
	v_cndmask_b32_e32 v32, v2, v6, vcc_lo
	v_cndmask_b32_e64 v36, v1, v6, s2
	s_delay_alu instid0(VALU_DEP_2) | instskip(SKIP_1) | instid1(VALU_DEP_3)
	v_dual_mov_b32 v2, v32 :: v_dual_mov_b32 v3, v33
	v_dual_mov_b32 v4, v34 :: v_dual_mov_b32 v5, v35
	;; [unrolled: 1-line block ×5, first 2 shown]
.LBB9_91:
	s_or_b32 exec_lo, exec_lo, s6
	v_dual_mov_b32 v0, s12 :: v_dual_mov_b32 v1, s13
	s_mov_b32 s6, exec_lo
	flat_load_b32 v0, v[0:1] offset:12
	s_waitcnt vmcnt(0) lgkmcnt(0)
	v_add_nc_u32_e32 v0, -1, v0
	s_delay_alu instid0(VALU_DEP_1)
	v_cmpx_ne_u32_e32 3, v0
	s_cbranch_execz .LBB9_93
; %bb.92:
	v_cmp_eq_u32_e32 vcc_lo, 1, v0
	v_cmp_eq_u32_e64 s0, 2, v0
	v_cmp_eq_u32_e64 s2, 4, v0
	;; [unrolled: 1-line block ×5, first 2 shown]
	v_cndmask_b32_e64 v34, v4, v5, s0
	v_cndmask_b32_e32 v33, v3, v5, vcc_lo
	v_cndmask_b32_e64 v36, v6, v5, s2
	v_cndmask_b32_e64 v37, v7, v5, s3
	v_cndmask_b32_e64 v38, v8, v5, s4
	v_cndmask_b32_e64 v39, v9, v5, s5
	v_cndmask_b32_e32 v1, v2, v3, vcc_lo
	v_cmp_eq_u32_e64 s1, 3, v0
	v_cmp_eq_u32_e32 vcc_lo, 9, v0
	s_delay_alu instid0(VALU_DEP_3) | instskip(SKIP_2) | instid1(VALU_DEP_3)
	v_cndmask_b32_e64 v1, v1, v4, s0
	v_cmp_eq_u32_e64 s0, 8, v0
	v_cndmask_b32_e32 v41, v11, v5, vcc_lo
	v_cndmask_b32_e64 v1, v1, v5, s1
	s_delay_alu instid0(VALU_DEP_3) | instskip(NEXT) | instid1(VALU_DEP_2)
	v_cndmask_b32_e64 v40, v10, v5, s0
	v_cndmask_b32_e64 v1, v1, v6, s2
	s_delay_alu instid0(VALU_DEP_1) | instskip(NEXT) | instid1(VALU_DEP_1)
	v_cndmask_b32_e64 v1, v1, v7, s3
	v_cndmask_b32_e64 v1, v1, v8, s4
	s_delay_alu instid0(VALU_DEP_1) | instskip(NEXT) | instid1(VALU_DEP_1)
	v_cndmask_b32_e64 v1, v1, v9, s5
	v_cndmask_b32_e64 v1, v1, v10, s0
	s_delay_alu instid0(VALU_DEP_1) | instskip(SKIP_2) | instid1(VALU_DEP_3)
	v_cndmask_b32_e32 v1, v1, v11, vcc_lo
	v_cmp_eq_u32_e32 vcc_lo, 0, v0
	v_cndmask_b32_e32 v32, v2, v5, vcc_lo
	v_cndmask_b32_e64 v35, v1, v5, s1
	s_delay_alu instid0(VALU_DEP_2) | instskip(NEXT) | instid1(VALU_DEP_2)
	v_dual_mov_b32 v2, v32 :: v_dual_mov_b32 v3, v33
	v_dual_mov_b32 v4, v34 :: v_dual_mov_b32 v5, v35
	;; [unrolled: 1-line block ×5, first 2 shown]
.LBB9_93:
	s_or_b32 exec_lo, exec_lo, s6
	v_dual_mov_b32 v0, s12 :: v_dual_mov_b32 v1, s13
	s_mov_b32 s6, exec_lo
	flat_load_b32 v0, v[0:1] offset:8
	s_waitcnt vmcnt(0) lgkmcnt(0)
	v_add_nc_u32_e32 v0, -1, v0
	s_delay_alu instid0(VALU_DEP_1)
	v_cmpx_ne_u32_e32 2, v0
	s_cbranch_execz .LBB9_95
; %bb.94:
	v_cmp_eq_u32_e32 vcc_lo, 1, v0
	v_cmp_eq_u32_e64 s1, 3, v0
	v_cmp_eq_u32_e64 s2, 4, v0
	;; [unrolled: 1-line block ×6, first 2 shown]
	v_cndmask_b32_e32 v33, v3, v4, vcc_lo
	v_cndmask_b32_e64 v35, v5, v4, s1
	v_cndmask_b32_e64 v36, v6, v4, s2
	;; [unrolled: 1-line block ×5, first 2 shown]
	v_cndmask_b32_e32 v1, v2, v3, vcc_lo
	v_cmp_eq_u32_e32 vcc_lo, 8, v0
	s_delay_alu instid0(VALU_DEP_2) | instskip(SKIP_1) | instid1(VALU_DEP_2)
	v_cndmask_b32_e64 v1, v1, v4, s0
	v_cndmask_b32_e32 v40, v10, v4, vcc_lo
	v_cndmask_b32_e64 v1, v1, v5, s1
	v_cmp_eq_u32_e64 s1, 9, v0
	s_delay_alu instid0(VALU_DEP_2) | instskip(NEXT) | instid1(VALU_DEP_2)
	v_cndmask_b32_e64 v1, v1, v6, s2
	v_cndmask_b32_e64 v41, v11, v4, s1
	s_delay_alu instid0(VALU_DEP_2) | instskip(NEXT) | instid1(VALU_DEP_1)
	v_cndmask_b32_e64 v1, v1, v7, s3
	v_cndmask_b32_e64 v1, v1, v8, s4
	s_delay_alu instid0(VALU_DEP_1) | instskip(NEXT) | instid1(VALU_DEP_1)
	v_cndmask_b32_e64 v1, v1, v9, s5
	v_cndmask_b32_e32 v1, v1, v10, vcc_lo
	v_cmp_eq_u32_e32 vcc_lo, 0, v0
	s_delay_alu instid0(VALU_DEP_2) | instskip(SKIP_1) | instid1(VALU_DEP_2)
	v_cndmask_b32_e64 v1, v1, v11, s1
	v_cndmask_b32_e32 v32, v2, v4, vcc_lo
	v_cndmask_b32_e64 v34, v1, v4, s0
	s_delay_alu instid0(VALU_DEP_2) | instskip(SKIP_1) | instid1(VALU_DEP_3)
	v_dual_mov_b32 v2, v32 :: v_dual_mov_b32 v3, v33
	v_dual_mov_b32 v5, v35 :: v_dual_mov_b32 v6, v36
	;; [unrolled: 1-line block ×5, first 2 shown]
.LBB9_95:
	s_or_b32 exec_lo, exec_lo, s6
	v_dual_mov_b32 v0, s12 :: v_dual_mov_b32 v1, s13
	s_mov_b32 s6, exec_lo
	flat_load_b32 v0, v[0:1] offset:4
	s_waitcnt vmcnt(0) lgkmcnt(0)
	v_add_nc_u32_e32 v0, -1, v0
	s_delay_alu instid0(VALU_DEP_1)
	v_cmpx_ne_u32_e32 1, v0
	s_cbranch_execz .LBB9_97
; %bb.96:
	v_cmp_eq_u32_e32 vcc_lo, 1, v0
	v_cmp_eq_u32_e64 s0, 2, v0
	v_cmp_eq_u32_e64 s1, 3, v0
	;; [unrolled: 1-line block ×6, first 2 shown]
	v_cndmask_b32_e64 v34, v4, v3, s0
	v_cndmask_b32_e64 v35, v5, v3, s1
	;; [unrolled: 1-line block ×6, first 2 shown]
	v_cndmask_b32_e32 v1, v2, v3, vcc_lo
	s_delay_alu instid0(VALU_DEP_1) | instskip(SKIP_1) | instid1(VALU_DEP_2)
	v_cndmask_b32_e64 v1, v1, v4, s0
	v_cmp_eq_u32_e64 s0, 8, v0
	v_cndmask_b32_e64 v1, v1, v5, s1
	v_cmp_eq_u32_e64 s1, 9, v0
	s_delay_alu instid0(VALU_DEP_3) | instskip(NEXT) | instid1(VALU_DEP_3)
	v_cndmask_b32_e64 v40, v10, v3, s0
	v_cndmask_b32_e64 v1, v1, v6, s2
	s_delay_alu instid0(VALU_DEP_3) | instskip(NEXT) | instid1(VALU_DEP_2)
	v_cndmask_b32_e64 v41, v11, v3, s1
	v_cndmask_b32_e64 v1, v1, v7, s3
	s_delay_alu instid0(VALU_DEP_1) | instskip(NEXT) | instid1(VALU_DEP_1)
	v_cndmask_b32_e64 v1, v1, v8, s4
	v_cndmask_b32_e64 v1, v1, v9, s5
	s_delay_alu instid0(VALU_DEP_1) | instskip(NEXT) | instid1(VALU_DEP_1)
	v_cndmask_b32_e64 v1, v1, v10, s0
	v_cndmask_b32_e64 v1, v1, v11, s1
	s_delay_alu instid0(VALU_DEP_1) | instskip(SKIP_2) | instid1(VALU_DEP_1)
	v_cndmask_b32_e32 v33, v1, v3, vcc_lo
	v_cmp_eq_u32_e32 vcc_lo, 0, v0
	v_cndmask_b32_e32 v32, v2, v3, vcc_lo
	v_dual_mov_b32 v2, v32 :: v_dual_mov_b32 v3, v33
	v_dual_mov_b32 v4, v34 :: v_dual_mov_b32 v5, v35
	;; [unrolled: 1-line block ×5, first 2 shown]
.LBB9_97:
	s_or_b32 exec_lo, exec_lo, s6
	v_dual_mov_b32 v0, s12 :: v_dual_mov_b32 v1, s13
	s_mov_b32 s6, exec_lo
	flat_load_b32 v0, v[0:1]
	s_waitcnt vmcnt(0) lgkmcnt(0)
	v_add_nc_u32_e32 v0, -1, v0
	s_delay_alu instid0(VALU_DEP_1)
	v_cmpx_ne_u32_e32 0, v0
	s_cbranch_execz .LBB9_99
; %bb.98:
	v_cmp_eq_u32_e32 vcc_lo, 1, v0
	v_cmp_eq_u32_e64 s0, 2, v0
	v_cmp_eq_u32_e64 s1, 3, v0
	;; [unrolled: 1-line block ×6, first 2 shown]
	v_cndmask_b32_e64 v34, v4, v2, s0
	v_cndmask_b32_e64 v35, v5, v2, s1
	;; [unrolled: 1-line block ×6, first 2 shown]
	v_cndmask_b32_e32 v33, v3, v2, vcc_lo
	v_cndmask_b32_e32 v1, v2, v3, vcc_lo
	s_delay_alu instid0(VALU_DEP_1) | instskip(SKIP_1) | instid1(VALU_DEP_2)
	v_cndmask_b32_e64 v1, v1, v4, s0
	v_cmp_eq_u32_e64 s0, 8, v0
	v_cndmask_b32_e64 v1, v1, v5, s1
	v_cmp_eq_u32_e64 s1, 9, v0
	s_delay_alu instid0(VALU_DEP_3) | instskip(NEXT) | instid1(VALU_DEP_3)
	v_cndmask_b32_e64 v40, v10, v2, s0
	v_cndmask_b32_e64 v1, v1, v6, s2
	s_delay_alu instid0(VALU_DEP_3) | instskip(NEXT) | instid1(VALU_DEP_2)
	v_cndmask_b32_e64 v41, v11, v2, s1
	v_cndmask_b32_e64 v1, v1, v7, s3
	s_delay_alu instid0(VALU_DEP_1) | instskip(NEXT) | instid1(VALU_DEP_1)
	v_cndmask_b32_e64 v1, v1, v8, s4
	v_cndmask_b32_e64 v1, v1, v9, s5
	s_delay_alu instid0(VALU_DEP_1) | instskip(SKIP_1) | instid1(VALU_DEP_2)
	v_cndmask_b32_e64 v1, v1, v10, s0
	v_cmp_eq_u32_e64 s0, 0, v0
	v_cndmask_b32_e64 v1, v1, v11, s1
	s_delay_alu instid0(VALU_DEP_1) | instskip(NEXT) | instid1(VALU_DEP_1)
	v_cndmask_b32_e64 v32, v1, v2, s0
	v_dual_mov_b32 v2, v32 :: v_dual_mov_b32 v3, v33
	v_dual_mov_b32 v4, v34 :: v_dual_mov_b32 v5, v35
	;; [unrolled: 1-line block ×5, first 2 shown]
.LBB9_99:
	s_or_b32 exec_lo, exec_lo, s6
.LBB9_100:
	s_clause 0x9
	global_store_b32 v[12:13], v2, off
	global_store_b32 v[14:15], v3, off
	;; [unrolled: 1-line block ×10, first 2 shown]
	s_nop 0
	s_sendmsg sendmsg(MSG_DEALLOC_VGPRS)
	s_endpgm
	.section	.rodata,"a",@progbits
	.p2align	6, 0x0
	.amdhsa_kernel _ZN9rocsolver6v33100L18getri_kernel_smallILi10EfPfEEvT1_iilPiilS4_bb
		.amdhsa_group_segment_fixed_size 88
		.amdhsa_private_segment_fixed_size 0
		.amdhsa_kernarg_size 60
		.amdhsa_user_sgpr_count 15
		.amdhsa_user_sgpr_dispatch_ptr 0
		.amdhsa_user_sgpr_queue_ptr 0
		.amdhsa_user_sgpr_kernarg_segment_ptr 1
		.amdhsa_user_sgpr_dispatch_id 0
		.amdhsa_user_sgpr_private_segment_size 0
		.amdhsa_wavefront_size32 1
		.amdhsa_uses_dynamic_stack 0
		.amdhsa_enable_private_segment 0
		.amdhsa_system_sgpr_workgroup_id_x 1
		.amdhsa_system_sgpr_workgroup_id_y 0
		.amdhsa_system_sgpr_workgroup_id_z 0
		.amdhsa_system_sgpr_workgroup_info 0
		.amdhsa_system_vgpr_workitem_id 0
		.amdhsa_next_free_vgpr 43
		.amdhsa_next_free_sgpr 18
		.amdhsa_reserve_vcc 1
		.amdhsa_float_round_mode_32 0
		.amdhsa_float_round_mode_16_64 0
		.amdhsa_float_denorm_mode_32 3
		.amdhsa_float_denorm_mode_16_64 3
		.amdhsa_dx10_clamp 1
		.amdhsa_ieee_mode 1
		.amdhsa_fp16_overflow 0
		.amdhsa_workgroup_processor_mode 1
		.amdhsa_memory_ordered 1
		.amdhsa_forward_progress 0
		.amdhsa_shared_vgpr_count 0
		.amdhsa_exception_fp_ieee_invalid_op 0
		.amdhsa_exception_fp_denorm_src 0
		.amdhsa_exception_fp_ieee_div_zero 0
		.amdhsa_exception_fp_ieee_overflow 0
		.amdhsa_exception_fp_ieee_underflow 0
		.amdhsa_exception_fp_ieee_inexact 0
		.amdhsa_exception_int_div_zero 0
	.end_amdhsa_kernel
	.section	.text._ZN9rocsolver6v33100L18getri_kernel_smallILi10EfPfEEvT1_iilPiilS4_bb,"axG",@progbits,_ZN9rocsolver6v33100L18getri_kernel_smallILi10EfPfEEvT1_iilPiilS4_bb,comdat
.Lfunc_end9:
	.size	_ZN9rocsolver6v33100L18getri_kernel_smallILi10EfPfEEvT1_iilPiilS4_bb, .Lfunc_end9-_ZN9rocsolver6v33100L18getri_kernel_smallILi10EfPfEEvT1_iilPiilS4_bb
                                        ; -- End function
	.section	.AMDGPU.csdata,"",@progbits
; Kernel info:
; codeLenInByte = 9600
; NumSgprs: 20
; NumVgprs: 43
; ScratchSize: 0
; MemoryBound: 0
; FloatMode: 240
; IeeeMode: 1
; LDSByteSize: 88 bytes/workgroup (compile time only)
; SGPRBlocks: 2
; VGPRBlocks: 5
; NumSGPRsForWavesPerEU: 20
; NumVGPRsForWavesPerEU: 43
; Occupancy: 16
; WaveLimiterHint : 0
; COMPUTE_PGM_RSRC2:SCRATCH_EN: 0
; COMPUTE_PGM_RSRC2:USER_SGPR: 15
; COMPUTE_PGM_RSRC2:TRAP_HANDLER: 0
; COMPUTE_PGM_RSRC2:TGID_X_EN: 1
; COMPUTE_PGM_RSRC2:TGID_Y_EN: 0
; COMPUTE_PGM_RSRC2:TGID_Z_EN: 0
; COMPUTE_PGM_RSRC2:TIDIG_COMP_CNT: 0
	.section	.text._ZN9rocsolver6v33100L18getri_kernel_smallILi11EfPfEEvT1_iilPiilS4_bb,"axG",@progbits,_ZN9rocsolver6v33100L18getri_kernel_smallILi11EfPfEEvT1_iilPiilS4_bb,comdat
	.globl	_ZN9rocsolver6v33100L18getri_kernel_smallILi11EfPfEEvT1_iilPiilS4_bb ; -- Begin function _ZN9rocsolver6v33100L18getri_kernel_smallILi11EfPfEEvT1_iilPiilS4_bb
	.p2align	8
	.type	_ZN9rocsolver6v33100L18getri_kernel_smallILi11EfPfEEvT1_iilPiilS4_bb,@function
_ZN9rocsolver6v33100L18getri_kernel_smallILi11EfPfEEvT1_iilPiilS4_bb: ; @_ZN9rocsolver6v33100L18getri_kernel_smallILi11EfPfEEvT1_iilPiilS4_bb
; %bb.0:
	s_mov_b32 s2, exec_lo
	v_cmpx_gt_u32_e32 11, v0
	s_cbranch_execz .LBB10_16
; %bb.1:
	s_clause 0x2
	s_load_b32 s17, s[0:1], 0x38
	s_load_b128 s[8:11], s[0:1], 0x10
	s_load_b128 s[4:7], s[0:1], 0x28
	s_mov_b32 s14, s15
                                        ; implicit-def: $sgpr12_sgpr13
	s_waitcnt lgkmcnt(0)
	s_bitcmp1_b32 s17, 8
	s_cselect_b32 s16, -1, 0
	s_bfe_u32 s2, s17, 0x10008
	s_ashr_i32 s15, s15, 31
	s_cmp_eq_u32 s2, 0
	s_cbranch_scc1 .LBB10_3
; %bb.2:
	s_load_b32 s2, s[0:1], 0x20
	s_mul_i32 s3, s14, s5
	s_mul_hi_u32 s5, s14, s4
	s_mul_i32 s12, s15, s4
	s_add_i32 s3, s5, s3
	s_mul_i32 s4, s14, s4
	s_add_i32 s5, s3, s12
	s_delay_alu instid0(SALU_CYCLE_1)
	s_lshl_b64 s[4:5], s[4:5], 2
	s_waitcnt lgkmcnt(0)
	s_ashr_i32 s3, s2, 31
	s_add_u32 s4, s10, s4
	s_addc_u32 s5, s11, s5
	s_lshl_b64 s[2:3], s[2:3], 2
	s_delay_alu instid0(SALU_CYCLE_1)
	s_add_u32 s12, s4, s2
	s_addc_u32 s13, s5, s3
.LBB10_3:
	s_load_b128 s[0:3], s[0:1], 0x0
	s_mul_i32 s4, s14, s9
	s_mul_hi_u32 s5, s14, s8
	s_mul_i32 s9, s15, s8
	s_add_i32 s5, s5, s4
	s_mul_i32 s4, s14, s8
	s_add_i32 s5, s5, s9
	v_lshlrev_b32_e32 v35, 2, v0
	s_lshl_b64 s[4:5], s[4:5], 2
	s_waitcnt lgkmcnt(0)
	v_add3_u32 v1, s3, s3, v0
	s_ashr_i32 s9, s2, 31
	s_mov_b32 s8, s2
	s_add_u32 s2, s0, s4
	s_addc_u32 s5, s1, s5
	v_add_nc_u32_e32 v3, s3, v1
	s_lshl_b64 s[0:1], s[8:9], 2
	v_ashrrev_i32_e32 v2, 31, v1
	s_add_u32 s0, s2, s0
	s_addc_u32 s1, s5, s1
	v_add_co_u32 v13, s2, s0, v35
	v_add_nc_u32_e32 v5, s3, v3
	s_mov_b32 s4, s3
	s_ashr_i32 s5, s3, 31
	v_add_co_ci_u32_e64 v14, null, s1, 0, s2
	v_lshlrev_b64 v[1:2], 2, v[1:2]
	v_ashrrev_i32_e32 v4, 31, v3
	s_lshl_b64 s[4:5], s[4:5], 2
	v_ashrrev_i32_e32 v6, 31, v5
	v_add_co_u32 v15, vcc_lo, v13, s4
	v_add_nc_u32_e32 v7, s3, v5
	v_add_co_ci_u32_e32 v16, vcc_lo, s5, v14, vcc_lo
	v_lshlrev_b64 v[3:4], 2, v[3:4]
	v_add_co_u32 v17, vcc_lo, s0, v1
	v_add_co_ci_u32_e32 v18, vcc_lo, s1, v2, vcc_lo
	v_lshlrev_b64 v[1:2], 2, v[5:6]
	v_ashrrev_i32_e32 v8, 31, v7
	v_add_nc_u32_e32 v5, s3, v7
	v_add_co_u32 v19, vcc_lo, s0, v3
	v_add_co_ci_u32_e32 v20, vcc_lo, s1, v4, vcc_lo
	s_delay_alu instid0(VALU_DEP_4) | instskip(NEXT) | instid1(VALU_DEP_4)
	v_lshlrev_b64 v[3:4], 2, v[7:8]
	v_ashrrev_i32_e32 v6, 31, v5
	v_add_nc_u32_e32 v7, s3, v5
	v_add_co_u32 v21, vcc_lo, s0, v1
	v_add_co_ci_u32_e32 v22, vcc_lo, s1, v2, vcc_lo
	s_delay_alu instid0(VALU_DEP_4) | instskip(NEXT) | instid1(VALU_DEP_4)
	v_lshlrev_b64 v[1:2], 2, v[5:6]
	v_ashrrev_i32_e32 v8, 31, v7
	v_add_nc_u32_e32 v5, s3, v7
	v_add_co_u32 v23, vcc_lo, s0, v3
	v_add_co_ci_u32_e32 v24, vcc_lo, s1, v4, vcc_lo
	s_delay_alu instid0(VALU_DEP_4) | instskip(NEXT) | instid1(VALU_DEP_4)
	v_lshlrev_b64 v[3:4], 2, v[7:8]
	v_ashrrev_i32_e32 v6, 31, v5
	v_add_nc_u32_e32 v7, s3, v5
	v_add_co_u32 v25, vcc_lo, s0, v1
	v_add_co_ci_u32_e32 v26, vcc_lo, s1, v2, vcc_lo
	s_delay_alu instid0(VALU_DEP_4) | instskip(NEXT) | instid1(VALU_DEP_4)
	v_lshlrev_b64 v[1:2], 2, v[5:6]
	v_add_nc_u32_e32 v5, s3, v7
	v_ashrrev_i32_e32 v8, 31, v7
	v_add_co_u32 v27, vcc_lo, s0, v3
	v_add_co_ci_u32_e32 v28, vcc_lo, s1, v4, vcc_lo
	s_delay_alu instid0(VALU_DEP_4) | instskip(NEXT) | instid1(VALU_DEP_4)
	v_ashrrev_i32_e32 v6, 31, v5
	v_lshlrev_b64 v[3:4], 2, v[7:8]
	v_add_co_u32 v29, vcc_lo, s0, v1
	v_add_co_ci_u32_e32 v30, vcc_lo, s1, v2, vcc_lo
	s_delay_alu instid0(VALU_DEP_4) | instskip(NEXT) | instid1(VALU_DEP_4)
	v_lshlrev_b64 v[1:2], 2, v[5:6]
	v_add_co_u32 v31, vcc_lo, s0, v3
	v_add_co_ci_u32_e32 v32, vcc_lo, s1, v4, vcc_lo
	s_bitcmp0_b32 s17, 0
	s_delay_alu instid0(VALU_DEP_3) | instskip(NEXT) | instid1(VALU_DEP_4)
	v_add_co_u32 v33, vcc_lo, s0, v1
	v_add_co_ci_u32_e32 v34, vcc_lo, s1, v2, vcc_lo
	s_clause 0xa
	global_load_b32 v3, v[15:16], off
	global_load_b32 v4, v[17:18], off
	;; [unrolled: 1-line block ×9, first 2 shown]
	global_load_b32 v2, v35, s[0:1]
	global_load_b32 v12, v[33:34], off
	v_mov_b32_e32 v1, 0
	s_mov_b32 s0, -1
	s_cbranch_scc1 .LBB10_14
; %bb.4:
	v_cmp_eq_u32_e64 s0, 0, v0
	s_delay_alu instid0(VALU_DEP_1)
	s_and_saveexec_b32 s1, s0
	s_cbranch_execz .LBB10_6
; %bb.5:
	v_mov_b32_e32 v36, 0
	ds_store_b32 v36, v36 offset:44
.LBB10_6:
	s_or_b32 exec_lo, exec_lo, s1
	v_cmp_eq_u32_e32 vcc_lo, 1, v0
	s_mov_b32 s2, exec_lo
	s_waitcnt vmcnt(0) lgkmcnt(0)
	s_barrier
	buffer_gl0_inv
	v_cndmask_b32_e32 v36, v2, v3, vcc_lo
	v_cmp_eq_u32_e32 vcc_lo, 2, v0
	s_delay_alu instid0(VALU_DEP_2) | instskip(SKIP_1) | instid1(VALU_DEP_2)
	v_cndmask_b32_e32 v36, v36, v4, vcc_lo
	v_cmp_eq_u32_e32 vcc_lo, 3, v0
	v_cndmask_b32_e32 v36, v36, v5, vcc_lo
	v_cmp_eq_u32_e32 vcc_lo, 4, v0
	s_delay_alu instid0(VALU_DEP_2) | instskip(SKIP_1) | instid1(VALU_DEP_2)
	v_cndmask_b32_e32 v36, v36, v6, vcc_lo
	v_cmp_eq_u32_e32 vcc_lo, 5, v0
	;; [unrolled: 5-line block ×4, first 2 shown]
	v_cndmask_b32_e32 v36, v36, v11, vcc_lo
	v_cmp_eq_u32_e32 vcc_lo, 10, v0
	s_delay_alu instid0(VALU_DEP_2) | instskip(NEXT) | instid1(VALU_DEP_1)
	v_cndmask_b32_e32 v36, v36, v12, vcc_lo
	v_cmpx_eq_f32_e32 0, v36
	s_cbranch_execz .LBB10_10
; %bb.7:
	v_mov_b32_e32 v37, 0
	ds_load_b32 v38, v37 offset:44
	s_waitcnt lgkmcnt(0)
	v_readfirstlane_b32 s1, v38
	v_add_nc_u32_e32 v38, 1, v0
	s_delay_alu instid0(VALU_DEP_2) | instskip(NEXT) | instid1(VALU_DEP_1)
	s_cmp_eq_u32 s1, 0
	v_cmp_gt_i32_e32 vcc_lo, s1, v38
	s_cselect_b32 s3, -1, 0
	s_delay_alu instid0(SALU_CYCLE_1) | instskip(NEXT) | instid1(SALU_CYCLE_1)
	s_or_b32 s3, s3, vcc_lo
	s_and_b32 exec_lo, exec_lo, s3
	s_cbranch_execz .LBB10_10
; %bb.8:
	v_mov_b32_e32 v39, s1
	s_mov_b32 s3, 0
.LBB10_9:                               ; =>This Inner Loop Header: Depth=1
	ds_cmpstore_rtn_b32 v39, v37, v38, v39 offset:44
	s_waitcnt lgkmcnt(0)
	v_cmp_ne_u32_e32 vcc_lo, 0, v39
	v_cmp_le_i32_e64 s1, v39, v38
	s_delay_alu instid0(VALU_DEP_1) | instskip(NEXT) | instid1(SALU_CYCLE_1)
	s_and_b32 s1, vcc_lo, s1
	s_and_b32 s1, exec_lo, s1
	s_delay_alu instid0(SALU_CYCLE_1) | instskip(NEXT) | instid1(SALU_CYCLE_1)
	s_or_b32 s3, s1, s3
	s_and_not1_b32 exec_lo, exec_lo, s3
	s_cbranch_execnz .LBB10_9
.LBB10_10:
	s_or_b32 exec_lo, exec_lo, s2
	v_mov_b32_e32 v37, 0
	s_barrier
	buffer_gl0_inv
	ds_load_b32 v38, v37 offset:44
	s_and_saveexec_b32 s1, s0
	s_cbranch_execz .LBB10_12
; %bb.11:
	s_lshl_b64 s[2:3], s[14:15], 2
	s_delay_alu instid0(SALU_CYCLE_1)
	s_add_u32 s2, s6, s2
	s_addc_u32 s3, s7, s3
	s_waitcnt lgkmcnt(0)
	global_store_b32 v37, v38, s[2:3]
.LBB10_12:
	s_or_b32 exec_lo, exec_lo, s1
	s_waitcnt lgkmcnt(0)
	v_cmp_ne_u32_e32 vcc_lo, 0, v38
	s_cbranch_vccz .LBB10_17
; %bb.13:
	s_mov_b32 s0, 0
                                        ; implicit-def: $vgpr2_vgpr3_vgpr4_vgpr5_vgpr6_vgpr7_vgpr8_vgpr9_vgpr10_vgpr11_vgpr12
.LBB10_14:
	s_delay_alu instid0(SALU_CYCLE_1)
	s_and_b32 vcc_lo, exec_lo, s0
	s_cbranch_vccz .LBB10_16
.LBB10_15:
	s_lshl_b64 s[0:1], s[14:15], 2
	v_mov_b32_e32 v1, 0
	s_add_u32 s0, s6, s0
	s_addc_u32 s1, s7, s1
	global_load_b32 v1, v1, s[0:1]
	s_waitcnt vmcnt(0)
	v_cmp_ne_u32_e32 vcc_lo, 0, v1
	s_cbranch_vccz .LBB10_66
.LBB10_16:
	s_nop 0
	s_sendmsg sendmsg(MSG_DEALLOC_VGPRS)
	s_endpgm
.LBB10_17:
	v_div_scale_f32 v37, null, v36, v36, 1.0
	v_div_scale_f32 v40, vcc_lo, 1.0, v36, 1.0
	s_delay_alu instid0(VALU_DEP_2) | instskip(SKIP_2) | instid1(VALU_DEP_1)
	v_rcp_f32_e32 v38, v37
	s_waitcnt_depctr 0xfff
	v_fma_f32 v39, -v37, v38, 1.0
	v_fmac_f32_e32 v38, v39, v38
	s_delay_alu instid0(VALU_DEP_1) | instskip(NEXT) | instid1(VALU_DEP_1)
	v_mul_f32_e32 v39, v40, v38
	v_fma_f32 v41, -v37, v39, v40
	s_delay_alu instid0(VALU_DEP_1) | instskip(NEXT) | instid1(VALU_DEP_1)
	v_fmac_f32_e32 v39, v41, v38
	v_fma_f32 v37, -v37, v39, v40
	s_delay_alu instid0(VALU_DEP_1) | instskip(SKIP_1) | instid1(VALU_DEP_2)
	v_div_fmas_f32 v37, v37, v38, v39
	v_cmp_eq_u32_e32 vcc_lo, 10, v0
	v_div_fixup_f32 v36, v37, v36, 1.0
	s_delay_alu instid0(VALU_DEP_1)
	v_dual_cndmask_b32 v12, v12, v36 :: v_dual_add_nc_u32 v37, 48, v35
	v_cmp_eq_u32_e32 vcc_lo, 9, v0
	v_xor_b32_e32 v38, 0x80000000, v36
	v_cndmask_b32_e32 v11, v11, v36, vcc_lo
	v_cmp_eq_u32_e32 vcc_lo, 8, v0
	v_cndmask_b32_e32 v10, v10, v36, vcc_lo
	v_cmp_eq_u32_e32 vcc_lo, 7, v0
	;; [unrolled: 2-line block ×8, first 2 shown]
	ds_store_2addr_b32 v35, v38, v3 offset1:12
	v_cndmask_b32_e32 v4, v4, v36, vcc_lo
	v_cmp_eq_u32_e32 vcc_lo, 0, v0
	s_waitcnt lgkmcnt(0)
	s_waitcnt_vscnt null, 0x0
	s_barrier
	buffer_gl0_inv
	v_cndmask_b32_e32 v2, v2, v36, vcc_lo
	s_and_saveexec_b32 s1, s0
	s_cbranch_execz .LBB10_19
; %bb.18:
	v_mov_b32_e32 v3, 0
	ds_load_b32 v35, v37
	ds_load_b32 v3, v3 offset:4
	s_waitcnt lgkmcnt(1)
	v_fma_f32 v35, v36, v35, 0
	s_waitcnt lgkmcnt(0)
	s_delay_alu instid0(VALU_DEP_1)
	v_mul_f32_e32 v3, v35, v3
.LBB10_19:
	s_or_b32 exec_lo, exec_lo, s1
	v_cmp_gt_u32_e32 vcc_lo, 2, v0
	s_barrier
	buffer_gl0_inv
	ds_store_b32 v37, v4
	s_waitcnt lgkmcnt(0)
	s_barrier
	buffer_gl0_inv
	s_and_saveexec_b32 s2, vcc_lo
	s_cbranch_execz .LBB10_21
; %bb.20:
	v_cmp_eq_u32_e64 s1, 1, v0
	ds_load_b32 v38, v37
	v_cndmask_b32_e64 v35, v2, v3, s1
	v_cmp_eq_u32_e64 s1, 2, v0
	s_delay_alu instid0(VALU_DEP_1) | instskip(SKIP_2) | instid1(VALU_DEP_2)
	v_cndmask_b32_e64 v4, v35, v4, s1
	v_cmp_eq_u32_e64 s1, 3, v0
	v_mov_b32_e32 v35, 0
	v_cndmask_b32_e64 v4, v4, v5, s1
	v_cmp_eq_u32_e64 s1, 4, v0
	ds_load_2addr_b32 v[35:36], v35 offset0:2 offset1:13
	v_cndmask_b32_e64 v4, v4, v6, s1
	v_cmp_eq_u32_e64 s1, 5, v0
	s_delay_alu instid0(VALU_DEP_1) | instskip(SKIP_1) | instid1(VALU_DEP_1)
	v_cndmask_b32_e64 v4, v4, v7, s1
	v_cmp_eq_u32_e64 s1, 6, v0
	v_cndmask_b32_e64 v4, v4, v8, s1
	v_cmp_eq_u32_e64 s1, 7, v0
	s_delay_alu instid0(VALU_DEP_1) | instskip(SKIP_1) | instid1(VALU_DEP_1)
	v_cndmask_b32_e64 v4, v4, v9, s1
	v_cmp_eq_u32_e64 s1, 8, v0
	;; [unrolled: 5-line block ×3, first 2 shown]
	v_cndmask_b32_e64 v4, v4, v12, s1
	s_waitcnt lgkmcnt(1)
	s_delay_alu instid0(VALU_DEP_1) | instskip(SKIP_1) | instid1(VALU_DEP_1)
	v_fma_f32 v4, v4, v38, 0
	s_waitcnt lgkmcnt(0)
	v_fma_f32 v36, v3, v36, v4
	s_delay_alu instid0(VALU_DEP_1) | instskip(NEXT) | instid1(VALU_DEP_1)
	v_cndmask_b32_e64 v4, v4, v36, s0
	v_mul_f32_e32 v4, v4, v35
.LBB10_21:
	s_or_b32 exec_lo, exec_lo, s2
	s_delay_alu instid0(SALU_CYCLE_1)
	s_mov_b32 s3, exec_lo
	s_barrier
	buffer_gl0_inv
	ds_store_b32 v37, v5
	s_waitcnt lgkmcnt(0)
	s_barrier
	buffer_gl0_inv
	v_cmpx_gt_u32_e32 3, v0
	s_cbranch_execz .LBB10_25
; %bb.22:
	v_mov_b32_e32 v36, v1
	v_lshl_add_u32 v39, v0, 2, 48
	v_dual_mov_b32 v38, 0 :: v_dual_mov_b32 v35, v0
	s_mov_b32 s4, 0
.LBB10_23:                              ; =>This Inner Loop Header: Depth=1
	s_delay_alu instid0(VALU_DEP_1) | instskip(SKIP_3) | instid1(VALU_DEP_1)
	v_cmp_eq_u32_e64 s1, 1, v35
	ds_load_b32 v41, v39
	v_cndmask_b32_e64 v40, v2, v3, s1
	v_cmp_eq_u32_e64 s1, 2, v35
	v_cndmask_b32_e64 v40, v40, v4, s1
	v_cmp_eq_u32_e64 s1, 3, v35
	s_delay_alu instid0(VALU_DEP_1) | instskip(SKIP_1) | instid1(VALU_DEP_1)
	v_cndmask_b32_e64 v40, v40, v5, s1
	v_cmp_eq_u32_e64 s1, 4, v35
	v_cndmask_b32_e64 v40, v40, v6, s1
	v_cmp_eq_u32_e64 s1, 5, v35
	s_delay_alu instid0(VALU_DEP_1) | instskip(SKIP_1) | instid1(VALU_DEP_1)
	;; [unrolled: 5-line block ×3, first 2 shown]
	v_cndmask_b32_e64 v40, v40, v9, s1
	v_cmp_eq_u32_e64 s1, 8, v35
	v_cndmask_b32_e64 v40, v40, v10, s1
	v_cmp_eq_u32_e64 s1, 9, v35
	s_delay_alu instid0(VALU_DEP_1) | instskip(SKIP_2) | instid1(VALU_DEP_1)
	v_cndmask_b32_e64 v40, v40, v11, s1
	v_cmp_eq_u32_e64 s1, 10, v35
	v_add_co_u32 v35, s2, v35, 1
	v_add_co_ci_u32_e64 v36, s2, 0, v36, s2
	s_delay_alu instid0(VALU_DEP_3) | instskip(NEXT) | instid1(VALU_DEP_3)
	v_cndmask_b32_e64 v40, v40, v12, s1
	v_add_nc_u32_e32 v42, -1, v35
	s_waitcnt lgkmcnt(0)
	s_delay_alu instid0(VALU_DEP_2) | instskip(NEXT) | instid1(VALU_DEP_2)
	v_dual_fmac_f32 v38, v40, v41 :: v_dual_add_nc_u32 v39, 4, v39
	v_cmp_lt_u32_e64 s1, 1, v42
	s_delay_alu instid0(VALU_DEP_1) | instskip(NEXT) | instid1(SALU_CYCLE_1)
	s_or_b32 s4, s1, s4
	s_and_not1_b32 exec_lo, exec_lo, s4
	s_cbranch_execnz .LBB10_23
; %bb.24:
	s_or_b32 exec_lo, exec_lo, s4
	v_mov_b32_e32 v5, 0
	ds_load_b32 v5, v5 offset:12
	s_waitcnt lgkmcnt(0)
	v_mul_f32_e32 v5, v38, v5
.LBB10_25:
	s_or_b32 exec_lo, exec_lo, s3
	v_cmp_gt_u32_e64 s1, 4, v0
	s_barrier
	buffer_gl0_inv
	ds_store_b32 v37, v6
	s_waitcnt lgkmcnt(0)
	s_barrier
	buffer_gl0_inv
	s_and_saveexec_b32 s4, s1
	s_cbranch_execz .LBB10_29
; %bb.26:
	v_mov_b32_e32 v36, v1
	v_lshl_add_u32 v39, v0, 2, 48
	v_dual_mov_b32 v38, 0 :: v_dual_mov_b32 v35, v0
	s_mov_b32 s5, 0
.LBB10_27:                              ; =>This Inner Loop Header: Depth=1
	s_delay_alu instid0(VALU_DEP_1) | instskip(SKIP_3) | instid1(VALU_DEP_1)
	v_cmp_eq_u32_e64 s2, 1, v35
	ds_load_b32 v41, v39
	v_cndmask_b32_e64 v40, v2, v3, s2
	v_cmp_eq_u32_e64 s2, 2, v35
	v_cndmask_b32_e64 v40, v40, v4, s2
	v_cmp_eq_u32_e64 s2, 3, v35
	s_delay_alu instid0(VALU_DEP_1) | instskip(SKIP_1) | instid1(VALU_DEP_1)
	v_cndmask_b32_e64 v40, v40, v5, s2
	v_cmp_eq_u32_e64 s2, 4, v35
	v_cndmask_b32_e64 v40, v40, v6, s2
	v_cmp_eq_u32_e64 s2, 5, v35
	s_delay_alu instid0(VALU_DEP_1) | instskip(SKIP_1) | instid1(VALU_DEP_1)
	;; [unrolled: 5-line block ×3, first 2 shown]
	v_cndmask_b32_e64 v40, v40, v9, s2
	v_cmp_eq_u32_e64 s2, 8, v35
	v_cndmask_b32_e64 v40, v40, v10, s2
	v_cmp_eq_u32_e64 s2, 9, v35
	s_delay_alu instid0(VALU_DEP_1) | instskip(SKIP_2) | instid1(VALU_DEP_1)
	v_cndmask_b32_e64 v40, v40, v11, s2
	v_cmp_eq_u32_e64 s2, 10, v35
	v_add_co_u32 v35, s3, v35, 1
	v_add_co_ci_u32_e64 v36, s3, 0, v36, s3
	s_delay_alu instid0(VALU_DEP_3) | instskip(NEXT) | instid1(VALU_DEP_3)
	v_cndmask_b32_e64 v40, v40, v12, s2
	v_add_nc_u32_e32 v42, -1, v35
	s_waitcnt lgkmcnt(0)
	s_delay_alu instid0(VALU_DEP_2) | instskip(NEXT) | instid1(VALU_DEP_2)
	v_dual_fmac_f32 v38, v40, v41 :: v_dual_add_nc_u32 v39, 4, v39
	v_cmp_lt_u32_e64 s2, 2, v42
	s_delay_alu instid0(VALU_DEP_1) | instskip(NEXT) | instid1(SALU_CYCLE_1)
	s_or_b32 s5, s2, s5
	s_and_not1_b32 exec_lo, exec_lo, s5
	s_cbranch_execnz .LBB10_27
; %bb.28:
	s_or_b32 exec_lo, exec_lo, s5
	v_mov_b32_e32 v6, 0
	ds_load_b32 v6, v6 offset:16
	s_waitcnt lgkmcnt(0)
	v_mul_f32_e32 v6, v38, v6
.LBB10_29:
	s_or_b32 exec_lo, exec_lo, s4
	s_delay_alu instid0(SALU_CYCLE_1)
	s_mov_b32 s4, exec_lo
	s_barrier
	buffer_gl0_inv
	ds_store_b32 v37, v7
	s_waitcnt lgkmcnt(0)
	s_barrier
	buffer_gl0_inv
	v_cmpx_gt_u32_e32 5, v0
	s_cbranch_execz .LBB10_33
; %bb.30:
	v_mov_b32_e32 v36, v1
	v_lshl_add_u32 v39, v0, 2, 48
	v_dual_mov_b32 v38, 0 :: v_dual_mov_b32 v35, v0
	s_mov_b32 s5, 0
.LBB10_31:                              ; =>This Inner Loop Header: Depth=1
	s_delay_alu instid0(VALU_DEP_1) | instskip(SKIP_3) | instid1(VALU_DEP_1)
	v_cmp_eq_u32_e64 s2, 1, v35
	ds_load_b32 v41, v39
	v_cndmask_b32_e64 v40, v2, v3, s2
	v_cmp_eq_u32_e64 s2, 2, v35
	v_cndmask_b32_e64 v40, v40, v4, s2
	v_cmp_eq_u32_e64 s2, 3, v35
	s_delay_alu instid0(VALU_DEP_1) | instskip(SKIP_1) | instid1(VALU_DEP_1)
	v_cndmask_b32_e64 v40, v40, v5, s2
	v_cmp_eq_u32_e64 s2, 4, v35
	v_cndmask_b32_e64 v40, v40, v6, s2
	v_cmp_eq_u32_e64 s2, 5, v35
	s_delay_alu instid0(VALU_DEP_1) | instskip(SKIP_1) | instid1(VALU_DEP_1)
	;; [unrolled: 5-line block ×3, first 2 shown]
	v_cndmask_b32_e64 v40, v40, v9, s2
	v_cmp_eq_u32_e64 s2, 8, v35
	v_cndmask_b32_e64 v40, v40, v10, s2
	v_cmp_eq_u32_e64 s2, 9, v35
	s_delay_alu instid0(VALU_DEP_1) | instskip(SKIP_2) | instid1(VALU_DEP_1)
	v_cndmask_b32_e64 v40, v40, v11, s2
	v_cmp_eq_u32_e64 s2, 10, v35
	v_add_co_u32 v35, s3, v35, 1
	v_add_co_ci_u32_e64 v36, s3, 0, v36, s3
	s_delay_alu instid0(VALU_DEP_3) | instskip(NEXT) | instid1(VALU_DEP_3)
	v_cndmask_b32_e64 v40, v40, v12, s2
	v_add_nc_u32_e32 v42, -1, v35
	s_waitcnt lgkmcnt(0)
	s_delay_alu instid0(VALU_DEP_2) | instskip(NEXT) | instid1(VALU_DEP_2)
	v_dual_fmac_f32 v38, v40, v41 :: v_dual_add_nc_u32 v39, 4, v39
	v_cmp_lt_u32_e64 s2, 3, v42
	s_delay_alu instid0(VALU_DEP_1) | instskip(NEXT) | instid1(SALU_CYCLE_1)
	s_or_b32 s5, s2, s5
	s_and_not1_b32 exec_lo, exec_lo, s5
	s_cbranch_execnz .LBB10_31
; %bb.32:
	s_or_b32 exec_lo, exec_lo, s5
	v_mov_b32_e32 v7, 0
	ds_load_b32 v7, v7 offset:20
	s_waitcnt lgkmcnt(0)
	v_mul_f32_e32 v7, v38, v7
.LBB10_33:
	s_or_b32 exec_lo, exec_lo, s4
	v_cmp_gt_u32_e64 s2, 6, v0
	s_barrier
	buffer_gl0_inv
	ds_store_b32 v37, v8
	s_waitcnt lgkmcnt(0)
	s_barrier
	buffer_gl0_inv
	s_and_saveexec_b32 s5, s2
	s_cbranch_execz .LBB10_37
; %bb.34:
	v_mov_b32_e32 v36, v1
	v_lshl_add_u32 v39, v0, 2, 48
	v_dual_mov_b32 v38, 0 :: v_dual_mov_b32 v35, v0
	s_mov_b32 s8, 0
.LBB10_35:                              ; =>This Inner Loop Header: Depth=1
	s_delay_alu instid0(VALU_DEP_1) | instskip(SKIP_3) | instid1(VALU_DEP_1)
	v_cmp_eq_u32_e64 s3, 1, v35
	ds_load_b32 v41, v39
	v_cndmask_b32_e64 v40, v2, v3, s3
	v_cmp_eq_u32_e64 s3, 2, v35
	v_cndmask_b32_e64 v40, v40, v4, s3
	v_cmp_eq_u32_e64 s3, 3, v35
	s_delay_alu instid0(VALU_DEP_1) | instskip(SKIP_1) | instid1(VALU_DEP_1)
	v_cndmask_b32_e64 v40, v40, v5, s3
	v_cmp_eq_u32_e64 s3, 4, v35
	v_cndmask_b32_e64 v40, v40, v6, s3
	v_cmp_eq_u32_e64 s3, 5, v35
	s_delay_alu instid0(VALU_DEP_1) | instskip(SKIP_1) | instid1(VALU_DEP_1)
	;; [unrolled: 5-line block ×3, first 2 shown]
	v_cndmask_b32_e64 v40, v40, v9, s3
	v_cmp_eq_u32_e64 s3, 8, v35
	v_cndmask_b32_e64 v40, v40, v10, s3
	v_cmp_eq_u32_e64 s3, 9, v35
	s_delay_alu instid0(VALU_DEP_1) | instskip(SKIP_2) | instid1(VALU_DEP_1)
	v_cndmask_b32_e64 v40, v40, v11, s3
	v_cmp_eq_u32_e64 s3, 10, v35
	v_add_co_u32 v35, s4, v35, 1
	v_add_co_ci_u32_e64 v36, s4, 0, v36, s4
	s_delay_alu instid0(VALU_DEP_3) | instskip(NEXT) | instid1(VALU_DEP_3)
	v_cndmask_b32_e64 v40, v40, v12, s3
	v_add_nc_u32_e32 v42, -1, v35
	s_waitcnt lgkmcnt(0)
	s_delay_alu instid0(VALU_DEP_2) | instskip(NEXT) | instid1(VALU_DEP_2)
	v_dual_fmac_f32 v38, v40, v41 :: v_dual_add_nc_u32 v39, 4, v39
	v_cmp_lt_u32_e64 s3, 4, v42
	s_delay_alu instid0(VALU_DEP_1) | instskip(NEXT) | instid1(SALU_CYCLE_1)
	s_or_b32 s8, s3, s8
	s_and_not1_b32 exec_lo, exec_lo, s8
	s_cbranch_execnz .LBB10_35
; %bb.36:
	s_or_b32 exec_lo, exec_lo, s8
	v_mov_b32_e32 v8, 0
	ds_load_b32 v8, v8 offset:24
	s_waitcnt lgkmcnt(0)
	v_mul_f32_e32 v8, v38, v8
.LBB10_37:
	s_or_b32 exec_lo, exec_lo, s5
	s_delay_alu instid0(SALU_CYCLE_1)
	s_mov_b32 s5, exec_lo
	s_barrier
	buffer_gl0_inv
	ds_store_b32 v37, v9
	s_waitcnt lgkmcnt(0)
	s_barrier
	buffer_gl0_inv
	v_cmpx_gt_u32_e32 7, v0
	s_cbranch_execz .LBB10_41
; %bb.38:
	v_mov_b32_e32 v36, v1
	v_lshl_add_u32 v39, v0, 2, 48
	v_dual_mov_b32 v38, 0 :: v_dual_mov_b32 v35, v0
	s_mov_b32 s8, 0
.LBB10_39:                              ; =>This Inner Loop Header: Depth=1
	s_delay_alu instid0(VALU_DEP_1) | instskip(SKIP_3) | instid1(VALU_DEP_1)
	v_cmp_eq_u32_e64 s3, 1, v35
	ds_load_b32 v41, v39
	v_cndmask_b32_e64 v40, v2, v3, s3
	v_cmp_eq_u32_e64 s3, 2, v35
	v_cndmask_b32_e64 v40, v40, v4, s3
	v_cmp_eq_u32_e64 s3, 3, v35
	s_delay_alu instid0(VALU_DEP_1) | instskip(SKIP_1) | instid1(VALU_DEP_1)
	v_cndmask_b32_e64 v40, v40, v5, s3
	v_cmp_eq_u32_e64 s3, 4, v35
	v_cndmask_b32_e64 v40, v40, v6, s3
	v_cmp_eq_u32_e64 s3, 5, v35
	s_delay_alu instid0(VALU_DEP_1) | instskip(SKIP_1) | instid1(VALU_DEP_1)
	;; [unrolled: 5-line block ×3, first 2 shown]
	v_cndmask_b32_e64 v40, v40, v9, s3
	v_cmp_eq_u32_e64 s3, 8, v35
	v_cndmask_b32_e64 v40, v40, v10, s3
	v_cmp_eq_u32_e64 s3, 9, v35
	s_delay_alu instid0(VALU_DEP_1) | instskip(SKIP_2) | instid1(VALU_DEP_1)
	v_cndmask_b32_e64 v40, v40, v11, s3
	v_cmp_eq_u32_e64 s3, 10, v35
	v_add_co_u32 v35, s4, v35, 1
	v_add_co_ci_u32_e64 v36, s4, 0, v36, s4
	s_delay_alu instid0(VALU_DEP_3) | instskip(NEXT) | instid1(VALU_DEP_3)
	v_cndmask_b32_e64 v40, v40, v12, s3
	v_add_nc_u32_e32 v42, -1, v35
	s_waitcnt lgkmcnt(0)
	s_delay_alu instid0(VALU_DEP_2) | instskip(NEXT) | instid1(VALU_DEP_2)
	v_dual_fmac_f32 v38, v40, v41 :: v_dual_add_nc_u32 v39, 4, v39
	v_cmp_lt_u32_e64 s3, 5, v42
	s_delay_alu instid0(VALU_DEP_1) | instskip(NEXT) | instid1(SALU_CYCLE_1)
	s_or_b32 s8, s3, s8
	s_and_not1_b32 exec_lo, exec_lo, s8
	s_cbranch_execnz .LBB10_39
; %bb.40:
	s_or_b32 exec_lo, exec_lo, s8
	v_mov_b32_e32 v9, 0
	ds_load_b32 v9, v9 offset:28
	s_waitcnt lgkmcnt(0)
	v_mul_f32_e32 v9, v38, v9
.LBB10_41:
	s_or_b32 exec_lo, exec_lo, s5
	s_delay_alu instid0(SALU_CYCLE_1)
	s_mov_b32 s4, exec_lo
	s_barrier
	buffer_gl0_inv
	ds_store_b32 v37, v10
	s_waitcnt lgkmcnt(0)
	s_barrier
	buffer_gl0_inv
	v_cmpx_gt_u32_e32 8, v0
	s_cbranch_execz .LBB10_57
; %bb.42:
	v_cmp_eq_u32_e64 s3, 1, v0
	ds_load_b32 v36, v37
	s_mov_b32 s5, exec_lo
	v_cndmask_b32_e64 v35, v2, v3, s3
	v_cmp_eq_u32_e64 s3, 2, v0
	s_delay_alu instid0(VALU_DEP_1) | instskip(SKIP_1) | instid1(VALU_DEP_1)
	v_cndmask_b32_e64 v35, v35, v4, s3
	v_cmp_eq_u32_e64 s3, 3, v0
	v_cndmask_b32_e64 v35, v35, v5, s3
	v_cmp_eq_u32_e64 s3, 4, v0
	s_delay_alu instid0(VALU_DEP_1) | instskip(SKIP_1) | instid1(VALU_DEP_1)
	v_cndmask_b32_e64 v35, v35, v6, s3
	v_cmp_eq_u32_e64 s3, 5, v0
	;; [unrolled: 5-line block ×4, first 2 shown]
	v_cndmask_b32_e64 v35, v35, v11, s3
	v_cmp_eq_u32_e64 s3, 10, v0
	s_delay_alu instid0(VALU_DEP_1) | instskip(SKIP_2) | instid1(VALU_DEP_2)
	v_cndmask_b32_e64 v38, v35, v12, s3
	v_mov_b32_e32 v35, 0
	s_waitcnt lgkmcnt(0)
	v_fma_f32 v36, v38, v36, 0
	v_cmpx_ne_u32_e32 7, v0
	s_cbranch_execz .LBB10_56
; %bb.43:
	v_add_nc_u32_e32 v38, 1, v0
	ds_load_b32 v40, v37 offset:4
	v_cmp_eq_u32_e64 s3, 1, v38
	s_delay_alu instid0(VALU_DEP_1) | instskip(SKIP_1) | instid1(VALU_DEP_1)
	v_cndmask_b32_e64 v39, v2, v3, s3
	v_cmp_eq_u32_e64 s3, 2, v38
	v_cndmask_b32_e64 v39, v39, v4, s3
	v_cmp_eq_u32_e64 s3, 3, v38
	s_delay_alu instid0(VALU_DEP_1) | instskip(SKIP_1) | instid1(VALU_DEP_1)
	v_cndmask_b32_e64 v39, v39, v5, s3
	v_cmp_eq_u32_e64 s3, 4, v38
	v_cndmask_b32_e64 v39, v39, v6, s3
	;; [unrolled: 5-line block ×5, first 2 shown]
	s_waitcnt lgkmcnt(0)
	s_delay_alu instid0(VALU_DEP_1)
	v_fmac_f32_e32 v36, v38, v40
	s_and_saveexec_b32 s3, s2
	s_cbranch_execz .LBB10_55
; %bb.44:
	v_add_nc_u32_e32 v38, 2, v0
	ds_load_b32 v40, v37 offset:8
	s_mov_b32 s8, exec_lo
	v_cmp_eq_u32_e64 s2, 1, v38
	s_delay_alu instid0(VALU_DEP_1) | instskip(SKIP_1) | instid1(VALU_DEP_1)
	v_cndmask_b32_e64 v39, v2, v3, s2
	v_cmp_eq_u32_e64 s2, 2, v38
	v_cndmask_b32_e64 v39, v39, v4, s2
	v_cmp_eq_u32_e64 s2, 3, v38
	s_delay_alu instid0(VALU_DEP_1) | instskip(SKIP_1) | instid1(VALU_DEP_1)
	v_cndmask_b32_e64 v39, v39, v5, s2
	v_cmp_eq_u32_e64 s2, 4, v38
	v_cndmask_b32_e64 v39, v39, v6, s2
	;; [unrolled: 5-line block ×5, first 2 shown]
	s_waitcnt lgkmcnt(0)
	s_delay_alu instid0(VALU_DEP_1)
	v_fmac_f32_e32 v36, v38, v40
	v_cmpx_ne_u32_e32 5, v0
	s_cbranch_execz .LBB10_54
; %bb.45:
	v_add_nc_u32_e32 v38, 3, v0
	ds_load_b32 v40, v37 offset:12
	v_cmp_eq_u32_e64 s2, 1, v38
	s_delay_alu instid0(VALU_DEP_1) | instskip(SKIP_1) | instid1(VALU_DEP_1)
	v_cndmask_b32_e64 v39, v2, v3, s2
	v_cmp_eq_u32_e64 s2, 2, v38
	v_cndmask_b32_e64 v39, v39, v4, s2
	v_cmp_eq_u32_e64 s2, 3, v38
	s_delay_alu instid0(VALU_DEP_1) | instskip(SKIP_1) | instid1(VALU_DEP_1)
	v_cndmask_b32_e64 v39, v39, v5, s2
	v_cmp_eq_u32_e64 s2, 4, v38
	v_cndmask_b32_e64 v39, v39, v6, s2
	;; [unrolled: 5-line block ×5, first 2 shown]
	s_waitcnt lgkmcnt(0)
	s_delay_alu instid0(VALU_DEP_1)
	v_fmac_f32_e32 v36, v38, v40
	s_and_saveexec_b32 s2, s1
	s_cbranch_execz .LBB10_53
; %bb.46:
	v_or_b32_e32 v38, 4, v0
	ds_load_b32 v40, v37 offset:16
	s_mov_b32 s9, exec_lo
	v_cmp_eq_u32_e64 s1, 1, v38
	s_delay_alu instid0(VALU_DEP_1) | instskip(SKIP_1) | instid1(VALU_DEP_1)
	v_cndmask_b32_e64 v39, v2, v3, s1
	v_cmp_eq_u32_e64 s1, 2, v38
	v_cndmask_b32_e64 v39, v39, v4, s1
	v_cmp_eq_u32_e64 s1, 3, v38
	s_delay_alu instid0(VALU_DEP_1) | instskip(SKIP_1) | instid1(VALU_DEP_1)
	v_cndmask_b32_e64 v39, v39, v5, s1
	v_cmp_eq_u32_e64 s1, 4, v38
	v_cndmask_b32_e64 v39, v39, v6, s1
	;; [unrolled: 5-line block ×5, first 2 shown]
	s_waitcnt lgkmcnt(0)
	s_delay_alu instid0(VALU_DEP_1)
	v_fmac_f32_e32 v36, v38, v40
	v_cmpx_ne_u32_e32 3, v0
	s_cbranch_execz .LBB10_52
; %bb.47:
	v_add_nc_u32_e32 v38, 5, v0
	ds_load_b32 v40, v37 offset:20
	v_cmp_eq_u32_e64 s1, 1, v38
	s_delay_alu instid0(VALU_DEP_1) | instskip(SKIP_1) | instid1(VALU_DEP_1)
	v_cndmask_b32_e64 v39, v2, v3, s1
	v_cmp_eq_u32_e64 s1, 2, v38
	v_cndmask_b32_e64 v39, v39, v4, s1
	v_cmp_eq_u32_e64 s1, 3, v38
	s_delay_alu instid0(VALU_DEP_1) | instskip(SKIP_1) | instid1(VALU_DEP_1)
	v_cndmask_b32_e64 v39, v39, v5, s1
	v_cmp_eq_u32_e64 s1, 4, v38
	v_cndmask_b32_e64 v39, v39, v6, s1
	;; [unrolled: 5-line block ×5, first 2 shown]
	s_waitcnt lgkmcnt(0)
	s_delay_alu instid0(VALU_DEP_1)
	v_fmac_f32_e32 v36, v38, v40
	s_and_saveexec_b32 s1, vcc_lo
	s_cbranch_execz .LBB10_51
; %bb.48:
	v_or_b32_e32 v38, 6, v0
	ds_load_b32 v40, v37 offset:24
	v_cmp_eq_u32_e32 vcc_lo, 1, v38
	v_cndmask_b32_e32 v39, v2, v3, vcc_lo
	v_cmp_eq_u32_e32 vcc_lo, 2, v38
	s_delay_alu instid0(VALU_DEP_2) | instskip(SKIP_1) | instid1(VALU_DEP_2)
	v_cndmask_b32_e32 v39, v39, v4, vcc_lo
	v_cmp_eq_u32_e32 vcc_lo, 3, v38
	v_cndmask_b32_e32 v39, v39, v5, vcc_lo
	v_cmp_eq_u32_e32 vcc_lo, 4, v38
	s_delay_alu instid0(VALU_DEP_2) | instskip(SKIP_1) | instid1(VALU_DEP_2)
	v_cndmask_b32_e32 v39, v39, v6, vcc_lo
	v_cmp_eq_u32_e32 vcc_lo, 5, v38
	v_cndmask_b32_e32 v39, v39, v7, vcc_lo
	v_cmp_eq_u32_e32 vcc_lo, 6, v38
	s_delay_alu instid0(VALU_DEP_2) | instskip(SKIP_1) | instid1(VALU_DEP_2)
	v_cndmask_b32_e32 v39, v39, v8, vcc_lo
	v_cmp_eq_u32_e32 vcc_lo, 7, v38
	v_cndmask_b32_e32 v39, v39, v9, vcc_lo
	v_cmp_eq_u32_e32 vcc_lo, 8, v38
	s_delay_alu instid0(VALU_DEP_2) | instskip(SKIP_1) | instid1(VALU_DEP_2)
	v_cndmask_b32_e32 v10, v39, v10, vcc_lo
	v_cmp_eq_u32_e32 vcc_lo, 9, v38
	v_cndmask_b32_e32 v10, v10, v11, vcc_lo
	v_cmp_eq_u32_e32 vcc_lo, 10, v38
	s_delay_alu instid0(VALU_DEP_2) | instskip(SKIP_1) | instid1(VALU_DEP_1)
	v_cndmask_b32_e32 v10, v10, v12, vcc_lo
	s_waitcnt lgkmcnt(0)
	v_fmac_f32_e32 v36, v10, v40
	s_and_saveexec_b32 s10, s0
	s_cbranch_execz .LBB10_50
; %bb.49:
	ds_load_b32 v10, v37 offset:28
	s_waitcnt lgkmcnt(0)
	v_fmac_f32_e32 v36, v9, v10
.LBB10_50:
	s_or_b32 exec_lo, exec_lo, s10
.LBB10_51:
	s_delay_alu instid0(SALU_CYCLE_1)
	s_or_b32 exec_lo, exec_lo, s1
.LBB10_52:
	s_delay_alu instid0(SALU_CYCLE_1)
	s_or_b32 exec_lo, exec_lo, s9
.LBB10_53:
	s_delay_alu instid0(SALU_CYCLE_1)
	s_or_b32 exec_lo, exec_lo, s2
.LBB10_54:
	s_delay_alu instid0(SALU_CYCLE_1)
	s_or_b32 exec_lo, exec_lo, s8
.LBB10_55:
	s_delay_alu instid0(SALU_CYCLE_1)
	s_or_b32 exec_lo, exec_lo, s3
.LBB10_56:
	s_delay_alu instid0(SALU_CYCLE_1)
	s_or_b32 exec_lo, exec_lo, s5
	ds_load_b32 v10, v35 offset:32
	s_waitcnt lgkmcnt(0)
	v_mul_f32_e32 v10, v36, v10
.LBB10_57:
	s_or_b32 exec_lo, exec_lo, s4
	s_delay_alu instid0(SALU_CYCLE_1)
	s_mov_b32 s1, exec_lo
	s_barrier
	buffer_gl0_inv
	ds_store_b32 v37, v11
	s_waitcnt lgkmcnt(0)
	s_barrier
	buffer_gl0_inv
	v_cmpx_gt_u32_e32 9, v0
	s_cbranch_execz .LBB10_61
; %bb.58:
	v_mov_b32_e32 v36, v1
	v_lshl_add_u32 v39, v0, 2, 48
	v_dual_mov_b32 v38, 0 :: v_dual_mov_b32 v35, v0
	s_mov_b32 s2, 0
	s_set_inst_prefetch_distance 0x1
	.p2align	6
.LBB10_59:                              ; =>This Inner Loop Header: Depth=1
	s_delay_alu instid0(VALU_DEP_1) | instskip(SKIP_4) | instid1(VALU_DEP_2)
	v_cmp_eq_u32_e32 vcc_lo, 1, v35
	ds_load_b32 v41, v39
	v_add_nc_u32_e32 v39, 4, v39
	v_cndmask_b32_e32 v40, v2, v3, vcc_lo
	v_cmp_eq_u32_e32 vcc_lo, 2, v35
	v_cndmask_b32_e32 v40, v40, v4, vcc_lo
	v_cmp_eq_u32_e32 vcc_lo, 3, v35
	s_delay_alu instid0(VALU_DEP_2) | instskip(SKIP_1) | instid1(VALU_DEP_2)
	v_cndmask_b32_e32 v40, v40, v5, vcc_lo
	v_cmp_eq_u32_e32 vcc_lo, 4, v35
	v_cndmask_b32_e32 v40, v40, v6, vcc_lo
	v_cmp_eq_u32_e32 vcc_lo, 5, v35
	s_delay_alu instid0(VALU_DEP_2) | instskip(SKIP_1) | instid1(VALU_DEP_2)
	;; [unrolled: 5-line block ×3, first 2 shown]
	v_cndmask_b32_e32 v40, v40, v9, vcc_lo
	v_cmp_eq_u32_e32 vcc_lo, 8, v35
	v_cndmask_b32_e32 v40, v40, v10, vcc_lo
	v_cmp_eq_u32_e32 vcc_lo, 9, v35
	s_delay_alu instid0(VALU_DEP_2) | instskip(SKIP_2) | instid1(VALU_DEP_1)
	v_cndmask_b32_e32 v40, v40, v11, vcc_lo
	v_cmp_eq_u32_e32 vcc_lo, 10, v35
	v_add_co_u32 v35, s0, v35, 1
	v_add_co_ci_u32_e64 v36, s0, 0, v36, s0
	s_delay_alu instid0(VALU_DEP_4) | instskip(NEXT) | instid1(VALU_DEP_3)
	v_cndmask_b32_e32 v40, v40, v12, vcc_lo
	v_add_nc_u32_e32 v42, -1, v35
	s_waitcnt lgkmcnt(0)
	s_delay_alu instid0(VALU_DEP_2) | instskip(NEXT) | instid1(VALU_DEP_2)
	v_fmac_f32_e32 v38, v40, v41
	v_cmp_lt_u32_e32 vcc_lo, 7, v42
	s_or_b32 s2, vcc_lo, s2
	s_delay_alu instid0(SALU_CYCLE_1)
	s_and_not1_b32 exec_lo, exec_lo, s2
	s_cbranch_execnz .LBB10_59
; %bb.60:
	s_set_inst_prefetch_distance 0x2
	s_or_b32 exec_lo, exec_lo, s2
	v_mov_b32_e32 v11, 0
	ds_load_b32 v11, v11 offset:36
	s_waitcnt lgkmcnt(0)
	v_mul_f32_e32 v11, v38, v11
.LBB10_61:
	s_or_b32 exec_lo, exec_lo, s1
	s_delay_alu instid0(SALU_CYCLE_1)
	s_mov_b32 s1, exec_lo
	s_barrier
	buffer_gl0_inv
	ds_store_b32 v37, v12
	s_waitcnt lgkmcnt(0)
	s_barrier
	buffer_gl0_inv
	v_cmpx_ne_u32_e32 10, v0
	s_cbranch_execz .LBB10_65
; %bb.62:
	v_dual_mov_b32 v37, 0 :: v_dual_mov_b32 v36, v1
	v_lshl_add_u32 v38, v0, 2, 48
	v_mov_b32_e32 v35, v0
	s_mov_b32 s2, 0
	s_set_inst_prefetch_distance 0x1
	.p2align	6
.LBB10_63:                              ; =>This Inner Loop Header: Depth=1
	s_delay_alu instid0(VALU_DEP_1) | instskip(SKIP_3) | instid1(VALU_DEP_2)
	v_cmp_eq_u32_e32 vcc_lo, 1, v35
	ds_load_b32 v39, v38
	v_dual_cndmask_b32 v1, v2, v3 :: v_dual_add_nc_u32 v38, 4, v38
	v_cmp_eq_u32_e32 vcc_lo, 2, v35
	v_cndmask_b32_e32 v1, v1, v4, vcc_lo
	v_cmp_eq_u32_e32 vcc_lo, 3, v35
	s_delay_alu instid0(VALU_DEP_2) | instskip(SKIP_1) | instid1(VALU_DEP_2)
	v_cndmask_b32_e32 v1, v1, v5, vcc_lo
	v_cmp_eq_u32_e32 vcc_lo, 4, v35
	v_cndmask_b32_e32 v1, v1, v6, vcc_lo
	v_cmp_eq_u32_e32 vcc_lo, 5, v35
	s_delay_alu instid0(VALU_DEP_2) | instskip(SKIP_1) | instid1(VALU_DEP_2)
	v_cndmask_b32_e32 v1, v1, v7, vcc_lo
	;; [unrolled: 5-line block ×3, first 2 shown]
	v_cmp_eq_u32_e32 vcc_lo, 8, v35
	v_cndmask_b32_e32 v1, v1, v10, vcc_lo
	v_cmp_eq_u32_e32 vcc_lo, 9, v35
	s_delay_alu instid0(VALU_DEP_2) | instskip(SKIP_2) | instid1(VALU_DEP_1)
	v_cndmask_b32_e32 v1, v1, v11, vcc_lo
	v_cmp_eq_u32_e32 vcc_lo, 10, v35
	v_add_co_u32 v35, s0, v35, 1
	v_add_co_ci_u32_e64 v36, s0, 0, v36, s0
	s_delay_alu instid0(VALU_DEP_2) | instskip(SKIP_1) | instid1(VALU_DEP_1)
	v_dual_cndmask_b32 v1, v1, v12 :: v_dual_add_nc_u32 v40, -1, v35
	s_waitcnt lgkmcnt(0)
	v_fmac_f32_e32 v37, v1, v39
	s_delay_alu instid0(VALU_DEP_2) | instskip(SKIP_1) | instid1(SALU_CYCLE_1)
	v_cmp_lt_u32_e32 vcc_lo, 8, v40
	s_or_b32 s2, vcc_lo, s2
	s_and_not1_b32 exec_lo, exec_lo, s2
	s_cbranch_execnz .LBB10_63
; %bb.64:
	s_set_inst_prefetch_distance 0x2
	s_or_b32 exec_lo, exec_lo, s2
	v_mov_b32_e32 v1, 0
	ds_load_b32 v1, v1 offset:40
	s_waitcnt lgkmcnt(0)
	v_mul_f32_e32 v12, v37, v1
.LBB10_65:
	s_or_b32 exec_lo, exec_lo, s1
	s_barrier
	buffer_gl0_inv
	s_cbranch_execnz .LBB10_15
	s_branch .LBB10_16
.LBB10_66:
	v_lshl_add_u32 v1, v0, 2, 48
	s_mov_b32 s0, exec_lo
	v_cmpx_eq_u32_e32 10, v0
	s_cbranch_execz .LBB10_68
; %bb.67:
	s_mov_b32 s1, 0
	ds_store_b32 v1, v11
	v_mov_b32_e32 v11, s1
.LBB10_68:
	s_or_b32 exec_lo, exec_lo, s0
	v_mov_b32_e32 v35, 0
	s_waitcnt lgkmcnt(0)
	s_waitcnt_vscnt null, 0x0
	s_barrier
	buffer_gl0_inv
	s_mov_b32 s0, exec_lo
	ds_load_b32 v36, v35 offset:88
	s_waitcnt lgkmcnt(0)
	v_fma_f32 v36, v12, v36, 0
	s_delay_alu instid0(VALU_DEP_1)
	v_sub_f32_e32 v11, v11, v36
	v_cmpx_lt_u32_e32 8, v0
	s_cbranch_execz .LBB10_70
; %bb.69:
	s_mov_b32 s1, 0
	s_delay_alu instid0(VALU_DEP_2)
	v_dual_mov_b32 v46, v12 :: v_dual_mov_b32 v45, v11
	v_dual_mov_b32 v44, v10 :: v_dual_mov_b32 v43, v9
	v_mov_b32_e32 v36, v2
	v_dual_mov_b32 v42, v8 :: v_dual_mov_b32 v41, v7
	v_dual_mov_b32 v40, v6 :: v_dual_mov_b32 v39, v5
	;; [unrolled: 1-line block ×3, first 2 shown]
	v_mov_b32_e32 v44, s1
	ds_store_b32 v1, v10
	v_mov_b32_e32 v2, v36
	v_dual_mov_b32 v4, v38 :: v_dual_mov_b32 v5, v39
	v_dual_mov_b32 v3, v37 :: v_dual_mov_b32 v6, v40
	;; [unrolled: 1-line block ×5, first 2 shown]
.LBB10_70:
	s_or_b32 exec_lo, exec_lo, s0
	s_waitcnt lgkmcnt(0)
	s_barrier
	buffer_gl0_inv
	ds_load_2addr_b32 v[35:36], v35 offset0:21 offset1:22
	s_mov_b32 s0, exec_lo
	s_waitcnt lgkmcnt(0)
	v_fma_f32 v35, v11, v35, 0
	s_delay_alu instid0(VALU_DEP_1) | instskip(NEXT) | instid1(VALU_DEP_1)
	v_fmac_f32_e32 v35, v12, v36
	v_sub_f32_e32 v10, v10, v35
	v_cmpx_lt_u32_e32 7, v0
	s_cbranch_execz .LBB10_72
; %bb.71:
	s_mov_b32 s1, 0
	v_dual_mov_b32 v45, v12 :: v_dual_mov_b32 v44, v11
	v_dual_mov_b32 v43, v10 :: v_dual_mov_b32 v42, v9
	;; [unrolled: 1-line block ×6, first 2 shown]
	ds_store_b32 v1, v9
	v_dual_mov_b32 v2, v35 :: v_dual_mov_b32 v5, v38
	v_dual_mov_b32 v4, v37 :: v_dual_mov_b32 v3, v36
	;; [unrolled: 1-line block ×5, first 2 shown]
	v_mov_b32_e32 v12, v45
.LBB10_72:
	s_or_b32 exec_lo, exec_lo, s0
	v_mov_b32_e32 v35, 0
	s_waitcnt lgkmcnt(0)
	s_barrier
	buffer_gl0_inv
	s_mov_b32 s0, exec_lo
	ds_load_b96 v[36:38], v35 offset:80
	s_waitcnt lgkmcnt(0)
	v_fma_f32 v36, v10, v36, 0
	s_delay_alu instid0(VALU_DEP_1) | instskip(NEXT) | instid1(VALU_DEP_1)
	v_fmac_f32_e32 v36, v11, v37
	v_fmac_f32_e32 v36, v12, v38
	s_delay_alu instid0(VALU_DEP_1)
	v_sub_f32_e32 v9, v9, v36
	v_cmpx_lt_u32_e32 6, v0
	s_cbranch_execz .LBB10_74
; %bb.73:
	s_mov_b32 s1, 0
	v_dual_mov_b32 v46, v12 :: v_dual_mov_b32 v45, v11
	v_dual_mov_b32 v42, v8 :: v_dual_mov_b32 v41, v7
	v_mov_b32_e32 v36, v2
	v_dual_mov_b32 v44, v10 :: v_dual_mov_b32 v43, v9
	v_dual_mov_b32 v40, v6 :: v_dual_mov_b32 v39, v5
	;; [unrolled: 1-line block ×3, first 2 shown]
	v_mov_b32_e32 v42, s1
	ds_store_b32 v1, v8
	v_mov_b32_e32 v2, v36
	v_dual_mov_b32 v4, v38 :: v_dual_mov_b32 v5, v39
	v_dual_mov_b32 v3, v37 :: v_dual_mov_b32 v6, v40
	;; [unrolled: 1-line block ×5, first 2 shown]
.LBB10_74:
	s_or_b32 exec_lo, exec_lo, s0
	s_waitcnt lgkmcnt(0)
	s_barrier
	buffer_gl0_inv
	ds_load_2addr_b32 v[36:37], v35 offset0:19 offset1:20
	ds_load_2addr_b32 v[38:39], v35 offset0:21 offset1:22
	s_mov_b32 s0, exec_lo
	s_waitcnt lgkmcnt(1)
	v_fma_f32 v35, v9, v36, 0
	s_delay_alu instid0(VALU_DEP_1) | instskip(SKIP_1) | instid1(VALU_DEP_1)
	v_fmac_f32_e32 v35, v10, v37
	s_waitcnt lgkmcnt(0)
	v_fmac_f32_e32 v35, v11, v38
	s_delay_alu instid0(VALU_DEP_1) | instskip(NEXT) | instid1(VALU_DEP_1)
	v_fmac_f32_e32 v35, v12, v39
	v_sub_f32_e32 v8, v8, v35
	v_cmpx_lt_u32_e32 5, v0
	s_cbranch_execz .LBB10_76
; %bb.75:
	s_mov_b32 s1, 0
	v_dual_mov_b32 v45, v12 :: v_dual_mov_b32 v44, v11
	v_dual_mov_b32 v41, v8 :: v_dual_mov_b32 v40, v7
	v_dual_mov_b32 v35, v2 :: v_dual_mov_b32 v40, s1
	v_dual_mov_b32 v43, v10 :: v_dual_mov_b32 v42, v9
	v_dual_mov_b32 v39, v6 :: v_dual_mov_b32 v38, v5
	v_dual_mov_b32 v37, v4 :: v_dual_mov_b32 v36, v3
	ds_store_b32 v1, v7
	v_dual_mov_b32 v2, v35 :: v_dual_mov_b32 v5, v38
	v_dual_mov_b32 v4, v37 :: v_dual_mov_b32 v3, v36
	;; [unrolled: 1-line block ×5, first 2 shown]
	v_mov_b32_e32 v12, v45
.LBB10_76:
	s_or_b32 exec_lo, exec_lo, s0
	v_mov_b32_e32 v35, 0
	s_waitcnt lgkmcnt(0)
	s_barrier
	buffer_gl0_inv
	s_mov_b32 s0, exec_lo
	ds_load_2addr_b64 v[36:39], v35 offset0:9 offset1:10
	ds_load_b32 v40, v35 offset:88
	s_waitcnt lgkmcnt(1)
	v_fma_f32 v36, v8, v36, 0
	s_delay_alu instid0(VALU_DEP_1) | instskip(NEXT) | instid1(VALU_DEP_1)
	v_fmac_f32_e32 v36, v9, v37
	v_fmac_f32_e32 v36, v10, v38
	s_delay_alu instid0(VALU_DEP_1) | instskip(SKIP_1) | instid1(VALU_DEP_1)
	v_fmac_f32_e32 v36, v11, v39
	s_waitcnt lgkmcnt(0)
	v_fmac_f32_e32 v36, v12, v40
	s_delay_alu instid0(VALU_DEP_1)
	v_sub_f32_e32 v7, v7, v36
	v_cmpx_lt_u32_e32 4, v0
	s_cbranch_execz .LBB10_78
; %bb.77:
	s_mov_b32 s1, 0
	v_dual_mov_b32 v46, v12 :: v_dual_mov_b32 v45, v11
	v_dual_mov_b32 v40, v6 :: v_dual_mov_b32 v39, v5
	v_mov_b32_e32 v36, v2
	v_dual_mov_b32 v44, v10 :: v_dual_mov_b32 v43, v9
	v_dual_mov_b32 v42, v8 :: v_dual_mov_b32 v41, v7
	;; [unrolled: 1-line block ×3, first 2 shown]
	v_mov_b32_e32 v40, s1
	ds_store_b32 v1, v6
	v_mov_b32_e32 v2, v36
	v_dual_mov_b32 v4, v38 :: v_dual_mov_b32 v5, v39
	v_dual_mov_b32 v3, v37 :: v_dual_mov_b32 v6, v40
	;; [unrolled: 1-line block ×5, first 2 shown]
.LBB10_78:
	s_or_b32 exec_lo, exec_lo, s0
	s_waitcnt lgkmcnt(0)
	s_barrier
	buffer_gl0_inv
	ds_load_2addr_b32 v[36:37], v35 offset0:17 offset1:18
	ds_load_2addr_b32 v[38:39], v35 offset0:19 offset1:20
	ds_load_2addr_b32 v[40:41], v35 offset0:21 offset1:22
	s_mov_b32 s0, exec_lo
	s_waitcnt lgkmcnt(2)
	v_fma_f32 v35, v7, v36, 0
	s_delay_alu instid0(VALU_DEP_1) | instskip(SKIP_1) | instid1(VALU_DEP_1)
	v_fmac_f32_e32 v35, v8, v37
	s_waitcnt lgkmcnt(1)
	v_fmac_f32_e32 v35, v9, v38
	s_delay_alu instid0(VALU_DEP_1) | instskip(SKIP_1) | instid1(VALU_DEP_1)
	v_fmac_f32_e32 v35, v10, v39
	s_waitcnt lgkmcnt(0)
	v_fmac_f32_e32 v35, v11, v40
	s_delay_alu instid0(VALU_DEP_1) | instskip(NEXT) | instid1(VALU_DEP_1)
	v_fmac_f32_e32 v35, v12, v41
	v_sub_f32_e32 v6, v6, v35
	v_cmpx_lt_u32_e32 3, v0
	s_cbranch_execz .LBB10_80
; %bb.79:
	s_mov_b32 s1, 0
	v_dual_mov_b32 v45, v12 :: v_dual_mov_b32 v44, v11
	v_dual_mov_b32 v39, v6 :: v_dual_mov_b32 v38, v5
	;; [unrolled: 1-line block ×6, first 2 shown]
	ds_store_b32 v1, v5
	v_dual_mov_b32 v2, v35 :: v_dual_mov_b32 v5, v38
	v_dual_mov_b32 v4, v37 :: v_dual_mov_b32 v3, v36
	;; [unrolled: 1-line block ×5, first 2 shown]
	v_mov_b32_e32 v12, v45
.LBB10_80:
	s_or_b32 exec_lo, exec_lo, s0
	v_mov_b32_e32 v35, 0
	s_waitcnt lgkmcnt(0)
	s_barrier
	buffer_gl0_inv
	s_mov_b32 s0, exec_lo
	ds_load_b128 v[36:39], v35 offset:64
	ds_load_b96 v[40:42], v35 offset:80
	s_waitcnt lgkmcnt(1)
	v_fma_f32 v36, v6, v36, 0
	s_delay_alu instid0(VALU_DEP_1) | instskip(NEXT) | instid1(VALU_DEP_1)
	v_fmac_f32_e32 v36, v7, v37
	v_fmac_f32_e32 v36, v8, v38
	s_delay_alu instid0(VALU_DEP_1) | instskip(SKIP_1) | instid1(VALU_DEP_1)
	v_fmac_f32_e32 v36, v9, v39
	s_waitcnt lgkmcnt(0)
	v_fmac_f32_e32 v36, v10, v40
	s_delay_alu instid0(VALU_DEP_1) | instskip(NEXT) | instid1(VALU_DEP_1)
	v_fmac_f32_e32 v36, v11, v41
	v_fmac_f32_e32 v36, v12, v42
	s_delay_alu instid0(VALU_DEP_1)
	v_sub_f32_e32 v5, v5, v36
	v_cmpx_lt_u32_e32 2, v0
	s_cbranch_execz .LBB10_82
; %bb.81:
	s_mov_b32 s1, 0
	v_dual_mov_b32 v46, v12 :: v_dual_mov_b32 v45, v11
	v_dual_mov_b32 v38, v4 :: v_dual_mov_b32 v37, v3
	v_mov_b32_e32 v36, v2
	v_dual_mov_b32 v44, v10 :: v_dual_mov_b32 v43, v9
	v_dual_mov_b32 v42, v8 :: v_dual_mov_b32 v41, v7
	;; [unrolled: 1-line block ×3, first 2 shown]
	v_mov_b32_e32 v38, s1
	ds_store_b32 v1, v4
	v_dual_mov_b32 v2, v36 :: v_dual_mov_b32 v3, v37
	v_dual_mov_b32 v5, v39 :: v_dual_mov_b32 v4, v38
	;; [unrolled: 1-line block ×5, first 2 shown]
	v_mov_b32_e32 v12, v46
.LBB10_82:
	s_or_b32 exec_lo, exec_lo, s0
	s_waitcnt lgkmcnt(0)
	s_barrier
	buffer_gl0_inv
	ds_load_2addr_b32 v[36:37], v35 offset0:15 offset1:16
	ds_load_2addr_b32 v[38:39], v35 offset0:17 offset1:18
	;; [unrolled: 1-line block ×4, first 2 shown]
	s_mov_b32 s0, exec_lo
	s_waitcnt lgkmcnt(3)
	v_fma_f32 v35, v5, v36, 0
	s_delay_alu instid0(VALU_DEP_1) | instskip(SKIP_1) | instid1(VALU_DEP_1)
	v_fmac_f32_e32 v35, v6, v37
	s_waitcnt lgkmcnt(2)
	v_fmac_f32_e32 v35, v7, v38
	s_delay_alu instid0(VALU_DEP_1) | instskip(SKIP_1) | instid1(VALU_DEP_1)
	v_fmac_f32_e32 v35, v8, v39
	s_waitcnt lgkmcnt(1)
	v_fmac_f32_e32 v35, v9, v40
	s_delay_alu instid0(VALU_DEP_1) | instskip(SKIP_1) | instid1(VALU_DEP_1)
	v_fmac_f32_e32 v35, v10, v41
	s_waitcnt lgkmcnt(0)
	v_fmac_f32_e32 v35, v11, v42
	s_delay_alu instid0(VALU_DEP_1) | instskip(NEXT) | instid1(VALU_DEP_1)
	v_fmac_f32_e32 v35, v12, v43
	v_sub_f32_e32 v4, v4, v35
	v_cmpx_lt_u32_e32 1, v0
	s_cbranch_execz .LBB10_84
; %bb.83:
	s_mov_b32 s1, 0
	v_dual_mov_b32 v45, v12 :: v_dual_mov_b32 v44, v11
	v_dual_mov_b32 v37, v4 :: v_dual_mov_b32 v36, v3
	;; [unrolled: 1-line block ×6, first 2 shown]
	ds_store_b32 v1, v3
	v_dual_mov_b32 v2, v35 :: v_dual_mov_b32 v3, v36
	v_dual_mov_b32 v4, v37 :: v_dual_mov_b32 v5, v38
	;; [unrolled: 1-line block ×5, first 2 shown]
	v_mov_b32_e32 v12, v45
.LBB10_84:
	s_or_b32 exec_lo, exec_lo, s0
	v_mov_b32_e32 v35, 0
	s_waitcnt lgkmcnt(0)
	s_barrier
	buffer_gl0_inv
	s_mov_b32 s1, 0
	ds_load_2addr_b64 v[36:39], v35 offset0:7 offset1:8
	ds_load_2addr_b64 v[40:43], v35 offset0:9 offset1:10
	s_mov_b32 s0, exec_lo
	s_waitcnt lgkmcnt(1)
	v_fma_f32 v36, v4, v36, 0
	s_delay_alu instid0(VALU_DEP_1) | instskip(SKIP_2) | instid1(VALU_DEP_1)
	v_fmac_f32_e32 v36, v5, v37
	ds_load_b32 v37, v35 offset:88
	v_fmac_f32_e32 v36, v6, v38
	v_fmac_f32_e32 v36, v7, v39
	s_waitcnt lgkmcnt(1)
	s_delay_alu instid0(VALU_DEP_1) | instskip(NEXT) | instid1(VALU_DEP_1)
	v_fmac_f32_e32 v36, v8, v40
	v_fmac_f32_e32 v36, v9, v41
	s_delay_alu instid0(VALU_DEP_1) | instskip(NEXT) | instid1(VALU_DEP_1)
	v_fmac_f32_e32 v36, v10, v42
	v_fmac_f32_e32 v36, v11, v43
	s_waitcnt lgkmcnt(0)
	s_delay_alu instid0(VALU_DEP_1) | instskip(NEXT) | instid1(VALU_DEP_1)
	v_fmac_f32_e32 v36, v12, v37
	v_sub_f32_e32 v3, v3, v36
	v_cmpx_ne_u32_e32 0, v0
	s_cbranch_execz .LBB10_86
; %bb.85:
	v_dual_mov_b32 v46, v12 :: v_dual_mov_b32 v45, v11
	v_mov_b32_e32 v36, v2
	v_mov_b32_e32 v36, s1
	v_dual_mov_b32 v44, v10 :: v_dual_mov_b32 v43, v9
	v_dual_mov_b32 v42, v8 :: v_dual_mov_b32 v41, v7
	;; [unrolled: 1-line block ×4, first 2 shown]
	ds_store_b32 v1, v2
	v_dual_mov_b32 v2, v36 :: v_dual_mov_b32 v5, v39
	v_dual_mov_b32 v4, v38 :: v_dual_mov_b32 v3, v37
	;; [unrolled: 1-line block ×5, first 2 shown]
	v_mov_b32_e32 v12, v46
.LBB10_86:
	s_or_b32 exec_lo, exec_lo, s0
	s_waitcnt lgkmcnt(0)
	s_barrier
	buffer_gl0_inv
	ds_load_2addr_b32 v[0:1], v35 offset0:13 offset1:14
	ds_load_2addr_b32 v[36:37], v35 offset0:15 offset1:16
	;; [unrolled: 1-line block ×4, first 2 shown]
	s_and_b32 vcc_lo, exec_lo, s16
	s_waitcnt lgkmcnt(3)
	v_fma_f32 v42, v3, v0, 0
	s_delay_alu instid0(VALU_DEP_1) | instskip(SKIP_3) | instid1(VALU_DEP_1)
	v_fmac_f32_e32 v42, v4, v1
	ds_load_2addr_b32 v[0:1], v35 offset0:21 offset1:22
	s_waitcnt lgkmcnt(3)
	v_fmac_f32_e32 v42, v5, v36
	v_fmac_f32_e32 v42, v6, v37
	s_waitcnt lgkmcnt(2)
	s_delay_alu instid0(VALU_DEP_1) | instskip(NEXT) | instid1(VALU_DEP_1)
	v_fmac_f32_e32 v42, v7, v38
	v_fmac_f32_e32 v42, v8, v39
	s_waitcnt lgkmcnt(1)
	s_delay_alu instid0(VALU_DEP_1) | instskip(NEXT) | instid1(VALU_DEP_1)
	;; [unrolled: 4-line block ×3, first 2 shown]
	v_fmac_f32_e32 v42, v11, v0
	v_fmac_f32_e32 v42, v12, v1
	s_delay_alu instid0(VALU_DEP_1)
	v_sub_f32_e32 v2, v2, v42
	s_cbranch_vccz .LBB10_108
; %bb.87:
	v_dual_mov_b32 v0, s12 :: v_dual_mov_b32 v1, s13
	s_mov_b32 s7, exec_lo
	flat_load_b32 v0, v[0:1] offset:36
	s_waitcnt vmcnt(0) lgkmcnt(0)
	v_add_nc_u32_e32 v0, -1, v0
	s_delay_alu instid0(VALU_DEP_1)
	v_cmpx_ne_u32_e32 9, v0
	s_cbranch_execz .LBB10_89
; %bb.88:
	v_cmp_eq_u32_e32 vcc_lo, 1, v0
	v_cmp_eq_u32_e64 s0, 2, v0
	v_cmp_eq_u32_e64 s1, 3, v0
	;; [unrolled: 1-line block ×7, first 2 shown]
	v_cndmask_b32_e64 v37, v4, v11, s0
	v_cndmask_b32_e32 v36, v3, v11, vcc_lo
	v_cndmask_b32_e64 v38, v5, v11, s1
	v_cndmask_b32_e64 v39, v6, v11, s2
	;; [unrolled: 1-line block ×6, first 2 shown]
	v_cndmask_b32_e32 v1, v2, v3, vcc_lo
	v_cmp_eq_u32_e32 vcc_lo, 9, v0
	s_delay_alu instid0(VALU_DEP_2) | instskip(SKIP_1) | instid1(VALU_DEP_2)
	v_cndmask_b32_e64 v1, v1, v4, s0
	v_cmp_eq_u32_e64 s0, 10, v0
	v_cndmask_b32_e64 v1, v1, v5, s1
	s_delay_alu instid0(VALU_DEP_2) | instskip(NEXT) | instid1(VALU_DEP_2)
	v_cndmask_b32_e64 v45, v12, v11, s0
	v_cndmask_b32_e64 v1, v1, v6, s2
	s_delay_alu instid0(VALU_DEP_1) | instskip(NEXT) | instid1(VALU_DEP_1)
	v_cndmask_b32_e64 v1, v1, v7, s3
	v_cndmask_b32_e64 v1, v1, v8, s4
	s_delay_alu instid0(VALU_DEP_1) | instskip(NEXT) | instid1(VALU_DEP_1)
	;; [unrolled: 3-line block ×3, first 2 shown]
	v_cndmask_b32_e32 v1, v1, v11, vcc_lo
	v_cndmask_b32_e64 v1, v1, v12, s0
	s_delay_alu instid0(VALU_DEP_1) | instskip(SKIP_2) | instid1(VALU_DEP_1)
	v_cndmask_b32_e32 v44, v1, v11, vcc_lo
	v_cmp_eq_u32_e32 vcc_lo, 0, v0
	v_cndmask_b32_e32 v35, v2, v11, vcc_lo
	v_mov_b32_e32 v2, v35
	v_dual_mov_b32 v6, v39 :: v_dual_mov_b32 v3, v36
	v_dual_mov_b32 v4, v37 :: v_dual_mov_b32 v5, v38
	;; [unrolled: 1-line block ×5, first 2 shown]
.LBB10_89:
	s_or_b32 exec_lo, exec_lo, s7
	v_dual_mov_b32 v0, s12 :: v_dual_mov_b32 v1, s13
	s_mov_b32 s7, exec_lo
	flat_load_b32 v0, v[0:1] offset:32
	s_waitcnt vmcnt(0) lgkmcnt(0)
	v_add_nc_u32_e32 v0, -1, v0
	s_delay_alu instid0(VALU_DEP_1)
	v_cmpx_ne_u32_e32 8, v0
	s_cbranch_execz .LBB10_91
; %bb.90:
	v_cmp_eq_u32_e32 vcc_lo, 1, v0
	v_cmp_eq_u32_e64 s0, 2, v0
	v_cmp_eq_u32_e64 s1, 3, v0
	;; [unrolled: 1-line block ×4, first 2 shown]
	v_dual_cndmask_b32 v1, v2, v3 :: v_dual_cndmask_b32 v36, v3, v10
	v_cmp_eq_u32_e64 s4, 6, v0
	v_cmp_eq_u32_e64 s5, 7, v0
	;; [unrolled: 1-line block ×3, first 2 shown]
	s_delay_alu instid0(VALU_DEP_4)
	v_cndmask_b32_e64 v1, v1, v4, s0
	v_cmp_eq_u32_e32 vcc_lo, 9, v0
	v_cndmask_b32_e64 v37, v4, v10, s0
	v_cmp_eq_u32_e64 s0, 10, v0
	v_cndmask_b32_e64 v38, v5, v10, s1
	v_cndmask_b32_e64 v1, v1, v5, s1
	;; [unrolled: 1-line block ×8, first 2 shown]
	v_cndmask_b32_e32 v44, v11, v10, vcc_lo
	s_delay_alu instid0(VALU_DEP_3) | instskip(NEXT) | instid1(VALU_DEP_1)
	v_cndmask_b32_e64 v1, v1, v7, s3
	v_cndmask_b32_e64 v1, v1, v8, s4
	s_delay_alu instid0(VALU_DEP_1) | instskip(NEXT) | instid1(VALU_DEP_1)
	v_cndmask_b32_e64 v1, v1, v9, s5
	v_cndmask_b32_e64 v1, v1, v10, s6
	s_delay_alu instid0(VALU_DEP_1) | instskip(SKIP_1) | instid1(VALU_DEP_2)
	v_cndmask_b32_e32 v1, v1, v11, vcc_lo
	v_cmp_eq_u32_e32 vcc_lo, 0, v0
	v_cndmask_b32_e64 v1, v1, v12, s0
	v_cndmask_b32_e32 v35, v2, v10, vcc_lo
	s_delay_alu instid0(VALU_DEP_2) | instskip(NEXT) | instid1(VALU_DEP_2)
	v_cndmask_b32_e64 v43, v1, v10, s6
	v_dual_mov_b32 v2, v35 :: v_dual_mov_b32 v3, v36
	v_dual_mov_b32 v4, v37 :: v_dual_mov_b32 v5, v38
	;; [unrolled: 1-line block ×5, first 2 shown]
	v_mov_b32_e32 v12, v45
.LBB10_91:
	s_or_b32 exec_lo, exec_lo, s7
	v_dual_mov_b32 v0, s12 :: v_dual_mov_b32 v1, s13
	s_mov_b32 s7, exec_lo
	flat_load_b32 v0, v[0:1] offset:28
	s_waitcnt vmcnt(0) lgkmcnt(0)
	v_add_nc_u32_e32 v0, -1, v0
	s_delay_alu instid0(VALU_DEP_1)
	v_cmpx_ne_u32_e32 7, v0
	s_cbranch_execz .LBB10_93
; %bb.92:
	v_cmp_eq_u32_e32 vcc_lo, 1, v0
	v_cmp_eq_u32_e64 s0, 2, v0
	v_cmp_eq_u32_e64 s1, 3, v0
	;; [unrolled: 1-line block ×4, first 2 shown]
	v_dual_cndmask_b32 v1, v2, v3 :: v_dual_cndmask_b32 v36, v3, v9
	v_cmp_eq_u32_e64 s4, 6, v0
	v_cmp_eq_u32_e64 s5, 7, v0
	;; [unrolled: 1-line block ×3, first 2 shown]
	s_delay_alu instid0(VALU_DEP_4)
	v_cndmask_b32_e64 v1, v1, v4, s0
	v_cmp_eq_u32_e32 vcc_lo, 9, v0
	v_cndmask_b32_e64 v37, v4, v9, s0
	v_cmp_eq_u32_e64 s0, 10, v0
	v_cndmask_b32_e64 v38, v5, v9, s1
	v_cndmask_b32_e64 v1, v1, v5, s1
	;; [unrolled: 1-line block ×8, first 2 shown]
	v_cndmask_b32_e32 v44, v11, v9, vcc_lo
	s_delay_alu instid0(VALU_DEP_3) | instskip(NEXT) | instid1(VALU_DEP_1)
	v_cndmask_b32_e64 v1, v1, v7, s3
	v_cndmask_b32_e64 v1, v1, v8, s4
	s_delay_alu instid0(VALU_DEP_1) | instskip(NEXT) | instid1(VALU_DEP_1)
	v_cndmask_b32_e64 v1, v1, v9, s5
	v_cndmask_b32_e64 v1, v1, v10, s6
	s_delay_alu instid0(VALU_DEP_1) | instskip(SKIP_1) | instid1(VALU_DEP_2)
	v_cndmask_b32_e32 v1, v1, v11, vcc_lo
	v_cmp_eq_u32_e32 vcc_lo, 0, v0
	v_cndmask_b32_e64 v1, v1, v12, s0
	v_cndmask_b32_e32 v35, v2, v9, vcc_lo
	s_delay_alu instid0(VALU_DEP_2) | instskip(NEXT) | instid1(VALU_DEP_2)
	v_cndmask_b32_e64 v42, v1, v9, s5
	v_dual_mov_b32 v2, v35 :: v_dual_mov_b32 v3, v36
	v_dual_mov_b32 v4, v37 :: v_dual_mov_b32 v5, v38
	;; [unrolled: 1-line block ×3, first 2 shown]
	s_delay_alu instid0(VALU_DEP_4)
	v_dual_mov_b32 v8, v41 :: v_dual_mov_b32 v9, v42
	v_dual_mov_b32 v10, v43 :: v_dual_mov_b32 v11, v44
	v_mov_b32_e32 v12, v45
.LBB10_93:
	s_or_b32 exec_lo, exec_lo, s7
	v_dual_mov_b32 v0, s12 :: v_dual_mov_b32 v1, s13
	s_mov_b32 s7, exec_lo
	flat_load_b32 v0, v[0:1] offset:24
	s_waitcnt vmcnt(0) lgkmcnt(0)
	v_add_nc_u32_e32 v0, -1, v0
	s_delay_alu instid0(VALU_DEP_1)
	v_cmpx_ne_u32_e32 6, v0
	s_cbranch_execz .LBB10_95
; %bb.94:
	v_cmp_eq_u32_e32 vcc_lo, 1, v0
	v_cmp_eq_u32_e64 s0, 2, v0
	v_cmp_eq_u32_e64 s1, 3, v0
	;; [unrolled: 1-line block ×4, first 2 shown]
	v_dual_cndmask_b32 v1, v2, v3 :: v_dual_cndmask_b32 v36, v3, v8
	v_cmp_eq_u32_e64 s4, 6, v0
	v_cmp_eq_u32_e64 s5, 7, v0
	;; [unrolled: 1-line block ×3, first 2 shown]
	s_delay_alu instid0(VALU_DEP_4)
	v_cndmask_b32_e64 v1, v1, v4, s0
	v_cmp_eq_u32_e32 vcc_lo, 9, v0
	v_cndmask_b32_e64 v37, v4, v8, s0
	v_cmp_eq_u32_e64 s0, 10, v0
	v_cndmask_b32_e64 v38, v5, v8, s1
	v_cndmask_b32_e64 v1, v1, v5, s1
	;; [unrolled: 1-line block ×8, first 2 shown]
	v_cndmask_b32_e32 v44, v11, v8, vcc_lo
	s_delay_alu instid0(VALU_DEP_3) | instskip(NEXT) | instid1(VALU_DEP_1)
	v_cndmask_b32_e64 v1, v1, v7, s3
	v_cndmask_b32_e64 v1, v1, v8, s4
	s_delay_alu instid0(VALU_DEP_1) | instskip(NEXT) | instid1(VALU_DEP_1)
	v_cndmask_b32_e64 v1, v1, v9, s5
	v_cndmask_b32_e64 v1, v1, v10, s6
	s_delay_alu instid0(VALU_DEP_1) | instskip(SKIP_1) | instid1(VALU_DEP_2)
	v_cndmask_b32_e32 v1, v1, v11, vcc_lo
	v_cmp_eq_u32_e32 vcc_lo, 0, v0
	v_cndmask_b32_e64 v1, v1, v12, s0
	v_cndmask_b32_e32 v35, v2, v8, vcc_lo
	s_delay_alu instid0(VALU_DEP_2) | instskip(NEXT) | instid1(VALU_DEP_2)
	v_cndmask_b32_e64 v41, v1, v8, s4
	v_dual_mov_b32 v2, v35 :: v_dual_mov_b32 v3, v36
	v_dual_mov_b32 v4, v37 :: v_dual_mov_b32 v5, v38
	;; [unrolled: 1-line block ×3, first 2 shown]
	s_delay_alu instid0(VALU_DEP_4)
	v_dual_mov_b32 v8, v41 :: v_dual_mov_b32 v9, v42
	v_dual_mov_b32 v10, v43 :: v_dual_mov_b32 v11, v44
	v_mov_b32_e32 v12, v45
.LBB10_95:
	s_or_b32 exec_lo, exec_lo, s7
	v_dual_mov_b32 v0, s12 :: v_dual_mov_b32 v1, s13
	s_mov_b32 s7, exec_lo
	flat_load_b32 v0, v[0:1] offset:20
	s_waitcnt vmcnt(0) lgkmcnt(0)
	v_add_nc_u32_e32 v0, -1, v0
	s_delay_alu instid0(VALU_DEP_1)
	v_cmpx_ne_u32_e32 5, v0
	s_cbranch_execz .LBB10_97
; %bb.96:
	v_cmp_eq_u32_e32 vcc_lo, 1, v0
	v_cmp_eq_u32_e64 s0, 2, v0
	v_cmp_eq_u32_e64 s1, 3, v0
	;; [unrolled: 1-line block ×6, first 2 shown]
	v_cndmask_b32_e64 v37, v4, v7, s0
	v_cndmask_b32_e32 v36, v3, v7, vcc_lo
	v_cndmask_b32_e64 v38, v5, v7, s1
	v_cndmask_b32_e64 v39, v6, v7, s2
	;; [unrolled: 1-line block ×5, first 2 shown]
	v_cndmask_b32_e32 v1, v2, v3, vcc_lo
	v_cmp_eq_u32_e64 s3, 5, v0
	v_cmp_eq_u32_e32 vcc_lo, 9, v0
	s_delay_alu instid0(VALU_DEP_3) | instskip(SKIP_2) | instid1(VALU_DEP_3)
	v_cndmask_b32_e64 v1, v1, v4, s0
	v_cmp_eq_u32_e64 s0, 10, v0
	v_cndmask_b32_e32 v44, v11, v7, vcc_lo
	v_cndmask_b32_e64 v1, v1, v5, s1
	s_delay_alu instid0(VALU_DEP_3) | instskip(NEXT) | instid1(VALU_DEP_2)
	v_cndmask_b32_e64 v45, v12, v7, s0
	v_cndmask_b32_e64 v1, v1, v6, s2
	s_delay_alu instid0(VALU_DEP_1) | instskip(NEXT) | instid1(VALU_DEP_1)
	v_cndmask_b32_e64 v1, v1, v7, s3
	v_cndmask_b32_e64 v1, v1, v8, s4
	s_delay_alu instid0(VALU_DEP_1) | instskip(NEXT) | instid1(VALU_DEP_1)
	v_cndmask_b32_e64 v1, v1, v9, s5
	v_cndmask_b32_e64 v1, v1, v10, s6
	s_delay_alu instid0(VALU_DEP_1) | instskip(SKIP_1) | instid1(VALU_DEP_2)
	v_cndmask_b32_e32 v1, v1, v11, vcc_lo
	v_cmp_eq_u32_e32 vcc_lo, 0, v0
	v_cndmask_b32_e64 v1, v1, v12, s0
	v_cndmask_b32_e32 v35, v2, v7, vcc_lo
	s_delay_alu instid0(VALU_DEP_2) | instskip(NEXT) | instid1(VALU_DEP_2)
	v_cndmask_b32_e64 v40, v1, v7, s3
	v_mov_b32_e32 v2, v35
	v_dual_mov_b32 v6, v39 :: v_dual_mov_b32 v3, v36
	v_dual_mov_b32 v4, v37 :: v_dual_mov_b32 v5, v38
	s_delay_alu instid0(VALU_DEP_4)
	v_dual_mov_b32 v8, v41 :: v_dual_mov_b32 v7, v40
	v_dual_mov_b32 v10, v43 :: v_dual_mov_b32 v9, v42
	;; [unrolled: 1-line block ×3, first 2 shown]
.LBB10_97:
	s_or_b32 exec_lo, exec_lo, s7
	v_dual_mov_b32 v0, s12 :: v_dual_mov_b32 v1, s13
	s_mov_b32 s7, exec_lo
	flat_load_b32 v0, v[0:1] offset:16
	s_waitcnt vmcnt(0) lgkmcnt(0)
	v_add_nc_u32_e32 v0, -1, v0
	s_delay_alu instid0(VALU_DEP_1)
	v_cmpx_ne_u32_e32 4, v0
	s_cbranch_execz .LBB10_99
; %bb.98:
	v_cmp_eq_u32_e32 vcc_lo, 1, v0
	v_cmp_eq_u32_e64 s0, 2, v0
	v_cmp_eq_u32_e64 s1, 3, v0
	;; [unrolled: 1-line block ×4, first 2 shown]
	v_dual_cndmask_b32 v1, v2, v3 :: v_dual_cndmask_b32 v36, v3, v6
	v_cmp_eq_u32_e64 s4, 6, v0
	v_cmp_eq_u32_e64 s5, 7, v0
	;; [unrolled: 1-line block ×3, first 2 shown]
	s_delay_alu instid0(VALU_DEP_4)
	v_cndmask_b32_e64 v1, v1, v4, s0
	v_cmp_eq_u32_e32 vcc_lo, 9, v0
	v_cndmask_b32_e64 v37, v4, v6, s0
	v_cmp_eq_u32_e64 s0, 10, v0
	v_cndmask_b32_e64 v38, v5, v6, s1
	v_cndmask_b32_e64 v1, v1, v5, s1
	;; [unrolled: 1-line block ×8, first 2 shown]
	v_cndmask_b32_e32 v44, v11, v6, vcc_lo
	s_delay_alu instid0(VALU_DEP_3) | instskip(NEXT) | instid1(VALU_DEP_1)
	v_cndmask_b32_e64 v1, v1, v7, s3
	v_cndmask_b32_e64 v1, v1, v8, s4
	s_delay_alu instid0(VALU_DEP_1) | instskip(NEXT) | instid1(VALU_DEP_1)
	v_cndmask_b32_e64 v1, v1, v9, s5
	v_cndmask_b32_e64 v1, v1, v10, s6
	s_delay_alu instid0(VALU_DEP_1) | instskip(SKIP_1) | instid1(VALU_DEP_2)
	v_cndmask_b32_e32 v1, v1, v11, vcc_lo
	v_cmp_eq_u32_e32 vcc_lo, 0, v0
	v_cndmask_b32_e64 v1, v1, v12, s0
	v_cndmask_b32_e32 v35, v2, v6, vcc_lo
	s_delay_alu instid0(VALU_DEP_2) | instskip(NEXT) | instid1(VALU_DEP_2)
	v_cndmask_b32_e64 v39, v1, v6, s2
	v_dual_mov_b32 v2, v35 :: v_dual_mov_b32 v3, v36
	v_dual_mov_b32 v4, v37 :: v_dual_mov_b32 v5, v38
	s_delay_alu instid0(VALU_DEP_3)
	v_dual_mov_b32 v6, v39 :: v_dual_mov_b32 v7, v40
	v_dual_mov_b32 v8, v41 :: v_dual_mov_b32 v9, v42
	;; [unrolled: 1-line block ×3, first 2 shown]
	v_mov_b32_e32 v12, v45
.LBB10_99:
	s_or_b32 exec_lo, exec_lo, s7
	v_dual_mov_b32 v0, s12 :: v_dual_mov_b32 v1, s13
	s_mov_b32 s7, exec_lo
	flat_load_b32 v0, v[0:1] offset:12
	s_waitcnt vmcnt(0) lgkmcnt(0)
	v_add_nc_u32_e32 v0, -1, v0
	s_delay_alu instid0(VALU_DEP_1)
	v_cmpx_ne_u32_e32 3, v0
	s_cbranch_execz .LBB10_101
; %bb.100:
	v_cmp_eq_u32_e32 vcc_lo, 1, v0
	v_cmp_eq_u32_e64 s0, 2, v0
	v_cmp_eq_u32_e64 s1, 3, v0
	;; [unrolled: 1-line block ×4, first 2 shown]
	v_dual_cndmask_b32 v1, v2, v3 :: v_dual_cndmask_b32 v36, v3, v5
	v_cmp_eq_u32_e64 s4, 6, v0
	v_cmp_eq_u32_e64 s5, 7, v0
	;; [unrolled: 1-line block ×3, first 2 shown]
	s_delay_alu instid0(VALU_DEP_4)
	v_cndmask_b32_e64 v1, v1, v4, s0
	v_cmp_eq_u32_e32 vcc_lo, 9, v0
	v_cndmask_b32_e64 v37, v4, v5, s0
	v_cmp_eq_u32_e64 s0, 10, v0
	v_cndmask_b32_e64 v39, v6, v5, s2
	v_cndmask_b32_e64 v1, v1, v5, s1
	;; [unrolled: 1-line block ×8, first 2 shown]
	v_cndmask_b32_e32 v44, v11, v5, vcc_lo
	s_delay_alu instid0(VALU_DEP_3) | instskip(NEXT) | instid1(VALU_DEP_1)
	v_cndmask_b32_e64 v1, v1, v7, s3
	v_cndmask_b32_e64 v1, v1, v8, s4
	s_delay_alu instid0(VALU_DEP_1) | instskip(NEXT) | instid1(VALU_DEP_1)
	v_cndmask_b32_e64 v1, v1, v9, s5
	v_cndmask_b32_e64 v1, v1, v10, s6
	s_delay_alu instid0(VALU_DEP_1) | instskip(SKIP_1) | instid1(VALU_DEP_2)
	v_cndmask_b32_e32 v1, v1, v11, vcc_lo
	v_cmp_eq_u32_e32 vcc_lo, 0, v0
	v_cndmask_b32_e64 v1, v1, v12, s0
	v_cndmask_b32_e32 v35, v2, v5, vcc_lo
	s_delay_alu instid0(VALU_DEP_2) | instskip(NEXT) | instid1(VALU_DEP_2)
	v_cndmask_b32_e64 v38, v1, v5, s1
	v_dual_mov_b32 v2, v35 :: v_dual_mov_b32 v3, v36
	v_mov_b32_e32 v4, v37
	v_dual_mov_b32 v6, v39 :: v_dual_mov_b32 v7, v40
	s_delay_alu instid0(VALU_DEP_4)
	v_dual_mov_b32 v5, v38 :: v_dual_mov_b32 v8, v41
	v_dual_mov_b32 v9, v42 :: v_dual_mov_b32 v10, v43
	;; [unrolled: 1-line block ×3, first 2 shown]
.LBB10_101:
	s_or_b32 exec_lo, exec_lo, s7
	v_dual_mov_b32 v0, s12 :: v_dual_mov_b32 v1, s13
	s_mov_b32 s7, exec_lo
	flat_load_b32 v0, v[0:1] offset:8
	s_waitcnt vmcnt(0) lgkmcnt(0)
	v_add_nc_u32_e32 v0, -1, v0
	s_delay_alu instid0(VALU_DEP_1)
	v_cmpx_ne_u32_e32 2, v0
	s_cbranch_execz .LBB10_103
; %bb.102:
	v_cmp_eq_u32_e32 vcc_lo, 1, v0
	v_cmp_eq_u32_e64 s0, 2, v0
	v_cmp_eq_u32_e64 s1, 3, v0
	;; [unrolled: 1-line block ×4, first 2 shown]
	v_dual_cndmask_b32 v1, v2, v3 :: v_dual_cndmask_b32 v36, v3, v4
	v_cmp_eq_u32_e64 s4, 6, v0
	v_cmp_eq_u32_e64 s5, 7, v0
	;; [unrolled: 1-line block ×3, first 2 shown]
	s_delay_alu instid0(VALU_DEP_4)
	v_cndmask_b32_e64 v1, v1, v4, s0
	v_cmp_eq_u32_e32 vcc_lo, 9, v0
	v_cndmask_b32_e64 v38, v5, v4, s1
	v_cndmask_b32_e64 v39, v6, v4, s2
	;; [unrolled: 1-line block ×4, first 2 shown]
	v_cmp_eq_u32_e64 s1, 10, v0
	v_cndmask_b32_e64 v41, v8, v4, s4
	v_cndmask_b32_e64 v42, v9, v4, s5
	;; [unrolled: 1-line block ×5, first 2 shown]
	v_cndmask_b32_e32 v44, v11, v4, vcc_lo
	s_delay_alu instid0(VALU_DEP_3) | instskip(NEXT) | instid1(VALU_DEP_1)
	v_cndmask_b32_e64 v1, v1, v7, s3
	v_cndmask_b32_e64 v1, v1, v8, s4
	s_delay_alu instid0(VALU_DEP_1) | instskip(NEXT) | instid1(VALU_DEP_1)
	v_cndmask_b32_e64 v1, v1, v9, s5
	v_cndmask_b32_e64 v1, v1, v10, s6
	s_delay_alu instid0(VALU_DEP_1) | instskip(SKIP_1) | instid1(VALU_DEP_2)
	v_cndmask_b32_e32 v1, v1, v11, vcc_lo
	v_cmp_eq_u32_e32 vcc_lo, 0, v0
	v_cndmask_b32_e64 v1, v1, v12, s1
	v_cndmask_b32_e32 v35, v2, v4, vcc_lo
	s_delay_alu instid0(VALU_DEP_2) | instskip(NEXT) | instid1(VALU_DEP_2)
	v_cndmask_b32_e64 v37, v1, v4, s0
	v_dual_mov_b32 v2, v35 :: v_dual_mov_b32 v3, v36
	v_dual_mov_b32 v6, v39 :: v_dual_mov_b32 v7, v40
	s_delay_alu instid0(VALU_DEP_3)
	v_dual_mov_b32 v4, v37 :: v_dual_mov_b32 v5, v38
	v_dual_mov_b32 v8, v41 :: v_dual_mov_b32 v9, v42
	;; [unrolled: 1-line block ×3, first 2 shown]
	v_mov_b32_e32 v12, v45
.LBB10_103:
	s_or_b32 exec_lo, exec_lo, s7
	v_dual_mov_b32 v0, s12 :: v_dual_mov_b32 v1, s13
	s_mov_b32 s7, exec_lo
	flat_load_b32 v0, v[0:1] offset:4
	s_waitcnt vmcnt(0) lgkmcnt(0)
	v_add_nc_u32_e32 v0, -1, v0
	s_delay_alu instid0(VALU_DEP_1)
	v_cmpx_ne_u32_e32 1, v0
	s_cbranch_execz .LBB10_105
; %bb.104:
	v_cmp_eq_u32_e32 vcc_lo, 1, v0
	v_cmp_eq_u32_e64 s0, 2, v0
	v_cmp_eq_u32_e64 s1, 3, v0
	;; [unrolled: 1-line block ×7, first 2 shown]
	v_cndmask_b32_e64 v37, v4, v3, s0
	v_cndmask_b32_e64 v38, v5, v3, s1
	;; [unrolled: 1-line block ×7, first 2 shown]
	v_cndmask_b32_e32 v1, v2, v3, vcc_lo
	s_delay_alu instid0(VALU_DEP_1) | instskip(SKIP_1) | instid1(VALU_DEP_2)
	v_cndmask_b32_e64 v1, v1, v4, s0
	v_cmp_eq_u32_e64 s0, 9, v0
	v_cndmask_b32_e64 v1, v1, v5, s1
	v_cmp_eq_u32_e64 s1, 10, v0
	s_delay_alu instid0(VALU_DEP_3) | instskip(NEXT) | instid1(VALU_DEP_3)
	v_cndmask_b32_e64 v44, v11, v3, s0
	v_cndmask_b32_e64 v1, v1, v6, s2
	s_delay_alu instid0(VALU_DEP_3) | instskip(NEXT) | instid1(VALU_DEP_2)
	v_cndmask_b32_e64 v45, v12, v3, s1
	v_cndmask_b32_e64 v1, v1, v7, s3
	s_delay_alu instid0(VALU_DEP_1) | instskip(NEXT) | instid1(VALU_DEP_1)
	v_cndmask_b32_e64 v1, v1, v8, s4
	v_cndmask_b32_e64 v1, v1, v9, s5
	s_delay_alu instid0(VALU_DEP_1) | instskip(NEXT) | instid1(VALU_DEP_1)
	;; [unrolled: 3-line block ×3, first 2 shown]
	v_cndmask_b32_e64 v1, v1, v12, s1
	v_cndmask_b32_e32 v36, v1, v3, vcc_lo
	v_cmp_eq_u32_e32 vcc_lo, 0, v0
	v_cndmask_b32_e32 v35, v2, v3, vcc_lo
	s_delay_alu instid0(VALU_DEP_1)
	v_dual_mov_b32 v2, v35 :: v_dual_mov_b32 v3, v36
	v_dual_mov_b32 v4, v37 :: v_dual_mov_b32 v5, v38
	;; [unrolled: 1-line block ×5, first 2 shown]
	v_mov_b32_e32 v12, v45
.LBB10_105:
	s_or_b32 exec_lo, exec_lo, s7
	v_dual_mov_b32 v0, s12 :: v_dual_mov_b32 v1, s13
	s_mov_b32 s7, exec_lo
	flat_load_b32 v0, v[0:1]
	s_waitcnt vmcnt(0) lgkmcnt(0)
	v_add_nc_u32_e32 v0, -1, v0
	s_delay_alu instid0(VALU_DEP_1)
	v_cmpx_ne_u32_e32 0, v0
	s_cbranch_execz .LBB10_107
; %bb.106:
	v_cmp_eq_u32_e32 vcc_lo, 1, v0
	v_cmp_eq_u32_e64 s0, 2, v0
	v_cmp_eq_u32_e64 s1, 3, v0
	;; [unrolled: 1-line block ×4, first 2 shown]
	v_dual_cndmask_b32 v1, v2, v3 :: v_dual_cndmask_b32 v36, v3, v2
	v_cmp_eq_u32_e64 s4, 6, v0
	v_cmp_eq_u32_e64 s5, 7, v0
	;; [unrolled: 1-line block ×3, first 2 shown]
	s_delay_alu instid0(VALU_DEP_4)
	v_cndmask_b32_e64 v1, v1, v4, s0
	v_cndmask_b32_e64 v37, v4, v2, s0
	v_cmp_eq_u32_e64 s0, 9, v0
	v_cndmask_b32_e64 v38, v5, v2, s1
	v_cndmask_b32_e64 v39, v6, v2, s2
	v_cndmask_b32_e64 v1, v1, v5, s1
	v_cmp_eq_u32_e64 s1, 10, v0
	v_cndmask_b32_e64 v44, v11, v2, s0
	v_cndmask_b32_e64 v40, v7, v2, s3
	;; [unrolled: 1-line block ×7, first 2 shown]
	s_delay_alu instid0(VALU_DEP_4) | instskip(NEXT) | instid1(VALU_DEP_1)
	v_cndmask_b32_e64 v1, v1, v7, s3
	v_cndmask_b32_e64 v1, v1, v8, s4
	s_delay_alu instid0(VALU_DEP_1) | instskip(NEXT) | instid1(VALU_DEP_1)
	v_cndmask_b32_e64 v1, v1, v9, s5
	v_cndmask_b32_e64 v1, v1, v10, s6
	s_delay_alu instid0(VALU_DEP_1) | instskip(SKIP_1) | instid1(VALU_DEP_2)
	v_cndmask_b32_e64 v1, v1, v11, s0
	v_cmp_eq_u32_e64 s0, 0, v0
	v_cndmask_b32_e64 v1, v1, v12, s1
	s_delay_alu instid0(VALU_DEP_1) | instskip(NEXT) | instid1(VALU_DEP_1)
	v_cndmask_b32_e64 v35, v1, v2, s0
	v_dual_mov_b32 v2, v35 :: v_dual_mov_b32 v3, v36
	v_dual_mov_b32 v4, v37 :: v_dual_mov_b32 v5, v38
	;; [unrolled: 1-line block ×5, first 2 shown]
	v_mov_b32_e32 v12, v45
.LBB10_107:
	s_or_b32 exec_lo, exec_lo, s7
.LBB10_108:
	s_clause 0xa
	global_store_b32 v[13:14], v2, off
	global_store_b32 v[15:16], v3, off
	;; [unrolled: 1-line block ×11, first 2 shown]
	s_nop 0
	s_sendmsg sendmsg(MSG_DEALLOC_VGPRS)
	s_endpgm
	.section	.rodata,"a",@progbits
	.p2align	6, 0x0
	.amdhsa_kernel _ZN9rocsolver6v33100L18getri_kernel_smallILi11EfPfEEvT1_iilPiilS4_bb
		.amdhsa_group_segment_fixed_size 92
		.amdhsa_private_segment_fixed_size 0
		.amdhsa_kernarg_size 60
		.amdhsa_user_sgpr_count 15
		.amdhsa_user_sgpr_dispatch_ptr 0
		.amdhsa_user_sgpr_queue_ptr 0
		.amdhsa_user_sgpr_kernarg_segment_ptr 1
		.amdhsa_user_sgpr_dispatch_id 0
		.amdhsa_user_sgpr_private_segment_size 0
		.amdhsa_wavefront_size32 1
		.amdhsa_uses_dynamic_stack 0
		.amdhsa_enable_private_segment 0
		.amdhsa_system_sgpr_workgroup_id_x 1
		.amdhsa_system_sgpr_workgroup_id_y 0
		.amdhsa_system_sgpr_workgroup_id_z 0
		.amdhsa_system_sgpr_workgroup_info 0
		.amdhsa_system_vgpr_workitem_id 0
		.amdhsa_next_free_vgpr 47
		.amdhsa_next_free_sgpr 18
		.amdhsa_reserve_vcc 1
		.amdhsa_float_round_mode_32 0
		.amdhsa_float_round_mode_16_64 0
		.amdhsa_float_denorm_mode_32 3
		.amdhsa_float_denorm_mode_16_64 3
		.amdhsa_dx10_clamp 1
		.amdhsa_ieee_mode 1
		.amdhsa_fp16_overflow 0
		.amdhsa_workgroup_processor_mode 1
		.amdhsa_memory_ordered 1
		.amdhsa_forward_progress 0
		.amdhsa_shared_vgpr_count 0
		.amdhsa_exception_fp_ieee_invalid_op 0
		.amdhsa_exception_fp_denorm_src 0
		.amdhsa_exception_fp_ieee_div_zero 0
		.amdhsa_exception_fp_ieee_overflow 0
		.amdhsa_exception_fp_ieee_underflow 0
		.amdhsa_exception_fp_ieee_inexact 0
		.amdhsa_exception_int_div_zero 0
	.end_amdhsa_kernel
	.section	.text._ZN9rocsolver6v33100L18getri_kernel_smallILi11EfPfEEvT1_iilPiilS4_bb,"axG",@progbits,_ZN9rocsolver6v33100L18getri_kernel_smallILi11EfPfEEvT1_iilPiilS4_bb,comdat
.Lfunc_end10:
	.size	_ZN9rocsolver6v33100L18getri_kernel_smallILi11EfPfEEvT1_iilPiilS4_bb, .Lfunc_end10-_ZN9rocsolver6v33100L18getri_kernel_smallILi11EfPfEEvT1_iilPiilS4_bb
                                        ; -- End function
	.section	.AMDGPU.csdata,"",@progbits
; Kernel info:
; codeLenInByte = 11072
; NumSgprs: 20
; NumVgprs: 47
; ScratchSize: 0
; MemoryBound: 0
; FloatMode: 240
; IeeeMode: 1
; LDSByteSize: 92 bytes/workgroup (compile time only)
; SGPRBlocks: 2
; VGPRBlocks: 5
; NumSGPRsForWavesPerEU: 20
; NumVGPRsForWavesPerEU: 47
; Occupancy: 16
; WaveLimiterHint : 0
; COMPUTE_PGM_RSRC2:SCRATCH_EN: 0
; COMPUTE_PGM_RSRC2:USER_SGPR: 15
; COMPUTE_PGM_RSRC2:TRAP_HANDLER: 0
; COMPUTE_PGM_RSRC2:TGID_X_EN: 1
; COMPUTE_PGM_RSRC2:TGID_Y_EN: 0
; COMPUTE_PGM_RSRC2:TGID_Z_EN: 0
; COMPUTE_PGM_RSRC2:TIDIG_COMP_CNT: 0
	.section	.text._ZN9rocsolver6v33100L18getri_kernel_smallILi12EfPfEEvT1_iilPiilS4_bb,"axG",@progbits,_ZN9rocsolver6v33100L18getri_kernel_smallILi12EfPfEEvT1_iilPiilS4_bb,comdat
	.globl	_ZN9rocsolver6v33100L18getri_kernel_smallILi12EfPfEEvT1_iilPiilS4_bb ; -- Begin function _ZN9rocsolver6v33100L18getri_kernel_smallILi12EfPfEEvT1_iilPiilS4_bb
	.p2align	8
	.type	_ZN9rocsolver6v33100L18getri_kernel_smallILi12EfPfEEvT1_iilPiilS4_bb,@function
_ZN9rocsolver6v33100L18getri_kernel_smallILi12EfPfEEvT1_iilPiilS4_bb: ; @_ZN9rocsolver6v33100L18getri_kernel_smallILi12EfPfEEvT1_iilPiilS4_bb
; %bb.0:
	s_mov_b32 s2, exec_lo
	v_cmpx_gt_u32_e32 12, v0
	s_cbranch_execz .LBB11_16
; %bb.1:
	s_clause 0x2
	s_load_b32 s17, s[0:1], 0x38
	s_load_b128 s[8:11], s[0:1], 0x10
	s_load_b128 s[4:7], s[0:1], 0x28
	s_mov_b32 s14, s15
                                        ; implicit-def: $sgpr12_sgpr13
	s_waitcnt lgkmcnt(0)
	s_bitcmp1_b32 s17, 8
	s_cselect_b32 s16, -1, 0
	s_bfe_u32 s2, s17, 0x10008
	s_ashr_i32 s15, s15, 31
	s_cmp_eq_u32 s2, 0
	s_cbranch_scc1 .LBB11_3
; %bb.2:
	s_load_b32 s2, s[0:1], 0x20
	s_mul_i32 s3, s14, s5
	s_mul_hi_u32 s5, s14, s4
	s_mul_i32 s12, s15, s4
	s_add_i32 s3, s5, s3
	s_mul_i32 s4, s14, s4
	s_add_i32 s5, s3, s12
	s_delay_alu instid0(SALU_CYCLE_1)
	s_lshl_b64 s[4:5], s[4:5], 2
	s_waitcnt lgkmcnt(0)
	s_ashr_i32 s3, s2, 31
	s_add_u32 s4, s10, s4
	s_addc_u32 s5, s11, s5
	s_lshl_b64 s[2:3], s[2:3], 2
	s_delay_alu instid0(SALU_CYCLE_1)
	s_add_u32 s12, s4, s2
	s_addc_u32 s13, s5, s3
.LBB11_3:
	s_load_b128 s[0:3], s[0:1], 0x0
	s_mul_i32 s4, s14, s9
	s_mul_hi_u32 s5, s14, s8
	s_mul_i32 s9, s15, s8
	s_add_i32 s5, s5, s4
	s_mul_i32 s4, s14, s8
	s_add_i32 s5, s5, s9
	v_lshlrev_b32_e32 v38, 2, v0
	s_lshl_b64 s[4:5], s[4:5], 2
	s_waitcnt lgkmcnt(0)
	v_add3_u32 v1, s3, s3, v0
	s_ashr_i32 s9, s2, 31
	s_mov_b32 s8, s2
	s_add_u32 s2, s0, s4
	s_addc_u32 s5, s1, s5
	v_add_nc_u32_e32 v3, s3, v1
	s_lshl_b64 s[0:1], s[8:9], 2
	v_ashrrev_i32_e32 v2, 31, v1
	s_add_u32 s0, s2, s0
	s_addc_u32 s1, s5, s1
	v_add_co_u32 v14, s2, s0, v38
	v_add_nc_u32_e32 v5, s3, v3
	s_mov_b32 s4, s3
	s_ashr_i32 s5, s3, 31
	v_add_co_ci_u32_e64 v15, null, s1, 0, s2
	v_lshlrev_b64 v[1:2], 2, v[1:2]
	v_ashrrev_i32_e32 v4, 31, v3
	s_lshl_b64 s[4:5], s[4:5], 2
	v_ashrrev_i32_e32 v6, 31, v5
	v_add_co_u32 v16, vcc_lo, v14, s4
	v_add_nc_u32_e32 v7, s3, v5
	v_add_co_ci_u32_e32 v17, vcc_lo, s5, v15, vcc_lo
	v_lshlrev_b64 v[3:4], 2, v[3:4]
	v_add_co_u32 v18, vcc_lo, s0, v1
	v_add_co_ci_u32_e32 v19, vcc_lo, s1, v2, vcc_lo
	v_lshlrev_b64 v[1:2], 2, v[5:6]
	v_ashrrev_i32_e32 v8, 31, v7
	v_add_nc_u32_e32 v5, s3, v7
	v_add_co_u32 v20, vcc_lo, s0, v3
	v_add_co_ci_u32_e32 v21, vcc_lo, s1, v4, vcc_lo
	s_delay_alu instid0(VALU_DEP_4) | instskip(NEXT) | instid1(VALU_DEP_4)
	v_lshlrev_b64 v[3:4], 2, v[7:8]
	v_ashrrev_i32_e32 v6, 31, v5
	v_add_nc_u32_e32 v7, s3, v5
	v_add_co_u32 v22, vcc_lo, s0, v1
	v_add_co_ci_u32_e32 v23, vcc_lo, s1, v2, vcc_lo
	s_delay_alu instid0(VALU_DEP_4) | instskip(NEXT) | instid1(VALU_DEP_4)
	;; [unrolled: 6-line block ×5, first 2 shown]
	v_lshlrev_b64 v[3:4], 2, v[7:8]
	v_add_nc_u32_e32 v7, s3, v5
	v_ashrrev_i32_e32 v6, 31, v5
	v_add_co_u32 v30, vcc_lo, s0, v1
	v_add_co_ci_u32_e32 v31, vcc_lo, s1, v2, vcc_lo
	s_delay_alu instid0(VALU_DEP_4) | instskip(NEXT) | instid1(VALU_DEP_4)
	v_ashrrev_i32_e32 v8, 31, v7
	v_lshlrev_b64 v[1:2], 2, v[5:6]
	v_add_co_u32 v32, vcc_lo, s0, v3
	v_add_co_ci_u32_e32 v33, vcc_lo, s1, v4, vcc_lo
	s_delay_alu instid0(VALU_DEP_4) | instskip(NEXT) | instid1(VALU_DEP_4)
	v_lshlrev_b64 v[3:4], 2, v[7:8]
	v_add_co_u32 v34, vcc_lo, s0, v1
	v_mov_b32_e32 v1, 0
	v_add_co_ci_u32_e32 v35, vcc_lo, s1, v2, vcc_lo
	s_delay_alu instid0(VALU_DEP_4)
	v_add_co_u32 v36, vcc_lo, s0, v3
	v_add_co_ci_u32_e32 v37, vcc_lo, s1, v4, vcc_lo
	s_clause 0xb
	global_load_b32 v3, v[16:17], off
	global_load_b32 v4, v[18:19], off
	global_load_b32 v5, v[20:21], off
	global_load_b32 v6, v[22:23], off
	global_load_b32 v7, v[24:25], off
	global_load_b32 v8, v[26:27], off
	global_load_b32 v9, v[28:29], off
	global_load_b32 v10, v[30:31], off
	global_load_b32 v11, v[32:33], off
	global_load_b32 v12, v[34:35], off
	global_load_b32 v2, v38, s[0:1]
	global_load_b32 v13, v[36:37], off
	s_bitcmp0_b32 s17, 0
	s_mov_b32 s0, -1
	s_cbranch_scc1 .LBB11_14
; %bb.4:
	v_cmp_eq_u32_e64 s0, 0, v0
	s_delay_alu instid0(VALU_DEP_1)
	s_and_saveexec_b32 s1, s0
	s_cbranch_execz .LBB11_6
; %bb.5:
	v_mov_b32_e32 v39, 0
	ds_store_b32 v39, v39 offset:96
.LBB11_6:
	s_or_b32 exec_lo, exec_lo, s1
	v_cmp_eq_u32_e32 vcc_lo, 1, v0
	s_mov_b32 s2, exec_lo
	s_waitcnt vmcnt(0) lgkmcnt(0)
	s_barrier
	buffer_gl0_inv
	v_cndmask_b32_e32 v39, v2, v3, vcc_lo
	v_cmp_eq_u32_e32 vcc_lo, 2, v0
	s_delay_alu instid0(VALU_DEP_2) | instskip(SKIP_1) | instid1(VALU_DEP_2)
	v_cndmask_b32_e32 v39, v39, v4, vcc_lo
	v_cmp_eq_u32_e32 vcc_lo, 3, v0
	v_cndmask_b32_e32 v39, v39, v5, vcc_lo
	v_cmp_eq_u32_e32 vcc_lo, 4, v0
	s_delay_alu instid0(VALU_DEP_2) | instskip(SKIP_1) | instid1(VALU_DEP_2)
	v_cndmask_b32_e32 v39, v39, v6, vcc_lo
	v_cmp_eq_u32_e32 vcc_lo, 5, v0
	;; [unrolled: 5-line block ×5, first 2 shown]
	v_cndmask_b32_e32 v39, v39, v13, vcc_lo
	s_delay_alu instid0(VALU_DEP_1)
	v_cmpx_eq_f32_e32 0, v39
	s_cbranch_execz .LBB11_10
; %bb.7:
	v_mov_b32_e32 v40, 0
	ds_load_b32 v41, v40 offset:96
	s_waitcnt lgkmcnt(0)
	v_readfirstlane_b32 s1, v41
	v_add_nc_u32_e32 v41, 1, v0
	s_delay_alu instid0(VALU_DEP_2) | instskip(NEXT) | instid1(VALU_DEP_1)
	s_cmp_eq_u32 s1, 0
	v_cmp_gt_i32_e32 vcc_lo, s1, v41
	s_cselect_b32 s3, -1, 0
	s_delay_alu instid0(SALU_CYCLE_1) | instskip(NEXT) | instid1(SALU_CYCLE_1)
	s_or_b32 s3, s3, vcc_lo
	s_and_b32 exec_lo, exec_lo, s3
	s_cbranch_execz .LBB11_10
; %bb.8:
	v_mov_b32_e32 v42, s1
	s_mov_b32 s3, 0
.LBB11_9:                               ; =>This Inner Loop Header: Depth=1
	ds_cmpstore_rtn_b32 v42, v40, v41, v42 offset:96
	s_waitcnt lgkmcnt(0)
	v_cmp_ne_u32_e32 vcc_lo, 0, v42
	v_cmp_le_i32_e64 s1, v42, v41
	s_delay_alu instid0(VALU_DEP_1) | instskip(NEXT) | instid1(SALU_CYCLE_1)
	s_and_b32 s1, vcc_lo, s1
	s_and_b32 s1, exec_lo, s1
	s_delay_alu instid0(SALU_CYCLE_1) | instskip(NEXT) | instid1(SALU_CYCLE_1)
	s_or_b32 s3, s1, s3
	s_and_not1_b32 exec_lo, exec_lo, s3
	s_cbranch_execnz .LBB11_9
.LBB11_10:
	s_or_b32 exec_lo, exec_lo, s2
	v_mov_b32_e32 v40, 0
	s_barrier
	buffer_gl0_inv
	ds_load_b32 v41, v40 offset:96
	s_and_saveexec_b32 s1, s0
	s_cbranch_execz .LBB11_12
; %bb.11:
	s_lshl_b64 s[2:3], s[14:15], 2
	s_delay_alu instid0(SALU_CYCLE_1)
	s_add_u32 s2, s6, s2
	s_addc_u32 s3, s7, s3
	s_waitcnt lgkmcnt(0)
	global_store_b32 v40, v41, s[2:3]
.LBB11_12:
	s_or_b32 exec_lo, exec_lo, s1
	s_waitcnt lgkmcnt(0)
	v_cmp_ne_u32_e32 vcc_lo, 0, v41
	s_cbranch_vccz .LBB11_17
; %bb.13:
	s_mov_b32 s0, 0
                                        ; implicit-def: $vgpr2_vgpr3_vgpr4_vgpr5_vgpr6_vgpr7_vgpr8_vgpr9_vgpr10_vgpr11_vgpr12_vgpr13
.LBB11_14:
	s_delay_alu instid0(SALU_CYCLE_1)
	s_and_b32 vcc_lo, exec_lo, s0
	s_cbranch_vccz .LBB11_16
.LBB11_15:
	s_lshl_b64 s[0:1], s[14:15], 2
	v_mov_b32_e32 v1, 0
	s_add_u32 s0, s6, s0
	s_addc_u32 s1, s7, s1
	global_load_b32 v1, v1, s[0:1]
	s_waitcnt vmcnt(0)
	v_cmp_ne_u32_e32 vcc_lo, 0, v1
	s_cbranch_vccz .LBB11_70
.LBB11_16:
	s_nop 0
	s_sendmsg sendmsg(MSG_DEALLOC_VGPRS)
	s_endpgm
.LBB11_17:
	v_div_scale_f32 v40, null, v39, v39, 1.0
	v_div_scale_f32 v43, vcc_lo, 1.0, v39, 1.0
	s_delay_alu instid0(VALU_DEP_2) | instskip(SKIP_2) | instid1(VALU_DEP_1)
	v_rcp_f32_e32 v41, v40
	s_waitcnt_depctr 0xfff
	v_fma_f32 v42, -v40, v41, 1.0
	v_fmac_f32_e32 v41, v42, v41
	s_delay_alu instid0(VALU_DEP_1) | instskip(NEXT) | instid1(VALU_DEP_1)
	v_mul_f32_e32 v42, v43, v41
	v_fma_f32 v44, -v40, v42, v43
	s_delay_alu instid0(VALU_DEP_1) | instskip(NEXT) | instid1(VALU_DEP_1)
	v_fmac_f32_e32 v42, v44, v41
	v_fma_f32 v40, -v40, v42, v43
	s_delay_alu instid0(VALU_DEP_1) | instskip(SKIP_1) | instid1(VALU_DEP_2)
	v_div_fmas_f32 v40, v40, v41, v42
	v_cmp_eq_u32_e32 vcc_lo, 11, v0
	v_div_fixup_f32 v39, v40, v39, 1.0
	s_delay_alu instid0(VALU_DEP_1)
	v_dual_cndmask_b32 v13, v13, v39 :: v_dual_add_nc_u32 v40, 48, v38
	v_cmp_eq_u32_e32 vcc_lo, 10, v0
	v_xor_b32_e32 v41, 0x80000000, v39
	v_cndmask_b32_e32 v12, v12, v39, vcc_lo
	v_cmp_eq_u32_e32 vcc_lo, 9, v0
	v_cndmask_b32_e32 v11, v11, v39, vcc_lo
	v_cmp_eq_u32_e32 vcc_lo, 8, v0
	;; [unrolled: 2-line block ×9, first 2 shown]
	ds_store_2addr_b32 v38, v41, v3 offset1:12
	v_cndmask_b32_e32 v4, v4, v39, vcc_lo
	v_cmp_eq_u32_e32 vcc_lo, 0, v0
	s_waitcnt lgkmcnt(0)
	s_waitcnt_vscnt null, 0x0
	s_barrier
	buffer_gl0_inv
	v_cndmask_b32_e32 v2, v2, v39, vcc_lo
	s_and_saveexec_b32 s1, s0
	s_cbranch_execz .LBB11_19
; %bb.18:
	v_mov_b32_e32 v3, 0
	ds_load_b32 v38, v40
	ds_load_b32 v3, v3 offset:4
	s_waitcnt lgkmcnt(1)
	v_fma_f32 v38, v39, v38, 0
	s_waitcnt lgkmcnt(0)
	s_delay_alu instid0(VALU_DEP_1)
	v_mul_f32_e32 v3, v38, v3
.LBB11_19:
	s_or_b32 exec_lo, exec_lo, s1
	v_cmp_gt_u32_e32 vcc_lo, 2, v0
	s_barrier
	buffer_gl0_inv
	ds_store_b32 v40, v4
	s_waitcnt lgkmcnt(0)
	s_barrier
	buffer_gl0_inv
	s_and_saveexec_b32 s2, vcc_lo
	s_cbranch_execz .LBB11_21
; %bb.20:
	v_cmp_eq_u32_e64 s1, 1, v0
	ds_load_b32 v41, v40
	v_cndmask_b32_e64 v38, v2, v3, s1
	v_cmp_eq_u32_e64 s1, 2, v0
	s_delay_alu instid0(VALU_DEP_1) | instskip(SKIP_2) | instid1(VALU_DEP_2)
	v_cndmask_b32_e64 v4, v38, v4, s1
	v_cmp_eq_u32_e64 s1, 3, v0
	v_mov_b32_e32 v38, 0
	v_cndmask_b32_e64 v4, v4, v5, s1
	v_cmp_eq_u32_e64 s1, 4, v0
	ds_load_2addr_b32 v[38:39], v38 offset0:2 offset1:13
	v_cndmask_b32_e64 v4, v4, v6, s1
	v_cmp_eq_u32_e64 s1, 5, v0
	s_delay_alu instid0(VALU_DEP_1) | instskip(SKIP_1) | instid1(VALU_DEP_1)
	v_cndmask_b32_e64 v4, v4, v7, s1
	v_cmp_eq_u32_e64 s1, 6, v0
	v_cndmask_b32_e64 v4, v4, v8, s1
	v_cmp_eq_u32_e64 s1, 7, v0
	s_delay_alu instid0(VALU_DEP_1) | instskip(SKIP_1) | instid1(VALU_DEP_1)
	v_cndmask_b32_e64 v4, v4, v9, s1
	v_cmp_eq_u32_e64 s1, 8, v0
	;; [unrolled: 5-line block ×3, first 2 shown]
	v_cndmask_b32_e64 v4, v4, v12, s1
	v_cmp_eq_u32_e64 s1, 11, v0
	s_delay_alu instid0(VALU_DEP_1) | instskip(SKIP_1) | instid1(VALU_DEP_1)
	v_cndmask_b32_e64 v4, v4, v13, s1
	s_waitcnt lgkmcnt(1)
	v_fma_f32 v4, v4, v41, 0
	s_waitcnt lgkmcnt(0)
	s_delay_alu instid0(VALU_DEP_1) | instskip(NEXT) | instid1(VALU_DEP_1)
	v_fma_f32 v39, v3, v39, v4
	v_cndmask_b32_e64 v4, v4, v39, s0
	s_delay_alu instid0(VALU_DEP_1)
	v_mul_f32_e32 v4, v4, v38
.LBB11_21:
	s_or_b32 exec_lo, exec_lo, s2
	s_delay_alu instid0(SALU_CYCLE_1)
	s_mov_b32 s3, exec_lo
	s_barrier
	buffer_gl0_inv
	ds_store_b32 v40, v5
	s_waitcnt lgkmcnt(0)
	s_barrier
	buffer_gl0_inv
	v_cmpx_gt_u32_e32 3, v0
	s_cbranch_execz .LBB11_25
; %bb.22:
	v_mov_b32_e32 v39, v1
	v_lshl_add_u32 v42, v0, 2, 48
	v_dual_mov_b32 v41, 0 :: v_dual_mov_b32 v38, v0
	s_mov_b32 s4, 0
.LBB11_23:                              ; =>This Inner Loop Header: Depth=1
	s_delay_alu instid0(VALU_DEP_1) | instskip(SKIP_3) | instid1(VALU_DEP_1)
	v_cmp_eq_u32_e64 s1, 1, v38
	ds_load_b32 v44, v42
	v_cndmask_b32_e64 v43, v2, v3, s1
	v_cmp_eq_u32_e64 s1, 2, v38
	v_cndmask_b32_e64 v43, v43, v4, s1
	v_cmp_eq_u32_e64 s1, 3, v38
	s_delay_alu instid0(VALU_DEP_1) | instskip(SKIP_1) | instid1(VALU_DEP_1)
	v_cndmask_b32_e64 v43, v43, v5, s1
	v_cmp_eq_u32_e64 s1, 4, v38
	v_cndmask_b32_e64 v43, v43, v6, s1
	v_cmp_eq_u32_e64 s1, 5, v38
	s_delay_alu instid0(VALU_DEP_1) | instskip(SKIP_1) | instid1(VALU_DEP_1)
	;; [unrolled: 5-line block ×4, first 2 shown]
	v_cndmask_b32_e64 v43, v43, v11, s1
	v_cmp_eq_u32_e64 s1, 10, v38
	v_cndmask_b32_e64 v43, v43, v12, s1
	v_cmp_eq_u32_e64 s1, 11, v38
	v_add_co_u32 v38, s2, v38, 1
	s_delay_alu instid0(VALU_DEP_1) | instskip(NEXT) | instid1(VALU_DEP_3)
	v_add_co_ci_u32_e64 v39, s2, 0, v39, s2
	v_cndmask_b32_e64 v43, v43, v13, s1
	s_delay_alu instid0(VALU_DEP_3) | instskip(SKIP_1) | instid1(VALU_DEP_2)
	v_add_nc_u32_e32 v45, -1, v38
	s_waitcnt lgkmcnt(0)
	v_dual_fmac_f32 v41, v43, v44 :: v_dual_add_nc_u32 v42, 4, v42
	s_delay_alu instid0(VALU_DEP_2) | instskip(NEXT) | instid1(VALU_DEP_1)
	v_cmp_lt_u32_e64 s1, 1, v45
	s_or_b32 s4, s1, s4
	s_delay_alu instid0(SALU_CYCLE_1)
	s_and_not1_b32 exec_lo, exec_lo, s4
	s_cbranch_execnz .LBB11_23
; %bb.24:
	s_or_b32 exec_lo, exec_lo, s4
	v_mov_b32_e32 v5, 0
	ds_load_b32 v5, v5 offset:12
	s_waitcnt lgkmcnt(0)
	v_mul_f32_e32 v5, v41, v5
.LBB11_25:
	s_or_b32 exec_lo, exec_lo, s3
	v_cmp_gt_u32_e64 s1, 4, v0
	s_barrier
	buffer_gl0_inv
	ds_store_b32 v40, v6
	s_waitcnt lgkmcnt(0)
	s_barrier
	buffer_gl0_inv
	s_and_saveexec_b32 s4, s1
	s_cbranch_execz .LBB11_29
; %bb.26:
	v_mov_b32_e32 v39, v1
	v_lshl_add_u32 v42, v0, 2, 48
	v_dual_mov_b32 v41, 0 :: v_dual_mov_b32 v38, v0
	s_mov_b32 s5, 0
.LBB11_27:                              ; =>This Inner Loop Header: Depth=1
	s_delay_alu instid0(VALU_DEP_1) | instskip(SKIP_3) | instid1(VALU_DEP_1)
	v_cmp_eq_u32_e64 s2, 1, v38
	ds_load_b32 v44, v42
	v_cndmask_b32_e64 v43, v2, v3, s2
	v_cmp_eq_u32_e64 s2, 2, v38
	v_cndmask_b32_e64 v43, v43, v4, s2
	v_cmp_eq_u32_e64 s2, 3, v38
	s_delay_alu instid0(VALU_DEP_1) | instskip(SKIP_1) | instid1(VALU_DEP_1)
	v_cndmask_b32_e64 v43, v43, v5, s2
	v_cmp_eq_u32_e64 s2, 4, v38
	v_cndmask_b32_e64 v43, v43, v6, s2
	v_cmp_eq_u32_e64 s2, 5, v38
	s_delay_alu instid0(VALU_DEP_1) | instskip(SKIP_1) | instid1(VALU_DEP_1)
	;; [unrolled: 5-line block ×4, first 2 shown]
	v_cndmask_b32_e64 v43, v43, v11, s2
	v_cmp_eq_u32_e64 s2, 10, v38
	v_cndmask_b32_e64 v43, v43, v12, s2
	v_cmp_eq_u32_e64 s2, 11, v38
	v_add_co_u32 v38, s3, v38, 1
	s_delay_alu instid0(VALU_DEP_1) | instskip(NEXT) | instid1(VALU_DEP_3)
	v_add_co_ci_u32_e64 v39, s3, 0, v39, s3
	v_cndmask_b32_e64 v43, v43, v13, s2
	s_delay_alu instid0(VALU_DEP_3) | instskip(SKIP_1) | instid1(VALU_DEP_2)
	v_add_nc_u32_e32 v45, -1, v38
	s_waitcnt lgkmcnt(0)
	v_dual_fmac_f32 v41, v43, v44 :: v_dual_add_nc_u32 v42, 4, v42
	s_delay_alu instid0(VALU_DEP_2) | instskip(NEXT) | instid1(VALU_DEP_1)
	v_cmp_lt_u32_e64 s2, 2, v45
	s_or_b32 s5, s2, s5
	s_delay_alu instid0(SALU_CYCLE_1)
	s_and_not1_b32 exec_lo, exec_lo, s5
	s_cbranch_execnz .LBB11_27
; %bb.28:
	s_or_b32 exec_lo, exec_lo, s5
	v_mov_b32_e32 v6, 0
	ds_load_b32 v6, v6 offset:16
	s_waitcnt lgkmcnt(0)
	v_mul_f32_e32 v6, v41, v6
.LBB11_29:
	s_or_b32 exec_lo, exec_lo, s4
	s_delay_alu instid0(SALU_CYCLE_1)
	s_mov_b32 s4, exec_lo
	s_barrier
	buffer_gl0_inv
	ds_store_b32 v40, v7
	s_waitcnt lgkmcnt(0)
	s_barrier
	buffer_gl0_inv
	v_cmpx_gt_u32_e32 5, v0
	s_cbranch_execz .LBB11_33
; %bb.30:
	v_mov_b32_e32 v39, v1
	v_lshl_add_u32 v42, v0, 2, 48
	v_dual_mov_b32 v41, 0 :: v_dual_mov_b32 v38, v0
	s_mov_b32 s5, 0
.LBB11_31:                              ; =>This Inner Loop Header: Depth=1
	s_delay_alu instid0(VALU_DEP_1) | instskip(SKIP_3) | instid1(VALU_DEP_1)
	v_cmp_eq_u32_e64 s2, 1, v38
	ds_load_b32 v44, v42
	v_cndmask_b32_e64 v43, v2, v3, s2
	v_cmp_eq_u32_e64 s2, 2, v38
	v_cndmask_b32_e64 v43, v43, v4, s2
	v_cmp_eq_u32_e64 s2, 3, v38
	s_delay_alu instid0(VALU_DEP_1) | instskip(SKIP_1) | instid1(VALU_DEP_1)
	v_cndmask_b32_e64 v43, v43, v5, s2
	v_cmp_eq_u32_e64 s2, 4, v38
	v_cndmask_b32_e64 v43, v43, v6, s2
	v_cmp_eq_u32_e64 s2, 5, v38
	s_delay_alu instid0(VALU_DEP_1) | instskip(SKIP_1) | instid1(VALU_DEP_1)
	;; [unrolled: 5-line block ×4, first 2 shown]
	v_cndmask_b32_e64 v43, v43, v11, s2
	v_cmp_eq_u32_e64 s2, 10, v38
	v_cndmask_b32_e64 v43, v43, v12, s2
	v_cmp_eq_u32_e64 s2, 11, v38
	v_add_co_u32 v38, s3, v38, 1
	s_delay_alu instid0(VALU_DEP_1) | instskip(NEXT) | instid1(VALU_DEP_3)
	v_add_co_ci_u32_e64 v39, s3, 0, v39, s3
	v_cndmask_b32_e64 v43, v43, v13, s2
	s_delay_alu instid0(VALU_DEP_3) | instskip(SKIP_1) | instid1(VALU_DEP_2)
	v_add_nc_u32_e32 v45, -1, v38
	s_waitcnt lgkmcnt(0)
	v_dual_fmac_f32 v41, v43, v44 :: v_dual_add_nc_u32 v42, 4, v42
	s_delay_alu instid0(VALU_DEP_2) | instskip(NEXT) | instid1(VALU_DEP_1)
	v_cmp_lt_u32_e64 s2, 3, v45
	s_or_b32 s5, s2, s5
	s_delay_alu instid0(SALU_CYCLE_1)
	s_and_not1_b32 exec_lo, exec_lo, s5
	s_cbranch_execnz .LBB11_31
; %bb.32:
	s_or_b32 exec_lo, exec_lo, s5
	v_mov_b32_e32 v7, 0
	ds_load_b32 v7, v7 offset:20
	s_waitcnt lgkmcnt(0)
	v_mul_f32_e32 v7, v41, v7
.LBB11_33:
	s_or_b32 exec_lo, exec_lo, s4
	v_cmp_gt_u32_e64 s2, 6, v0
	s_barrier
	buffer_gl0_inv
	ds_store_b32 v40, v8
	s_waitcnt lgkmcnt(0)
	s_barrier
	buffer_gl0_inv
	s_and_saveexec_b32 s5, s2
	s_cbranch_execz .LBB11_37
; %bb.34:
	v_mov_b32_e32 v39, v1
	v_lshl_add_u32 v42, v0, 2, 48
	v_dual_mov_b32 v41, 0 :: v_dual_mov_b32 v38, v0
	s_mov_b32 s8, 0
.LBB11_35:                              ; =>This Inner Loop Header: Depth=1
	s_delay_alu instid0(VALU_DEP_1) | instskip(SKIP_3) | instid1(VALU_DEP_1)
	v_cmp_eq_u32_e64 s3, 1, v38
	ds_load_b32 v44, v42
	v_cndmask_b32_e64 v43, v2, v3, s3
	v_cmp_eq_u32_e64 s3, 2, v38
	v_cndmask_b32_e64 v43, v43, v4, s3
	v_cmp_eq_u32_e64 s3, 3, v38
	s_delay_alu instid0(VALU_DEP_1) | instskip(SKIP_1) | instid1(VALU_DEP_1)
	v_cndmask_b32_e64 v43, v43, v5, s3
	v_cmp_eq_u32_e64 s3, 4, v38
	v_cndmask_b32_e64 v43, v43, v6, s3
	v_cmp_eq_u32_e64 s3, 5, v38
	s_delay_alu instid0(VALU_DEP_1) | instskip(SKIP_1) | instid1(VALU_DEP_1)
	;; [unrolled: 5-line block ×4, first 2 shown]
	v_cndmask_b32_e64 v43, v43, v11, s3
	v_cmp_eq_u32_e64 s3, 10, v38
	v_cndmask_b32_e64 v43, v43, v12, s3
	v_cmp_eq_u32_e64 s3, 11, v38
	v_add_co_u32 v38, s4, v38, 1
	s_delay_alu instid0(VALU_DEP_1) | instskip(NEXT) | instid1(VALU_DEP_3)
	v_add_co_ci_u32_e64 v39, s4, 0, v39, s4
	v_cndmask_b32_e64 v43, v43, v13, s3
	s_delay_alu instid0(VALU_DEP_3) | instskip(SKIP_1) | instid1(VALU_DEP_2)
	v_add_nc_u32_e32 v45, -1, v38
	s_waitcnt lgkmcnt(0)
	v_dual_fmac_f32 v41, v43, v44 :: v_dual_add_nc_u32 v42, 4, v42
	s_delay_alu instid0(VALU_DEP_2) | instskip(NEXT) | instid1(VALU_DEP_1)
	v_cmp_lt_u32_e64 s3, 4, v45
	s_or_b32 s8, s3, s8
	s_delay_alu instid0(SALU_CYCLE_1)
	s_and_not1_b32 exec_lo, exec_lo, s8
	s_cbranch_execnz .LBB11_35
; %bb.36:
	s_or_b32 exec_lo, exec_lo, s8
	v_mov_b32_e32 v8, 0
	ds_load_b32 v8, v8 offset:24
	s_waitcnt lgkmcnt(0)
	v_mul_f32_e32 v8, v41, v8
.LBB11_37:
	s_or_b32 exec_lo, exec_lo, s5
	s_delay_alu instid0(SALU_CYCLE_1)
	s_mov_b32 s5, exec_lo
	s_barrier
	buffer_gl0_inv
	ds_store_b32 v40, v9
	s_waitcnt lgkmcnt(0)
	s_barrier
	buffer_gl0_inv
	v_cmpx_gt_u32_e32 7, v0
	s_cbranch_execz .LBB11_41
; %bb.38:
	v_mov_b32_e32 v39, v1
	v_lshl_add_u32 v42, v0, 2, 48
	v_dual_mov_b32 v41, 0 :: v_dual_mov_b32 v38, v0
	s_mov_b32 s8, 0
.LBB11_39:                              ; =>This Inner Loop Header: Depth=1
	s_delay_alu instid0(VALU_DEP_1) | instskip(SKIP_3) | instid1(VALU_DEP_1)
	v_cmp_eq_u32_e64 s3, 1, v38
	ds_load_b32 v44, v42
	v_cndmask_b32_e64 v43, v2, v3, s3
	v_cmp_eq_u32_e64 s3, 2, v38
	v_cndmask_b32_e64 v43, v43, v4, s3
	v_cmp_eq_u32_e64 s3, 3, v38
	s_delay_alu instid0(VALU_DEP_1) | instskip(SKIP_1) | instid1(VALU_DEP_1)
	v_cndmask_b32_e64 v43, v43, v5, s3
	v_cmp_eq_u32_e64 s3, 4, v38
	v_cndmask_b32_e64 v43, v43, v6, s3
	v_cmp_eq_u32_e64 s3, 5, v38
	s_delay_alu instid0(VALU_DEP_1) | instskip(SKIP_1) | instid1(VALU_DEP_1)
	;; [unrolled: 5-line block ×4, first 2 shown]
	v_cndmask_b32_e64 v43, v43, v11, s3
	v_cmp_eq_u32_e64 s3, 10, v38
	v_cndmask_b32_e64 v43, v43, v12, s3
	v_cmp_eq_u32_e64 s3, 11, v38
	v_add_co_u32 v38, s4, v38, 1
	s_delay_alu instid0(VALU_DEP_1) | instskip(NEXT) | instid1(VALU_DEP_3)
	v_add_co_ci_u32_e64 v39, s4, 0, v39, s4
	v_cndmask_b32_e64 v43, v43, v13, s3
	s_delay_alu instid0(VALU_DEP_3) | instskip(SKIP_1) | instid1(VALU_DEP_2)
	v_add_nc_u32_e32 v45, -1, v38
	s_waitcnt lgkmcnt(0)
	v_dual_fmac_f32 v41, v43, v44 :: v_dual_add_nc_u32 v42, 4, v42
	s_delay_alu instid0(VALU_DEP_2) | instskip(NEXT) | instid1(VALU_DEP_1)
	v_cmp_lt_u32_e64 s3, 5, v45
	s_or_b32 s8, s3, s8
	s_delay_alu instid0(SALU_CYCLE_1)
	s_and_not1_b32 exec_lo, exec_lo, s8
	s_cbranch_execnz .LBB11_39
; %bb.40:
	s_or_b32 exec_lo, exec_lo, s8
	v_mov_b32_e32 v9, 0
	ds_load_b32 v9, v9 offset:28
	s_waitcnt lgkmcnt(0)
	v_mul_f32_e32 v9, v41, v9
.LBB11_41:
	s_or_b32 exec_lo, exec_lo, s5
	s_delay_alu instid0(SALU_CYCLE_1)
	s_mov_b32 s4, exec_lo
	s_barrier
	buffer_gl0_inv
	ds_store_b32 v40, v10
	s_waitcnt lgkmcnt(0)
	s_barrier
	buffer_gl0_inv
	v_cmpx_gt_u32_e32 8, v0
	s_cbranch_execz .LBB11_57
; %bb.42:
	v_cmp_eq_u32_e64 s3, 1, v0
	ds_load_b32 v39, v40
	s_mov_b32 s5, exec_lo
	v_cndmask_b32_e64 v38, v2, v3, s3
	v_cmp_eq_u32_e64 s3, 2, v0
	s_delay_alu instid0(VALU_DEP_1) | instskip(SKIP_1) | instid1(VALU_DEP_1)
	v_cndmask_b32_e64 v38, v38, v4, s3
	v_cmp_eq_u32_e64 s3, 3, v0
	v_cndmask_b32_e64 v38, v38, v5, s3
	v_cmp_eq_u32_e64 s3, 4, v0
	s_delay_alu instid0(VALU_DEP_1) | instskip(SKIP_1) | instid1(VALU_DEP_1)
	v_cndmask_b32_e64 v38, v38, v6, s3
	v_cmp_eq_u32_e64 s3, 5, v0
	;; [unrolled: 5-line block ×5, first 2 shown]
	v_cndmask_b32_e64 v41, v38, v13, s3
	v_mov_b32_e32 v38, 0
	s_waitcnt lgkmcnt(0)
	s_delay_alu instid0(VALU_DEP_2)
	v_fma_f32 v39, v41, v39, 0
	v_cmpx_ne_u32_e32 7, v0
	s_cbranch_execz .LBB11_56
; %bb.43:
	v_add_nc_u32_e32 v41, 1, v0
	ds_load_b32 v43, v40 offset:4
	v_cmp_eq_u32_e64 s3, 1, v41
	s_delay_alu instid0(VALU_DEP_1) | instskip(SKIP_1) | instid1(VALU_DEP_1)
	v_cndmask_b32_e64 v42, v2, v3, s3
	v_cmp_eq_u32_e64 s3, 2, v41
	v_cndmask_b32_e64 v42, v42, v4, s3
	v_cmp_eq_u32_e64 s3, 3, v41
	s_delay_alu instid0(VALU_DEP_1) | instskip(SKIP_1) | instid1(VALU_DEP_1)
	v_cndmask_b32_e64 v42, v42, v5, s3
	v_cmp_eq_u32_e64 s3, 4, v41
	v_cndmask_b32_e64 v42, v42, v6, s3
	v_cmp_eq_u32_e64 s3, 5, v41
	s_delay_alu instid0(VALU_DEP_1) | instskip(SKIP_1) | instid1(VALU_DEP_1)
	v_cndmask_b32_e64 v42, v42, v7, s3
	v_cmp_eq_u32_e64 s3, 6, v41
	v_cndmask_b32_e64 v42, v42, v8, s3
	v_cmp_eq_u32_e64 s3, 7, v41
	s_delay_alu instid0(VALU_DEP_1) | instskip(SKIP_1) | instid1(VALU_DEP_1)
	v_cndmask_b32_e64 v42, v42, v9, s3
	v_cmp_eq_u32_e64 s3, 8, v41
	v_cndmask_b32_e64 v42, v42, v10, s3
	v_cmp_eq_u32_e64 s3, 9, v41
	s_delay_alu instid0(VALU_DEP_1) | instskip(SKIP_1) | instid1(VALU_DEP_1)
	v_cndmask_b32_e64 v42, v42, v11, s3
	v_cmp_eq_u32_e64 s3, 10, v41
	v_cndmask_b32_e64 v42, v42, v12, s3
	v_cmp_eq_u32_e64 s3, 11, v41
	s_delay_alu instid0(VALU_DEP_1) | instskip(SKIP_1) | instid1(VALU_DEP_1)
	v_cndmask_b32_e64 v41, v42, v13, s3
	s_waitcnt lgkmcnt(0)
	v_fmac_f32_e32 v39, v41, v43
	s_and_saveexec_b32 s3, s2
	s_cbranch_execz .LBB11_55
; %bb.44:
	v_add_nc_u32_e32 v41, 2, v0
	ds_load_b32 v43, v40 offset:8
	s_mov_b32 s8, exec_lo
	v_cmp_eq_u32_e64 s2, 1, v41
	s_delay_alu instid0(VALU_DEP_1) | instskip(SKIP_1) | instid1(VALU_DEP_1)
	v_cndmask_b32_e64 v42, v2, v3, s2
	v_cmp_eq_u32_e64 s2, 2, v41
	v_cndmask_b32_e64 v42, v42, v4, s2
	v_cmp_eq_u32_e64 s2, 3, v41
	s_delay_alu instid0(VALU_DEP_1) | instskip(SKIP_1) | instid1(VALU_DEP_1)
	v_cndmask_b32_e64 v42, v42, v5, s2
	v_cmp_eq_u32_e64 s2, 4, v41
	v_cndmask_b32_e64 v42, v42, v6, s2
	;; [unrolled: 5-line block ×5, first 2 shown]
	v_cmp_eq_u32_e64 s2, 11, v41
	s_delay_alu instid0(VALU_DEP_1) | instskip(SKIP_1) | instid1(VALU_DEP_1)
	v_cndmask_b32_e64 v41, v42, v13, s2
	s_waitcnt lgkmcnt(0)
	v_fmac_f32_e32 v39, v41, v43
	v_cmpx_ne_u32_e32 5, v0
	s_cbranch_execz .LBB11_54
; %bb.45:
	v_add_nc_u32_e32 v41, 3, v0
	ds_load_b32 v43, v40 offset:12
	v_cmp_eq_u32_e64 s2, 1, v41
	s_delay_alu instid0(VALU_DEP_1) | instskip(SKIP_1) | instid1(VALU_DEP_1)
	v_cndmask_b32_e64 v42, v2, v3, s2
	v_cmp_eq_u32_e64 s2, 2, v41
	v_cndmask_b32_e64 v42, v42, v4, s2
	v_cmp_eq_u32_e64 s2, 3, v41
	s_delay_alu instid0(VALU_DEP_1) | instskip(SKIP_1) | instid1(VALU_DEP_1)
	v_cndmask_b32_e64 v42, v42, v5, s2
	v_cmp_eq_u32_e64 s2, 4, v41
	v_cndmask_b32_e64 v42, v42, v6, s2
	;; [unrolled: 5-line block ×5, first 2 shown]
	v_cmp_eq_u32_e64 s2, 11, v41
	s_delay_alu instid0(VALU_DEP_1) | instskip(SKIP_1) | instid1(VALU_DEP_1)
	v_cndmask_b32_e64 v41, v42, v13, s2
	s_waitcnt lgkmcnt(0)
	v_fmac_f32_e32 v39, v41, v43
	s_and_saveexec_b32 s2, s1
	s_cbranch_execz .LBB11_53
; %bb.46:
	v_or_b32_e32 v41, 4, v0
	ds_load_b32 v43, v40 offset:16
	s_mov_b32 s9, exec_lo
	v_cmp_eq_u32_e64 s1, 1, v41
	s_delay_alu instid0(VALU_DEP_1) | instskip(SKIP_1) | instid1(VALU_DEP_1)
	v_cndmask_b32_e64 v42, v2, v3, s1
	v_cmp_eq_u32_e64 s1, 2, v41
	v_cndmask_b32_e64 v42, v42, v4, s1
	v_cmp_eq_u32_e64 s1, 3, v41
	s_delay_alu instid0(VALU_DEP_1) | instskip(SKIP_1) | instid1(VALU_DEP_1)
	v_cndmask_b32_e64 v42, v42, v5, s1
	v_cmp_eq_u32_e64 s1, 4, v41
	v_cndmask_b32_e64 v42, v42, v6, s1
	;; [unrolled: 5-line block ×5, first 2 shown]
	v_cmp_eq_u32_e64 s1, 11, v41
	s_delay_alu instid0(VALU_DEP_1) | instskip(SKIP_1) | instid1(VALU_DEP_1)
	v_cndmask_b32_e64 v41, v42, v13, s1
	s_waitcnt lgkmcnt(0)
	v_fmac_f32_e32 v39, v41, v43
	v_cmpx_ne_u32_e32 3, v0
	s_cbranch_execz .LBB11_52
; %bb.47:
	v_add_nc_u32_e32 v41, 5, v0
	ds_load_b32 v43, v40 offset:20
	v_cmp_eq_u32_e64 s1, 1, v41
	s_delay_alu instid0(VALU_DEP_1) | instskip(SKIP_1) | instid1(VALU_DEP_1)
	v_cndmask_b32_e64 v42, v2, v3, s1
	v_cmp_eq_u32_e64 s1, 2, v41
	v_cndmask_b32_e64 v42, v42, v4, s1
	v_cmp_eq_u32_e64 s1, 3, v41
	s_delay_alu instid0(VALU_DEP_1) | instskip(SKIP_1) | instid1(VALU_DEP_1)
	v_cndmask_b32_e64 v42, v42, v5, s1
	v_cmp_eq_u32_e64 s1, 4, v41
	v_cndmask_b32_e64 v42, v42, v6, s1
	;; [unrolled: 5-line block ×5, first 2 shown]
	v_cmp_eq_u32_e64 s1, 11, v41
	s_delay_alu instid0(VALU_DEP_1) | instskip(SKIP_1) | instid1(VALU_DEP_1)
	v_cndmask_b32_e64 v41, v42, v13, s1
	s_waitcnt lgkmcnt(0)
	v_fmac_f32_e32 v39, v41, v43
	s_and_saveexec_b32 s1, vcc_lo
	s_cbranch_execz .LBB11_51
; %bb.48:
	v_or_b32_e32 v41, 6, v0
	s_delay_alu instid0(VALU_DEP_1) | instskip(SKIP_2) | instid1(VALU_DEP_2)
	v_cmp_eq_u32_e32 vcc_lo, 1, v41
	v_cndmask_b32_e32 v42, v2, v3, vcc_lo
	v_cmp_eq_u32_e32 vcc_lo, 2, v41
	v_cndmask_b32_e32 v42, v42, v4, vcc_lo
	v_cmp_eq_u32_e32 vcc_lo, 3, v41
	s_delay_alu instid0(VALU_DEP_2) | instskip(SKIP_1) | instid1(VALU_DEP_2)
	v_cndmask_b32_e32 v42, v42, v5, vcc_lo
	v_cmp_eq_u32_e32 vcc_lo, 4, v41
	v_cndmask_b32_e32 v42, v42, v6, vcc_lo
	v_cmp_eq_u32_e32 vcc_lo, 5, v41
	s_delay_alu instid0(VALU_DEP_2) | instskip(SKIP_1) | instid1(VALU_DEP_2)
	;; [unrolled: 5-line block ×3, first 2 shown]
	v_cndmask_b32_e32 v42, v42, v9, vcc_lo
	v_cmp_eq_u32_e32 vcc_lo, 8, v41
	v_cndmask_b32_e32 v10, v42, v10, vcc_lo
	ds_load_b32 v42, v40 offset:24
	v_cmp_eq_u32_e32 vcc_lo, 9, v41
	v_cndmask_b32_e32 v10, v10, v11, vcc_lo
	v_cmp_eq_u32_e32 vcc_lo, 10, v41
	s_delay_alu instid0(VALU_DEP_2) | instskip(SKIP_1) | instid1(VALU_DEP_2)
	v_cndmask_b32_e32 v10, v10, v12, vcc_lo
	v_cmp_eq_u32_e32 vcc_lo, 11, v41
	v_cndmask_b32_e32 v10, v10, v13, vcc_lo
	s_waitcnt lgkmcnt(0)
	s_delay_alu instid0(VALU_DEP_1)
	v_fmac_f32_e32 v39, v10, v42
	s_and_saveexec_b32 s10, s0
	s_cbranch_execz .LBB11_50
; %bb.49:
	ds_load_b32 v10, v40 offset:28
	s_waitcnt lgkmcnt(0)
	v_fmac_f32_e32 v39, v9, v10
.LBB11_50:
	s_or_b32 exec_lo, exec_lo, s10
.LBB11_51:
	s_delay_alu instid0(SALU_CYCLE_1)
	s_or_b32 exec_lo, exec_lo, s1
.LBB11_52:
	s_delay_alu instid0(SALU_CYCLE_1)
	s_or_b32 exec_lo, exec_lo, s9
.LBB11_53:
	s_delay_alu instid0(SALU_CYCLE_1)
	s_or_b32 exec_lo, exec_lo, s2
.LBB11_54:
	s_delay_alu instid0(SALU_CYCLE_1)
	s_or_b32 exec_lo, exec_lo, s8
.LBB11_55:
	s_delay_alu instid0(SALU_CYCLE_1)
	s_or_b32 exec_lo, exec_lo, s3
.LBB11_56:
	s_delay_alu instid0(SALU_CYCLE_1)
	s_or_b32 exec_lo, exec_lo, s5
	ds_load_b32 v10, v38 offset:32
	s_waitcnt lgkmcnt(0)
	v_mul_f32_e32 v10, v39, v10
.LBB11_57:
	s_or_b32 exec_lo, exec_lo, s4
	s_delay_alu instid0(SALU_CYCLE_1)
	s_mov_b32 s1, exec_lo
	s_barrier
	buffer_gl0_inv
	ds_store_b32 v40, v11
	s_waitcnt lgkmcnt(0)
	s_barrier
	buffer_gl0_inv
	v_cmpx_gt_u32_e32 9, v0
	s_cbranch_execz .LBB11_61
; %bb.58:
	v_mov_b32_e32 v39, v1
	v_lshl_add_u32 v42, v0, 2, 48
	v_dual_mov_b32 v41, 0 :: v_dual_mov_b32 v38, v0
	s_mov_b32 s2, 0
	s_set_inst_prefetch_distance 0x1
	.p2align	6
.LBB11_59:                              ; =>This Inner Loop Header: Depth=1
	s_delay_alu instid0(VALU_DEP_1) | instskip(SKIP_3) | instid1(VALU_DEP_2)
	v_cmp_eq_u32_e32 vcc_lo, 1, v38
	ds_load_b32 v44, v42
	v_dual_cndmask_b32 v43, v2, v3 :: v_dual_add_nc_u32 v42, 4, v42
	v_cmp_eq_u32_e32 vcc_lo, 2, v38
	v_cndmask_b32_e32 v43, v43, v4, vcc_lo
	v_cmp_eq_u32_e32 vcc_lo, 3, v38
	s_delay_alu instid0(VALU_DEP_2) | instskip(SKIP_1) | instid1(VALU_DEP_2)
	v_cndmask_b32_e32 v43, v43, v5, vcc_lo
	v_cmp_eq_u32_e32 vcc_lo, 4, v38
	v_cndmask_b32_e32 v43, v43, v6, vcc_lo
	v_cmp_eq_u32_e32 vcc_lo, 5, v38
	s_delay_alu instid0(VALU_DEP_2) | instskip(SKIP_1) | instid1(VALU_DEP_2)
	v_cndmask_b32_e32 v43, v43, v7, vcc_lo
	;; [unrolled: 5-line block ×4, first 2 shown]
	v_cmp_eq_u32_e32 vcc_lo, 10, v38
	v_cndmask_b32_e32 v43, v43, v12, vcc_lo
	v_cmp_eq_u32_e32 vcc_lo, 11, v38
	v_add_co_u32 v38, s0, v38, 1
	s_delay_alu instid0(VALU_DEP_1) | instskip(NEXT) | instid1(VALU_DEP_4)
	v_add_co_ci_u32_e64 v39, s0, 0, v39, s0
	v_cndmask_b32_e32 v43, v43, v13, vcc_lo
	s_delay_alu instid0(VALU_DEP_3) | instskip(SKIP_1) | instid1(VALU_DEP_2)
	v_add_nc_u32_e32 v45, -1, v38
	s_waitcnt lgkmcnt(0)
	v_fmac_f32_e32 v41, v43, v44
	s_delay_alu instid0(VALU_DEP_2) | instskip(SKIP_1) | instid1(SALU_CYCLE_1)
	v_cmp_lt_u32_e32 vcc_lo, 7, v45
	s_or_b32 s2, vcc_lo, s2
	s_and_not1_b32 exec_lo, exec_lo, s2
	s_cbranch_execnz .LBB11_59
; %bb.60:
	s_set_inst_prefetch_distance 0x2
	s_or_b32 exec_lo, exec_lo, s2
	v_mov_b32_e32 v11, 0
	ds_load_b32 v11, v11 offset:36
	s_waitcnt lgkmcnt(0)
	v_mul_f32_e32 v11, v41, v11
.LBB11_61:
	s_or_b32 exec_lo, exec_lo, s1
	s_delay_alu instid0(SALU_CYCLE_1)
	s_mov_b32 s1, exec_lo
	s_barrier
	buffer_gl0_inv
	ds_store_b32 v40, v12
	s_waitcnt lgkmcnt(0)
	s_barrier
	buffer_gl0_inv
	v_cmpx_gt_u32_e32 10, v0
	s_cbranch_execz .LBB11_65
; %bb.62:
	v_mov_b32_e32 v39, v1
	v_lshl_add_u32 v42, v0, 2, 48
	v_dual_mov_b32 v41, 0 :: v_dual_mov_b32 v38, v0
	s_mov_b32 s2, 0
	s_set_inst_prefetch_distance 0x1
	.p2align	6
.LBB11_63:                              ; =>This Inner Loop Header: Depth=1
	s_delay_alu instid0(VALU_DEP_1) | instskip(SKIP_3) | instid1(VALU_DEP_2)
	v_cmp_eq_u32_e32 vcc_lo, 1, v38
	ds_load_b32 v44, v42
	v_dual_cndmask_b32 v43, v2, v3 :: v_dual_add_nc_u32 v42, 4, v42
	v_cmp_eq_u32_e32 vcc_lo, 2, v38
	v_cndmask_b32_e32 v43, v43, v4, vcc_lo
	v_cmp_eq_u32_e32 vcc_lo, 3, v38
	s_delay_alu instid0(VALU_DEP_2) | instskip(SKIP_1) | instid1(VALU_DEP_2)
	v_cndmask_b32_e32 v43, v43, v5, vcc_lo
	v_cmp_eq_u32_e32 vcc_lo, 4, v38
	v_cndmask_b32_e32 v43, v43, v6, vcc_lo
	v_cmp_eq_u32_e32 vcc_lo, 5, v38
	s_delay_alu instid0(VALU_DEP_2) | instskip(SKIP_1) | instid1(VALU_DEP_2)
	v_cndmask_b32_e32 v43, v43, v7, vcc_lo
	;; [unrolled: 5-line block ×4, first 2 shown]
	v_cmp_eq_u32_e32 vcc_lo, 10, v38
	v_cndmask_b32_e32 v43, v43, v12, vcc_lo
	v_cmp_eq_u32_e32 vcc_lo, 11, v38
	v_add_co_u32 v38, s0, v38, 1
	s_delay_alu instid0(VALU_DEP_1) | instskip(NEXT) | instid1(VALU_DEP_4)
	v_add_co_ci_u32_e64 v39, s0, 0, v39, s0
	v_cndmask_b32_e32 v43, v43, v13, vcc_lo
	s_delay_alu instid0(VALU_DEP_3) | instskip(SKIP_1) | instid1(VALU_DEP_2)
	v_add_nc_u32_e32 v45, -1, v38
	s_waitcnt lgkmcnt(0)
	v_fmac_f32_e32 v41, v43, v44
	s_delay_alu instid0(VALU_DEP_2) | instskip(SKIP_1) | instid1(SALU_CYCLE_1)
	v_cmp_lt_u32_e32 vcc_lo, 8, v45
	s_or_b32 s2, vcc_lo, s2
	s_and_not1_b32 exec_lo, exec_lo, s2
	s_cbranch_execnz .LBB11_63
; %bb.64:
	s_set_inst_prefetch_distance 0x2
	s_or_b32 exec_lo, exec_lo, s2
	v_mov_b32_e32 v12, 0
	ds_load_b32 v12, v12 offset:40
	s_waitcnt lgkmcnt(0)
	v_mul_f32_e32 v12, v41, v12
.LBB11_65:
	s_or_b32 exec_lo, exec_lo, s1
	s_delay_alu instid0(SALU_CYCLE_1)
	s_mov_b32 s1, exec_lo
	s_barrier
	buffer_gl0_inv
	ds_store_b32 v40, v13
	s_waitcnt lgkmcnt(0)
	s_barrier
	buffer_gl0_inv
	v_cmpx_ne_u32_e32 11, v0
	s_cbranch_execz .LBB11_69
; %bb.66:
	v_dual_mov_b32 v40, 0 :: v_dual_mov_b32 v39, v1
	v_lshl_add_u32 v41, v0, 2, 48
	v_mov_b32_e32 v38, v0
	s_mov_b32 s2, 0
	s_set_inst_prefetch_distance 0x1
	.p2align	6
.LBB11_67:                              ; =>This Inner Loop Header: Depth=1
	s_delay_alu instid0(VALU_DEP_1) | instskip(SKIP_3) | instid1(VALU_DEP_2)
	v_cmp_eq_u32_e32 vcc_lo, 1, v38
	ds_load_b32 v42, v41
	v_cndmask_b32_e32 v1, v2, v3, vcc_lo
	v_cmp_eq_u32_e32 vcc_lo, 2, v38
	v_cndmask_b32_e32 v1, v1, v4, vcc_lo
	v_cmp_eq_u32_e32 vcc_lo, 3, v38
	s_delay_alu instid0(VALU_DEP_2) | instskip(SKIP_1) | instid1(VALU_DEP_2)
	v_cndmask_b32_e32 v1, v1, v5, vcc_lo
	v_cmp_eq_u32_e32 vcc_lo, 4, v38
	v_cndmask_b32_e32 v1, v1, v6, vcc_lo
	v_cmp_eq_u32_e32 vcc_lo, 5, v38
	s_delay_alu instid0(VALU_DEP_2) | instskip(SKIP_1) | instid1(VALU_DEP_2)
	;; [unrolled: 5-line block ×4, first 2 shown]
	v_cndmask_b32_e32 v1, v1, v11, vcc_lo
	v_cmp_eq_u32_e32 vcc_lo, 10, v38
	v_cndmask_b32_e32 v1, v1, v12, vcc_lo
	v_cmp_eq_u32_e32 vcc_lo, 11, v38
	v_add_co_u32 v38, s0, v38, 1
	s_delay_alu instid0(VALU_DEP_1) | instskip(NEXT) | instid1(VALU_DEP_4)
	v_add_co_ci_u32_e64 v39, s0, 0, v39, s0
	v_cndmask_b32_e32 v1, v1, v13, vcc_lo
	s_delay_alu instid0(VALU_DEP_3) | instskip(SKIP_1) | instid1(VALU_DEP_2)
	v_add_nc_u32_e32 v43, -1, v38
	s_waitcnt lgkmcnt(0)
	v_dual_fmac_f32 v40, v1, v42 :: v_dual_add_nc_u32 v41, 4, v41
	s_delay_alu instid0(VALU_DEP_2) | instskip(SKIP_1) | instid1(SALU_CYCLE_1)
	v_cmp_lt_u32_e32 vcc_lo, 9, v43
	s_or_b32 s2, vcc_lo, s2
	s_and_not1_b32 exec_lo, exec_lo, s2
	s_cbranch_execnz .LBB11_67
; %bb.68:
	s_set_inst_prefetch_distance 0x2
	s_or_b32 exec_lo, exec_lo, s2
	v_mov_b32_e32 v1, 0
	ds_load_b32 v1, v1 offset:44
	s_waitcnt lgkmcnt(0)
	v_mul_f32_e32 v13, v40, v1
.LBB11_69:
	s_or_b32 exec_lo, exec_lo, s1
	s_barrier
	buffer_gl0_inv
	s_cbranch_execnz .LBB11_15
	s_branch .LBB11_16
.LBB11_70:
	v_lshl_add_u32 v1, v0, 2, 48
	s_mov_b32 s0, exec_lo
	v_cmpx_eq_u32_e32 11, v0
	s_cbranch_execz .LBB11_72
; %bb.71:
	s_mov_b32 s1, 0
	ds_store_b32 v1, v12
	v_mov_b32_e32 v12, s1
.LBB11_72:
	s_or_b32 exec_lo, exec_lo, s0
	v_mov_b32_e32 v38, 0
	s_waitcnt lgkmcnt(0)
	s_waitcnt_vscnt null, 0x0
	s_barrier
	buffer_gl0_inv
	s_mov_b32 s0, exec_lo
	ds_load_b32 v39, v38 offset:92
	s_waitcnt lgkmcnt(0)
	v_fma_f32 v39, v13, v39, 0
	s_delay_alu instid0(VALU_DEP_1)
	v_sub_f32_e32 v12, v12, v39
	v_cmpx_lt_u32_e32 9, v0
	s_cbranch_execz .LBB11_74
; %bb.73:
	s_mov_b32 s1, 0
	s_delay_alu instid0(VALU_DEP_2)
	v_dual_mov_b32 v50, v13 :: v_dual_mov_b32 v49, v12
	v_dual_mov_b32 v48, v11 :: v_dual_mov_b32 v47, v10
	;; [unrolled: 1-line block ×6, first 2 shown]
	v_mov_b32_e32 v48, s1
	ds_store_b32 v1, v11
	v_dual_mov_b32 v2, v39 :: v_dual_mov_b32 v3, v40
	v_dual_mov_b32 v4, v41 :: v_dual_mov_b32 v5, v42
	;; [unrolled: 1-line block ×6, first 2 shown]
.LBB11_74:
	s_or_b32 exec_lo, exec_lo, s0
	s_waitcnt lgkmcnt(0)
	s_barrier
	buffer_gl0_inv
	ds_load_b64 v[38:39], v38 offset:88
	s_mov_b32 s0, exec_lo
	s_waitcnt lgkmcnt(0)
	v_fma_f32 v38, v12, v38, 0
	s_delay_alu instid0(VALU_DEP_1) | instskip(NEXT) | instid1(VALU_DEP_1)
	v_fmac_f32_e32 v38, v13, v39
	v_sub_f32_e32 v11, v11, v38
	v_cmpx_lt_u32_e32 8, v0
	s_cbranch_execz .LBB11_76
; %bb.75:
	s_mov_b32 s1, 0
	v_dual_mov_b32 v49, v13 :: v_dual_mov_b32 v48, v12
	v_dual_mov_b32 v47, v11 :: v_dual_mov_b32 v46, v10
	;; [unrolled: 1-line block ×6, first 2 shown]
	v_mov_b32_e32 v46, s1
	ds_store_b32 v1, v10
	v_dual_mov_b32 v2, v38 :: v_dual_mov_b32 v3, v39
	v_dual_mov_b32 v4, v40 :: v_dual_mov_b32 v5, v41
	;; [unrolled: 1-line block ×6, first 2 shown]
.LBB11_76:
	s_or_b32 exec_lo, exec_lo, s0
	v_mov_b32_e32 v38, 0
	s_waitcnt lgkmcnt(0)
	s_barrier
	buffer_gl0_inv
	s_mov_b32 s0, exec_lo
	ds_load_2addr_b32 v[39:40], v38 offset0:21 offset1:22
	ds_load_b32 v41, v38 offset:92
	s_waitcnt lgkmcnt(1)
	v_fma_f32 v39, v11, v39, 0
	s_delay_alu instid0(VALU_DEP_1) | instskip(SKIP_1) | instid1(VALU_DEP_1)
	v_fmac_f32_e32 v39, v12, v40
	s_waitcnt lgkmcnt(0)
	v_fmac_f32_e32 v39, v13, v41
	s_delay_alu instid0(VALU_DEP_1)
	v_sub_f32_e32 v10, v10, v39
	v_cmpx_lt_u32_e32 7, v0
	s_cbranch_execz .LBB11_78
; %bb.77:
	s_mov_b32 s1, 0
	v_dual_mov_b32 v50, v13 :: v_dual_mov_b32 v49, v12
	v_dual_mov_b32 v46, v9 :: v_dual_mov_b32 v45, v8
	;; [unrolled: 1-line block ×6, first 2 shown]
	v_mov_b32_e32 v46, s1
	ds_store_b32 v1, v9
	v_dual_mov_b32 v2, v39 :: v_dual_mov_b32 v3, v40
	v_dual_mov_b32 v4, v41 :: v_dual_mov_b32 v5, v42
	;; [unrolled: 1-line block ×6, first 2 shown]
.LBB11_78:
	s_or_b32 exec_lo, exec_lo, s0
	s_waitcnt lgkmcnt(0)
	s_barrier
	buffer_gl0_inv
	ds_load_b128 v[38:41], v38 offset:80
	s_mov_b32 s0, exec_lo
	s_waitcnt lgkmcnt(0)
	v_fma_f32 v38, v10, v38, 0
	s_delay_alu instid0(VALU_DEP_1) | instskip(NEXT) | instid1(VALU_DEP_1)
	v_fmac_f32_e32 v38, v11, v39
	v_fmac_f32_e32 v38, v12, v40
	s_delay_alu instid0(VALU_DEP_1) | instskip(NEXT) | instid1(VALU_DEP_1)
	v_fmac_f32_e32 v38, v13, v41
	v_sub_f32_e32 v9, v9, v38
	v_cmpx_lt_u32_e32 6, v0
	s_cbranch_execz .LBB11_80
; %bb.79:
	s_mov_b32 s1, 0
	v_dual_mov_b32 v49, v13 :: v_dual_mov_b32 v48, v12
	v_dual_mov_b32 v45, v9 :: v_dual_mov_b32 v44, v8
	v_dual_mov_b32 v39, v3 :: v_dual_mov_b32 v38, v2
	v_dual_mov_b32 v47, v11 :: v_dual_mov_b32 v46, v10
	v_dual_mov_b32 v43, v7 :: v_dual_mov_b32 v42, v6
	v_dual_mov_b32 v41, v5 :: v_dual_mov_b32 v40, v4
	v_mov_b32_e32 v44, s1
	ds_store_b32 v1, v8
	v_dual_mov_b32 v2, v38 :: v_dual_mov_b32 v3, v39
	v_dual_mov_b32 v4, v40 :: v_dual_mov_b32 v5, v41
	;; [unrolled: 1-line block ×6, first 2 shown]
.LBB11_80:
	s_or_b32 exec_lo, exec_lo, s0
	v_mov_b32_e32 v38, 0
	s_waitcnt lgkmcnt(0)
	s_barrier
	buffer_gl0_inv
	s_mov_b32 s0, exec_lo
	ds_load_2addr_b32 v[39:40], v38 offset0:19 offset1:20
	ds_load_2addr_b32 v[41:42], v38 offset0:21 offset1:22
	ds_load_b32 v43, v38 offset:92
	s_waitcnt lgkmcnt(2)
	v_fma_f32 v39, v9, v39, 0
	s_delay_alu instid0(VALU_DEP_1) | instskip(SKIP_1) | instid1(VALU_DEP_1)
	v_fmac_f32_e32 v39, v10, v40
	s_waitcnt lgkmcnt(1)
	v_fmac_f32_e32 v39, v11, v41
	s_delay_alu instid0(VALU_DEP_1) | instskip(SKIP_1) | instid1(VALU_DEP_1)
	v_fmac_f32_e32 v39, v12, v42
	s_waitcnt lgkmcnt(0)
	v_fmac_f32_e32 v39, v13, v43
	s_delay_alu instid0(VALU_DEP_1)
	v_sub_f32_e32 v8, v8, v39
	v_cmpx_lt_u32_e32 5, v0
	s_cbranch_execz .LBB11_82
; %bb.81:
	s_mov_b32 s1, 0
	v_dual_mov_b32 v50, v13 :: v_dual_mov_b32 v49, v12
	v_dual_mov_b32 v44, v7 :: v_dual_mov_b32 v43, v6
	v_dual_mov_b32 v40, v3 :: v_dual_mov_b32 v39, v2
	v_dual_mov_b32 v48, v11 :: v_dual_mov_b32 v47, v10
	v_dual_mov_b32 v46, v9 :: v_dual_mov_b32 v45, v8
	v_dual_mov_b32 v42, v5 :: v_dual_mov_b32 v41, v4
	v_mov_b32_e32 v44, s1
	ds_store_b32 v1, v7
	v_dual_mov_b32 v2, v39 :: v_dual_mov_b32 v3, v40
	v_dual_mov_b32 v4, v41 :: v_dual_mov_b32 v5, v42
	;; [unrolled: 1-line block ×6, first 2 shown]
.LBB11_82:
	s_or_b32 exec_lo, exec_lo, s0
	s_waitcnt lgkmcnt(0)
	s_barrier
	buffer_gl0_inv
	ds_load_2addr_b64 v[39:42], v38 offset0:9 offset1:10
	ds_load_b64 v[43:44], v38 offset:88
	s_mov_b32 s0, exec_lo
	s_waitcnt lgkmcnt(1)
	v_fma_f32 v38, v8, v39, 0
	s_delay_alu instid0(VALU_DEP_1) | instskip(NEXT) | instid1(VALU_DEP_1)
	v_fmac_f32_e32 v38, v9, v40
	v_fmac_f32_e32 v38, v10, v41
	s_delay_alu instid0(VALU_DEP_1) | instskip(SKIP_1) | instid1(VALU_DEP_1)
	v_fmac_f32_e32 v38, v11, v42
	s_waitcnt lgkmcnt(0)
	v_fmac_f32_e32 v38, v12, v43
	s_delay_alu instid0(VALU_DEP_1) | instskip(NEXT) | instid1(VALU_DEP_1)
	v_fmac_f32_e32 v38, v13, v44
	v_sub_f32_e32 v7, v7, v38
	v_cmpx_lt_u32_e32 4, v0
	s_cbranch_execz .LBB11_84
; %bb.83:
	s_mov_b32 s1, 0
	v_dual_mov_b32 v49, v13 :: v_dual_mov_b32 v48, v12
	v_dual_mov_b32 v43, v7 :: v_dual_mov_b32 v42, v6
	;; [unrolled: 1-line block ×6, first 2 shown]
	v_mov_b32_e32 v42, s1
	ds_store_b32 v1, v6
	v_dual_mov_b32 v2, v38 :: v_dual_mov_b32 v3, v39
	v_dual_mov_b32 v4, v40 :: v_dual_mov_b32 v5, v41
	;; [unrolled: 1-line block ×6, first 2 shown]
.LBB11_84:
	s_or_b32 exec_lo, exec_lo, s0
	v_mov_b32_e32 v38, 0
	s_waitcnt lgkmcnt(0)
	s_barrier
	buffer_gl0_inv
	s_mov_b32 s0, exec_lo
	ds_load_2addr_b32 v[39:40], v38 offset0:17 offset1:18
	ds_load_2addr_b32 v[41:42], v38 offset0:19 offset1:20
	ds_load_2addr_b32 v[43:44], v38 offset0:21 offset1:22
	ds_load_b32 v45, v38 offset:92
	s_waitcnt lgkmcnt(3)
	v_fma_f32 v39, v7, v39, 0
	s_delay_alu instid0(VALU_DEP_1) | instskip(SKIP_1) | instid1(VALU_DEP_1)
	v_fmac_f32_e32 v39, v8, v40
	s_waitcnt lgkmcnt(2)
	v_fmac_f32_e32 v39, v9, v41
	s_delay_alu instid0(VALU_DEP_1) | instskip(SKIP_1) | instid1(VALU_DEP_1)
	v_fmac_f32_e32 v39, v10, v42
	s_waitcnt lgkmcnt(1)
	v_fmac_f32_e32 v39, v11, v43
	;; [unrolled: 4-line block ×3, first 2 shown]
	s_delay_alu instid0(VALU_DEP_1)
	v_sub_f32_e32 v6, v6, v39
	v_cmpx_lt_u32_e32 3, v0
	s_cbranch_execz .LBB11_86
; %bb.85:
	s_mov_b32 s1, 0
	v_dual_mov_b32 v50, v13 :: v_dual_mov_b32 v49, v12
	v_dual_mov_b32 v42, v5 :: v_dual_mov_b32 v41, v4
	;; [unrolled: 1-line block ×6, first 2 shown]
	v_mov_b32_e32 v42, s1
	ds_store_b32 v1, v5
	v_dual_mov_b32 v2, v39 :: v_dual_mov_b32 v3, v40
	v_dual_mov_b32 v4, v41 :: v_dual_mov_b32 v5, v42
	;; [unrolled: 1-line block ×6, first 2 shown]
.LBB11_86:
	s_or_b32 exec_lo, exec_lo, s0
	s_waitcnt lgkmcnt(0)
	s_barrier
	buffer_gl0_inv
	ds_load_b128 v[39:42], v38 offset:64
	ds_load_b128 v[43:46], v38 offset:80
	s_mov_b32 s0, exec_lo
	s_waitcnt lgkmcnt(1)
	v_fma_f32 v38, v6, v39, 0
	s_delay_alu instid0(VALU_DEP_1) | instskip(NEXT) | instid1(VALU_DEP_1)
	v_fmac_f32_e32 v38, v7, v40
	v_fmac_f32_e32 v38, v8, v41
	s_delay_alu instid0(VALU_DEP_1) | instskip(SKIP_1) | instid1(VALU_DEP_1)
	v_fmac_f32_e32 v38, v9, v42
	s_waitcnt lgkmcnt(0)
	v_fmac_f32_e32 v38, v10, v43
	s_delay_alu instid0(VALU_DEP_1) | instskip(NEXT) | instid1(VALU_DEP_1)
	v_fmac_f32_e32 v38, v11, v44
	v_fmac_f32_e32 v38, v12, v45
	s_delay_alu instid0(VALU_DEP_1) | instskip(NEXT) | instid1(VALU_DEP_1)
	v_fmac_f32_e32 v38, v13, v46
	v_sub_f32_e32 v5, v5, v38
	v_cmpx_lt_u32_e32 2, v0
	s_cbranch_execz .LBB11_88
; %bb.87:
	s_mov_b32 s1, 0
	v_dual_mov_b32 v49, v13 :: v_dual_mov_b32 v48, v12
	v_dual_mov_b32 v41, v5 :: v_dual_mov_b32 v40, v4
	;; [unrolled: 1-line block ×6, first 2 shown]
	v_mov_b32_e32 v40, s1
	ds_store_b32 v1, v4
	v_dual_mov_b32 v2, v38 :: v_dual_mov_b32 v3, v39
	v_dual_mov_b32 v5, v41 :: v_dual_mov_b32 v4, v40
	;; [unrolled: 1-line block ×6, first 2 shown]
.LBB11_88:
	s_or_b32 exec_lo, exec_lo, s0
	v_mov_b32_e32 v38, 0
	s_waitcnt lgkmcnt(0)
	s_barrier
	buffer_gl0_inv
	s_mov_b32 s0, exec_lo
	ds_load_2addr_b32 v[39:40], v38 offset0:15 offset1:16
	ds_load_2addr_b32 v[41:42], v38 offset0:17 offset1:18
	;; [unrolled: 1-line block ×4, first 2 shown]
	s_waitcnt lgkmcnt(3)
	v_fma_f32 v39, v5, v39, 0
	s_delay_alu instid0(VALU_DEP_1) | instskip(SKIP_3) | instid1(VALU_DEP_1)
	v_fmac_f32_e32 v39, v6, v40
	ds_load_b32 v40, v38 offset:92
	s_waitcnt lgkmcnt(3)
	v_fmac_f32_e32 v39, v7, v41
	v_fmac_f32_e32 v39, v8, v42
	s_waitcnt lgkmcnt(2)
	s_delay_alu instid0(VALU_DEP_1) | instskip(NEXT) | instid1(VALU_DEP_1)
	v_fmac_f32_e32 v39, v9, v43
	v_fmac_f32_e32 v39, v10, v44
	s_waitcnt lgkmcnt(1)
	s_delay_alu instid0(VALU_DEP_1) | instskip(NEXT) | instid1(VALU_DEP_1)
	;; [unrolled: 4-line block ×3, first 2 shown]
	v_fmac_f32_e32 v39, v13, v40
	v_sub_f32_e32 v4, v4, v39
	v_cmpx_lt_u32_e32 1, v0
	s_cbranch_execz .LBB11_90
; %bb.89:
	s_mov_b32 s1, 0
	v_dual_mov_b32 v50, v13 :: v_dual_mov_b32 v49, v12
	v_dual_mov_b32 v40, v3 :: v_dual_mov_b32 v39, v2
	;; [unrolled: 1-line block ×6, first 2 shown]
	v_mov_b32_e32 v40, s1
	ds_store_b32 v1, v3
	v_dual_mov_b32 v2, v39 :: v_dual_mov_b32 v5, v42
	v_dual_mov_b32 v4, v41 :: v_dual_mov_b32 v3, v40
	;; [unrolled: 1-line block ×6, first 2 shown]
.LBB11_90:
	s_or_b32 exec_lo, exec_lo, s0
	s_waitcnt lgkmcnt(0)
	s_barrier
	buffer_gl0_inv
	ds_load_2addr_b64 v[39:42], v38 offset0:7 offset1:8
	ds_load_2addr_b64 v[43:46], v38 offset0:9 offset1:10
	s_mov_b32 s1, 0
	s_mov_b32 s0, exec_lo
	s_waitcnt lgkmcnt(1)
	v_fma_f32 v47, v4, v39, 0
	ds_load_b64 v[38:39], v38 offset:88
	v_fmac_f32_e32 v47, v5, v40
	s_delay_alu instid0(VALU_DEP_1) | instskip(NEXT) | instid1(VALU_DEP_1)
	v_fmac_f32_e32 v47, v6, v41
	v_fmac_f32_e32 v47, v7, v42
	s_waitcnt lgkmcnt(1)
	s_delay_alu instid0(VALU_DEP_1) | instskip(NEXT) | instid1(VALU_DEP_1)
	v_fmac_f32_e32 v47, v8, v43
	v_fmac_f32_e32 v47, v9, v44
	s_delay_alu instid0(VALU_DEP_1) | instskip(NEXT) | instid1(VALU_DEP_1)
	v_fmac_f32_e32 v47, v10, v45
	v_fmac_f32_e32 v47, v11, v46
	s_waitcnt lgkmcnt(0)
	s_delay_alu instid0(VALU_DEP_1) | instskip(NEXT) | instid1(VALU_DEP_1)
	v_fmac_f32_e32 v47, v12, v38
	v_fmac_f32_e32 v47, v13, v39
	s_delay_alu instid0(VALU_DEP_1)
	v_sub_f32_e32 v3, v3, v47
	v_cmpx_ne_u32_e32 0, v0
	s_cbranch_execz .LBB11_92
; %bb.91:
	v_dual_mov_b32 v49, v13 :: v_dual_mov_b32 v48, v12
	s_delay_alu instid0(VALU_DEP_3)
	v_dual_mov_b32 v39, v3 :: v_dual_mov_b32 v38, v2
	v_dual_mov_b32 v38, s1 :: v_dual_mov_b32 v47, v11
	v_dual_mov_b32 v46, v10 :: v_dual_mov_b32 v45, v9
	v_dual_mov_b32 v44, v8 :: v_dual_mov_b32 v43, v7
	v_dual_mov_b32 v42, v6 :: v_dual_mov_b32 v41, v5
	v_mov_b32_e32 v40, v4
	ds_store_b32 v1, v2
	v_dual_mov_b32 v2, v38 :: v_dual_mov_b32 v3, v39
	v_dual_mov_b32 v5, v41 :: v_dual_mov_b32 v4, v40
	;; [unrolled: 1-line block ×6, first 2 shown]
.LBB11_92:
	s_or_b32 exec_lo, exec_lo, s0
	v_mov_b32_e32 v44, 0
	s_waitcnt lgkmcnt(0)
	s_barrier
	buffer_gl0_inv
	s_and_b32 vcc_lo, exec_lo, s16
	ds_load_2addr_b32 v[0:1], v44 offset0:13 offset1:14
	ds_load_2addr_b32 v[38:39], v44 offset0:15 offset1:16
	;; [unrolled: 1-line block ×4, first 2 shown]
	s_waitcnt lgkmcnt(3)
	v_fma_f32 v45, v3, v0, 0
	s_delay_alu instid0(VALU_DEP_1)
	v_fmac_f32_e32 v45, v4, v1
	ds_load_2addr_b32 v[0:1], v44 offset0:21 offset1:22
	s_waitcnt lgkmcnt(3)
	v_fmac_f32_e32 v45, v5, v38
	ds_load_b32 v38, v44 offset:92
	v_fmac_f32_e32 v45, v6, v39
	s_waitcnt lgkmcnt(3)
	s_delay_alu instid0(VALU_DEP_1) | instskip(NEXT) | instid1(VALU_DEP_1)
	v_fmac_f32_e32 v45, v7, v40
	v_fmac_f32_e32 v45, v8, v41
	s_waitcnt lgkmcnt(2)
	s_delay_alu instid0(VALU_DEP_1) | instskip(NEXT) | instid1(VALU_DEP_1)
	v_fmac_f32_e32 v45, v9, v42
	;; [unrolled: 4-line block ×4, first 2 shown]
	v_sub_f32_e32 v2, v2, v45
	s_cbranch_vccz .LBB11_116
; %bb.93:
	v_dual_mov_b32 v0, s12 :: v_dual_mov_b32 v1, s13
	s_mov_b32 s8, exec_lo
	flat_load_b32 v0, v[0:1] offset:40
	s_waitcnt vmcnt(0) lgkmcnt(0)
	v_add_nc_u32_e32 v0, -1, v0
	s_delay_alu instid0(VALU_DEP_1)
	v_cmpx_ne_u32_e32 10, v0
	s_cbranch_execz .LBB11_95
; %bb.94:
	v_cmp_eq_u32_e32 vcc_lo, 1, v0
	v_cmp_eq_u32_e64 s0, 2, v0
	v_cmp_eq_u32_e64 s1, 3, v0
	v_cmp_eq_u32_e64 s2, 4, v0
	v_cmp_eq_u32_e64 s3, 5, v0
	v_cmp_eq_u32_e64 s4, 6, v0
	v_cmp_eq_u32_e64 s5, 7, v0
	v_cmp_eq_u32_e64 s6, 8, v0
	v_cmp_eq_u32_e64 s7, 9, v0
	v_cndmask_b32_e64 v40, v4, v12, s0
	v_cndmask_b32_e32 v39, v3, v12, vcc_lo
	v_cndmask_b32_e64 v41, v5, v12, s1
	v_cndmask_b32_e64 v42, v6, v12, s2
	;; [unrolled: 1-line block ×7, first 2 shown]
	v_cndmask_b32_e32 v1, v2, v3, vcc_lo
	v_cmp_eq_u32_e32 vcc_lo, 10, v0
	s_delay_alu instid0(VALU_DEP_2) | instskip(SKIP_1) | instid1(VALU_DEP_2)
	v_cndmask_b32_e64 v1, v1, v4, s0
	v_cmp_eq_u32_e64 s0, 11, v0
	v_cndmask_b32_e64 v1, v1, v5, s1
	s_delay_alu instid0(VALU_DEP_2) | instskip(NEXT) | instid1(VALU_DEP_2)
	v_cndmask_b32_e64 v49, v13, v12, s0
	v_cndmask_b32_e64 v1, v1, v6, s2
	s_delay_alu instid0(VALU_DEP_1) | instskip(NEXT) | instid1(VALU_DEP_1)
	v_cndmask_b32_e64 v1, v1, v7, s3
	v_cndmask_b32_e64 v1, v1, v8, s4
	s_delay_alu instid0(VALU_DEP_1) | instskip(NEXT) | instid1(VALU_DEP_1)
	;; [unrolled: 3-line block ×3, first 2 shown]
	v_cndmask_b32_e64 v1, v1, v11, s7
	v_cndmask_b32_e32 v1, v1, v12, vcc_lo
	s_delay_alu instid0(VALU_DEP_1) | instskip(NEXT) | instid1(VALU_DEP_1)
	v_cndmask_b32_e64 v1, v1, v13, s0
	v_cndmask_b32_e32 v48, v1, v12, vcc_lo
	v_cmp_eq_u32_e32 vcc_lo, 0, v0
	v_cndmask_b32_e32 v38, v2, v12, vcc_lo
	s_delay_alu instid0(VALU_DEP_1)
	v_dual_mov_b32 v2, v38 :: v_dual_mov_b32 v3, v39
	v_mov_b32_e32 v6, v42
	v_dual_mov_b32 v4, v40 :: v_dual_mov_b32 v5, v41
	v_dual_mov_b32 v8, v44 :: v_dual_mov_b32 v7, v43
	;; [unrolled: 1-line block ×4, first 2 shown]
	v_mov_b32_e32 v13, v49
.LBB11_95:
	s_or_b32 exec_lo, exec_lo, s8
	v_dual_mov_b32 v0, s12 :: v_dual_mov_b32 v1, s13
	s_mov_b32 s8, exec_lo
	flat_load_b32 v0, v[0:1] offset:36
	s_waitcnt vmcnt(0) lgkmcnt(0)
	v_add_nc_u32_e32 v0, -1, v0
	s_delay_alu instid0(VALU_DEP_1)
	v_cmpx_ne_u32_e32 9, v0
	s_cbranch_execz .LBB11_97
; %bb.96:
	v_cmp_eq_u32_e32 vcc_lo, 1, v0
	v_cmp_eq_u32_e64 s0, 2, v0
	v_cmp_eq_u32_e64 s1, 3, v0
	;; [unrolled: 1-line block ×7, first 2 shown]
	v_cndmask_b32_e64 v40, v4, v11, s0
	v_cndmask_b32_e32 v39, v3, v11, vcc_lo
	v_cndmask_b32_e64 v41, v5, v11, s1
	v_cndmask_b32_e64 v42, v6, v11, s2
	;; [unrolled: 1-line block ×6, first 2 shown]
	v_cndmask_b32_e32 v1, v2, v3, vcc_lo
	v_cmp_eq_u32_e64 s7, 9, v0
	v_cmp_eq_u32_e32 vcc_lo, 10, v0
	s_delay_alu instid0(VALU_DEP_3) | instskip(SKIP_2) | instid1(VALU_DEP_3)
	v_cndmask_b32_e64 v1, v1, v4, s0
	v_cmp_eq_u32_e64 s0, 11, v0
	v_cndmask_b32_e32 v48, v12, v11, vcc_lo
	v_cndmask_b32_e64 v1, v1, v5, s1
	s_delay_alu instid0(VALU_DEP_3) | instskip(NEXT) | instid1(VALU_DEP_2)
	v_cndmask_b32_e64 v49, v13, v11, s0
	v_cndmask_b32_e64 v1, v1, v6, s2
	s_delay_alu instid0(VALU_DEP_1) | instskip(NEXT) | instid1(VALU_DEP_1)
	v_cndmask_b32_e64 v1, v1, v7, s3
	v_cndmask_b32_e64 v1, v1, v8, s4
	s_delay_alu instid0(VALU_DEP_1) | instskip(NEXT) | instid1(VALU_DEP_1)
	;; [unrolled: 3-line block ×3, first 2 shown]
	v_cndmask_b32_e64 v1, v1, v11, s7
	v_cndmask_b32_e32 v1, v1, v12, vcc_lo
	v_cmp_eq_u32_e32 vcc_lo, 0, v0
	s_delay_alu instid0(VALU_DEP_2) | instskip(SKIP_1) | instid1(VALU_DEP_2)
	v_cndmask_b32_e64 v1, v1, v13, s0
	v_cndmask_b32_e32 v38, v2, v11, vcc_lo
	v_cndmask_b32_e64 v47, v1, v11, s7
	s_delay_alu instid0(VALU_DEP_2)
	v_dual_mov_b32 v2, v38 :: v_dual_mov_b32 v3, v39
	v_dual_mov_b32 v4, v40 :: v_dual_mov_b32 v5, v41
	;; [unrolled: 1-line block ×6, first 2 shown]
.LBB11_97:
	s_or_b32 exec_lo, exec_lo, s8
	v_dual_mov_b32 v0, s12 :: v_dual_mov_b32 v1, s13
	s_mov_b32 s8, exec_lo
	flat_load_b32 v0, v[0:1] offset:32
	s_waitcnt vmcnt(0) lgkmcnt(0)
	v_add_nc_u32_e32 v0, -1, v0
	s_delay_alu instid0(VALU_DEP_1)
	v_cmpx_ne_u32_e32 8, v0
	s_cbranch_execz .LBB11_99
; %bb.98:
	v_cmp_eq_u32_e32 vcc_lo, 1, v0
	v_cmp_eq_u32_e64 s0, 2, v0
	v_cmp_eq_u32_e64 s1, 3, v0
	;; [unrolled: 1-line block ×4, first 2 shown]
	v_cndmask_b32_e32 v1, v2, v3, vcc_lo
	v_cndmask_b32_e32 v39, v3, v10, vcc_lo
	v_cmp_eq_u32_e32 vcc_lo, 10, v0
	v_cmp_eq_u32_e64 s4, 6, v0
	v_cmp_eq_u32_e64 s5, 7, v0
	;; [unrolled: 1-line block ×4, first 2 shown]
	v_cndmask_b32_e32 v48, v12, v10, vcc_lo
	v_cndmask_b32_e64 v1, v1, v4, s0
	v_cndmask_b32_e64 v40, v4, v10, s0
	v_cmp_eq_u32_e64 s0, 11, v0
	v_cndmask_b32_e64 v41, v5, v10, s1
	v_cndmask_b32_e64 v42, v6, v10, s2
	;; [unrolled: 1-line block ×9, first 2 shown]
	s_delay_alu instid0(VALU_DEP_2) | instskip(NEXT) | instid1(VALU_DEP_1)
	v_cndmask_b32_e64 v1, v1, v7, s3
	v_cndmask_b32_e64 v1, v1, v8, s4
	s_delay_alu instid0(VALU_DEP_1) | instskip(NEXT) | instid1(VALU_DEP_1)
	v_cndmask_b32_e64 v1, v1, v9, s5
	v_cndmask_b32_e64 v1, v1, v10, s6
	s_delay_alu instid0(VALU_DEP_1) | instskip(NEXT) | instid1(VALU_DEP_1)
	v_cndmask_b32_e64 v1, v1, v11, s7
	v_cndmask_b32_e32 v1, v1, v12, vcc_lo
	v_cmp_eq_u32_e32 vcc_lo, 0, v0
	v_cndmask_b32_e32 v38, v2, v10, vcc_lo
	s_delay_alu instid0(VALU_DEP_3) | instskip(NEXT) | instid1(VALU_DEP_1)
	v_cndmask_b32_e64 v1, v1, v13, s0
	v_cndmask_b32_e64 v46, v1, v10, s6
	s_delay_alu instid0(VALU_DEP_3)
	v_dual_mov_b32 v2, v38 :: v_dual_mov_b32 v3, v39
	v_dual_mov_b32 v4, v40 :: v_dual_mov_b32 v5, v41
	;; [unrolled: 1-line block ×6, first 2 shown]
.LBB11_99:
	s_or_b32 exec_lo, exec_lo, s8
	v_dual_mov_b32 v0, s12 :: v_dual_mov_b32 v1, s13
	s_mov_b32 s8, exec_lo
	flat_load_b32 v0, v[0:1] offset:28
	s_waitcnt vmcnt(0) lgkmcnt(0)
	v_add_nc_u32_e32 v0, -1, v0
	s_delay_alu instid0(VALU_DEP_1)
	v_cmpx_ne_u32_e32 7, v0
	s_cbranch_execz .LBB11_101
; %bb.100:
	v_cmp_eq_u32_e32 vcc_lo, 1, v0
	v_cmp_eq_u32_e64 s0, 2, v0
	v_cmp_eq_u32_e64 s1, 3, v0
	;; [unrolled: 1-line block ×4, first 2 shown]
	v_cndmask_b32_e32 v1, v2, v3, vcc_lo
	v_cndmask_b32_e32 v39, v3, v9, vcc_lo
	v_cmp_eq_u32_e32 vcc_lo, 10, v0
	v_cmp_eq_u32_e64 s4, 6, v0
	v_cmp_eq_u32_e64 s5, 7, v0
	;; [unrolled: 1-line block ×4, first 2 shown]
	v_cndmask_b32_e32 v48, v12, v9, vcc_lo
	v_cndmask_b32_e64 v1, v1, v4, s0
	v_cndmask_b32_e64 v40, v4, v9, s0
	v_cmp_eq_u32_e64 s0, 11, v0
	v_cndmask_b32_e64 v41, v5, v9, s1
	v_cndmask_b32_e64 v42, v6, v9, s2
	;; [unrolled: 1-line block ×9, first 2 shown]
	s_delay_alu instid0(VALU_DEP_2) | instskip(NEXT) | instid1(VALU_DEP_1)
	v_cndmask_b32_e64 v1, v1, v7, s3
	v_cndmask_b32_e64 v1, v1, v8, s4
	s_delay_alu instid0(VALU_DEP_1) | instskip(NEXT) | instid1(VALU_DEP_1)
	v_cndmask_b32_e64 v1, v1, v9, s5
	v_cndmask_b32_e64 v1, v1, v10, s6
	s_delay_alu instid0(VALU_DEP_1) | instskip(NEXT) | instid1(VALU_DEP_1)
	v_cndmask_b32_e64 v1, v1, v11, s7
	v_cndmask_b32_e32 v1, v1, v12, vcc_lo
	v_cmp_eq_u32_e32 vcc_lo, 0, v0
	v_cndmask_b32_e32 v38, v2, v9, vcc_lo
	s_delay_alu instid0(VALU_DEP_3) | instskip(NEXT) | instid1(VALU_DEP_1)
	v_cndmask_b32_e64 v1, v1, v13, s0
	v_cndmask_b32_e64 v45, v1, v9, s5
	s_delay_alu instid0(VALU_DEP_3) | instskip(SKIP_2) | instid1(VALU_DEP_4)
	v_dual_mov_b32 v2, v38 :: v_dual_mov_b32 v3, v39
	v_dual_mov_b32 v4, v40 :: v_dual_mov_b32 v5, v41
	;; [unrolled: 1-line block ×6, first 2 shown]
.LBB11_101:
	s_or_b32 exec_lo, exec_lo, s8
	v_dual_mov_b32 v0, s12 :: v_dual_mov_b32 v1, s13
	s_mov_b32 s8, exec_lo
	flat_load_b32 v0, v[0:1] offset:24
	s_waitcnt vmcnt(0) lgkmcnt(0)
	v_add_nc_u32_e32 v0, -1, v0
	s_delay_alu instid0(VALU_DEP_1)
	v_cmpx_ne_u32_e32 6, v0
	s_cbranch_execz .LBB11_103
; %bb.102:
	v_cmp_eq_u32_e32 vcc_lo, 1, v0
	v_cmp_eq_u32_e64 s0, 2, v0
	v_cmp_eq_u32_e64 s1, 3, v0
	;; [unrolled: 1-line block ×4, first 2 shown]
	v_cndmask_b32_e32 v1, v2, v3, vcc_lo
	v_cndmask_b32_e32 v39, v3, v8, vcc_lo
	v_cmp_eq_u32_e32 vcc_lo, 10, v0
	v_cmp_eq_u32_e64 s4, 6, v0
	v_cmp_eq_u32_e64 s5, 7, v0
	;; [unrolled: 1-line block ×4, first 2 shown]
	v_cndmask_b32_e32 v48, v12, v8, vcc_lo
	v_cndmask_b32_e64 v1, v1, v4, s0
	v_cndmask_b32_e64 v40, v4, v8, s0
	v_cmp_eq_u32_e64 s0, 11, v0
	v_cndmask_b32_e64 v41, v5, v8, s1
	v_cndmask_b32_e64 v42, v6, v8, s2
	;; [unrolled: 1-line block ×9, first 2 shown]
	s_delay_alu instid0(VALU_DEP_2) | instskip(NEXT) | instid1(VALU_DEP_1)
	v_cndmask_b32_e64 v1, v1, v7, s3
	v_cndmask_b32_e64 v1, v1, v8, s4
	s_delay_alu instid0(VALU_DEP_1) | instskip(NEXT) | instid1(VALU_DEP_1)
	v_cndmask_b32_e64 v1, v1, v9, s5
	v_cndmask_b32_e64 v1, v1, v10, s6
	s_delay_alu instid0(VALU_DEP_1) | instskip(NEXT) | instid1(VALU_DEP_1)
	v_cndmask_b32_e64 v1, v1, v11, s7
	v_cndmask_b32_e32 v1, v1, v12, vcc_lo
	v_cmp_eq_u32_e32 vcc_lo, 0, v0
	s_delay_alu instid0(VALU_DEP_2) | instskip(SKIP_1) | instid1(VALU_DEP_2)
	v_cndmask_b32_e64 v1, v1, v13, s0
	v_cndmask_b32_e32 v38, v2, v8, vcc_lo
	v_cndmask_b32_e64 v44, v1, v8, s4
	s_delay_alu instid0(VALU_DEP_2) | instskip(SKIP_2) | instid1(VALU_DEP_4)
	v_dual_mov_b32 v2, v38 :: v_dual_mov_b32 v3, v39
	v_dual_mov_b32 v4, v40 :: v_dual_mov_b32 v5, v41
	;; [unrolled: 1-line block ×6, first 2 shown]
.LBB11_103:
	s_or_b32 exec_lo, exec_lo, s8
	v_dual_mov_b32 v0, s12 :: v_dual_mov_b32 v1, s13
	s_mov_b32 s8, exec_lo
	flat_load_b32 v0, v[0:1] offset:20
	s_waitcnt vmcnt(0) lgkmcnt(0)
	v_add_nc_u32_e32 v0, -1, v0
	s_delay_alu instid0(VALU_DEP_1)
	v_cmpx_ne_u32_e32 5, v0
	s_cbranch_execz .LBB11_105
; %bb.104:
	v_cmp_eq_u32_e32 vcc_lo, 1, v0
	v_cmp_eq_u32_e64 s0, 2, v0
	v_cmp_eq_u32_e64 s1, 3, v0
	;; [unrolled: 1-line block ×7, first 2 shown]
	v_cndmask_b32_e64 v40, v4, v7, s0
	v_cndmask_b32_e32 v39, v3, v7, vcc_lo
	v_cndmask_b32_e64 v41, v5, v7, s1
	v_cndmask_b32_e64 v42, v6, v7, s2
	;; [unrolled: 1-line block ×6, first 2 shown]
	v_cndmask_b32_e32 v1, v2, v3, vcc_lo
	v_cmp_eq_u32_e64 s3, 5, v0
	v_cmp_eq_u32_e32 vcc_lo, 10, v0
	s_delay_alu instid0(VALU_DEP_3) | instskip(SKIP_2) | instid1(VALU_DEP_3)
	v_cndmask_b32_e64 v1, v1, v4, s0
	v_cmp_eq_u32_e64 s0, 11, v0
	v_cndmask_b32_e32 v48, v12, v7, vcc_lo
	v_cndmask_b32_e64 v1, v1, v5, s1
	s_delay_alu instid0(VALU_DEP_3) | instskip(NEXT) | instid1(VALU_DEP_2)
	v_cndmask_b32_e64 v49, v13, v7, s0
	v_cndmask_b32_e64 v1, v1, v6, s2
	s_delay_alu instid0(VALU_DEP_1) | instskip(NEXT) | instid1(VALU_DEP_1)
	v_cndmask_b32_e64 v1, v1, v7, s3
	v_cndmask_b32_e64 v1, v1, v8, s4
	s_delay_alu instid0(VALU_DEP_1) | instskip(NEXT) | instid1(VALU_DEP_1)
	;; [unrolled: 3-line block ×3, first 2 shown]
	v_cndmask_b32_e64 v1, v1, v11, s7
	v_cndmask_b32_e32 v1, v1, v12, vcc_lo
	v_cmp_eq_u32_e32 vcc_lo, 0, v0
	s_delay_alu instid0(VALU_DEP_2) | instskip(SKIP_1) | instid1(VALU_DEP_2)
	v_cndmask_b32_e64 v1, v1, v13, s0
	v_cndmask_b32_e32 v38, v2, v7, vcc_lo
	v_cndmask_b32_e64 v43, v1, v7, s3
	s_delay_alu instid0(VALU_DEP_2) | instskip(SKIP_1) | instid1(VALU_DEP_3)
	v_dual_mov_b32 v2, v38 :: v_dual_mov_b32 v3, v39
	v_dual_mov_b32 v4, v40 :: v_dual_mov_b32 v5, v41
	;; [unrolled: 1-line block ×6, first 2 shown]
.LBB11_105:
	s_or_b32 exec_lo, exec_lo, s8
	v_dual_mov_b32 v0, s12 :: v_dual_mov_b32 v1, s13
	s_mov_b32 s8, exec_lo
	flat_load_b32 v0, v[0:1] offset:16
	s_waitcnt vmcnt(0) lgkmcnt(0)
	v_add_nc_u32_e32 v0, -1, v0
	s_delay_alu instid0(VALU_DEP_1)
	v_cmpx_ne_u32_e32 4, v0
	s_cbranch_execz .LBB11_107
; %bb.106:
	v_cmp_eq_u32_e32 vcc_lo, 1, v0
	v_cmp_eq_u32_e64 s0, 2, v0
	v_cmp_eq_u32_e64 s1, 3, v0
	;; [unrolled: 1-line block ×4, first 2 shown]
	v_cndmask_b32_e32 v1, v2, v3, vcc_lo
	v_cndmask_b32_e32 v39, v3, v6, vcc_lo
	v_cmp_eq_u32_e32 vcc_lo, 10, v0
	v_cmp_eq_u32_e64 s4, 6, v0
	v_cmp_eq_u32_e64 s5, 7, v0
	;; [unrolled: 1-line block ×4, first 2 shown]
	v_cndmask_b32_e32 v48, v12, v6, vcc_lo
	v_cndmask_b32_e64 v1, v1, v4, s0
	v_cndmask_b32_e64 v40, v4, v6, s0
	v_cmp_eq_u32_e64 s0, 11, v0
	v_cndmask_b32_e64 v41, v5, v6, s1
	v_cndmask_b32_e64 v43, v7, v6, s3
	;; [unrolled: 1-line block ×9, first 2 shown]
	s_delay_alu instid0(VALU_DEP_2) | instskip(NEXT) | instid1(VALU_DEP_1)
	v_cndmask_b32_e64 v1, v1, v7, s3
	v_cndmask_b32_e64 v1, v1, v8, s4
	s_delay_alu instid0(VALU_DEP_1) | instskip(NEXT) | instid1(VALU_DEP_1)
	v_cndmask_b32_e64 v1, v1, v9, s5
	v_cndmask_b32_e64 v1, v1, v10, s6
	s_delay_alu instid0(VALU_DEP_1) | instskip(NEXT) | instid1(VALU_DEP_1)
	v_cndmask_b32_e64 v1, v1, v11, s7
	v_cndmask_b32_e32 v1, v1, v12, vcc_lo
	v_cmp_eq_u32_e32 vcc_lo, 0, v0
	v_cndmask_b32_e32 v38, v2, v6, vcc_lo
	s_delay_alu instid0(VALU_DEP_3) | instskip(NEXT) | instid1(VALU_DEP_1)
	v_cndmask_b32_e64 v1, v1, v13, s0
	v_cndmask_b32_e64 v42, v1, v6, s2
	s_delay_alu instid0(VALU_DEP_3) | instskip(SKIP_1) | instid1(VALU_DEP_3)
	v_dual_mov_b32 v2, v38 :: v_dual_mov_b32 v3, v39
	v_dual_mov_b32 v4, v40 :: v_dual_mov_b32 v5, v41
	;; [unrolled: 1-line block ×6, first 2 shown]
.LBB11_107:
	s_or_b32 exec_lo, exec_lo, s8
	v_dual_mov_b32 v0, s12 :: v_dual_mov_b32 v1, s13
	s_mov_b32 s8, exec_lo
	flat_load_b32 v0, v[0:1] offset:12
	s_waitcnt vmcnt(0) lgkmcnt(0)
	v_add_nc_u32_e32 v0, -1, v0
	s_delay_alu instid0(VALU_DEP_1)
	v_cmpx_ne_u32_e32 3, v0
	s_cbranch_execz .LBB11_109
; %bb.108:
	v_cmp_eq_u32_e32 vcc_lo, 1, v0
	v_cmp_eq_u32_e64 s0, 2, v0
	v_cmp_eq_u32_e64 s1, 3, v0
	;; [unrolled: 1-line block ×4, first 2 shown]
	v_cndmask_b32_e32 v1, v2, v3, vcc_lo
	v_cndmask_b32_e32 v39, v3, v5, vcc_lo
	v_cmp_eq_u32_e32 vcc_lo, 10, v0
	v_cmp_eq_u32_e64 s4, 6, v0
	v_cmp_eq_u32_e64 s5, 7, v0
	;; [unrolled: 1-line block ×4, first 2 shown]
	v_cndmask_b32_e32 v48, v12, v5, vcc_lo
	v_cndmask_b32_e64 v1, v1, v4, s0
	v_cndmask_b32_e64 v40, v4, v5, s0
	v_cmp_eq_u32_e64 s0, 11, v0
	v_cndmask_b32_e64 v42, v6, v5, s2
	v_cndmask_b32_e64 v43, v7, v5, s3
	;; [unrolled: 1-line block ×9, first 2 shown]
	s_delay_alu instid0(VALU_DEP_2) | instskip(NEXT) | instid1(VALU_DEP_1)
	v_cndmask_b32_e64 v1, v1, v7, s3
	v_cndmask_b32_e64 v1, v1, v8, s4
	s_delay_alu instid0(VALU_DEP_1) | instskip(NEXT) | instid1(VALU_DEP_1)
	v_cndmask_b32_e64 v1, v1, v9, s5
	v_cndmask_b32_e64 v1, v1, v10, s6
	s_delay_alu instid0(VALU_DEP_1) | instskip(NEXT) | instid1(VALU_DEP_1)
	v_cndmask_b32_e64 v1, v1, v11, s7
	v_cndmask_b32_e32 v1, v1, v12, vcc_lo
	v_cmp_eq_u32_e32 vcc_lo, 0, v0
	v_cndmask_b32_e32 v38, v2, v5, vcc_lo
	s_delay_alu instid0(VALU_DEP_3) | instskip(NEXT) | instid1(VALU_DEP_1)
	v_cndmask_b32_e64 v1, v1, v13, s0
	v_cndmask_b32_e64 v41, v1, v5, s1
	s_delay_alu instid0(VALU_DEP_3) | instskip(SKIP_2) | instid1(VALU_DEP_4)
	v_dual_mov_b32 v2, v38 :: v_dual_mov_b32 v3, v39
	v_mov_b32_e32 v4, v40
	v_dual_mov_b32 v6, v42 :: v_dual_mov_b32 v7, v43
	v_dual_mov_b32 v5, v41 :: v_dual_mov_b32 v8, v44
	;; [unrolled: 1-line block ×4, first 2 shown]
	v_mov_b32_e32 v13, v49
.LBB11_109:
	s_or_b32 exec_lo, exec_lo, s8
	v_dual_mov_b32 v0, s12 :: v_dual_mov_b32 v1, s13
	s_mov_b32 s8, exec_lo
	flat_load_b32 v0, v[0:1] offset:8
	s_waitcnt vmcnt(0) lgkmcnt(0)
	v_add_nc_u32_e32 v0, -1, v0
	s_delay_alu instid0(VALU_DEP_1)
	v_cmpx_ne_u32_e32 2, v0
	s_cbranch_execz .LBB11_111
; %bb.110:
	v_cmp_eq_u32_e32 vcc_lo, 1, v0
	v_cmp_eq_u32_e64 s0, 2, v0
	v_cmp_eq_u32_e64 s1, 3, v0
	;; [unrolled: 1-line block ×4, first 2 shown]
	v_cndmask_b32_e32 v1, v2, v3, vcc_lo
	v_cndmask_b32_e32 v39, v3, v4, vcc_lo
	v_cmp_eq_u32_e32 vcc_lo, 10, v0
	v_cmp_eq_u32_e64 s4, 6, v0
	v_cmp_eq_u32_e64 s5, 7, v0
	;; [unrolled: 1-line block ×4, first 2 shown]
	v_cndmask_b32_e32 v48, v12, v4, vcc_lo
	v_cndmask_b32_e64 v1, v1, v4, s0
	v_cndmask_b32_e64 v41, v5, v4, s1
	v_cndmask_b32_e64 v42, v6, v4, s2
	v_cndmask_b32_e64 v43, v7, v4, s3
	v_cndmask_b32_e64 v44, v8, v4, s4
	v_cndmask_b32_e64 v1, v1, v5, s1
	v_cmp_eq_u32_e64 s1, 11, v0
	v_cndmask_b32_e64 v45, v9, v4, s5
	v_cndmask_b32_e64 v46, v10, v4, s6
	;; [unrolled: 1-line block ×5, first 2 shown]
	s_delay_alu instid0(VALU_DEP_2) | instskip(NEXT) | instid1(VALU_DEP_1)
	v_cndmask_b32_e64 v1, v1, v7, s3
	v_cndmask_b32_e64 v1, v1, v8, s4
	s_delay_alu instid0(VALU_DEP_1) | instskip(NEXT) | instid1(VALU_DEP_1)
	v_cndmask_b32_e64 v1, v1, v9, s5
	v_cndmask_b32_e64 v1, v1, v10, s6
	s_delay_alu instid0(VALU_DEP_1) | instskip(NEXT) | instid1(VALU_DEP_1)
	v_cndmask_b32_e64 v1, v1, v11, s7
	v_cndmask_b32_e32 v1, v1, v12, vcc_lo
	v_cmp_eq_u32_e32 vcc_lo, 0, v0
	s_delay_alu instid0(VALU_DEP_2) | instskip(SKIP_1) | instid1(VALU_DEP_2)
	v_cndmask_b32_e64 v1, v1, v13, s1
	v_cndmask_b32_e32 v38, v2, v4, vcc_lo
	v_cndmask_b32_e64 v40, v1, v4, s0
	s_delay_alu instid0(VALU_DEP_2) | instskip(SKIP_1) | instid1(VALU_DEP_3)
	v_dual_mov_b32 v2, v38 :: v_dual_mov_b32 v3, v39
	v_dual_mov_b32 v5, v41 :: v_dual_mov_b32 v6, v42
	;; [unrolled: 1-line block ×6, first 2 shown]
.LBB11_111:
	s_or_b32 exec_lo, exec_lo, s8
	v_dual_mov_b32 v0, s12 :: v_dual_mov_b32 v1, s13
	s_mov_b32 s8, exec_lo
	flat_load_b32 v0, v[0:1] offset:4
	s_waitcnt vmcnt(0) lgkmcnt(0)
	v_add_nc_u32_e32 v0, -1, v0
	s_delay_alu instid0(VALU_DEP_1)
	v_cmpx_ne_u32_e32 1, v0
	s_cbranch_execz .LBB11_113
; %bb.112:
	v_cmp_eq_u32_e32 vcc_lo, 1, v0
	v_cmp_eq_u32_e64 s0, 2, v0
	v_cmp_eq_u32_e64 s1, 3, v0
	;; [unrolled: 1-line block ×8, first 2 shown]
	v_cndmask_b32_e64 v40, v4, v3, s0
	v_cndmask_b32_e64 v41, v5, v3, s1
	v_cndmask_b32_e64 v42, v6, v3, s2
	v_cndmask_b32_e64 v43, v7, v3, s3
	v_cndmask_b32_e64 v44, v8, v3, s4
	v_cndmask_b32_e64 v45, v9, v3, s5
	v_cndmask_b32_e64 v46, v10, v3, s6
	v_cndmask_b32_e64 v47, v11, v3, s7
	v_cndmask_b32_e32 v1, v2, v3, vcc_lo
	s_delay_alu instid0(VALU_DEP_1) | instskip(SKIP_1) | instid1(VALU_DEP_2)
	v_cndmask_b32_e64 v1, v1, v4, s0
	v_cmp_eq_u32_e64 s0, 10, v0
	v_cndmask_b32_e64 v1, v1, v5, s1
	v_cmp_eq_u32_e64 s1, 11, v0
	s_delay_alu instid0(VALU_DEP_3) | instskip(NEXT) | instid1(VALU_DEP_3)
	v_cndmask_b32_e64 v48, v12, v3, s0
	v_cndmask_b32_e64 v1, v1, v6, s2
	s_delay_alu instid0(VALU_DEP_3) | instskip(NEXT) | instid1(VALU_DEP_2)
	v_cndmask_b32_e64 v49, v13, v3, s1
	v_cndmask_b32_e64 v1, v1, v7, s3
	s_delay_alu instid0(VALU_DEP_1) | instskip(NEXT) | instid1(VALU_DEP_1)
	v_cndmask_b32_e64 v1, v1, v8, s4
	v_cndmask_b32_e64 v1, v1, v9, s5
	s_delay_alu instid0(VALU_DEP_1) | instskip(NEXT) | instid1(VALU_DEP_1)
	;; [unrolled: 3-line block ×3, first 2 shown]
	v_cndmask_b32_e64 v1, v1, v12, s0
	v_cndmask_b32_e64 v1, v1, v13, s1
	s_delay_alu instid0(VALU_DEP_1) | instskip(SKIP_2) | instid1(VALU_DEP_1)
	v_cndmask_b32_e32 v39, v1, v3, vcc_lo
	v_cmp_eq_u32_e32 vcc_lo, 0, v0
	v_cndmask_b32_e32 v38, v2, v3, vcc_lo
	v_dual_mov_b32 v2, v38 :: v_dual_mov_b32 v3, v39
	v_dual_mov_b32 v4, v40 :: v_dual_mov_b32 v5, v41
	;; [unrolled: 1-line block ×6, first 2 shown]
.LBB11_113:
	s_or_b32 exec_lo, exec_lo, s8
	v_dual_mov_b32 v0, s12 :: v_dual_mov_b32 v1, s13
	s_mov_b32 s7, exec_lo
	flat_load_b32 v0, v[0:1]
	s_waitcnt vmcnt(0) lgkmcnt(0)
	v_add_nc_u32_e32 v0, -1, v0
	s_delay_alu instid0(VALU_DEP_1)
	v_cmpx_ne_u32_e32 0, v0
	s_cbranch_execz .LBB11_115
; %bb.114:
	v_cmp_eq_u32_e32 vcc_lo, 1, v0
	v_cmp_eq_u32_e64 s0, 2, v0
	v_cmp_eq_u32_e64 s1, 3, v0
	;; [unrolled: 1-line block ×7, first 2 shown]
	v_cndmask_b32_e64 v40, v4, v2, s0
	v_cndmask_b32_e64 v41, v5, v2, s1
	;; [unrolled: 1-line block ×7, first 2 shown]
	v_cndmask_b32_e32 v39, v3, v2, vcc_lo
	v_cndmask_b32_e32 v1, v2, v3, vcc_lo
	s_delay_alu instid0(VALU_DEP_1) | instskip(SKIP_1) | instid1(VALU_DEP_2)
	v_cndmask_b32_e64 v1, v1, v4, s0
	v_cmp_eq_u32_e64 s0, 9, v0
	v_cndmask_b32_e64 v1, v1, v5, s1
	v_cmp_eq_u32_e64 s1, 10, v0
	s_delay_alu instid0(VALU_DEP_3) | instskip(NEXT) | instid1(VALU_DEP_3)
	v_cndmask_b32_e64 v47, v11, v2, s0
	v_cndmask_b32_e64 v1, v1, v6, s2
	v_cmp_eq_u32_e64 s2, 11, v0
	s_delay_alu instid0(VALU_DEP_4) | instskip(NEXT) | instid1(VALU_DEP_3)
	v_cndmask_b32_e64 v48, v12, v2, s1
	v_cndmask_b32_e64 v1, v1, v7, s3
	s_delay_alu instid0(VALU_DEP_3) | instskip(NEXT) | instid1(VALU_DEP_2)
	v_cndmask_b32_e64 v49, v13, v2, s2
	v_cndmask_b32_e64 v1, v1, v8, s4
	s_delay_alu instid0(VALU_DEP_1) | instskip(NEXT) | instid1(VALU_DEP_1)
	v_cndmask_b32_e64 v1, v1, v9, s5
	v_cndmask_b32_e64 v1, v1, v10, s6
	s_delay_alu instid0(VALU_DEP_1) | instskip(SKIP_1) | instid1(VALU_DEP_2)
	v_cndmask_b32_e64 v1, v1, v11, s0
	v_cmp_eq_u32_e64 s0, 0, v0
	v_cndmask_b32_e64 v1, v1, v12, s1
	s_delay_alu instid0(VALU_DEP_1) | instskip(NEXT) | instid1(VALU_DEP_1)
	v_cndmask_b32_e64 v1, v1, v13, s2
	v_cndmask_b32_e64 v38, v1, v2, s0
	s_delay_alu instid0(VALU_DEP_1)
	v_dual_mov_b32 v2, v38 :: v_dual_mov_b32 v3, v39
	v_dual_mov_b32 v4, v40 :: v_dual_mov_b32 v5, v41
	;; [unrolled: 1-line block ×6, first 2 shown]
.LBB11_115:
	s_or_b32 exec_lo, exec_lo, s7
.LBB11_116:
	s_clause 0xb
	global_store_b32 v[14:15], v2, off
	global_store_b32 v[16:17], v3, off
	;; [unrolled: 1-line block ×12, first 2 shown]
	s_nop 0
	s_sendmsg sendmsg(MSG_DEALLOC_VGPRS)
	s_endpgm
	.section	.rodata,"a",@progbits
	.p2align	6, 0x0
	.amdhsa_kernel _ZN9rocsolver6v33100L18getri_kernel_smallILi12EfPfEEvT1_iilPiilS4_bb
		.amdhsa_group_segment_fixed_size 100
		.amdhsa_private_segment_fixed_size 0
		.amdhsa_kernarg_size 60
		.amdhsa_user_sgpr_count 15
		.amdhsa_user_sgpr_dispatch_ptr 0
		.amdhsa_user_sgpr_queue_ptr 0
		.amdhsa_user_sgpr_kernarg_segment_ptr 1
		.amdhsa_user_sgpr_dispatch_id 0
		.amdhsa_user_sgpr_private_segment_size 0
		.amdhsa_wavefront_size32 1
		.amdhsa_uses_dynamic_stack 0
		.amdhsa_enable_private_segment 0
		.amdhsa_system_sgpr_workgroup_id_x 1
		.amdhsa_system_sgpr_workgroup_id_y 0
		.amdhsa_system_sgpr_workgroup_id_z 0
		.amdhsa_system_sgpr_workgroup_info 0
		.amdhsa_system_vgpr_workitem_id 0
		.amdhsa_next_free_vgpr 51
		.amdhsa_next_free_sgpr 18
		.amdhsa_reserve_vcc 1
		.amdhsa_float_round_mode_32 0
		.amdhsa_float_round_mode_16_64 0
		.amdhsa_float_denorm_mode_32 3
		.amdhsa_float_denorm_mode_16_64 3
		.amdhsa_dx10_clamp 1
		.amdhsa_ieee_mode 1
		.amdhsa_fp16_overflow 0
		.amdhsa_workgroup_processor_mode 1
		.amdhsa_memory_ordered 1
		.amdhsa_forward_progress 0
		.amdhsa_shared_vgpr_count 0
		.amdhsa_exception_fp_ieee_invalid_op 0
		.amdhsa_exception_fp_denorm_src 0
		.amdhsa_exception_fp_ieee_div_zero 0
		.amdhsa_exception_fp_ieee_overflow 0
		.amdhsa_exception_fp_ieee_underflow 0
		.amdhsa_exception_fp_ieee_inexact 0
		.amdhsa_exception_int_div_zero 0
	.end_amdhsa_kernel
	.section	.text._ZN9rocsolver6v33100L18getri_kernel_smallILi12EfPfEEvT1_iilPiilS4_bb,"axG",@progbits,_ZN9rocsolver6v33100L18getri_kernel_smallILi12EfPfEEvT1_iilPiilS4_bb,comdat
.Lfunc_end11:
	.size	_ZN9rocsolver6v33100L18getri_kernel_smallILi12EfPfEEvT1_iilPiilS4_bb, .Lfunc_end11-_ZN9rocsolver6v33100L18getri_kernel_smallILi12EfPfEEvT1_iilPiilS4_bb
                                        ; -- End function
	.section	.AMDGPU.csdata,"",@progbits
; Kernel info:
; codeLenInByte = 12692
; NumSgprs: 20
; NumVgprs: 51
; ScratchSize: 0
; MemoryBound: 0
; FloatMode: 240
; IeeeMode: 1
; LDSByteSize: 100 bytes/workgroup (compile time only)
; SGPRBlocks: 2
; VGPRBlocks: 6
; NumSGPRsForWavesPerEU: 20
; NumVGPRsForWavesPerEU: 51
; Occupancy: 16
; WaveLimiterHint : 0
; COMPUTE_PGM_RSRC2:SCRATCH_EN: 0
; COMPUTE_PGM_RSRC2:USER_SGPR: 15
; COMPUTE_PGM_RSRC2:TRAP_HANDLER: 0
; COMPUTE_PGM_RSRC2:TGID_X_EN: 1
; COMPUTE_PGM_RSRC2:TGID_Y_EN: 0
; COMPUTE_PGM_RSRC2:TGID_Z_EN: 0
; COMPUTE_PGM_RSRC2:TIDIG_COMP_CNT: 0
	.section	.text._ZN9rocsolver6v33100L18getri_kernel_smallILi13EfPfEEvT1_iilPiilS4_bb,"axG",@progbits,_ZN9rocsolver6v33100L18getri_kernel_smallILi13EfPfEEvT1_iilPiilS4_bb,comdat
	.globl	_ZN9rocsolver6v33100L18getri_kernel_smallILi13EfPfEEvT1_iilPiilS4_bb ; -- Begin function _ZN9rocsolver6v33100L18getri_kernel_smallILi13EfPfEEvT1_iilPiilS4_bb
	.p2align	8
	.type	_ZN9rocsolver6v33100L18getri_kernel_smallILi13EfPfEEvT1_iilPiilS4_bb,@function
_ZN9rocsolver6v33100L18getri_kernel_smallILi13EfPfEEvT1_iilPiilS4_bb: ; @_ZN9rocsolver6v33100L18getri_kernel_smallILi13EfPfEEvT1_iilPiilS4_bb
; %bb.0:
	s_mov_b32 s2, exec_lo
	v_cmpx_gt_u32_e32 13, v0
	s_cbranch_execz .LBB12_16
; %bb.1:
	s_clause 0x2
	s_load_b32 s17, s[0:1], 0x38
	s_load_b128 s[8:11], s[0:1], 0x10
	s_load_b128 s[4:7], s[0:1], 0x28
	s_mov_b32 s14, s15
                                        ; implicit-def: $sgpr12_sgpr13
	s_waitcnt lgkmcnt(0)
	s_bitcmp1_b32 s17, 8
	s_cselect_b32 s16, -1, 0
	s_bfe_u32 s2, s17, 0x10008
	s_ashr_i32 s15, s15, 31
	s_cmp_eq_u32 s2, 0
	s_cbranch_scc1 .LBB12_3
; %bb.2:
	s_load_b32 s2, s[0:1], 0x20
	s_mul_i32 s3, s14, s5
	s_mul_hi_u32 s5, s14, s4
	s_mul_i32 s12, s15, s4
	s_add_i32 s3, s5, s3
	s_mul_i32 s4, s14, s4
	s_add_i32 s5, s3, s12
	s_delay_alu instid0(SALU_CYCLE_1)
	s_lshl_b64 s[4:5], s[4:5], 2
	s_waitcnt lgkmcnt(0)
	s_ashr_i32 s3, s2, 31
	s_add_u32 s4, s10, s4
	s_addc_u32 s5, s11, s5
	s_lshl_b64 s[2:3], s[2:3], 2
	s_delay_alu instid0(SALU_CYCLE_1)
	s_add_u32 s12, s4, s2
	s_addc_u32 s13, s5, s3
.LBB12_3:
	s_load_b128 s[0:3], s[0:1], 0x0
	s_mul_i32 s4, s14, s9
	s_mul_hi_u32 s5, s14, s8
	s_mul_i32 s9, s15, s8
	s_add_i32 s5, s5, s4
	s_mul_i32 s4, s14, s8
	s_add_i32 s5, s5, s9
	v_lshlrev_b32_e32 v15, 2, v0
	s_lshl_b64 s[4:5], s[4:5], 2
	s_waitcnt lgkmcnt(0)
	v_add3_u32 v1, s3, s3, v0
	s_ashr_i32 s9, s2, 31
	s_mov_b32 s8, s2
	s_add_u32 s2, s0, s4
	s_addc_u32 s5, s1, s5
	v_add_nc_u32_e32 v3, s3, v1
	s_lshl_b64 s[0:1], s[8:9], 2
	v_ashrrev_i32_e32 v2, 31, v1
	s_add_u32 s0, s2, s0
	s_addc_u32 s1, s5, s1
	v_add_co_u32 v31, s2, s0, v15
	v_add_nc_u32_e32 v5, s3, v3
	s_mov_b32 s4, s3
	s_ashr_i32 s5, s3, 31
	v_add_co_ci_u32_e64 v32, null, s1, 0, s2
	v_lshlrev_b64 v[1:2], 2, v[1:2]
	v_ashrrev_i32_e32 v4, 31, v3
	s_lshl_b64 s[4:5], s[4:5], 2
	v_ashrrev_i32_e32 v6, 31, v5
	v_add_co_u32 v33, vcc_lo, v31, s4
	v_add_nc_u32_e32 v7, s3, v5
	v_add_co_ci_u32_e32 v34, vcc_lo, s5, v32, vcc_lo
	v_lshlrev_b64 v[3:4], 2, v[3:4]
	v_add_co_u32 v35, vcc_lo, s0, v1
	v_add_co_ci_u32_e32 v36, vcc_lo, s1, v2, vcc_lo
	v_lshlrev_b64 v[1:2], 2, v[5:6]
	v_ashrrev_i32_e32 v8, 31, v7
	v_add_nc_u32_e32 v5, s3, v7
	v_add_co_u32 v37, vcc_lo, s0, v3
	v_add_co_ci_u32_e32 v38, vcc_lo, s1, v4, vcc_lo
	s_delay_alu instid0(VALU_DEP_4) | instskip(NEXT) | instid1(VALU_DEP_4)
	v_lshlrev_b64 v[3:4], 2, v[7:8]
	v_ashrrev_i32_e32 v6, 31, v5
	v_add_nc_u32_e32 v7, s3, v5
	v_add_co_u32 v39, vcc_lo, s0, v1
	v_add_co_ci_u32_e32 v40, vcc_lo, s1, v2, vcc_lo
	s_delay_alu instid0(VALU_DEP_4) | instskip(NEXT) | instid1(VALU_DEP_4)
	v_lshlrev_b64 v[1:2], 2, v[5:6]
	v_add_nc_u32_e32 v5, s3, v7
	v_add_co_u32 v41, vcc_lo, s0, v3
	v_ashrrev_i32_e32 v8, 31, v7
	v_add_co_ci_u32_e32 v42, vcc_lo, s1, v4, vcc_lo
	s_delay_alu instid0(VALU_DEP_4) | instskip(SKIP_2) | instid1(VALU_DEP_3)
	v_ashrrev_i32_e32 v6, 31, v5
	v_add_co_u32 v43, vcc_lo, s0, v1
	v_add_co_ci_u32_e32 v44, vcc_lo, s1, v2, vcc_lo
	v_lshlrev_b64 v[1:2], 2, v[5:6]
	v_add_nc_u32_e32 v5, s3, v5
	v_lshlrev_b64 v[3:4], 2, v[7:8]
	s_bitcmp0_b32 s17, 0
	s_delay_alu instid0(VALU_DEP_2) | instskip(SKIP_1) | instid1(VALU_DEP_3)
	v_add_nc_u32_e32 v11, s3, v5
	v_ashrrev_i32_e32 v6, 31, v5
	v_add_co_u32 v45, vcc_lo, s0, v3
	s_delay_alu instid0(VALU_DEP_4)
	v_add_co_ci_u32_e32 v46, vcc_lo, s1, v4, vcc_lo
	v_add_co_u32 v47, vcc_lo, s0, v1
	v_add_nc_u32_e32 v13, s3, v11
	v_add_co_ci_u32_e32 v48, vcc_lo, s1, v2, vcc_lo
	v_lshlrev_b64 v[1:2], 2, v[5:6]
	v_ashrrev_i32_e32 v12, 31, v11
	s_delay_alu instid0(VALU_DEP_4)
	v_ashrrev_i32_e32 v14, 31, v13
	v_add_nc_u32_e32 v16, s3, v13
	s_clause 0x7
	global_load_b32 v3, v[33:34], off
	global_load_b32 v4, v[35:36], off
	;; [unrolled: 1-line block ×8, first 2 shown]
	v_lshlrev_b64 v[11:12], 2, v[11:12]
	v_add_co_u32 v49, vcc_lo, s0, v1
	v_add_co_ci_u32_e32 v50, vcc_lo, s1, v2, vcc_lo
	v_lshlrev_b64 v[1:2], 2, v[13:14]
	s_delay_alu instid0(VALU_DEP_4) | instskip(SKIP_1) | instid1(VALU_DEP_3)
	v_add_co_u32 v51, vcc_lo, s0, v11
	v_add_co_ci_u32_e32 v52, vcc_lo, s1, v12, vcc_lo
	v_add_co_u32 v53, vcc_lo, s0, v1
	v_mov_b32_e32 v1, 0
	v_ashrrev_i32_e32 v17, 31, v16
	v_add_co_ci_u32_e32 v54, vcc_lo, s1, v2, vcc_lo
	s_delay_alu instid0(VALU_DEP_2) | instskip(NEXT) | instid1(VALU_DEP_1)
	v_lshlrev_b64 v[11:12], 2, v[16:17]
	v_add_co_u32 v55, vcc_lo, s0, v11
	s_delay_alu instid0(VALU_DEP_2)
	v_add_co_ci_u32_e32 v56, vcc_lo, s1, v12, vcc_lo
	s_clause 0x4
	global_load_b32 v11, v[49:50], off
	global_load_b32 v12, v[51:52], off
	;; [unrolled: 1-line block ×3, first 2 shown]
	global_load_b32 v2, v15, s[0:1]
	global_load_b32 v14, v[55:56], off
	s_mov_b32 s0, -1
	s_cbranch_scc1 .LBB12_14
; %bb.4:
	v_cmp_eq_u32_e64 s0, 0, v0
	s_delay_alu instid0(VALU_DEP_1)
	s_and_saveexec_b32 s1, s0
	s_cbranch_execz .LBB12_6
; %bb.5:
	v_mov_b32_e32 v16, 0
	ds_store_b32 v16, v16 offset:52
.LBB12_6:
	s_or_b32 exec_lo, exec_lo, s1
	v_cmp_eq_u32_e32 vcc_lo, 1, v0
	s_mov_b32 s2, exec_lo
	s_waitcnt vmcnt(0) lgkmcnt(0)
	s_barrier
	buffer_gl0_inv
	v_cndmask_b32_e32 v16, v2, v3, vcc_lo
	v_cmp_eq_u32_e32 vcc_lo, 2, v0
	s_delay_alu instid0(VALU_DEP_2) | instskip(SKIP_1) | instid1(VALU_DEP_2)
	v_cndmask_b32_e32 v16, v16, v4, vcc_lo
	v_cmp_eq_u32_e32 vcc_lo, 3, v0
	v_cndmask_b32_e32 v16, v16, v5, vcc_lo
	v_cmp_eq_u32_e32 vcc_lo, 4, v0
	s_delay_alu instid0(VALU_DEP_2) | instskip(SKIP_1) | instid1(VALU_DEP_2)
	v_cndmask_b32_e32 v16, v16, v6, vcc_lo
	v_cmp_eq_u32_e32 vcc_lo, 5, v0
	;; [unrolled: 5-line block ×5, first 2 shown]
	v_cndmask_b32_e32 v16, v16, v13, vcc_lo
	v_cmp_eq_u32_e32 vcc_lo, 12, v0
	s_delay_alu instid0(VALU_DEP_2) | instskip(NEXT) | instid1(VALU_DEP_1)
	v_cndmask_b32_e32 v16, v16, v14, vcc_lo
	v_cmpx_eq_f32_e32 0, v16
	s_cbranch_execz .LBB12_10
; %bb.7:
	v_mov_b32_e32 v17, 0
	ds_load_b32 v18, v17 offset:52
	s_waitcnt lgkmcnt(0)
	v_readfirstlane_b32 s1, v18
	v_add_nc_u32_e32 v18, 1, v0
	s_delay_alu instid0(VALU_DEP_2) | instskip(NEXT) | instid1(VALU_DEP_1)
	s_cmp_eq_u32 s1, 0
	v_cmp_gt_i32_e32 vcc_lo, s1, v18
	s_cselect_b32 s3, -1, 0
	s_delay_alu instid0(SALU_CYCLE_1) | instskip(NEXT) | instid1(SALU_CYCLE_1)
	s_or_b32 s3, s3, vcc_lo
	s_and_b32 exec_lo, exec_lo, s3
	s_cbranch_execz .LBB12_10
; %bb.8:
	v_mov_b32_e32 v19, s1
	s_mov_b32 s3, 0
.LBB12_9:                               ; =>This Inner Loop Header: Depth=1
	ds_cmpstore_rtn_b32 v19, v17, v18, v19 offset:52
	s_waitcnt lgkmcnt(0)
	v_cmp_ne_u32_e32 vcc_lo, 0, v19
	v_cmp_le_i32_e64 s1, v19, v18
	s_delay_alu instid0(VALU_DEP_1) | instskip(NEXT) | instid1(SALU_CYCLE_1)
	s_and_b32 s1, vcc_lo, s1
	s_and_b32 s1, exec_lo, s1
	s_delay_alu instid0(SALU_CYCLE_1) | instskip(NEXT) | instid1(SALU_CYCLE_1)
	s_or_b32 s3, s1, s3
	s_and_not1_b32 exec_lo, exec_lo, s3
	s_cbranch_execnz .LBB12_9
.LBB12_10:
	s_or_b32 exec_lo, exec_lo, s2
	v_mov_b32_e32 v17, 0
	s_barrier
	buffer_gl0_inv
	ds_load_b32 v18, v17 offset:52
	s_and_saveexec_b32 s1, s0
	s_cbranch_execz .LBB12_12
; %bb.11:
	s_lshl_b64 s[2:3], s[14:15], 2
	s_delay_alu instid0(SALU_CYCLE_1)
	s_add_u32 s2, s6, s2
	s_addc_u32 s3, s7, s3
	s_waitcnt lgkmcnt(0)
	global_store_b32 v17, v18, s[2:3]
.LBB12_12:
	s_or_b32 exec_lo, exec_lo, s1
	s_waitcnt lgkmcnt(0)
	v_cmp_ne_u32_e32 vcc_lo, 0, v18
	s_cbranch_vccz .LBB12_17
; %bb.13:
	s_mov_b32 s0, 0
                                        ; implicit-def: $vgpr2_vgpr3_vgpr4_vgpr5_vgpr6_vgpr7_vgpr8_vgpr9_vgpr10_vgpr11_vgpr12_vgpr13_vgpr14_vgpr15_vgpr16_vgpr17
.LBB12_14:
	s_delay_alu instid0(SALU_CYCLE_1)
	s_and_b32 vcc_lo, exec_lo, s0
	s_cbranch_vccz .LBB12_16
.LBB12_15:
	s_lshl_b64 s[0:1], s[14:15], 2
	v_mov_b32_e32 v1, 0
	s_add_u32 s0, s6, s0
	s_addc_u32 s1, s7, s1
	global_load_b32 v1, v1, s[0:1]
	s_waitcnt vmcnt(0)
	v_cmp_ne_u32_e32 vcc_lo, 0, v1
	s_cbranch_vccz .LBB12_74
.LBB12_16:
	s_nop 0
	s_sendmsg sendmsg(MSG_DEALLOC_VGPRS)
	s_endpgm
.LBB12_17:
	v_div_scale_f32 v17, null, v16, v16, 1.0
	v_div_scale_f32 v20, vcc_lo, 1.0, v16, 1.0
	s_delay_alu instid0(VALU_DEP_2) | instskip(SKIP_2) | instid1(VALU_DEP_1)
	v_rcp_f32_e32 v18, v17
	s_waitcnt_depctr 0xfff
	v_fma_f32 v19, -v17, v18, 1.0
	v_fmac_f32_e32 v18, v19, v18
	s_delay_alu instid0(VALU_DEP_1) | instskip(NEXT) | instid1(VALU_DEP_1)
	v_mul_f32_e32 v19, v20, v18
	v_fma_f32 v21, -v17, v19, v20
	s_delay_alu instid0(VALU_DEP_1) | instskip(NEXT) | instid1(VALU_DEP_1)
	v_fmac_f32_e32 v19, v21, v18
	v_fma_f32 v17, -v17, v19, v20
	s_delay_alu instid0(VALU_DEP_1) | instskip(SKIP_1) | instid1(VALU_DEP_2)
	v_div_fmas_f32 v17, v17, v18, v19
	v_cmp_eq_u32_e32 vcc_lo, 12, v0
	v_div_fixup_f32 v16, v17, v16, 1.0
	s_delay_alu instid0(VALU_DEP_1)
	v_dual_cndmask_b32 v14, v14, v16 :: v_dual_add_nc_u32 v17, 64, v15
	v_cmp_eq_u32_e32 vcc_lo, 11, v0
	v_xor_b32_e32 v18, 0x80000000, v16
	v_cndmask_b32_e32 v13, v13, v16, vcc_lo
	v_cmp_eq_u32_e32 vcc_lo, 10, v0
	v_cndmask_b32_e32 v12, v12, v16, vcc_lo
	v_cmp_eq_u32_e32 vcc_lo, 9, v0
	;; [unrolled: 2-line block ×10, first 2 shown]
	ds_store_2addr_b32 v15, v18, v3 offset1:16
	v_cndmask_b32_e32 v4, v4, v16, vcc_lo
	v_cmp_eq_u32_e32 vcc_lo, 0, v0
	s_waitcnt lgkmcnt(0)
	s_waitcnt_vscnt null, 0x0
	s_barrier
	buffer_gl0_inv
	v_cndmask_b32_e32 v2, v2, v16, vcc_lo
	s_and_saveexec_b32 s1, s0
	s_cbranch_execz .LBB12_19
; %bb.18:
	v_mov_b32_e32 v3, 0
	ds_load_b32 v15, v17
	ds_load_b32 v3, v3 offset:4
	s_waitcnt lgkmcnt(1)
	v_fma_f32 v15, v16, v15, 0
	s_waitcnt lgkmcnt(0)
	s_delay_alu instid0(VALU_DEP_1)
	v_mul_f32_e32 v3, v15, v3
.LBB12_19:
	s_or_b32 exec_lo, exec_lo, s1
	v_cmp_gt_u32_e32 vcc_lo, 2, v0
	s_barrier
	buffer_gl0_inv
	ds_store_b32 v17, v4
	s_waitcnt lgkmcnt(0)
	s_barrier
	buffer_gl0_inv
	s_and_saveexec_b32 s2, vcc_lo
	s_cbranch_execz .LBB12_21
; %bb.20:
	v_cmp_eq_u32_e64 s1, 1, v0
	ds_load_b32 v18, v17
	v_cndmask_b32_e64 v15, v2, v3, s1
	v_cmp_eq_u32_e64 s1, 2, v0
	s_delay_alu instid0(VALU_DEP_1) | instskip(SKIP_2) | instid1(VALU_DEP_2)
	v_cndmask_b32_e64 v4, v15, v4, s1
	v_cmp_eq_u32_e64 s1, 3, v0
	v_mov_b32_e32 v15, 0
	v_cndmask_b32_e64 v4, v4, v5, s1
	v_cmp_eq_u32_e64 s1, 4, v0
	ds_load_2addr_b32 v[15:16], v15 offset0:2 offset1:17
	v_cndmask_b32_e64 v4, v4, v6, s1
	v_cmp_eq_u32_e64 s1, 5, v0
	s_delay_alu instid0(VALU_DEP_1) | instskip(SKIP_1) | instid1(VALU_DEP_1)
	v_cndmask_b32_e64 v4, v4, v7, s1
	v_cmp_eq_u32_e64 s1, 6, v0
	v_cndmask_b32_e64 v4, v4, v8, s1
	v_cmp_eq_u32_e64 s1, 7, v0
	s_delay_alu instid0(VALU_DEP_1) | instskip(SKIP_1) | instid1(VALU_DEP_1)
	v_cndmask_b32_e64 v4, v4, v9, s1
	v_cmp_eq_u32_e64 s1, 8, v0
	;; [unrolled: 5-line block ×4, first 2 shown]
	v_cndmask_b32_e64 v4, v4, v14, s1
	s_waitcnt lgkmcnt(1)
	s_delay_alu instid0(VALU_DEP_1) | instskip(SKIP_1) | instid1(VALU_DEP_1)
	v_fma_f32 v4, v4, v18, 0
	s_waitcnt lgkmcnt(0)
	v_fma_f32 v16, v3, v16, v4
	s_delay_alu instid0(VALU_DEP_1) | instskip(NEXT) | instid1(VALU_DEP_1)
	v_cndmask_b32_e64 v4, v4, v16, s0
	v_mul_f32_e32 v4, v4, v15
.LBB12_21:
	s_or_b32 exec_lo, exec_lo, s2
	s_delay_alu instid0(SALU_CYCLE_1)
	s_mov_b32 s3, exec_lo
	s_barrier
	buffer_gl0_inv
	ds_store_b32 v17, v5
	s_waitcnt lgkmcnt(0)
	s_barrier
	buffer_gl0_inv
	v_cmpx_gt_u32_e32 3, v0
	s_cbranch_execz .LBB12_25
; %bb.22:
	v_mov_b32_e32 v16, v1
	v_lshl_add_u32 v19, v0, 2, 64
	v_dual_mov_b32 v18, 0 :: v_dual_mov_b32 v15, v0
	s_mov_b32 s4, 0
.LBB12_23:                              ; =>This Inner Loop Header: Depth=1
	s_delay_alu instid0(VALU_DEP_1) | instskip(SKIP_3) | instid1(VALU_DEP_1)
	v_cmp_eq_u32_e64 s1, 1, v15
	ds_load_b32 v21, v19
	v_cndmask_b32_e64 v20, v2, v3, s1
	v_cmp_eq_u32_e64 s1, 2, v15
	v_cndmask_b32_e64 v20, v20, v4, s1
	v_cmp_eq_u32_e64 s1, 3, v15
	s_delay_alu instid0(VALU_DEP_1) | instskip(SKIP_1) | instid1(VALU_DEP_1)
	v_cndmask_b32_e64 v20, v20, v5, s1
	v_cmp_eq_u32_e64 s1, 4, v15
	v_cndmask_b32_e64 v20, v20, v6, s1
	v_cmp_eq_u32_e64 s1, 5, v15
	s_delay_alu instid0(VALU_DEP_1) | instskip(SKIP_1) | instid1(VALU_DEP_1)
	;; [unrolled: 5-line block ×4, first 2 shown]
	v_cndmask_b32_e64 v20, v20, v11, s1
	v_cmp_eq_u32_e64 s1, 10, v15
	v_cndmask_b32_e64 v20, v20, v12, s1
	v_cmp_eq_u32_e64 s1, 11, v15
	s_delay_alu instid0(VALU_DEP_1) | instskip(SKIP_2) | instid1(VALU_DEP_1)
	v_cndmask_b32_e64 v20, v20, v13, s1
	v_cmp_eq_u32_e64 s1, 12, v15
	v_add_co_u32 v15, s2, v15, 1
	v_add_co_ci_u32_e64 v16, s2, 0, v16, s2
	s_delay_alu instid0(VALU_DEP_3) | instskip(NEXT) | instid1(VALU_DEP_3)
	v_cndmask_b32_e64 v20, v20, v14, s1
	v_add_nc_u32_e32 v22, -1, v15
	s_waitcnt lgkmcnt(0)
	s_delay_alu instid0(VALU_DEP_2) | instskip(NEXT) | instid1(VALU_DEP_2)
	v_dual_fmac_f32 v18, v20, v21 :: v_dual_add_nc_u32 v19, 4, v19
	v_cmp_lt_u32_e64 s1, 1, v22
	s_delay_alu instid0(VALU_DEP_1) | instskip(NEXT) | instid1(SALU_CYCLE_1)
	s_or_b32 s4, s1, s4
	s_and_not1_b32 exec_lo, exec_lo, s4
	s_cbranch_execnz .LBB12_23
; %bb.24:
	s_or_b32 exec_lo, exec_lo, s4
	v_mov_b32_e32 v5, 0
	ds_load_b32 v5, v5 offset:12
	s_waitcnt lgkmcnt(0)
	v_mul_f32_e32 v5, v18, v5
.LBB12_25:
	s_or_b32 exec_lo, exec_lo, s3
	v_cmp_gt_u32_e64 s1, 4, v0
	s_barrier
	buffer_gl0_inv
	ds_store_b32 v17, v6
	s_waitcnt lgkmcnt(0)
	s_barrier
	buffer_gl0_inv
	s_and_saveexec_b32 s4, s1
	s_cbranch_execz .LBB12_29
; %bb.26:
	v_mov_b32_e32 v16, v1
	v_lshl_add_u32 v19, v0, 2, 64
	v_dual_mov_b32 v18, 0 :: v_dual_mov_b32 v15, v0
	s_mov_b32 s5, 0
.LBB12_27:                              ; =>This Inner Loop Header: Depth=1
	s_delay_alu instid0(VALU_DEP_1) | instskip(SKIP_3) | instid1(VALU_DEP_1)
	v_cmp_eq_u32_e64 s2, 1, v15
	ds_load_b32 v21, v19
	v_cndmask_b32_e64 v20, v2, v3, s2
	v_cmp_eq_u32_e64 s2, 2, v15
	v_cndmask_b32_e64 v20, v20, v4, s2
	v_cmp_eq_u32_e64 s2, 3, v15
	s_delay_alu instid0(VALU_DEP_1) | instskip(SKIP_1) | instid1(VALU_DEP_1)
	v_cndmask_b32_e64 v20, v20, v5, s2
	v_cmp_eq_u32_e64 s2, 4, v15
	v_cndmask_b32_e64 v20, v20, v6, s2
	v_cmp_eq_u32_e64 s2, 5, v15
	s_delay_alu instid0(VALU_DEP_1) | instskip(SKIP_1) | instid1(VALU_DEP_1)
	;; [unrolled: 5-line block ×4, first 2 shown]
	v_cndmask_b32_e64 v20, v20, v11, s2
	v_cmp_eq_u32_e64 s2, 10, v15
	v_cndmask_b32_e64 v20, v20, v12, s2
	v_cmp_eq_u32_e64 s2, 11, v15
	s_delay_alu instid0(VALU_DEP_1) | instskip(SKIP_2) | instid1(VALU_DEP_1)
	v_cndmask_b32_e64 v20, v20, v13, s2
	v_cmp_eq_u32_e64 s2, 12, v15
	v_add_co_u32 v15, s3, v15, 1
	v_add_co_ci_u32_e64 v16, s3, 0, v16, s3
	s_delay_alu instid0(VALU_DEP_3) | instskip(NEXT) | instid1(VALU_DEP_3)
	v_cndmask_b32_e64 v20, v20, v14, s2
	v_add_nc_u32_e32 v22, -1, v15
	s_waitcnt lgkmcnt(0)
	s_delay_alu instid0(VALU_DEP_2) | instskip(NEXT) | instid1(VALU_DEP_2)
	v_dual_fmac_f32 v18, v20, v21 :: v_dual_add_nc_u32 v19, 4, v19
	v_cmp_lt_u32_e64 s2, 2, v22
	s_delay_alu instid0(VALU_DEP_1) | instskip(NEXT) | instid1(SALU_CYCLE_1)
	s_or_b32 s5, s2, s5
	s_and_not1_b32 exec_lo, exec_lo, s5
	s_cbranch_execnz .LBB12_27
; %bb.28:
	s_or_b32 exec_lo, exec_lo, s5
	v_mov_b32_e32 v6, 0
	ds_load_b32 v6, v6 offset:16
	s_waitcnt lgkmcnt(0)
	v_mul_f32_e32 v6, v18, v6
.LBB12_29:
	s_or_b32 exec_lo, exec_lo, s4
	s_delay_alu instid0(SALU_CYCLE_1)
	s_mov_b32 s4, exec_lo
	s_barrier
	buffer_gl0_inv
	ds_store_b32 v17, v7
	s_waitcnt lgkmcnt(0)
	s_barrier
	buffer_gl0_inv
	v_cmpx_gt_u32_e32 5, v0
	s_cbranch_execz .LBB12_33
; %bb.30:
	v_mov_b32_e32 v16, v1
	v_lshl_add_u32 v19, v0, 2, 64
	v_dual_mov_b32 v18, 0 :: v_dual_mov_b32 v15, v0
	s_mov_b32 s5, 0
.LBB12_31:                              ; =>This Inner Loop Header: Depth=1
	s_delay_alu instid0(VALU_DEP_1) | instskip(SKIP_3) | instid1(VALU_DEP_1)
	v_cmp_eq_u32_e64 s2, 1, v15
	ds_load_b32 v21, v19
	v_cndmask_b32_e64 v20, v2, v3, s2
	v_cmp_eq_u32_e64 s2, 2, v15
	v_cndmask_b32_e64 v20, v20, v4, s2
	v_cmp_eq_u32_e64 s2, 3, v15
	s_delay_alu instid0(VALU_DEP_1) | instskip(SKIP_1) | instid1(VALU_DEP_1)
	v_cndmask_b32_e64 v20, v20, v5, s2
	v_cmp_eq_u32_e64 s2, 4, v15
	v_cndmask_b32_e64 v20, v20, v6, s2
	v_cmp_eq_u32_e64 s2, 5, v15
	s_delay_alu instid0(VALU_DEP_1) | instskip(SKIP_1) | instid1(VALU_DEP_1)
	v_cndmask_b32_e64 v20, v20, v7, s2
	v_cmp_eq_u32_e64 s2, 6, v15
	v_cndmask_b32_e64 v20, v20, v8, s2
	v_cmp_eq_u32_e64 s2, 7, v15
	s_delay_alu instid0(VALU_DEP_1) | instskip(SKIP_1) | instid1(VALU_DEP_1)
	v_cndmask_b32_e64 v20, v20, v9, s2
	v_cmp_eq_u32_e64 s2, 8, v15
	v_cndmask_b32_e64 v20, v20, v10, s2
	v_cmp_eq_u32_e64 s2, 9, v15
	s_delay_alu instid0(VALU_DEP_1) | instskip(SKIP_1) | instid1(VALU_DEP_1)
	v_cndmask_b32_e64 v20, v20, v11, s2
	v_cmp_eq_u32_e64 s2, 10, v15
	v_cndmask_b32_e64 v20, v20, v12, s2
	v_cmp_eq_u32_e64 s2, 11, v15
	s_delay_alu instid0(VALU_DEP_1) | instskip(SKIP_2) | instid1(VALU_DEP_1)
	v_cndmask_b32_e64 v20, v20, v13, s2
	v_cmp_eq_u32_e64 s2, 12, v15
	v_add_co_u32 v15, s3, v15, 1
	v_add_co_ci_u32_e64 v16, s3, 0, v16, s3
	s_delay_alu instid0(VALU_DEP_3) | instskip(NEXT) | instid1(VALU_DEP_3)
	v_cndmask_b32_e64 v20, v20, v14, s2
	v_add_nc_u32_e32 v22, -1, v15
	s_waitcnt lgkmcnt(0)
	s_delay_alu instid0(VALU_DEP_2) | instskip(NEXT) | instid1(VALU_DEP_2)
	v_dual_fmac_f32 v18, v20, v21 :: v_dual_add_nc_u32 v19, 4, v19
	v_cmp_lt_u32_e64 s2, 3, v22
	s_delay_alu instid0(VALU_DEP_1) | instskip(NEXT) | instid1(SALU_CYCLE_1)
	s_or_b32 s5, s2, s5
	s_and_not1_b32 exec_lo, exec_lo, s5
	s_cbranch_execnz .LBB12_31
; %bb.32:
	s_or_b32 exec_lo, exec_lo, s5
	v_mov_b32_e32 v7, 0
	ds_load_b32 v7, v7 offset:20
	s_waitcnt lgkmcnt(0)
	v_mul_f32_e32 v7, v18, v7
.LBB12_33:
	s_or_b32 exec_lo, exec_lo, s4
	v_cmp_gt_u32_e64 s2, 6, v0
	s_barrier
	buffer_gl0_inv
	ds_store_b32 v17, v8
	s_waitcnt lgkmcnt(0)
	s_barrier
	buffer_gl0_inv
	s_and_saveexec_b32 s5, s2
	s_cbranch_execz .LBB12_37
; %bb.34:
	v_mov_b32_e32 v16, v1
	v_lshl_add_u32 v19, v0, 2, 64
	v_dual_mov_b32 v18, 0 :: v_dual_mov_b32 v15, v0
	s_mov_b32 s8, 0
.LBB12_35:                              ; =>This Inner Loop Header: Depth=1
	s_delay_alu instid0(VALU_DEP_1) | instskip(SKIP_3) | instid1(VALU_DEP_1)
	v_cmp_eq_u32_e64 s3, 1, v15
	ds_load_b32 v21, v19
	v_cndmask_b32_e64 v20, v2, v3, s3
	v_cmp_eq_u32_e64 s3, 2, v15
	v_cndmask_b32_e64 v20, v20, v4, s3
	v_cmp_eq_u32_e64 s3, 3, v15
	s_delay_alu instid0(VALU_DEP_1) | instskip(SKIP_1) | instid1(VALU_DEP_1)
	v_cndmask_b32_e64 v20, v20, v5, s3
	v_cmp_eq_u32_e64 s3, 4, v15
	v_cndmask_b32_e64 v20, v20, v6, s3
	v_cmp_eq_u32_e64 s3, 5, v15
	s_delay_alu instid0(VALU_DEP_1) | instskip(SKIP_1) | instid1(VALU_DEP_1)
	;; [unrolled: 5-line block ×4, first 2 shown]
	v_cndmask_b32_e64 v20, v20, v11, s3
	v_cmp_eq_u32_e64 s3, 10, v15
	v_cndmask_b32_e64 v20, v20, v12, s3
	v_cmp_eq_u32_e64 s3, 11, v15
	s_delay_alu instid0(VALU_DEP_1) | instskip(SKIP_2) | instid1(VALU_DEP_1)
	v_cndmask_b32_e64 v20, v20, v13, s3
	v_cmp_eq_u32_e64 s3, 12, v15
	v_add_co_u32 v15, s4, v15, 1
	v_add_co_ci_u32_e64 v16, s4, 0, v16, s4
	s_delay_alu instid0(VALU_DEP_3) | instskip(NEXT) | instid1(VALU_DEP_3)
	v_cndmask_b32_e64 v20, v20, v14, s3
	v_add_nc_u32_e32 v22, -1, v15
	s_waitcnt lgkmcnt(0)
	s_delay_alu instid0(VALU_DEP_2) | instskip(NEXT) | instid1(VALU_DEP_2)
	v_dual_fmac_f32 v18, v20, v21 :: v_dual_add_nc_u32 v19, 4, v19
	v_cmp_lt_u32_e64 s3, 4, v22
	s_delay_alu instid0(VALU_DEP_1) | instskip(NEXT) | instid1(SALU_CYCLE_1)
	s_or_b32 s8, s3, s8
	s_and_not1_b32 exec_lo, exec_lo, s8
	s_cbranch_execnz .LBB12_35
; %bb.36:
	s_or_b32 exec_lo, exec_lo, s8
	v_mov_b32_e32 v8, 0
	ds_load_b32 v8, v8 offset:24
	s_waitcnt lgkmcnt(0)
	v_mul_f32_e32 v8, v18, v8
.LBB12_37:
	s_or_b32 exec_lo, exec_lo, s5
	s_delay_alu instid0(SALU_CYCLE_1)
	s_mov_b32 s5, exec_lo
	s_barrier
	buffer_gl0_inv
	ds_store_b32 v17, v9
	s_waitcnt lgkmcnt(0)
	s_barrier
	buffer_gl0_inv
	v_cmpx_gt_u32_e32 7, v0
	s_cbranch_execz .LBB12_41
; %bb.38:
	v_mov_b32_e32 v16, v1
	v_lshl_add_u32 v19, v0, 2, 64
	v_dual_mov_b32 v18, 0 :: v_dual_mov_b32 v15, v0
	s_mov_b32 s8, 0
.LBB12_39:                              ; =>This Inner Loop Header: Depth=1
	s_delay_alu instid0(VALU_DEP_1) | instskip(SKIP_3) | instid1(VALU_DEP_1)
	v_cmp_eq_u32_e64 s3, 1, v15
	ds_load_b32 v21, v19
	v_cndmask_b32_e64 v20, v2, v3, s3
	v_cmp_eq_u32_e64 s3, 2, v15
	v_cndmask_b32_e64 v20, v20, v4, s3
	v_cmp_eq_u32_e64 s3, 3, v15
	s_delay_alu instid0(VALU_DEP_1) | instskip(SKIP_1) | instid1(VALU_DEP_1)
	v_cndmask_b32_e64 v20, v20, v5, s3
	v_cmp_eq_u32_e64 s3, 4, v15
	v_cndmask_b32_e64 v20, v20, v6, s3
	v_cmp_eq_u32_e64 s3, 5, v15
	s_delay_alu instid0(VALU_DEP_1) | instskip(SKIP_1) | instid1(VALU_DEP_1)
	;; [unrolled: 5-line block ×4, first 2 shown]
	v_cndmask_b32_e64 v20, v20, v11, s3
	v_cmp_eq_u32_e64 s3, 10, v15
	v_cndmask_b32_e64 v20, v20, v12, s3
	v_cmp_eq_u32_e64 s3, 11, v15
	s_delay_alu instid0(VALU_DEP_1) | instskip(SKIP_2) | instid1(VALU_DEP_1)
	v_cndmask_b32_e64 v20, v20, v13, s3
	v_cmp_eq_u32_e64 s3, 12, v15
	v_add_co_u32 v15, s4, v15, 1
	v_add_co_ci_u32_e64 v16, s4, 0, v16, s4
	s_delay_alu instid0(VALU_DEP_3) | instskip(NEXT) | instid1(VALU_DEP_3)
	v_cndmask_b32_e64 v20, v20, v14, s3
	v_add_nc_u32_e32 v22, -1, v15
	s_waitcnt lgkmcnt(0)
	s_delay_alu instid0(VALU_DEP_2) | instskip(NEXT) | instid1(VALU_DEP_2)
	v_dual_fmac_f32 v18, v20, v21 :: v_dual_add_nc_u32 v19, 4, v19
	v_cmp_lt_u32_e64 s3, 5, v22
	s_delay_alu instid0(VALU_DEP_1) | instskip(NEXT) | instid1(SALU_CYCLE_1)
	s_or_b32 s8, s3, s8
	s_and_not1_b32 exec_lo, exec_lo, s8
	s_cbranch_execnz .LBB12_39
; %bb.40:
	s_or_b32 exec_lo, exec_lo, s8
	v_mov_b32_e32 v9, 0
	ds_load_b32 v9, v9 offset:28
	s_waitcnt lgkmcnt(0)
	v_mul_f32_e32 v9, v18, v9
.LBB12_41:
	s_or_b32 exec_lo, exec_lo, s5
	s_delay_alu instid0(SALU_CYCLE_1)
	s_mov_b32 s4, exec_lo
	s_barrier
	buffer_gl0_inv
	ds_store_b32 v17, v10
	s_waitcnt lgkmcnt(0)
	s_barrier
	buffer_gl0_inv
	v_cmpx_gt_u32_e32 8, v0
	s_cbranch_execz .LBB12_57
; %bb.42:
	v_cmp_eq_u32_e64 s3, 1, v0
	ds_load_b32 v16, v17
	s_mov_b32 s5, exec_lo
	v_cndmask_b32_e64 v15, v2, v3, s3
	v_cmp_eq_u32_e64 s3, 2, v0
	s_delay_alu instid0(VALU_DEP_1) | instskip(SKIP_1) | instid1(VALU_DEP_1)
	v_cndmask_b32_e64 v15, v15, v4, s3
	v_cmp_eq_u32_e64 s3, 3, v0
	v_cndmask_b32_e64 v15, v15, v5, s3
	v_cmp_eq_u32_e64 s3, 4, v0
	s_delay_alu instid0(VALU_DEP_1) | instskip(SKIP_1) | instid1(VALU_DEP_1)
	v_cndmask_b32_e64 v15, v15, v6, s3
	v_cmp_eq_u32_e64 s3, 5, v0
	;; [unrolled: 5-line block ×5, first 2 shown]
	v_cndmask_b32_e64 v15, v15, v13, s3
	v_cmp_eq_u32_e64 s3, 12, v0
	s_delay_alu instid0(VALU_DEP_1) | instskip(SKIP_2) | instid1(VALU_DEP_2)
	v_cndmask_b32_e64 v18, v15, v14, s3
	v_mov_b32_e32 v15, 0
	s_waitcnt lgkmcnt(0)
	v_fma_f32 v16, v18, v16, 0
	v_cmpx_ne_u32_e32 7, v0
	s_cbranch_execz .LBB12_56
; %bb.43:
	v_add_nc_u32_e32 v18, 1, v0
	ds_load_b32 v20, v17 offset:4
	v_cmp_eq_u32_e64 s3, 1, v18
	s_delay_alu instid0(VALU_DEP_1) | instskip(SKIP_1) | instid1(VALU_DEP_1)
	v_cndmask_b32_e64 v19, v2, v3, s3
	v_cmp_eq_u32_e64 s3, 2, v18
	v_cndmask_b32_e64 v19, v19, v4, s3
	v_cmp_eq_u32_e64 s3, 3, v18
	s_delay_alu instid0(VALU_DEP_1) | instskip(SKIP_1) | instid1(VALU_DEP_1)
	v_cndmask_b32_e64 v19, v19, v5, s3
	v_cmp_eq_u32_e64 s3, 4, v18
	v_cndmask_b32_e64 v19, v19, v6, s3
	;; [unrolled: 5-line block ×6, first 2 shown]
	s_waitcnt lgkmcnt(0)
	s_delay_alu instid0(VALU_DEP_1)
	v_fmac_f32_e32 v16, v18, v20
	s_and_saveexec_b32 s3, s2
	s_cbranch_execz .LBB12_55
; %bb.44:
	v_add_nc_u32_e32 v18, 2, v0
	ds_load_b32 v20, v17 offset:8
	s_mov_b32 s8, exec_lo
	v_cmp_eq_u32_e64 s2, 1, v18
	s_delay_alu instid0(VALU_DEP_1) | instskip(SKIP_1) | instid1(VALU_DEP_1)
	v_cndmask_b32_e64 v19, v2, v3, s2
	v_cmp_eq_u32_e64 s2, 2, v18
	v_cndmask_b32_e64 v19, v19, v4, s2
	v_cmp_eq_u32_e64 s2, 3, v18
	s_delay_alu instid0(VALU_DEP_1) | instskip(SKIP_1) | instid1(VALU_DEP_1)
	v_cndmask_b32_e64 v19, v19, v5, s2
	v_cmp_eq_u32_e64 s2, 4, v18
	v_cndmask_b32_e64 v19, v19, v6, s2
	;; [unrolled: 5-line block ×6, first 2 shown]
	s_waitcnt lgkmcnt(0)
	s_delay_alu instid0(VALU_DEP_1)
	v_fmac_f32_e32 v16, v18, v20
	v_cmpx_ne_u32_e32 5, v0
	s_cbranch_execz .LBB12_54
; %bb.45:
	v_add_nc_u32_e32 v18, 3, v0
	ds_load_b32 v20, v17 offset:12
	v_cmp_eq_u32_e64 s2, 1, v18
	s_delay_alu instid0(VALU_DEP_1) | instskip(SKIP_1) | instid1(VALU_DEP_1)
	v_cndmask_b32_e64 v19, v2, v3, s2
	v_cmp_eq_u32_e64 s2, 2, v18
	v_cndmask_b32_e64 v19, v19, v4, s2
	v_cmp_eq_u32_e64 s2, 3, v18
	s_delay_alu instid0(VALU_DEP_1) | instskip(SKIP_1) | instid1(VALU_DEP_1)
	v_cndmask_b32_e64 v19, v19, v5, s2
	v_cmp_eq_u32_e64 s2, 4, v18
	v_cndmask_b32_e64 v19, v19, v6, s2
	;; [unrolled: 5-line block ×6, first 2 shown]
	s_waitcnt lgkmcnt(0)
	s_delay_alu instid0(VALU_DEP_1)
	v_fmac_f32_e32 v16, v18, v20
	s_and_saveexec_b32 s2, s1
	s_cbranch_execz .LBB12_53
; %bb.46:
	v_or_b32_e32 v18, 4, v0
	ds_load_b32 v20, v17 offset:16
	s_mov_b32 s9, exec_lo
	v_cmp_eq_u32_e64 s1, 1, v18
	s_delay_alu instid0(VALU_DEP_1) | instskip(SKIP_1) | instid1(VALU_DEP_1)
	v_cndmask_b32_e64 v19, v2, v3, s1
	v_cmp_eq_u32_e64 s1, 2, v18
	v_cndmask_b32_e64 v19, v19, v4, s1
	v_cmp_eq_u32_e64 s1, 3, v18
	s_delay_alu instid0(VALU_DEP_1) | instskip(SKIP_1) | instid1(VALU_DEP_1)
	v_cndmask_b32_e64 v19, v19, v5, s1
	v_cmp_eq_u32_e64 s1, 4, v18
	v_cndmask_b32_e64 v19, v19, v6, s1
	;; [unrolled: 5-line block ×6, first 2 shown]
	s_waitcnt lgkmcnt(0)
	s_delay_alu instid0(VALU_DEP_1)
	v_fmac_f32_e32 v16, v18, v20
	v_cmpx_ne_u32_e32 3, v0
	s_cbranch_execz .LBB12_52
; %bb.47:
	v_add_nc_u32_e32 v18, 5, v0
	ds_load_b32 v20, v17 offset:20
	v_cmp_eq_u32_e64 s1, 1, v18
	s_delay_alu instid0(VALU_DEP_1) | instskip(SKIP_1) | instid1(VALU_DEP_1)
	v_cndmask_b32_e64 v19, v2, v3, s1
	v_cmp_eq_u32_e64 s1, 2, v18
	v_cndmask_b32_e64 v19, v19, v4, s1
	v_cmp_eq_u32_e64 s1, 3, v18
	s_delay_alu instid0(VALU_DEP_1) | instskip(SKIP_1) | instid1(VALU_DEP_1)
	v_cndmask_b32_e64 v19, v19, v5, s1
	v_cmp_eq_u32_e64 s1, 4, v18
	v_cndmask_b32_e64 v19, v19, v6, s1
	;; [unrolled: 5-line block ×6, first 2 shown]
	s_waitcnt lgkmcnt(0)
	s_delay_alu instid0(VALU_DEP_1)
	v_fmac_f32_e32 v16, v18, v20
	s_and_saveexec_b32 s1, vcc_lo
	s_cbranch_execz .LBB12_51
; %bb.48:
	v_or_b32_e32 v18, 6, v0
	s_delay_alu instid0(VALU_DEP_1) | instskip(SKIP_2) | instid1(VALU_DEP_2)
	v_cmp_eq_u32_e32 vcc_lo, 1, v18
	v_cndmask_b32_e32 v19, v2, v3, vcc_lo
	v_cmp_eq_u32_e32 vcc_lo, 2, v18
	v_cndmask_b32_e32 v19, v19, v4, vcc_lo
	v_cmp_eq_u32_e32 vcc_lo, 3, v18
	s_delay_alu instid0(VALU_DEP_2) | instskip(SKIP_1) | instid1(VALU_DEP_2)
	v_cndmask_b32_e32 v19, v19, v5, vcc_lo
	v_cmp_eq_u32_e32 vcc_lo, 4, v18
	v_cndmask_b32_e32 v19, v19, v6, vcc_lo
	v_cmp_eq_u32_e32 vcc_lo, 5, v18
	s_delay_alu instid0(VALU_DEP_2) | instskip(SKIP_1) | instid1(VALU_DEP_2)
	;; [unrolled: 5-line block ×3, first 2 shown]
	v_cndmask_b32_e32 v19, v19, v9, vcc_lo
	v_cmp_eq_u32_e32 vcc_lo, 8, v18
	v_cndmask_b32_e32 v10, v19, v10, vcc_lo
	v_cmp_eq_u32_e32 vcc_lo, 9, v18
	ds_load_b32 v19, v17 offset:24
	v_cndmask_b32_e32 v10, v10, v11, vcc_lo
	v_cmp_eq_u32_e32 vcc_lo, 10, v18
	s_delay_alu instid0(VALU_DEP_2) | instskip(SKIP_1) | instid1(VALU_DEP_2)
	v_cndmask_b32_e32 v10, v10, v12, vcc_lo
	v_cmp_eq_u32_e32 vcc_lo, 11, v18
	v_cndmask_b32_e32 v10, v10, v13, vcc_lo
	v_cmp_eq_u32_e32 vcc_lo, 12, v18
	s_delay_alu instid0(VALU_DEP_2) | instskip(SKIP_1) | instid1(VALU_DEP_1)
	v_cndmask_b32_e32 v10, v10, v14, vcc_lo
	s_waitcnt lgkmcnt(0)
	v_fmac_f32_e32 v16, v10, v19
	s_and_saveexec_b32 s10, s0
	s_cbranch_execz .LBB12_50
; %bb.49:
	ds_load_b32 v10, v17 offset:28
	s_waitcnt lgkmcnt(0)
	v_fmac_f32_e32 v16, v9, v10
.LBB12_50:
	s_or_b32 exec_lo, exec_lo, s10
.LBB12_51:
	s_delay_alu instid0(SALU_CYCLE_1)
	s_or_b32 exec_lo, exec_lo, s1
.LBB12_52:
	s_delay_alu instid0(SALU_CYCLE_1)
	s_or_b32 exec_lo, exec_lo, s9
.LBB12_53:
	s_delay_alu instid0(SALU_CYCLE_1)
	s_or_b32 exec_lo, exec_lo, s2
.LBB12_54:
	s_delay_alu instid0(SALU_CYCLE_1)
	s_or_b32 exec_lo, exec_lo, s8
.LBB12_55:
	s_delay_alu instid0(SALU_CYCLE_1)
	s_or_b32 exec_lo, exec_lo, s3
.LBB12_56:
	s_delay_alu instid0(SALU_CYCLE_1)
	s_or_b32 exec_lo, exec_lo, s5
	ds_load_b32 v10, v15 offset:32
	s_waitcnt lgkmcnt(0)
	v_mul_f32_e32 v10, v16, v10
.LBB12_57:
	s_or_b32 exec_lo, exec_lo, s4
	s_delay_alu instid0(SALU_CYCLE_1)
	s_mov_b32 s1, exec_lo
	s_barrier
	buffer_gl0_inv
	ds_store_b32 v17, v11
	s_waitcnt lgkmcnt(0)
	s_barrier
	buffer_gl0_inv
	v_cmpx_gt_u32_e32 9, v0
	s_cbranch_execz .LBB12_61
; %bb.58:
	v_mov_b32_e32 v16, v1
	v_lshl_add_u32 v19, v0, 2, 64
	v_dual_mov_b32 v18, 0 :: v_dual_mov_b32 v15, v0
	s_mov_b32 s2, 0
	s_set_inst_prefetch_distance 0x1
	.p2align	6
.LBB12_59:                              ; =>This Inner Loop Header: Depth=1
	s_delay_alu instid0(VALU_DEP_1) | instskip(SKIP_4) | instid1(VALU_DEP_2)
	v_cmp_eq_u32_e32 vcc_lo, 1, v15
	ds_load_b32 v21, v19
	v_add_nc_u32_e32 v19, 4, v19
	v_cndmask_b32_e32 v20, v2, v3, vcc_lo
	v_cmp_eq_u32_e32 vcc_lo, 2, v15
	v_cndmask_b32_e32 v20, v20, v4, vcc_lo
	v_cmp_eq_u32_e32 vcc_lo, 3, v15
	s_delay_alu instid0(VALU_DEP_2) | instskip(SKIP_1) | instid1(VALU_DEP_2)
	v_cndmask_b32_e32 v20, v20, v5, vcc_lo
	v_cmp_eq_u32_e32 vcc_lo, 4, v15
	v_cndmask_b32_e32 v20, v20, v6, vcc_lo
	v_cmp_eq_u32_e32 vcc_lo, 5, v15
	s_delay_alu instid0(VALU_DEP_2) | instskip(SKIP_1) | instid1(VALU_DEP_2)
	v_cndmask_b32_e32 v20, v20, v7, vcc_lo
	v_cmp_eq_u32_e32 vcc_lo, 6, v15
	v_cndmask_b32_e32 v20, v20, v8, vcc_lo
	v_cmp_eq_u32_e32 vcc_lo, 7, v15
	s_delay_alu instid0(VALU_DEP_2) | instskip(SKIP_1) | instid1(VALU_DEP_2)
	v_cndmask_b32_e32 v20, v20, v9, vcc_lo
	v_cmp_eq_u32_e32 vcc_lo, 8, v15
	v_cndmask_b32_e32 v20, v20, v10, vcc_lo
	v_cmp_eq_u32_e32 vcc_lo, 9, v15
	s_delay_alu instid0(VALU_DEP_2) | instskip(SKIP_1) | instid1(VALU_DEP_2)
	v_cndmask_b32_e32 v20, v20, v11, vcc_lo
	v_cmp_eq_u32_e32 vcc_lo, 10, v15
	v_cndmask_b32_e32 v20, v20, v12, vcc_lo
	v_cmp_eq_u32_e32 vcc_lo, 11, v15
	s_delay_alu instid0(VALU_DEP_2) | instskip(SKIP_2) | instid1(VALU_DEP_1)
	v_cndmask_b32_e32 v20, v20, v13, vcc_lo
	v_cmp_eq_u32_e32 vcc_lo, 12, v15
	v_add_co_u32 v15, s0, v15, 1
	v_add_co_ci_u32_e64 v16, s0, 0, v16, s0
	s_delay_alu instid0(VALU_DEP_4) | instskip(NEXT) | instid1(VALU_DEP_3)
	v_cndmask_b32_e32 v20, v20, v14, vcc_lo
	v_add_nc_u32_e32 v22, -1, v15
	s_waitcnt lgkmcnt(0)
	s_delay_alu instid0(VALU_DEP_2) | instskip(NEXT) | instid1(VALU_DEP_2)
	v_fmac_f32_e32 v18, v20, v21
	v_cmp_lt_u32_e32 vcc_lo, 7, v22
	s_or_b32 s2, vcc_lo, s2
	s_delay_alu instid0(SALU_CYCLE_1)
	s_and_not1_b32 exec_lo, exec_lo, s2
	s_cbranch_execnz .LBB12_59
; %bb.60:
	s_set_inst_prefetch_distance 0x2
	s_or_b32 exec_lo, exec_lo, s2
	v_mov_b32_e32 v11, 0
	ds_load_b32 v11, v11 offset:36
	s_waitcnt lgkmcnt(0)
	v_mul_f32_e32 v11, v18, v11
.LBB12_61:
	s_or_b32 exec_lo, exec_lo, s1
	s_delay_alu instid0(SALU_CYCLE_1)
	s_mov_b32 s1, exec_lo
	s_barrier
	buffer_gl0_inv
	ds_store_b32 v17, v12
	s_waitcnt lgkmcnt(0)
	s_barrier
	buffer_gl0_inv
	v_cmpx_gt_u32_e32 10, v0
	s_cbranch_execz .LBB12_65
; %bb.62:
	v_mov_b32_e32 v16, v1
	v_lshl_add_u32 v19, v0, 2, 64
	v_dual_mov_b32 v18, 0 :: v_dual_mov_b32 v15, v0
	s_mov_b32 s2, 0
	s_set_inst_prefetch_distance 0x1
	.p2align	6
.LBB12_63:                              ; =>This Inner Loop Header: Depth=1
	s_delay_alu instid0(VALU_DEP_1) | instskip(SKIP_4) | instid1(VALU_DEP_2)
	v_cmp_eq_u32_e32 vcc_lo, 1, v15
	ds_load_b32 v21, v19
	v_add_nc_u32_e32 v19, 4, v19
	v_cndmask_b32_e32 v20, v2, v3, vcc_lo
	v_cmp_eq_u32_e32 vcc_lo, 2, v15
	v_cndmask_b32_e32 v20, v20, v4, vcc_lo
	v_cmp_eq_u32_e32 vcc_lo, 3, v15
	s_delay_alu instid0(VALU_DEP_2) | instskip(SKIP_1) | instid1(VALU_DEP_2)
	v_cndmask_b32_e32 v20, v20, v5, vcc_lo
	v_cmp_eq_u32_e32 vcc_lo, 4, v15
	v_cndmask_b32_e32 v20, v20, v6, vcc_lo
	v_cmp_eq_u32_e32 vcc_lo, 5, v15
	s_delay_alu instid0(VALU_DEP_2) | instskip(SKIP_1) | instid1(VALU_DEP_2)
	;; [unrolled: 5-line block ×4, first 2 shown]
	v_cndmask_b32_e32 v20, v20, v11, vcc_lo
	v_cmp_eq_u32_e32 vcc_lo, 10, v15
	v_cndmask_b32_e32 v20, v20, v12, vcc_lo
	v_cmp_eq_u32_e32 vcc_lo, 11, v15
	s_delay_alu instid0(VALU_DEP_2) | instskip(SKIP_2) | instid1(VALU_DEP_1)
	v_cndmask_b32_e32 v20, v20, v13, vcc_lo
	v_cmp_eq_u32_e32 vcc_lo, 12, v15
	v_add_co_u32 v15, s0, v15, 1
	v_add_co_ci_u32_e64 v16, s0, 0, v16, s0
	s_delay_alu instid0(VALU_DEP_4) | instskip(NEXT) | instid1(VALU_DEP_3)
	v_cndmask_b32_e32 v20, v20, v14, vcc_lo
	v_add_nc_u32_e32 v22, -1, v15
	s_waitcnt lgkmcnt(0)
	s_delay_alu instid0(VALU_DEP_2) | instskip(NEXT) | instid1(VALU_DEP_2)
	v_fmac_f32_e32 v18, v20, v21
	v_cmp_lt_u32_e32 vcc_lo, 8, v22
	s_or_b32 s2, vcc_lo, s2
	s_delay_alu instid0(SALU_CYCLE_1)
	s_and_not1_b32 exec_lo, exec_lo, s2
	s_cbranch_execnz .LBB12_63
; %bb.64:
	s_set_inst_prefetch_distance 0x2
	s_or_b32 exec_lo, exec_lo, s2
	v_mov_b32_e32 v12, 0
	ds_load_b32 v12, v12 offset:40
	s_waitcnt lgkmcnt(0)
	v_mul_f32_e32 v12, v18, v12
.LBB12_65:
	s_or_b32 exec_lo, exec_lo, s1
	s_delay_alu instid0(SALU_CYCLE_1)
	s_mov_b32 s1, exec_lo
	s_barrier
	buffer_gl0_inv
	ds_store_b32 v17, v13
	s_waitcnt lgkmcnt(0)
	s_barrier
	buffer_gl0_inv
	v_cmpx_gt_u32_e32 11, v0
	s_cbranch_execz .LBB12_69
; %bb.66:
	v_mov_b32_e32 v16, v1
	v_lshl_add_u32 v19, v0, 2, 64
	v_dual_mov_b32 v18, 0 :: v_dual_mov_b32 v15, v0
	s_mov_b32 s2, 0
	s_set_inst_prefetch_distance 0x1
	.p2align	6
.LBB12_67:                              ; =>This Inner Loop Header: Depth=1
	s_delay_alu instid0(VALU_DEP_1) | instskip(SKIP_4) | instid1(VALU_DEP_2)
	v_cmp_eq_u32_e32 vcc_lo, 1, v15
	ds_load_b32 v21, v19
	v_add_nc_u32_e32 v19, 4, v19
	v_cndmask_b32_e32 v20, v2, v3, vcc_lo
	v_cmp_eq_u32_e32 vcc_lo, 2, v15
	v_cndmask_b32_e32 v20, v20, v4, vcc_lo
	v_cmp_eq_u32_e32 vcc_lo, 3, v15
	s_delay_alu instid0(VALU_DEP_2) | instskip(SKIP_1) | instid1(VALU_DEP_2)
	v_cndmask_b32_e32 v20, v20, v5, vcc_lo
	v_cmp_eq_u32_e32 vcc_lo, 4, v15
	v_cndmask_b32_e32 v20, v20, v6, vcc_lo
	v_cmp_eq_u32_e32 vcc_lo, 5, v15
	s_delay_alu instid0(VALU_DEP_2) | instskip(SKIP_1) | instid1(VALU_DEP_2)
	;; [unrolled: 5-line block ×4, first 2 shown]
	v_cndmask_b32_e32 v20, v20, v11, vcc_lo
	v_cmp_eq_u32_e32 vcc_lo, 10, v15
	v_cndmask_b32_e32 v20, v20, v12, vcc_lo
	v_cmp_eq_u32_e32 vcc_lo, 11, v15
	s_delay_alu instid0(VALU_DEP_2) | instskip(SKIP_2) | instid1(VALU_DEP_1)
	v_cndmask_b32_e32 v20, v20, v13, vcc_lo
	v_cmp_eq_u32_e32 vcc_lo, 12, v15
	v_add_co_u32 v15, s0, v15, 1
	v_add_co_ci_u32_e64 v16, s0, 0, v16, s0
	s_delay_alu instid0(VALU_DEP_4) | instskip(NEXT) | instid1(VALU_DEP_3)
	v_cndmask_b32_e32 v20, v20, v14, vcc_lo
	v_add_nc_u32_e32 v22, -1, v15
	s_waitcnt lgkmcnt(0)
	s_delay_alu instid0(VALU_DEP_2) | instskip(NEXT) | instid1(VALU_DEP_2)
	v_fmac_f32_e32 v18, v20, v21
	v_cmp_lt_u32_e32 vcc_lo, 9, v22
	s_or_b32 s2, vcc_lo, s2
	s_delay_alu instid0(SALU_CYCLE_1)
	s_and_not1_b32 exec_lo, exec_lo, s2
	s_cbranch_execnz .LBB12_67
; %bb.68:
	s_set_inst_prefetch_distance 0x2
	s_or_b32 exec_lo, exec_lo, s2
	v_mov_b32_e32 v13, 0
	ds_load_b32 v13, v13 offset:44
	s_waitcnt lgkmcnt(0)
	v_mul_f32_e32 v13, v18, v13
.LBB12_69:
	s_or_b32 exec_lo, exec_lo, s1
	s_delay_alu instid0(SALU_CYCLE_1)
	s_mov_b32 s1, exec_lo
	s_barrier
	buffer_gl0_inv
	ds_store_b32 v17, v14
	s_waitcnt lgkmcnt(0)
	s_barrier
	buffer_gl0_inv
	v_cmpx_ne_u32_e32 12, v0
	s_cbranch_execz .LBB12_73
; %bb.70:
	v_dual_mov_b32 v17, 0 :: v_dual_mov_b32 v16, v1
	v_lshl_add_u32 v18, v0, 2, 64
	v_mov_b32_e32 v15, v0
	s_mov_b32 s2, 0
	s_set_inst_prefetch_distance 0x1
	.p2align	6
.LBB12_71:                              ; =>This Inner Loop Header: Depth=1
	s_delay_alu instid0(VALU_DEP_1) | instskip(SKIP_3) | instid1(VALU_DEP_2)
	v_cmp_eq_u32_e32 vcc_lo, 1, v15
	ds_load_b32 v19, v18
	v_dual_cndmask_b32 v1, v2, v3 :: v_dual_add_nc_u32 v18, 4, v18
	v_cmp_eq_u32_e32 vcc_lo, 2, v15
	v_cndmask_b32_e32 v1, v1, v4, vcc_lo
	v_cmp_eq_u32_e32 vcc_lo, 3, v15
	s_delay_alu instid0(VALU_DEP_2) | instskip(SKIP_1) | instid1(VALU_DEP_2)
	v_cndmask_b32_e32 v1, v1, v5, vcc_lo
	v_cmp_eq_u32_e32 vcc_lo, 4, v15
	v_cndmask_b32_e32 v1, v1, v6, vcc_lo
	v_cmp_eq_u32_e32 vcc_lo, 5, v15
	s_delay_alu instid0(VALU_DEP_2) | instskip(SKIP_1) | instid1(VALU_DEP_2)
	v_cndmask_b32_e32 v1, v1, v7, vcc_lo
	;; [unrolled: 5-line block ×4, first 2 shown]
	v_cmp_eq_u32_e32 vcc_lo, 10, v15
	v_cndmask_b32_e32 v1, v1, v12, vcc_lo
	v_cmp_eq_u32_e32 vcc_lo, 11, v15
	s_delay_alu instid0(VALU_DEP_2) | instskip(SKIP_2) | instid1(VALU_DEP_1)
	v_cndmask_b32_e32 v1, v1, v13, vcc_lo
	v_cmp_eq_u32_e32 vcc_lo, 12, v15
	v_add_co_u32 v15, s0, v15, 1
	v_add_co_ci_u32_e64 v16, s0, 0, v16, s0
	s_delay_alu instid0(VALU_DEP_2) | instskip(SKIP_1) | instid1(VALU_DEP_1)
	v_dual_cndmask_b32 v1, v1, v14 :: v_dual_add_nc_u32 v20, -1, v15
	s_waitcnt lgkmcnt(0)
	v_fmac_f32_e32 v17, v1, v19
	s_delay_alu instid0(VALU_DEP_2) | instskip(SKIP_1) | instid1(SALU_CYCLE_1)
	v_cmp_lt_u32_e32 vcc_lo, 10, v20
	s_or_b32 s2, vcc_lo, s2
	s_and_not1_b32 exec_lo, exec_lo, s2
	s_cbranch_execnz .LBB12_71
; %bb.72:
	s_set_inst_prefetch_distance 0x2
	s_or_b32 exec_lo, exec_lo, s2
	v_mov_b32_e32 v1, 0
	ds_load_b32 v1, v1 offset:48
	s_waitcnt lgkmcnt(0)
	v_mul_f32_e32 v14, v17, v1
.LBB12_73:
	s_or_b32 exec_lo, exec_lo, s1
	s_barrier
	buffer_gl0_inv
	s_cbranch_execnz .LBB12_15
	s_branch .LBB12_16
.LBB12_74:
	v_lshl_add_u32 v1, v0, 2, 64
	s_mov_b32 s0, exec_lo
	v_cmpx_eq_u32_e32 12, v0
	s_cbranch_execz .LBB12_76
; %bb.75:
	v_dual_mov_b32 v26, 0 :: v_dual_mov_b32 v15, v2
	v_dual_mov_b32 v18, v5 :: v_dual_mov_b32 v19, v6
	;; [unrolled: 1-line block ×6, first 2 shown]
	v_mov_b32_e32 v17, v4
	ds_store_b32 v1, v13
	v_mov_b32_e32 v2, v15
	v_dual_mov_b32 v3, v16 :: v_dual_mov_b32 v4, v17
	v_dual_mov_b32 v5, v18 :: v_dual_mov_b32 v6, v19
	;; [unrolled: 1-line block ×6, first 2 shown]
	v_mov_b32_e32 v15, v28
	v_mov_b32_e32 v16, v29
	;; [unrolled: 1-line block ×3, first 2 shown]
.LBB12_76:
	s_or_b32 exec_lo, exec_lo, s0
	v_mov_b32_e32 v25, 0
	s_waitcnt lgkmcnt(0)
	s_waitcnt_vscnt null, 0x0
	s_barrier
	buffer_gl0_inv
	s_mov_b32 s0, exec_lo
	ds_load_b32 v15, v25 offset:112
	s_waitcnt lgkmcnt(0)
	v_fma_f32 v15, v14, v15, 0
	s_delay_alu instid0(VALU_DEP_1)
	v_sub_f32_e32 v13, v13, v15
	v_cmpx_lt_u32_e32 10, v0
	s_cbranch_execz .LBB12_78
; %bb.77:
	v_dual_mov_b32 v15, v2 :: v_dual_mov_b32 v16, v3
	v_dual_mov_b32 v17, v4 :: v_dual_mov_b32 v18, v5
	v_dual_mov_b32 v19, v6 :: v_dual_mov_b32 v20, v7
	v_dual_mov_b32 v21, v8 :: v_dual_mov_b32 v22, v9
	v_dual_mov_b32 v23, v10 :: v_dual_mov_b32 v24, v11
	v_dual_mov_b32 v26, v13 :: v_dual_mov_b32 v27, v14
	ds_store_b32 v1, v12
	v_mov_b32_e32 v2, v15
	v_dual_mov_b32 v3, v16 :: v_dual_mov_b32 v4, v17
	v_dual_mov_b32 v5, v18 :: v_dual_mov_b32 v6, v19
	;; [unrolled: 1-line block ×6, first 2 shown]
	v_mov_b32_e32 v15, v28
	v_mov_b32_e32 v16, v29
	;; [unrolled: 1-line block ×3, first 2 shown]
.LBB12_78:
	s_or_b32 exec_lo, exec_lo, s0
	s_waitcnt lgkmcnt(0)
	s_barrier
	buffer_gl0_inv
	ds_load_2addr_b32 v[15:16], v25 offset0:27 offset1:28
	s_mov_b32 s0, exec_lo
	s_waitcnt lgkmcnt(0)
	v_fma_f32 v15, v13, v15, 0
	s_delay_alu instid0(VALU_DEP_1) | instskip(NEXT) | instid1(VALU_DEP_1)
	v_fmac_f32_e32 v15, v14, v16
	v_sub_f32_e32 v12, v12, v15
	v_cmpx_lt_u32_e32 9, v0
	s_cbranch_execz .LBB12_80
; %bb.79:
	v_dual_mov_b32 v24, 0 :: v_dual_mov_b32 v15, v2
	v_dual_mov_b32 v18, v5 :: v_dual_mov_b32 v19, v6
	;; [unrolled: 1-line block ×6, first 2 shown]
	v_mov_b32_e32 v17, v4
	ds_store_b32 v1, v11
	v_mov_b32_e32 v2, v15
	v_dual_mov_b32 v3, v16 :: v_dual_mov_b32 v4, v17
	v_dual_mov_b32 v5, v18 :: v_dual_mov_b32 v6, v19
	;; [unrolled: 1-line block ×6, first 2 shown]
	v_mov_b32_e32 v15, v28
	v_mov_b32_e32 v16, v29
	;; [unrolled: 1-line block ×3, first 2 shown]
.LBB12_80:
	s_or_b32 exec_lo, exec_lo, s0
	v_mov_b32_e32 v23, 0
	s_waitcnt lgkmcnt(0)
	s_barrier
	buffer_gl0_inv
	s_mov_b32 s0, exec_lo
	ds_load_b64 v[15:16], v23 offset:104
	ds_load_b32 v17, v23 offset:112
	s_waitcnt lgkmcnt(1)
	v_fma_f32 v15, v12, v15, 0
	s_delay_alu instid0(VALU_DEP_1) | instskip(SKIP_1) | instid1(VALU_DEP_1)
	v_fmac_f32_e32 v15, v13, v16
	s_waitcnt lgkmcnt(0)
	v_fmac_f32_e32 v15, v14, v17
	s_delay_alu instid0(VALU_DEP_1)
	v_sub_f32_e32 v11, v11, v15
	v_cmpx_lt_u32_e32 8, v0
	s_cbranch_execz .LBB12_82
; %bb.81:
	v_dual_mov_b32 v15, v2 :: v_dual_mov_b32 v16, v3
	v_dual_mov_b32 v17, v4 :: v_dual_mov_b32 v18, v5
	;; [unrolled: 1-line block ×6, first 2 shown]
	ds_store_b32 v1, v10
	v_mov_b32_e32 v2, v15
	v_dual_mov_b32 v3, v16 :: v_dual_mov_b32 v4, v17
	v_dual_mov_b32 v5, v18 :: v_dual_mov_b32 v6, v19
	;; [unrolled: 1-line block ×6, first 2 shown]
	v_mov_b32_e32 v15, v28
	v_mov_b32_e32 v16, v29
	;; [unrolled: 1-line block ×3, first 2 shown]
.LBB12_82:
	s_or_b32 exec_lo, exec_lo, s0
	s_waitcnt lgkmcnt(0)
	s_barrier
	buffer_gl0_inv
	ds_load_2addr_b32 v[15:16], v23 offset0:25 offset1:26
	ds_load_2addr_b32 v[17:18], v23 offset0:27 offset1:28
	s_mov_b32 s0, exec_lo
	s_waitcnt lgkmcnt(1)
	v_fma_f32 v15, v11, v15, 0
	s_delay_alu instid0(VALU_DEP_1) | instskip(SKIP_1) | instid1(VALU_DEP_1)
	v_fmac_f32_e32 v15, v12, v16
	s_waitcnt lgkmcnt(0)
	v_fmac_f32_e32 v15, v13, v17
	s_delay_alu instid0(VALU_DEP_1) | instskip(NEXT) | instid1(VALU_DEP_1)
	v_fmac_f32_e32 v15, v14, v18
	v_sub_f32_e32 v10, v10, v15
	v_cmpx_lt_u32_e32 7, v0
	s_cbranch_execz .LBB12_84
; %bb.83:
	v_dual_mov_b32 v22, 0 :: v_dual_mov_b32 v15, v2
	v_dual_mov_b32 v18, v5 :: v_dual_mov_b32 v19, v6
	;; [unrolled: 1-line block ×6, first 2 shown]
	v_mov_b32_e32 v17, v4
	ds_store_b32 v1, v9
	v_mov_b32_e32 v2, v15
	v_dual_mov_b32 v3, v16 :: v_dual_mov_b32 v4, v17
	v_dual_mov_b32 v5, v18 :: v_dual_mov_b32 v6, v19
	;; [unrolled: 1-line block ×6, first 2 shown]
	v_mov_b32_e32 v15, v28
	v_mov_b32_e32 v16, v29
	;; [unrolled: 1-line block ×3, first 2 shown]
.LBB12_84:
	s_or_b32 exec_lo, exec_lo, s0
	v_mov_b32_e32 v21, 0
	s_waitcnt lgkmcnt(0)
	s_barrier
	buffer_gl0_inv
	s_mov_b32 s0, exec_lo
	ds_load_b128 v[15:18], v21 offset:96
	ds_load_b32 v19, v21 offset:112
	s_waitcnt lgkmcnt(1)
	v_fma_f32 v15, v10, v15, 0
	s_delay_alu instid0(VALU_DEP_1) | instskip(NEXT) | instid1(VALU_DEP_1)
	v_fmac_f32_e32 v15, v11, v16
	v_fmac_f32_e32 v15, v12, v17
	s_delay_alu instid0(VALU_DEP_1) | instskip(SKIP_1) | instid1(VALU_DEP_1)
	v_fmac_f32_e32 v15, v13, v18
	s_waitcnt lgkmcnt(0)
	v_fmac_f32_e32 v15, v14, v19
	s_delay_alu instid0(VALU_DEP_1)
	v_sub_f32_e32 v9, v9, v15
	v_cmpx_lt_u32_e32 6, v0
	s_cbranch_execz .LBB12_86
; %bb.85:
	v_dual_mov_b32 v15, v2 :: v_dual_mov_b32 v16, v3
	v_dual_mov_b32 v17, v4 :: v_dual_mov_b32 v18, v5
	;; [unrolled: 1-line block ×6, first 2 shown]
	ds_store_b32 v1, v8
	v_mov_b32_e32 v2, v15
	v_dual_mov_b32 v3, v16 :: v_dual_mov_b32 v4, v17
	v_dual_mov_b32 v5, v18 :: v_dual_mov_b32 v6, v19
	;; [unrolled: 1-line block ×6, first 2 shown]
	v_mov_b32_e32 v15, v28
	v_mov_b32_e32 v16, v29
	;; [unrolled: 1-line block ×3, first 2 shown]
.LBB12_86:
	s_or_b32 exec_lo, exec_lo, s0
	s_waitcnt lgkmcnt(0)
	s_barrier
	buffer_gl0_inv
	ds_load_2addr_b32 v[15:16], v21 offset0:23 offset1:24
	ds_load_2addr_b32 v[17:18], v21 offset0:25 offset1:26
	ds_load_2addr_b32 v[19:20], v21 offset0:27 offset1:28
	s_mov_b32 s0, exec_lo
	s_waitcnt lgkmcnt(2)
	v_fma_f32 v15, v9, v15, 0
	s_delay_alu instid0(VALU_DEP_1) | instskip(SKIP_1) | instid1(VALU_DEP_1)
	v_fmac_f32_e32 v15, v10, v16
	s_waitcnt lgkmcnt(1)
	v_fmac_f32_e32 v15, v11, v17
	s_delay_alu instid0(VALU_DEP_1) | instskip(SKIP_1) | instid1(VALU_DEP_1)
	v_fmac_f32_e32 v15, v12, v18
	s_waitcnt lgkmcnt(0)
	v_fmac_f32_e32 v15, v13, v19
	s_delay_alu instid0(VALU_DEP_1) | instskip(NEXT) | instid1(VALU_DEP_1)
	v_fmac_f32_e32 v15, v14, v20
	v_sub_f32_e32 v8, v8, v15
	v_cmpx_lt_u32_e32 5, v0
	s_cbranch_execz .LBB12_88
; %bb.87:
	v_dual_mov_b32 v20, 0 :: v_dual_mov_b32 v15, v2
	v_dual_mov_b32 v18, v5 :: v_dual_mov_b32 v19, v6
	;; [unrolled: 1-line block ×6, first 2 shown]
	v_mov_b32_e32 v17, v4
	ds_store_b32 v1, v7
	v_mov_b32_e32 v2, v15
	v_dual_mov_b32 v3, v16 :: v_dual_mov_b32 v4, v17
	v_dual_mov_b32 v5, v18 :: v_dual_mov_b32 v6, v19
	;; [unrolled: 1-line block ×6, first 2 shown]
	v_mov_b32_e32 v15, v28
	v_mov_b32_e32 v16, v29
	;; [unrolled: 1-line block ×3, first 2 shown]
.LBB12_88:
	s_or_b32 exec_lo, exec_lo, s0
	v_mov_b32_e32 v19, 0
	s_waitcnt lgkmcnt(0)
	s_barrier
	buffer_gl0_inv
	s_mov_b32 s0, exec_lo
	ds_load_2addr_b64 v[15:18], v19 offset0:11 offset1:12
	ds_load_b64 v[20:21], v19 offset:104
	s_waitcnt lgkmcnt(1)
	v_fma_f32 v15, v8, v15, 0
	s_delay_alu instid0(VALU_DEP_1) | instskip(SKIP_2) | instid1(VALU_DEP_1)
	v_fmac_f32_e32 v15, v9, v16
	ds_load_b32 v16, v19 offset:112
	v_fmac_f32_e32 v15, v10, v17
	v_fmac_f32_e32 v15, v11, v18
	s_waitcnt lgkmcnt(1)
	s_delay_alu instid0(VALU_DEP_1) | instskip(NEXT) | instid1(VALU_DEP_1)
	v_fmac_f32_e32 v15, v12, v20
	v_fmac_f32_e32 v15, v13, v21
	s_waitcnt lgkmcnt(0)
	s_delay_alu instid0(VALU_DEP_1) | instskip(NEXT) | instid1(VALU_DEP_1)
	v_fmac_f32_e32 v15, v14, v16
	v_sub_f32_e32 v7, v7, v15
	v_cmpx_lt_u32_e32 4, v0
	s_cbranch_execz .LBB12_90
; %bb.89:
	v_dual_mov_b32 v15, v2 :: v_dual_mov_b32 v16, v3
	v_dual_mov_b32 v17, v4 :: v_dual_mov_b32 v18, v5
	;; [unrolled: 1-line block ×6, first 2 shown]
	ds_store_b32 v1, v6
	v_mov_b32_e32 v2, v15
	v_dual_mov_b32 v3, v16 :: v_dual_mov_b32 v4, v17
	v_dual_mov_b32 v5, v18 :: v_dual_mov_b32 v6, v19
	;; [unrolled: 1-line block ×6, first 2 shown]
	v_mov_b32_e32 v15, v28
	v_mov_b32_e32 v16, v29
	;; [unrolled: 1-line block ×3, first 2 shown]
.LBB12_90:
	s_or_b32 exec_lo, exec_lo, s0
	s_waitcnt lgkmcnt(0)
	s_barrier
	buffer_gl0_inv
	ds_load_2addr_b32 v[15:16], v19 offset0:21 offset1:22
	ds_load_2addr_b32 v[17:18], v19 offset0:23 offset1:24
	;; [unrolled: 1-line block ×4, first 2 shown]
	s_mov_b32 s0, exec_lo
	s_waitcnt lgkmcnt(3)
	v_fma_f32 v15, v7, v15, 0
	s_delay_alu instid0(VALU_DEP_1) | instskip(SKIP_1) | instid1(VALU_DEP_1)
	v_fmac_f32_e32 v15, v8, v16
	s_waitcnt lgkmcnt(2)
	v_fmac_f32_e32 v15, v9, v17
	s_delay_alu instid0(VALU_DEP_1) | instskip(SKIP_1) | instid1(VALU_DEP_1)
	v_fmac_f32_e32 v15, v10, v18
	s_waitcnt lgkmcnt(1)
	v_fmac_f32_e32 v15, v11, v20
	;; [unrolled: 4-line block ×3, first 2 shown]
	s_delay_alu instid0(VALU_DEP_1) | instskip(NEXT) | instid1(VALU_DEP_1)
	v_fmac_f32_e32 v15, v14, v23
	v_sub_f32_e32 v6, v6, v15
	v_cmpx_lt_u32_e32 3, v0
	s_cbranch_execz .LBB12_92
; %bb.91:
	v_dual_mov_b32 v18, 0 :: v_dual_mov_b32 v15, v2
	s_delay_alu instid0(VALU_DEP_3)
	v_dual_mov_b32 v19, v6 :: v_dual_mov_b32 v20, v7
	v_dual_mov_b32 v21, v8 :: v_dual_mov_b32 v22, v9
	;; [unrolled: 1-line block ×5, first 2 shown]
	v_mov_b32_e32 v17, v4
	ds_store_b32 v1, v5
	v_mov_b32_e32 v2, v15
	v_dual_mov_b32 v3, v16 :: v_dual_mov_b32 v4, v17
	v_dual_mov_b32 v5, v18 :: v_dual_mov_b32 v6, v19
	v_dual_mov_b32 v7, v20 :: v_dual_mov_b32 v8, v21
	v_dual_mov_b32 v9, v22 :: v_dual_mov_b32 v10, v23
	v_dual_mov_b32 v11, v24 :: v_dual_mov_b32 v12, v25
	v_dual_mov_b32 v13, v26 :: v_dual_mov_b32 v14, v27
	v_mov_b32_e32 v15, v28
	v_mov_b32_e32 v16, v29
	;; [unrolled: 1-line block ×3, first 2 shown]
.LBB12_92:
	s_or_b32 exec_lo, exec_lo, s0
	v_mov_b32_e32 v18, 0
	s_waitcnt lgkmcnt(0)
	s_barrier
	buffer_gl0_inv
	s_mov_b32 s0, exec_lo
	ds_load_b128 v[19:22], v18 offset:80
	ds_load_b128 v[23:26], v18 offset:96
	s_waitcnt lgkmcnt(1)
	v_fma_f32 v15, v6, v19, 0
	s_delay_alu instid0(VALU_DEP_1) | instskip(SKIP_2) | instid1(VALU_DEP_1)
	v_fmac_f32_e32 v15, v7, v20
	ds_load_b32 v16, v18 offset:112
	v_fmac_f32_e32 v15, v8, v21
	v_fmac_f32_e32 v15, v9, v22
	s_waitcnt lgkmcnt(1)
	s_delay_alu instid0(VALU_DEP_1) | instskip(NEXT) | instid1(VALU_DEP_1)
	v_fmac_f32_e32 v15, v10, v23
	v_fmac_f32_e32 v15, v11, v24
	s_delay_alu instid0(VALU_DEP_1) | instskip(NEXT) | instid1(VALU_DEP_1)
	v_fmac_f32_e32 v15, v12, v25
	v_fmac_f32_e32 v15, v13, v26
	s_waitcnt lgkmcnt(0)
	s_delay_alu instid0(VALU_DEP_1) | instskip(NEXT) | instid1(VALU_DEP_1)
	v_fmac_f32_e32 v15, v14, v16
	v_sub_f32_e32 v5, v5, v15
	v_cmpx_lt_u32_e32 2, v0
	s_cbranch_execz .LBB12_94
; %bb.93:
	v_dual_mov_b32 v16, v2 :: v_dual_mov_b32 v17, v3
	s_delay_alu instid0(VALU_DEP_3)
	v_dual_mov_b32 v19, v5 :: v_dual_mov_b32 v20, v6
	v_dual_mov_b32 v21, v7 :: v_dual_mov_b32 v22, v8
	;; [unrolled: 1-line block ×5, first 2 shown]
	ds_store_b32 v1, v4
	v_mov_b32_e32 v2, v16
	v_dual_mov_b32 v3, v17 :: v_dual_mov_b32 v4, v18
	v_dual_mov_b32 v5, v19 :: v_dual_mov_b32 v6, v20
	;; [unrolled: 1-line block ×7, first 2 shown]
	v_mov_b32_e32 v17, v31
.LBB12_94:
	s_or_b32 exec_lo, exec_lo, s0
	s_waitcnt lgkmcnt(0)
	s_barrier
	buffer_gl0_inv
	ds_load_2addr_b32 v[15:16], v18 offset0:19 offset1:20
	ds_load_2addr_b32 v[19:20], v18 offset0:21 offset1:22
	;; [unrolled: 1-line block ×4, first 2 shown]
	s_mov_b32 s0, exec_lo
	s_waitcnt lgkmcnt(3)
	v_fma_f32 v17, v5, v15, 0
	s_delay_alu instid0(VALU_DEP_1) | instskip(SKIP_3) | instid1(VALU_DEP_1)
	v_fmac_f32_e32 v17, v6, v16
	ds_load_2addr_b32 v[15:16], v18 offset0:27 offset1:28
	s_waitcnt lgkmcnt(3)
	v_fmac_f32_e32 v17, v7, v19
	v_fmac_f32_e32 v17, v8, v20
	s_waitcnt lgkmcnt(2)
	s_delay_alu instid0(VALU_DEP_1) | instskip(NEXT) | instid1(VALU_DEP_1)
	v_fmac_f32_e32 v17, v9, v21
	v_fmac_f32_e32 v17, v10, v22
	s_waitcnt lgkmcnt(1)
	s_delay_alu instid0(VALU_DEP_1) | instskip(NEXT) | instid1(VALU_DEP_1)
	;; [unrolled: 4-line block ×3, first 2 shown]
	v_fmac_f32_e32 v17, v13, v15
	v_fmac_f32_e32 v17, v14, v16
	s_delay_alu instid0(VALU_DEP_1)
	v_sub_f32_e32 v4, v4, v17
	v_cmpx_lt_u32_e32 1, v0
	s_cbranch_execz .LBB12_96
; %bb.95:
	v_dual_mov_b32 v16, 0 :: v_dual_mov_b32 v15, v2
	s_delay_alu instid0(VALU_DEP_3)
	v_dual_mov_b32 v17, v4 :: v_dual_mov_b32 v18, v5
	v_dual_mov_b32 v19, v6 :: v_dual_mov_b32 v20, v7
	;; [unrolled: 1-line block ×5, first 2 shown]
	v_mov_b32_e32 v27, v14
	ds_store_b32 v1, v3
	v_mov_b32_e32 v2, v15
	v_dual_mov_b32 v3, v16 :: v_dual_mov_b32 v4, v17
	v_dual_mov_b32 v5, v18 :: v_dual_mov_b32 v6, v19
	;; [unrolled: 1-line block ×6, first 2 shown]
	v_mov_b32_e32 v15, v28
	v_mov_b32_e32 v16, v29
	;; [unrolled: 1-line block ×3, first 2 shown]
.LBB12_96:
	s_or_b32 exec_lo, exec_lo, s0
	v_mov_b32_e32 v18, 0
	s_waitcnt lgkmcnt(0)
	s_barrier
	buffer_gl0_inv
	s_mov_b32 s0, exec_lo
	ds_load_2addr_b64 v[19:22], v18 offset0:9 offset1:10
	ds_load_2addr_b64 v[23:26], v18 offset0:11 offset1:12
	s_waitcnt lgkmcnt(1)
	v_fma_f32 v17, v4, v19, 0
	s_delay_alu instid0(VALU_DEP_1) | instskip(SKIP_3) | instid1(VALU_DEP_1)
	v_fmac_f32_e32 v17, v5, v20
	ds_load_b64 v[15:16], v18 offset:104
	ds_load_b32 v19, v18 offset:112
	v_fmac_f32_e32 v17, v6, v21
	v_fmac_f32_e32 v17, v7, v22
	s_waitcnt lgkmcnt(2)
	s_delay_alu instid0(VALU_DEP_1) | instskip(NEXT) | instid1(VALU_DEP_1)
	v_fmac_f32_e32 v17, v8, v23
	v_fmac_f32_e32 v17, v9, v24
	s_delay_alu instid0(VALU_DEP_1) | instskip(NEXT) | instid1(VALU_DEP_1)
	v_fmac_f32_e32 v17, v10, v25
	v_fmac_f32_e32 v17, v11, v26
	s_waitcnt lgkmcnt(1)
	s_delay_alu instid0(VALU_DEP_1) | instskip(NEXT) | instid1(VALU_DEP_1)
	v_fmac_f32_e32 v17, v12, v15
	v_fmac_f32_e32 v17, v13, v16
	s_waitcnt lgkmcnt(0)
	s_delay_alu instid0(VALU_DEP_1) | instskip(NEXT) | instid1(VALU_DEP_1)
	v_fmac_f32_e32 v17, v14, v19
	v_sub_f32_e32 v3, v3, v17
	v_cmpx_ne_u32_e32 0, v0
	s_cbranch_execz .LBB12_98
; %bb.97:
	s_delay_alu instid0(VALU_DEP_2)
	v_dual_mov_b32 v19, v3 :: v_dual_mov_b32 v20, v4
	v_dual_mov_b32 v21, v5 :: v_dual_mov_b32 v22, v6
	;; [unrolled: 1-line block ×6, first 2 shown]
	ds_store_b32 v1, v2
	v_dual_mov_b32 v2, v18 :: v_dual_mov_b32 v3, v19
	v_dual_mov_b32 v4, v20 :: v_dual_mov_b32 v5, v21
	;; [unrolled: 1-line block ×8, first 2 shown]
.LBB12_98:
	s_or_b32 exec_lo, exec_lo, s0
	s_waitcnt lgkmcnt(0)
	s_barrier
	buffer_gl0_inv
	ds_load_2addr_b32 v[0:1], v18 offset0:17 offset1:18
	ds_load_2addr_b32 v[15:16], v18 offset0:19 offset1:20
	;; [unrolled: 1-line block ×4, first 2 shown]
	s_and_b32 vcc_lo, exec_lo, s16
	s_waitcnt lgkmcnt(3)
	v_fma_f32 v17, v3, v0, 0
	s_delay_alu instid0(VALU_DEP_1) | instskip(SKIP_3) | instid1(VALU_DEP_1)
	v_fmac_f32_e32 v17, v4, v1
	ds_load_2addr_b32 v[0:1], v18 offset0:25 offset1:26
	s_waitcnt lgkmcnt(3)
	v_fmac_f32_e32 v17, v5, v15
	v_fmac_f32_e32 v17, v6, v16
	ds_load_2addr_b32 v[15:16], v18 offset0:27 offset1:28
	s_waitcnt lgkmcnt(3)
	v_fmac_f32_e32 v17, v7, v19
	s_delay_alu instid0(VALU_DEP_1) | instskip(SKIP_1) | instid1(VALU_DEP_1)
	v_fmac_f32_e32 v17, v8, v20
	s_waitcnt lgkmcnt(2)
	v_fmac_f32_e32 v17, v9, v21
	s_delay_alu instid0(VALU_DEP_1) | instskip(SKIP_1) | instid1(VALU_DEP_1)
	v_fmac_f32_e32 v17, v10, v22
	s_waitcnt lgkmcnt(1)
	v_fmac_f32_e32 v17, v11, v0
	s_delay_alu instid0(VALU_DEP_1) | instskip(SKIP_1) | instid1(VALU_DEP_1)
	v_fmac_f32_e32 v17, v12, v1
	s_waitcnt lgkmcnt(0)
	v_fmac_f32_e32 v17, v13, v15
	s_delay_alu instid0(VALU_DEP_1) | instskip(NEXT) | instid1(VALU_DEP_1)
	v_fmac_f32_e32 v17, v14, v16
	v_sub_f32_e32 v2, v2, v17
	s_cbranch_vccz .LBB12_124
; %bb.99:
	v_dual_mov_b32 v0, s12 :: v_dual_mov_b32 v1, s13
	s_mov_b32 s8, exec_lo
	flat_load_b32 v0, v[0:1] offset:44
	s_waitcnt vmcnt(0) lgkmcnt(0)
	v_add_nc_u32_e32 v0, -1, v0
	s_delay_alu instid0(VALU_DEP_1)
	v_cmpx_ne_u32_e32 11, v0
	s_cbranch_execz .LBB12_101
; %bb.100:
	v_cmp_eq_u32_e32 vcc_lo, 1, v0
	v_cmp_eq_u32_e64 s2, 4, v0
	v_cmp_eq_u32_e64 s3, 5, v0
	;; [unrolled: 1-line block ×7, first 2 shown]
	v_cndmask_b32_e64 v18, v6, v13, s2
	v_cndmask_b32_e64 v19, v7, v13, s3
	;; [unrolled: 1-line block ×6, first 2 shown]
	v_cndmask_b32_e32 v1, v2, v3, vcc_lo
	v_cmp_eq_u32_e64 s1, 3, v0
	v_cndmask_b32_e64 v16, v4, v13, s0
	v_cndmask_b32_e32 v15, v3, v13, vcc_lo
	v_cmp_eq_u32_e32 vcc_lo, 11, v0
	v_cndmask_b32_e64 v1, v1, v4, s0
	v_cmp_eq_u32_e64 s0, 10, v0
	v_cndmask_b32_e64 v17, v5, v13, s1
	s_delay_alu instid0(VALU_DEP_3) | instskip(SKIP_1) | instid1(VALU_DEP_4)
	v_cndmask_b32_e64 v1, v1, v5, s1
	v_cmp_eq_u32_e64 s1, 12, v0
	v_cndmask_b32_e64 v24, v12, v13, s0
	s_delay_alu instid0(VALU_DEP_3) | instskip(NEXT) | instid1(VALU_DEP_3)
	v_cndmask_b32_e64 v1, v1, v6, s2
	v_cndmask_b32_e64 v26, v14, v13, s1
	s_delay_alu instid0(VALU_DEP_2) | instskip(NEXT) | instid1(VALU_DEP_1)
	v_cndmask_b32_e64 v1, v1, v7, s3
	v_cndmask_b32_e64 v1, v1, v8, s4
	s_delay_alu instid0(VALU_DEP_1) | instskip(NEXT) | instid1(VALU_DEP_1)
	v_cndmask_b32_e64 v1, v1, v9, s5
	v_cndmask_b32_e64 v1, v1, v10, s6
	s_delay_alu instid0(VALU_DEP_1) | instskip(NEXT) | instid1(VALU_DEP_1)
	v_cndmask_b32_e64 v1, v1, v11, s7
	v_cndmask_b32_e64 v1, v1, v12, s0
	s_delay_alu instid0(VALU_DEP_1) | instskip(NEXT) | instid1(VALU_DEP_1)
	v_cndmask_b32_e32 v1, v1, v13, vcc_lo
	v_cndmask_b32_e64 v1, v1, v14, s1
	s_delay_alu instid0(VALU_DEP_1) | instskip(SKIP_2) | instid1(VALU_DEP_1)
	v_cndmask_b32_e32 v25, v1, v13, vcc_lo
	v_cmp_eq_u32_e32 vcc_lo, 0, v0
	v_cndmask_b32_e32 v14, v2, v13, vcc_lo
	v_mov_b32_e32 v2, v14
	v_dual_mov_b32 v3, v15 :: v_dual_mov_b32 v6, v18
	v_dual_mov_b32 v4, v16 :: v_dual_mov_b32 v5, v17
	;; [unrolled: 1-line block ×6, first 2 shown]
	v_mov_b32_e32 v15, v27
	v_mov_b32_e32 v16, v28
	;; [unrolled: 1-line block ×3, first 2 shown]
.LBB12_101:
	s_or_b32 exec_lo, exec_lo, s8
	v_dual_mov_b32 v0, s12 :: v_dual_mov_b32 v1, s13
	s_mov_b32 s8, exec_lo
	flat_load_b32 v0, v[0:1] offset:40
	s_waitcnt vmcnt(0) lgkmcnt(0)
	v_add_nc_u32_e32 v0, -1, v0
	s_delay_alu instid0(VALU_DEP_1)
	v_cmpx_ne_u32_e32 10, v0
	s_cbranch_execz .LBB12_103
; %bb.102:
	v_cmp_eq_u32_e32 vcc_lo, 1, v0
	v_cmp_eq_u32_e64 s2, 4, v0
	v_cmp_eq_u32_e64 s3, 5, v0
	;; [unrolled: 1-line block ×7, first 2 shown]
	v_cndmask_b32_e64 v18, v6, v12, s2
	v_cndmask_b32_e64 v19, v7, v12, s3
	;; [unrolled: 1-line block ×6, first 2 shown]
	v_cndmask_b32_e32 v1, v2, v3, vcc_lo
	v_cmp_eq_u32_e64 s1, 3, v0
	v_cndmask_b32_e64 v16, v4, v12, s0
	v_cndmask_b32_e32 v15, v3, v12, vcc_lo
	v_cmp_eq_u32_e32 vcc_lo, 11, v0
	v_cndmask_b32_e64 v1, v1, v4, s0
	v_cmp_eq_u32_e64 s0, 10, v0
	v_cndmask_b32_e64 v17, v5, v12, s1
	v_cndmask_b32_e32 v25, v13, v12, vcc_lo
	s_delay_alu instid0(VALU_DEP_4) | instskip(SKIP_1) | instid1(VALU_DEP_2)
	v_cndmask_b32_e64 v1, v1, v5, s1
	v_cmp_eq_u32_e64 s1, 12, v0
	v_cndmask_b32_e64 v1, v1, v6, s2
	s_delay_alu instid0(VALU_DEP_2) | instskip(NEXT) | instid1(VALU_DEP_2)
	v_cndmask_b32_e64 v26, v14, v12, s1
	v_cndmask_b32_e64 v1, v1, v7, s3
	s_delay_alu instid0(VALU_DEP_1) | instskip(NEXT) | instid1(VALU_DEP_1)
	v_cndmask_b32_e64 v1, v1, v8, s4
	v_cndmask_b32_e64 v1, v1, v9, s5
	s_delay_alu instid0(VALU_DEP_1) | instskip(NEXT) | instid1(VALU_DEP_1)
	;; [unrolled: 3-line block ×3, first 2 shown]
	v_cndmask_b32_e64 v1, v1, v12, s0
	v_cndmask_b32_e32 v1, v1, v13, vcc_lo
	v_cmp_eq_u32_e32 vcc_lo, 0, v0
	s_delay_alu instid0(VALU_DEP_2) | instskip(SKIP_1) | instid1(VALU_DEP_2)
	v_cndmask_b32_e64 v1, v1, v14, s1
	v_cndmask_b32_e32 v14, v2, v12, vcc_lo
	v_cndmask_b32_e64 v24, v1, v12, s0
	s_delay_alu instid0(VALU_DEP_2)
	v_mov_b32_e32 v2, v14
	v_dual_mov_b32 v3, v15 :: v_dual_mov_b32 v6, v18
	v_dual_mov_b32 v4, v16 :: v_dual_mov_b32 v5, v17
	;; [unrolled: 1-line block ×6, first 2 shown]
	v_mov_b32_e32 v15, v27
	v_mov_b32_e32 v16, v28
	;; [unrolled: 1-line block ×3, first 2 shown]
.LBB12_103:
	s_or_b32 exec_lo, exec_lo, s8
	v_dual_mov_b32 v0, s12 :: v_dual_mov_b32 v1, s13
	s_mov_b32 s8, exec_lo
	flat_load_b32 v0, v[0:1] offset:36
	s_waitcnt vmcnt(0) lgkmcnt(0)
	v_add_nc_u32_e32 v0, -1, v0
	s_delay_alu instid0(VALU_DEP_1)
	v_cmpx_ne_u32_e32 9, v0
	s_cbranch_execz .LBB12_105
; %bb.104:
	v_cmp_eq_u32_e32 vcc_lo, 1, v0
	v_cmp_eq_u32_e64 s2, 4, v0
	v_cmp_eq_u32_e64 s3, 5, v0
	;; [unrolled: 1-line block ×6, first 2 shown]
	v_cndmask_b32_e64 v18, v6, v11, s2
	v_cndmask_b32_e64 v19, v7, v11, s3
	;; [unrolled: 1-line block ×5, first 2 shown]
	v_cndmask_b32_e32 v1, v2, v3, vcc_lo
	v_cmp_eq_u32_e64 s1, 3, v0
	v_cmp_eq_u32_e64 s7, 9, v0
	v_cndmask_b32_e64 v16, v4, v11, s0
	v_cndmask_b32_e32 v15, v3, v11, vcc_lo
	v_cndmask_b32_e64 v1, v1, v4, s0
	v_cmp_eq_u32_e64 s0, 10, v0
	v_cmp_eq_u32_e32 vcc_lo, 11, v0
	v_cndmask_b32_e64 v17, v5, v11, s1
	s_delay_alu instid0(VALU_DEP_4) | instskip(SKIP_3) | instid1(VALU_DEP_4)
	v_cndmask_b32_e64 v1, v1, v5, s1
	v_cmp_eq_u32_e64 s1, 12, v0
	v_cndmask_b32_e32 v25, v13, v11, vcc_lo
	v_cndmask_b32_e64 v24, v12, v11, s0
	v_cndmask_b32_e64 v1, v1, v6, s2
	s_delay_alu instid0(VALU_DEP_4) | instskip(NEXT) | instid1(VALU_DEP_2)
	v_cndmask_b32_e64 v26, v14, v11, s1
	v_cndmask_b32_e64 v1, v1, v7, s3
	s_delay_alu instid0(VALU_DEP_1) | instskip(NEXT) | instid1(VALU_DEP_1)
	v_cndmask_b32_e64 v1, v1, v8, s4
	v_cndmask_b32_e64 v1, v1, v9, s5
	s_delay_alu instid0(VALU_DEP_1) | instskip(NEXT) | instid1(VALU_DEP_1)
	;; [unrolled: 3-line block ×3, first 2 shown]
	v_cndmask_b32_e64 v1, v1, v12, s0
	v_cndmask_b32_e32 v1, v1, v13, vcc_lo
	v_cmp_eq_u32_e32 vcc_lo, 0, v0
	s_delay_alu instid0(VALU_DEP_2) | instskip(SKIP_1) | instid1(VALU_DEP_2)
	v_cndmask_b32_e64 v1, v1, v14, s1
	v_cndmask_b32_e32 v14, v2, v11, vcc_lo
	v_cndmask_b32_e64 v23, v1, v11, s7
	s_delay_alu instid0(VALU_DEP_2)
	v_mov_b32_e32 v2, v14
	v_dual_mov_b32 v3, v15 :: v_dual_mov_b32 v6, v18
	v_dual_mov_b32 v4, v16 :: v_dual_mov_b32 v5, v17
	;; [unrolled: 1-line block ×6, first 2 shown]
	v_mov_b32_e32 v15, v27
	v_mov_b32_e32 v16, v28
	;; [unrolled: 1-line block ×3, first 2 shown]
.LBB12_105:
	s_or_b32 exec_lo, exec_lo, s8
	v_dual_mov_b32 v0, s12 :: v_dual_mov_b32 v1, s13
	s_mov_b32 s8, exec_lo
	flat_load_b32 v0, v[0:1] offset:32
	s_waitcnt vmcnt(0) lgkmcnt(0)
	v_add_nc_u32_e32 v0, -1, v0
	s_delay_alu instid0(VALU_DEP_1)
	v_cmpx_ne_u32_e32 8, v0
	s_cbranch_execz .LBB12_107
; %bb.106:
	v_cmp_eq_u32_e32 vcc_lo, 1, v0
	v_cmp_eq_u32_e64 s2, 4, v0
	v_cmp_eq_u32_e64 s3, 5, v0
	;; [unrolled: 1-line block ×6, first 2 shown]
	v_cndmask_b32_e64 v18, v6, v10, s2
	v_cndmask_b32_e64 v19, v7, v10, s3
	;; [unrolled: 1-line block ×5, first 2 shown]
	v_cndmask_b32_e32 v1, v2, v3, vcc_lo
	v_cmp_eq_u32_e64 s1, 3, v0
	v_cmp_eq_u32_e64 s6, 8, v0
	v_cndmask_b32_e64 v16, v4, v10, s0
	v_cndmask_b32_e32 v15, v3, v10, vcc_lo
	v_cndmask_b32_e64 v1, v1, v4, s0
	v_cmp_eq_u32_e64 s0, 10, v0
	v_cmp_eq_u32_e32 vcc_lo, 11, v0
	v_cndmask_b32_e64 v17, v5, v10, s1
	s_delay_alu instid0(VALU_DEP_4) | instskip(SKIP_3) | instid1(VALU_DEP_4)
	v_cndmask_b32_e64 v1, v1, v5, s1
	v_cmp_eq_u32_e64 s1, 12, v0
	v_cndmask_b32_e32 v25, v13, v10, vcc_lo
	v_cndmask_b32_e64 v24, v12, v10, s0
	v_cndmask_b32_e64 v1, v1, v6, s2
	s_delay_alu instid0(VALU_DEP_4) | instskip(NEXT) | instid1(VALU_DEP_2)
	v_cndmask_b32_e64 v26, v14, v10, s1
	v_cndmask_b32_e64 v1, v1, v7, s3
	s_delay_alu instid0(VALU_DEP_1) | instskip(NEXT) | instid1(VALU_DEP_1)
	v_cndmask_b32_e64 v1, v1, v8, s4
	v_cndmask_b32_e64 v1, v1, v9, s5
	s_delay_alu instid0(VALU_DEP_1) | instskip(NEXT) | instid1(VALU_DEP_1)
	v_cndmask_b32_e64 v1, v1, v10, s6
	v_cndmask_b32_e64 v1, v1, v11, s7
	s_delay_alu instid0(VALU_DEP_1) | instskip(NEXT) | instid1(VALU_DEP_1)
	v_cndmask_b32_e64 v1, v1, v12, s0
	v_cndmask_b32_e32 v1, v1, v13, vcc_lo
	v_cmp_eq_u32_e32 vcc_lo, 0, v0
	s_delay_alu instid0(VALU_DEP_2) | instskip(SKIP_1) | instid1(VALU_DEP_2)
	v_cndmask_b32_e64 v1, v1, v14, s1
	v_cndmask_b32_e32 v14, v2, v10, vcc_lo
	v_cndmask_b32_e64 v22, v1, v10, s6
	s_delay_alu instid0(VALU_DEP_2)
	v_mov_b32_e32 v2, v14
	v_dual_mov_b32 v3, v15 :: v_dual_mov_b32 v6, v18
	v_dual_mov_b32 v4, v16 :: v_dual_mov_b32 v5, v17
	;; [unrolled: 1-line block ×6, first 2 shown]
	v_mov_b32_e32 v15, v27
	v_mov_b32_e32 v16, v28
	;; [unrolled: 1-line block ×3, first 2 shown]
.LBB12_107:
	s_or_b32 exec_lo, exec_lo, s8
	v_dual_mov_b32 v0, s12 :: v_dual_mov_b32 v1, s13
	s_mov_b32 s8, exec_lo
	flat_load_b32 v0, v[0:1] offset:28
	s_waitcnt vmcnt(0) lgkmcnt(0)
	v_add_nc_u32_e32 v0, -1, v0
	s_delay_alu instid0(VALU_DEP_1)
	v_cmpx_ne_u32_e32 7, v0
	s_cbranch_execz .LBB12_109
; %bb.108:
	v_cmp_eq_u32_e32 vcc_lo, 1, v0
	v_cmp_eq_u32_e64 s2, 4, v0
	v_cmp_eq_u32_e64 s3, 5, v0
	;; [unrolled: 1-line block ×6, first 2 shown]
	v_cndmask_b32_e64 v18, v6, v9, s2
	v_cndmask_b32_e64 v19, v7, v9, s3
	;; [unrolled: 1-line block ×5, first 2 shown]
	v_cndmask_b32_e32 v1, v2, v3, vcc_lo
	v_cmp_eq_u32_e64 s1, 3, v0
	v_cmp_eq_u32_e64 s5, 7, v0
	v_cndmask_b32_e64 v16, v4, v9, s0
	v_cndmask_b32_e32 v15, v3, v9, vcc_lo
	v_cndmask_b32_e64 v1, v1, v4, s0
	v_cmp_eq_u32_e64 s0, 10, v0
	v_cndmask_b32_e64 v17, v5, v9, s1
	v_cmp_eq_u32_e32 vcc_lo, 11, v0
	s_delay_alu instid0(VALU_DEP_4) | instskip(SKIP_3) | instid1(VALU_DEP_4)
	v_cndmask_b32_e64 v1, v1, v5, s1
	v_cmp_eq_u32_e64 s1, 12, v0
	v_cndmask_b32_e64 v24, v12, v9, s0
	v_cndmask_b32_e32 v25, v13, v9, vcc_lo
	v_cndmask_b32_e64 v1, v1, v6, s2
	s_delay_alu instid0(VALU_DEP_4) | instskip(NEXT) | instid1(VALU_DEP_2)
	v_cndmask_b32_e64 v26, v14, v9, s1
	v_cndmask_b32_e64 v1, v1, v7, s3
	s_delay_alu instid0(VALU_DEP_1) | instskip(NEXT) | instid1(VALU_DEP_1)
	v_cndmask_b32_e64 v1, v1, v8, s4
	v_cndmask_b32_e64 v1, v1, v9, s5
	s_delay_alu instid0(VALU_DEP_1) | instskip(NEXT) | instid1(VALU_DEP_1)
	;; [unrolled: 3-line block ×3, first 2 shown]
	v_cndmask_b32_e64 v1, v1, v12, s0
	v_cndmask_b32_e32 v1, v1, v13, vcc_lo
	v_cmp_eq_u32_e32 vcc_lo, 0, v0
	s_delay_alu instid0(VALU_DEP_2) | instskip(SKIP_1) | instid1(VALU_DEP_2)
	v_cndmask_b32_e64 v1, v1, v14, s1
	v_cndmask_b32_e32 v14, v2, v9, vcc_lo
	v_cndmask_b32_e64 v21, v1, v9, s5
	s_delay_alu instid0(VALU_DEP_2)
	v_mov_b32_e32 v2, v14
	v_dual_mov_b32 v3, v15 :: v_dual_mov_b32 v6, v18
	v_dual_mov_b32 v4, v16 :: v_dual_mov_b32 v5, v17
	;; [unrolled: 1-line block ×6, first 2 shown]
	v_mov_b32_e32 v15, v27
	v_mov_b32_e32 v16, v28
	;; [unrolled: 1-line block ×3, first 2 shown]
.LBB12_109:
	s_or_b32 exec_lo, exec_lo, s8
	v_dual_mov_b32 v0, s12 :: v_dual_mov_b32 v1, s13
	s_mov_b32 s8, exec_lo
	flat_load_b32 v0, v[0:1] offset:24
	s_waitcnt vmcnt(0) lgkmcnt(0)
	v_add_nc_u32_e32 v0, -1, v0
	s_delay_alu instid0(VALU_DEP_1)
	v_cmpx_ne_u32_e32 6, v0
	s_cbranch_execz .LBB12_111
; %bb.110:
	v_cmp_eq_u32_e32 vcc_lo, 1, v0
	v_cmp_eq_u32_e64 s2, 4, v0
	v_cmp_eq_u32_e64 s3, 5, v0
	;; [unrolled: 1-line block ×6, first 2 shown]
	v_cndmask_b32_e64 v18, v6, v8, s2
	v_cndmask_b32_e64 v19, v7, v8, s3
	;; [unrolled: 1-line block ×5, first 2 shown]
	v_cndmask_b32_e32 v1, v2, v3, vcc_lo
	v_cmp_eq_u32_e64 s1, 3, v0
	v_cmp_eq_u32_e64 s4, 6, v0
	v_cndmask_b32_e64 v16, v4, v8, s0
	v_cndmask_b32_e32 v15, v3, v8, vcc_lo
	v_cndmask_b32_e64 v1, v1, v4, s0
	v_cmp_eq_u32_e64 s0, 10, v0
	v_cmp_eq_u32_e32 vcc_lo, 11, v0
	v_cndmask_b32_e64 v17, v5, v8, s1
	s_delay_alu instid0(VALU_DEP_4) | instskip(SKIP_3) | instid1(VALU_DEP_4)
	v_cndmask_b32_e64 v1, v1, v5, s1
	v_cmp_eq_u32_e64 s1, 12, v0
	v_cndmask_b32_e32 v25, v13, v8, vcc_lo
	v_cndmask_b32_e64 v24, v12, v8, s0
	v_cndmask_b32_e64 v1, v1, v6, s2
	s_delay_alu instid0(VALU_DEP_4) | instskip(NEXT) | instid1(VALU_DEP_2)
	v_cndmask_b32_e64 v26, v14, v8, s1
	v_cndmask_b32_e64 v1, v1, v7, s3
	s_delay_alu instid0(VALU_DEP_1) | instskip(NEXT) | instid1(VALU_DEP_1)
	v_cndmask_b32_e64 v1, v1, v8, s4
	v_cndmask_b32_e64 v1, v1, v9, s5
	s_delay_alu instid0(VALU_DEP_1) | instskip(NEXT) | instid1(VALU_DEP_1)
	;; [unrolled: 3-line block ×3, first 2 shown]
	v_cndmask_b32_e64 v1, v1, v12, s0
	v_cndmask_b32_e32 v1, v1, v13, vcc_lo
	v_cmp_eq_u32_e32 vcc_lo, 0, v0
	s_delay_alu instid0(VALU_DEP_2) | instskip(SKIP_1) | instid1(VALU_DEP_2)
	v_cndmask_b32_e64 v1, v1, v14, s1
	v_cndmask_b32_e32 v14, v2, v8, vcc_lo
	v_cndmask_b32_e64 v20, v1, v8, s4
	s_delay_alu instid0(VALU_DEP_2) | instskip(SKIP_2) | instid1(VALU_DEP_4)
	v_mov_b32_e32 v2, v14
	v_dual_mov_b32 v3, v15 :: v_dual_mov_b32 v6, v18
	v_dual_mov_b32 v4, v16 :: v_dual_mov_b32 v5, v17
	;; [unrolled: 1-line block ×6, first 2 shown]
	v_mov_b32_e32 v15, v27
	v_mov_b32_e32 v16, v28
	v_mov_b32_e32 v17, v29
.LBB12_111:
	s_or_b32 exec_lo, exec_lo, s8
	v_dual_mov_b32 v0, s12 :: v_dual_mov_b32 v1, s13
	s_mov_b32 s8, exec_lo
	flat_load_b32 v0, v[0:1] offset:20
	s_waitcnt vmcnt(0) lgkmcnt(0)
	v_add_nc_u32_e32 v0, -1, v0
	s_delay_alu instid0(VALU_DEP_1)
	v_cmpx_ne_u32_e32 5, v0
	s_cbranch_execz .LBB12_113
; %bb.112:
	v_cmp_eq_u32_e32 vcc_lo, 1, v0
	v_cmp_eq_u32_e64 s2, 4, v0
	v_cmp_eq_u32_e64 s4, 6, v0
	;; [unrolled: 1-line block ×6, first 2 shown]
	v_cndmask_b32_e64 v18, v6, v7, s2
	v_cndmask_b32_e64 v20, v8, v7, s4
	;; [unrolled: 1-line block ×5, first 2 shown]
	v_cndmask_b32_e32 v1, v2, v3, vcc_lo
	v_cmp_eq_u32_e64 s1, 3, v0
	v_cmp_eq_u32_e64 s3, 5, v0
	v_cndmask_b32_e64 v16, v4, v7, s0
	v_cndmask_b32_e32 v15, v3, v7, vcc_lo
	v_cndmask_b32_e64 v1, v1, v4, s0
	v_cmp_eq_u32_e64 s0, 10, v0
	v_cmp_eq_u32_e32 vcc_lo, 11, v0
	v_cndmask_b32_e64 v17, v5, v7, s1
	s_delay_alu instid0(VALU_DEP_4) | instskip(SKIP_3) | instid1(VALU_DEP_4)
	v_cndmask_b32_e64 v1, v1, v5, s1
	v_cmp_eq_u32_e64 s1, 12, v0
	v_cndmask_b32_e32 v25, v13, v7, vcc_lo
	v_cndmask_b32_e64 v24, v12, v7, s0
	v_cndmask_b32_e64 v1, v1, v6, s2
	s_delay_alu instid0(VALU_DEP_4) | instskip(NEXT) | instid1(VALU_DEP_2)
	v_cndmask_b32_e64 v26, v14, v7, s1
	v_cndmask_b32_e64 v1, v1, v7, s3
	s_delay_alu instid0(VALU_DEP_1) | instskip(NEXT) | instid1(VALU_DEP_1)
	v_cndmask_b32_e64 v1, v1, v8, s4
	v_cndmask_b32_e64 v1, v1, v9, s5
	s_delay_alu instid0(VALU_DEP_1) | instskip(NEXT) | instid1(VALU_DEP_1)
	;; [unrolled: 3-line block ×3, first 2 shown]
	v_cndmask_b32_e64 v1, v1, v12, s0
	v_cndmask_b32_e32 v1, v1, v13, vcc_lo
	v_cmp_eq_u32_e32 vcc_lo, 0, v0
	s_delay_alu instid0(VALU_DEP_2) | instskip(SKIP_1) | instid1(VALU_DEP_2)
	v_cndmask_b32_e64 v1, v1, v14, s1
	v_cndmask_b32_e32 v14, v2, v7, vcc_lo
	v_cndmask_b32_e64 v19, v1, v7, s3
	s_delay_alu instid0(VALU_DEP_2) | instskip(SKIP_2) | instid1(VALU_DEP_4)
	v_mov_b32_e32 v2, v14
	v_dual_mov_b32 v3, v15 :: v_dual_mov_b32 v6, v18
	v_dual_mov_b32 v4, v16 :: v_dual_mov_b32 v5, v17
	;; [unrolled: 1-line block ×6, first 2 shown]
	v_mov_b32_e32 v15, v27
	v_mov_b32_e32 v16, v28
	;; [unrolled: 1-line block ×3, first 2 shown]
.LBB12_113:
	s_or_b32 exec_lo, exec_lo, s8
	v_dual_mov_b32 v0, s12 :: v_dual_mov_b32 v1, s13
	s_mov_b32 s8, exec_lo
	flat_load_b32 v0, v[0:1] offset:16
	s_waitcnt vmcnt(0) lgkmcnt(0)
	v_add_nc_u32_e32 v0, -1, v0
	s_delay_alu instid0(VALU_DEP_1)
	v_cmpx_ne_u32_e32 4, v0
	s_cbranch_execz .LBB12_115
; %bb.114:
	v_cmp_eq_u32_e32 vcc_lo, 1, v0
	v_cmp_eq_u32_e64 s3, 5, v0
	v_cmp_eq_u32_e64 s4, 6, v0
	;; [unrolled: 1-line block ×6, first 2 shown]
	v_cndmask_b32_e64 v19, v7, v6, s3
	v_cndmask_b32_e64 v20, v8, v6, s4
	;; [unrolled: 1-line block ×5, first 2 shown]
	v_cndmask_b32_e32 v1, v2, v3, vcc_lo
	v_cmp_eq_u32_e64 s1, 3, v0
	v_cmp_eq_u32_e64 s2, 4, v0
	v_cndmask_b32_e64 v16, v4, v6, s0
	v_cndmask_b32_e32 v15, v3, v6, vcc_lo
	v_cndmask_b32_e64 v1, v1, v4, s0
	v_cmp_eq_u32_e64 s0, 10, v0
	v_cmp_eq_u32_e32 vcc_lo, 11, v0
	v_cndmask_b32_e64 v17, v5, v6, s1
	s_delay_alu instid0(VALU_DEP_4) | instskip(SKIP_3) | instid1(VALU_DEP_4)
	v_cndmask_b32_e64 v1, v1, v5, s1
	v_cmp_eq_u32_e64 s1, 12, v0
	v_cndmask_b32_e32 v25, v13, v6, vcc_lo
	v_cndmask_b32_e64 v24, v12, v6, s0
	v_cndmask_b32_e64 v1, v1, v6, s2
	s_delay_alu instid0(VALU_DEP_4) | instskip(NEXT) | instid1(VALU_DEP_2)
	v_cndmask_b32_e64 v26, v14, v6, s1
	v_cndmask_b32_e64 v1, v1, v7, s3
	s_delay_alu instid0(VALU_DEP_1) | instskip(NEXT) | instid1(VALU_DEP_1)
	v_cndmask_b32_e64 v1, v1, v8, s4
	v_cndmask_b32_e64 v1, v1, v9, s5
	s_delay_alu instid0(VALU_DEP_1) | instskip(NEXT) | instid1(VALU_DEP_1)
	;; [unrolled: 3-line block ×3, first 2 shown]
	v_cndmask_b32_e64 v1, v1, v12, s0
	v_cndmask_b32_e32 v1, v1, v13, vcc_lo
	v_cmp_eq_u32_e32 vcc_lo, 0, v0
	s_delay_alu instid0(VALU_DEP_2) | instskip(SKIP_1) | instid1(VALU_DEP_2)
	v_cndmask_b32_e64 v1, v1, v14, s1
	v_cndmask_b32_e32 v14, v2, v6, vcc_lo
	v_cndmask_b32_e64 v18, v1, v6, s2
	s_delay_alu instid0(VALU_DEP_2) | instskip(SKIP_2) | instid1(VALU_DEP_4)
	v_mov_b32_e32 v2, v14
	v_dual_mov_b32 v3, v15 :: v_dual_mov_b32 v4, v16
	v_dual_mov_b32 v5, v17 :: v_dual_mov_b32 v8, v20
	;; [unrolled: 1-line block ×6, first 2 shown]
	v_mov_b32_e32 v15, v27
	v_mov_b32_e32 v16, v28
	;; [unrolled: 1-line block ×3, first 2 shown]
.LBB12_115:
	s_or_b32 exec_lo, exec_lo, s8
	v_dual_mov_b32 v0, s12 :: v_dual_mov_b32 v1, s13
	s_mov_b32 s8, exec_lo
	flat_load_b32 v0, v[0:1] offset:12
	s_waitcnt vmcnt(0) lgkmcnt(0)
	v_add_nc_u32_e32 v0, -1, v0
	s_delay_alu instid0(VALU_DEP_1)
	v_cmpx_ne_u32_e32 3, v0
	s_cbranch_execz .LBB12_117
; %bb.116:
	v_cmp_eq_u32_e32 vcc_lo, 1, v0
	v_cmp_eq_u32_e64 s2, 4, v0
	v_cmp_eq_u32_e64 s3, 5, v0
	;; [unrolled: 1-line block ×7, first 2 shown]
	v_cndmask_b32_e64 v18, v6, v5, s2
	v_cndmask_b32_e64 v19, v7, v5, s3
	;; [unrolled: 1-line block ×6, first 2 shown]
	v_cndmask_b32_e32 v1, v2, v3, vcc_lo
	v_cmp_eq_u32_e64 s1, 3, v0
	v_cndmask_b32_e64 v16, v4, v5, s0
	v_cndmask_b32_e32 v15, v3, v5, vcc_lo
	v_cmp_eq_u32_e32 vcc_lo, 11, v0
	v_cndmask_b32_e64 v1, v1, v4, s0
	v_cmp_eq_u32_e64 s0, 10, v0
	v_cndmask_b32_e32 v25, v13, v5, vcc_lo
	s_delay_alu instid0(VALU_DEP_3) | instskip(NEXT) | instid1(VALU_DEP_3)
	v_cndmask_b32_e64 v1, v1, v5, s1
	v_cndmask_b32_e64 v24, v12, v5, s0
	s_delay_alu instid0(VALU_DEP_2) | instskip(SKIP_1) | instid1(VALU_DEP_2)
	v_cndmask_b32_e64 v1, v1, v6, s2
	v_cmp_eq_u32_e64 s2, 12, v0
	v_cndmask_b32_e64 v1, v1, v7, s3
	s_delay_alu instid0(VALU_DEP_2) | instskip(NEXT) | instid1(VALU_DEP_2)
	v_cndmask_b32_e64 v26, v14, v5, s2
	v_cndmask_b32_e64 v1, v1, v8, s4
	s_delay_alu instid0(VALU_DEP_1) | instskip(NEXT) | instid1(VALU_DEP_1)
	v_cndmask_b32_e64 v1, v1, v9, s5
	v_cndmask_b32_e64 v1, v1, v10, s6
	s_delay_alu instid0(VALU_DEP_1) | instskip(NEXT) | instid1(VALU_DEP_1)
	v_cndmask_b32_e64 v1, v1, v11, s7
	v_cndmask_b32_e64 v1, v1, v12, s0
	s_delay_alu instid0(VALU_DEP_1) | instskip(SKIP_1) | instid1(VALU_DEP_2)
	v_cndmask_b32_e32 v1, v1, v13, vcc_lo
	v_cmp_eq_u32_e32 vcc_lo, 0, v0
	v_cndmask_b32_e64 v1, v1, v14, s2
	v_cndmask_b32_e32 v14, v2, v5, vcc_lo
	s_delay_alu instid0(VALU_DEP_2) | instskip(NEXT) | instid1(VALU_DEP_2)
	v_cndmask_b32_e64 v17, v1, v5, s1
	v_mov_b32_e32 v2, v14
	v_dual_mov_b32 v3, v15 :: v_dual_mov_b32 v6, v18
	s_delay_alu instid0(VALU_DEP_3)
	v_dual_mov_b32 v4, v16 :: v_dual_mov_b32 v5, v17
	v_dual_mov_b32 v8, v20 :: v_dual_mov_b32 v7, v19
	;; [unrolled: 1-line block ×5, first 2 shown]
	v_mov_b32_e32 v15, v27
	v_mov_b32_e32 v16, v28
	;; [unrolled: 1-line block ×3, first 2 shown]
.LBB12_117:
	s_or_b32 exec_lo, exec_lo, s8
	v_dual_mov_b32 v0, s12 :: v_dual_mov_b32 v1, s13
	s_mov_b32 s8, exec_lo
	flat_load_b32 v0, v[0:1] offset:8
	s_waitcnt vmcnt(0) lgkmcnt(0)
	v_add_nc_u32_e32 v0, -1, v0
	s_delay_alu instid0(VALU_DEP_1)
	v_cmpx_ne_u32_e32 2, v0
	s_cbranch_execz .LBB12_119
; %bb.118:
	v_cmp_eq_u32_e32 vcc_lo, 1, v0
	v_cmp_eq_u32_e64 s0, 2, v0
	v_cmp_eq_u32_e64 s1, 3, v0
	;; [unrolled: 1-line block ×4, first 2 shown]
	v_cndmask_b32_e32 v1, v2, v3, vcc_lo
	v_cndmask_b32_e32 v15, v3, v4, vcc_lo
	v_cmp_eq_u32_e32 vcc_lo, 10, v0
	v_cmp_eq_u32_e64 s4, 6, v0
	v_cmp_eq_u32_e64 s5, 7, v0
	;; [unrolled: 1-line block ×4, first 2 shown]
	v_cndmask_b32_e32 v24, v12, v4, vcc_lo
	v_cndmask_b32_e64 v1, v1, v4, s0
	v_cndmask_b32_e64 v17, v5, v4, s1
	;; [unrolled: 1-line block ×6, first 2 shown]
	v_cmp_eq_u32_e64 s1, 11, v0
	v_cndmask_b32_e64 v21, v9, v4, s5
	v_cndmask_b32_e64 v22, v10, v4, s6
	;; [unrolled: 1-line block ×4, first 2 shown]
	v_cmp_eq_u32_e64 s2, 12, v0
	v_cndmask_b32_e64 v25, v13, v4, s1
	s_delay_alu instid0(VALU_DEP_3) | instskip(NEXT) | instid1(VALU_DEP_3)
	v_cndmask_b32_e64 v1, v1, v7, s3
	v_cndmask_b32_e64 v26, v14, v4, s2
	s_delay_alu instid0(VALU_DEP_2) | instskip(NEXT) | instid1(VALU_DEP_1)
	v_cndmask_b32_e64 v1, v1, v8, s4
	v_cndmask_b32_e64 v1, v1, v9, s5
	s_delay_alu instid0(VALU_DEP_1) | instskip(NEXT) | instid1(VALU_DEP_1)
	v_cndmask_b32_e64 v1, v1, v10, s6
	v_cndmask_b32_e64 v1, v1, v11, s7
	s_delay_alu instid0(VALU_DEP_1) | instskip(SKIP_1) | instid1(VALU_DEP_2)
	v_cndmask_b32_e32 v1, v1, v12, vcc_lo
	v_cmp_eq_u32_e32 vcc_lo, 0, v0
	v_cndmask_b32_e64 v1, v1, v13, s1
	s_delay_alu instid0(VALU_DEP_1) | instskip(SKIP_1) | instid1(VALU_DEP_2)
	v_cndmask_b32_e64 v1, v1, v14, s2
	v_cndmask_b32_e32 v14, v2, v4, vcc_lo
	v_cndmask_b32_e64 v16, v1, v4, s0
	s_delay_alu instid0(VALU_DEP_2) | instskip(NEXT) | instid1(VALU_DEP_2)
	v_mov_b32_e32 v2, v14
	v_dual_mov_b32 v3, v15 :: v_dual_mov_b32 v4, v16
	v_dual_mov_b32 v5, v17 :: v_dual_mov_b32 v6, v18
	;; [unrolled: 1-line block ×6, first 2 shown]
	v_mov_b32_e32 v15, v27
	v_mov_b32_e32 v16, v28
	;; [unrolled: 1-line block ×3, first 2 shown]
.LBB12_119:
	s_or_b32 exec_lo, exec_lo, s8
	v_dual_mov_b32 v0, s12 :: v_dual_mov_b32 v1, s13
	s_mov_b32 s8, exec_lo
	flat_load_b32 v0, v[0:1] offset:4
	s_waitcnt vmcnt(0) lgkmcnt(0)
	v_add_nc_u32_e32 v0, -1, v0
	s_delay_alu instid0(VALU_DEP_1)
	v_cmpx_ne_u32_e32 1, v0
	s_cbranch_execz .LBB12_121
; %bb.120:
	v_cmp_eq_u32_e32 vcc_lo, 1, v0
	v_cmp_eq_u32_e64 s0, 2, v0
	v_cmp_eq_u32_e64 s1, 3, v0
	;; [unrolled: 1-line block ×8, first 2 shown]
	v_cndmask_b32_e64 v15, v4, v3, s0
	v_cndmask_b32_e64 v16, v5, v3, s1
	;; [unrolled: 1-line block ×8, first 2 shown]
	v_cndmask_b32_e32 v1, v2, v3, vcc_lo
	s_delay_alu instid0(VALU_DEP_1) | instskip(SKIP_1) | instid1(VALU_DEP_2)
	v_cndmask_b32_e64 v1, v1, v4, s0
	v_cmp_eq_u32_e64 s0, 10, v0
	v_cndmask_b32_e64 v1, v1, v5, s1
	v_cmp_eq_u32_e64 s1, 11, v0
	s_delay_alu instid0(VALU_DEP_3) | instskip(NEXT) | instid1(VALU_DEP_3)
	v_cndmask_b32_e64 v23, v12, v3, s0
	v_cndmask_b32_e64 v1, v1, v6, s2
	v_cmp_eq_u32_e64 s2, 12, v0
	s_delay_alu instid0(VALU_DEP_4) | instskip(NEXT) | instid1(VALU_DEP_3)
	v_cndmask_b32_e64 v24, v13, v3, s1
	v_cndmask_b32_e64 v1, v1, v7, s3
	s_delay_alu instid0(VALU_DEP_3) | instskip(NEXT) | instid1(VALU_DEP_2)
	v_cndmask_b32_e64 v25, v14, v3, s2
	v_cndmask_b32_e64 v1, v1, v8, s4
	s_delay_alu instid0(VALU_DEP_1) | instskip(NEXT) | instid1(VALU_DEP_1)
	v_cndmask_b32_e64 v1, v1, v9, s5
	v_cndmask_b32_e64 v1, v1, v10, s6
	s_delay_alu instid0(VALU_DEP_1) | instskip(NEXT) | instid1(VALU_DEP_1)
	;; [unrolled: 3-line block ×3, first 2 shown]
	v_cndmask_b32_e64 v1, v1, v13, s1
	v_cndmask_b32_e64 v1, v1, v14, s2
	s_delay_alu instid0(VALU_DEP_1) | instskip(SKIP_2) | instid1(VALU_DEP_1)
	v_cndmask_b32_e32 v14, v1, v3, vcc_lo
	v_cmp_eq_u32_e32 vcc_lo, 0, v0
	v_cndmask_b32_e32 v13, v2, v3, vcc_lo
	v_mov_b32_e32 v2, v13
	s_delay_alu instid0(VALU_DEP_4)
	v_dual_mov_b32 v3, v14 :: v_dual_mov_b32 v4, v15
	v_dual_mov_b32 v5, v16 :: v_dual_mov_b32 v6, v17
	;; [unrolled: 1-line block ×5, first 2 shown]
	v_mov_b32_e32 v13, v24
	v_mov_b32_e32 v14, v25
	;; [unrolled: 1-line block ×5, first 2 shown]
.LBB12_121:
	s_or_b32 exec_lo, exec_lo, s8
	v_dual_mov_b32 v0, s12 :: v_dual_mov_b32 v1, s13
	s_mov_b32 s8, exec_lo
	flat_load_b32 v0, v[0:1]
	s_waitcnt vmcnt(0) lgkmcnt(0)
	v_add_nc_u32_e32 v0, -1, v0
	s_delay_alu instid0(VALU_DEP_1)
	v_cmpx_ne_u32_e32 0, v0
	s_cbranch_execz .LBB12_123
; %bb.122:
	v_cmp_eq_u32_e32 vcc_lo, 1, v0
	v_cmp_eq_u32_e64 s0, 2, v0
	v_cmp_eq_u32_e64 s1, 3, v0
	v_cmp_eq_u32_e64 s2, 4, v0
	v_cmp_eq_u32_e64 s3, 5, v0
	v_cndmask_b32_e32 v1, v2, v3, vcc_lo
	v_cmp_eq_u32_e64 s4, 6, v0
	v_cmp_eq_u32_e64 s5, 7, v0
	;; [unrolled: 1-line block ×4, first 2 shown]
	v_cndmask_b32_e64 v1, v1, v4, s0
	v_cndmask_b32_e64 v15, v4, v2, s0
	v_cmp_eq_u32_e64 s0, 10, v0
	v_cndmask_b32_e64 v16, v5, v2, s1
	v_cndmask_b32_e64 v17, v6, v2, s2
	;; [unrolled: 1-line block ×3, first 2 shown]
	v_cmp_eq_u32_e64 s1, 11, v0
	v_cndmask_b32_e64 v23, v12, v2, s0
	v_cndmask_b32_e64 v18, v7, v2, s3
	;; [unrolled: 1-line block ×4, first 2 shown]
	v_cmp_eq_u32_e64 s2, 12, v0
	v_cndmask_b32_e64 v24, v13, v2, s1
	v_cndmask_b32_e64 v20, v9, v2, s5
	;; [unrolled: 1-line block ×6, first 2 shown]
	s_delay_alu instid0(VALU_DEP_3) | instskip(NEXT) | instid1(VALU_DEP_1)
	v_cndmask_b32_e64 v1, v1, v8, s4
	v_cndmask_b32_e64 v1, v1, v9, s5
	s_delay_alu instid0(VALU_DEP_1) | instskip(NEXT) | instid1(VALU_DEP_1)
	v_cndmask_b32_e64 v1, v1, v10, s6
	v_cndmask_b32_e64 v1, v1, v11, s7
	s_delay_alu instid0(VALU_DEP_1) | instskip(SKIP_1) | instid1(VALU_DEP_2)
	v_cndmask_b32_e64 v1, v1, v12, s0
	v_cmp_eq_u32_e64 s0, 0, v0
	v_cndmask_b32_e64 v1, v1, v13, s1
	s_delay_alu instid0(VALU_DEP_1) | instskip(SKIP_1) | instid1(VALU_DEP_2)
	v_cndmask_b32_e64 v1, v1, v14, s2
	v_cndmask_b32_e32 v14, v3, v2, vcc_lo
	v_cndmask_b32_e64 v13, v1, v2, s0
	s_delay_alu instid0(VALU_DEP_1) | instskip(NEXT) | instid1(VALU_DEP_3)
	v_mov_b32_e32 v2, v13
	v_dual_mov_b32 v3, v14 :: v_dual_mov_b32 v4, v15
	v_dual_mov_b32 v5, v16 :: v_dual_mov_b32 v6, v17
	;; [unrolled: 1-line block ×5, first 2 shown]
	v_mov_b32_e32 v13, v24
	v_mov_b32_e32 v14, v25
	;; [unrolled: 1-line block ×5, first 2 shown]
.LBB12_123:
	s_or_b32 exec_lo, exec_lo, s8
.LBB12_124:
	s_clause 0xc
	global_store_b32 v[31:32], v2, off
	global_store_b32 v[33:34], v3, off
	;; [unrolled: 1-line block ×13, first 2 shown]
	s_nop 0
	s_sendmsg sendmsg(MSG_DEALLOC_VGPRS)
	s_endpgm
	.section	.rodata,"a",@progbits
	.p2align	6, 0x0
	.amdhsa_kernel _ZN9rocsolver6v33100L18getri_kernel_smallILi13EfPfEEvT1_iilPiilS4_bb
		.amdhsa_group_segment_fixed_size 116
		.amdhsa_private_segment_fixed_size 0
		.amdhsa_kernarg_size 60
		.amdhsa_user_sgpr_count 15
		.amdhsa_user_sgpr_dispatch_ptr 0
		.amdhsa_user_sgpr_queue_ptr 0
		.amdhsa_user_sgpr_kernarg_segment_ptr 1
		.amdhsa_user_sgpr_dispatch_id 0
		.amdhsa_user_sgpr_private_segment_size 0
		.amdhsa_wavefront_size32 1
		.amdhsa_uses_dynamic_stack 0
		.amdhsa_enable_private_segment 0
		.amdhsa_system_sgpr_workgroup_id_x 1
		.amdhsa_system_sgpr_workgroup_id_y 0
		.amdhsa_system_sgpr_workgroup_id_z 0
		.amdhsa_system_sgpr_workgroup_info 0
		.amdhsa_system_vgpr_workitem_id 0
		.amdhsa_next_free_vgpr 57
		.amdhsa_next_free_sgpr 18
		.amdhsa_reserve_vcc 1
		.amdhsa_float_round_mode_32 0
		.amdhsa_float_round_mode_16_64 0
		.amdhsa_float_denorm_mode_32 3
		.amdhsa_float_denorm_mode_16_64 3
		.amdhsa_dx10_clamp 1
		.amdhsa_ieee_mode 1
		.amdhsa_fp16_overflow 0
		.amdhsa_workgroup_processor_mode 1
		.amdhsa_memory_ordered 1
		.amdhsa_forward_progress 0
		.amdhsa_shared_vgpr_count 0
		.amdhsa_exception_fp_ieee_invalid_op 0
		.amdhsa_exception_fp_denorm_src 0
		.amdhsa_exception_fp_ieee_div_zero 0
		.amdhsa_exception_fp_ieee_overflow 0
		.amdhsa_exception_fp_ieee_underflow 0
		.amdhsa_exception_fp_ieee_inexact 0
		.amdhsa_exception_int_div_zero 0
	.end_amdhsa_kernel
	.section	.text._ZN9rocsolver6v33100L18getri_kernel_smallILi13EfPfEEvT1_iilPiilS4_bb,"axG",@progbits,_ZN9rocsolver6v33100L18getri_kernel_smallILi13EfPfEEvT1_iilPiilS4_bb,comdat
.Lfunc_end12:
	.size	_ZN9rocsolver6v33100L18getri_kernel_smallILi13EfPfEEvT1_iilPiilS4_bb, .Lfunc_end12-_ZN9rocsolver6v33100L18getri_kernel_smallILi13EfPfEEvT1_iilPiilS4_bb
                                        ; -- End function
	.section	.AMDGPU.csdata,"",@progbits
; Kernel info:
; codeLenInByte = 14716
; NumSgprs: 20
; NumVgprs: 57
; ScratchSize: 0
; MemoryBound: 0
; FloatMode: 240
; IeeeMode: 1
; LDSByteSize: 116 bytes/workgroup (compile time only)
; SGPRBlocks: 2
; VGPRBlocks: 7
; NumSGPRsForWavesPerEU: 20
; NumVGPRsForWavesPerEU: 57
; Occupancy: 16
; WaveLimiterHint : 0
; COMPUTE_PGM_RSRC2:SCRATCH_EN: 0
; COMPUTE_PGM_RSRC2:USER_SGPR: 15
; COMPUTE_PGM_RSRC2:TRAP_HANDLER: 0
; COMPUTE_PGM_RSRC2:TGID_X_EN: 1
; COMPUTE_PGM_RSRC2:TGID_Y_EN: 0
; COMPUTE_PGM_RSRC2:TGID_Z_EN: 0
; COMPUTE_PGM_RSRC2:TIDIG_COMP_CNT: 0
	.section	.text._ZN9rocsolver6v33100L18getri_kernel_smallILi14EfPfEEvT1_iilPiilS4_bb,"axG",@progbits,_ZN9rocsolver6v33100L18getri_kernel_smallILi14EfPfEEvT1_iilPiilS4_bb,comdat
	.globl	_ZN9rocsolver6v33100L18getri_kernel_smallILi14EfPfEEvT1_iilPiilS4_bb ; -- Begin function _ZN9rocsolver6v33100L18getri_kernel_smallILi14EfPfEEvT1_iilPiilS4_bb
	.p2align	8
	.type	_ZN9rocsolver6v33100L18getri_kernel_smallILi14EfPfEEvT1_iilPiilS4_bb,@function
_ZN9rocsolver6v33100L18getri_kernel_smallILi14EfPfEEvT1_iilPiilS4_bb: ; @_ZN9rocsolver6v33100L18getri_kernel_smallILi14EfPfEEvT1_iilPiilS4_bb
; %bb.0:
	s_mov_b32 s2, exec_lo
	v_cmpx_gt_u32_e32 14, v0
	s_cbranch_execz .LBB13_16
; %bb.1:
	s_clause 0x2
	s_load_b32 s17, s[0:1], 0x38
	s_load_b128 s[8:11], s[0:1], 0x10
	s_load_b128 s[4:7], s[0:1], 0x28
	s_mov_b32 s14, s15
                                        ; implicit-def: $sgpr12_sgpr13
	s_waitcnt lgkmcnt(0)
	s_bitcmp1_b32 s17, 8
	s_cselect_b32 s16, -1, 0
	s_bfe_u32 s2, s17, 0x10008
	s_ashr_i32 s15, s15, 31
	s_cmp_eq_u32 s2, 0
	s_cbranch_scc1 .LBB13_3
; %bb.2:
	s_load_b32 s2, s[0:1], 0x20
	s_mul_i32 s3, s14, s5
	s_mul_hi_u32 s5, s14, s4
	s_mul_i32 s12, s15, s4
	s_add_i32 s3, s5, s3
	s_mul_i32 s4, s14, s4
	s_add_i32 s5, s3, s12
	s_delay_alu instid0(SALU_CYCLE_1)
	s_lshl_b64 s[4:5], s[4:5], 2
	s_waitcnt lgkmcnt(0)
	s_ashr_i32 s3, s2, 31
	s_add_u32 s4, s10, s4
	s_addc_u32 s5, s11, s5
	s_lshl_b64 s[2:3], s[2:3], 2
	s_delay_alu instid0(SALU_CYCLE_1)
	s_add_u32 s12, s4, s2
	s_addc_u32 s13, s5, s3
.LBB13_3:
	s_load_b128 s[0:3], s[0:1], 0x0
	s_mul_i32 s4, s14, s9
	s_mul_hi_u32 s5, s14, s8
	s_mul_i32 s9, s15, s8
	s_add_i32 s5, s5, s4
	s_mul_i32 s4, s14, s8
	s_add_i32 s5, s5, s9
	v_lshlrev_b32_e32 v16, 2, v0
	s_lshl_b64 s[4:5], s[4:5], 2
	s_waitcnt lgkmcnt(0)
	v_add3_u32 v1, s3, s3, v0
	s_ashr_i32 s9, s2, 31
	s_mov_b32 s8, s2
	s_add_u32 s2, s0, s4
	s_addc_u32 s5, s1, s5
	v_add_nc_u32_e32 v3, s3, v1
	s_lshl_b64 s[0:1], s[8:9], 2
	v_ashrrev_i32_e32 v2, 31, v1
	s_add_u32 s0, s2, s0
	s_addc_u32 s1, s5, s1
	v_add_co_u32 v31, s2, s0, v16
	v_add_nc_u32_e32 v5, s3, v3
	s_mov_b32 s4, s3
	s_ashr_i32 s5, s3, 31
	v_add_co_ci_u32_e64 v32, null, s1, 0, s2
	v_lshlrev_b64 v[1:2], 2, v[1:2]
	v_ashrrev_i32_e32 v4, 31, v3
	s_lshl_b64 s[4:5], s[4:5], 2
	v_ashrrev_i32_e32 v6, 31, v5
	v_add_co_u32 v33, vcc_lo, v31, s4
	v_add_nc_u32_e32 v7, s3, v5
	v_add_co_ci_u32_e32 v34, vcc_lo, s5, v32, vcc_lo
	v_lshlrev_b64 v[3:4], 2, v[3:4]
	v_add_co_u32 v35, vcc_lo, s0, v1
	v_add_co_ci_u32_e32 v36, vcc_lo, s1, v2, vcc_lo
	v_lshlrev_b64 v[1:2], 2, v[5:6]
	v_ashrrev_i32_e32 v8, 31, v7
	v_add_nc_u32_e32 v5, s3, v7
	v_add_co_u32 v37, vcc_lo, s0, v3
	v_add_co_ci_u32_e32 v38, vcc_lo, s1, v4, vcc_lo
	s_delay_alu instid0(VALU_DEP_4) | instskip(NEXT) | instid1(VALU_DEP_4)
	v_lshlrev_b64 v[3:4], 2, v[7:8]
	v_ashrrev_i32_e32 v6, 31, v5
	v_add_nc_u32_e32 v7, s3, v5
	v_add_co_u32 v39, vcc_lo, s0, v1
	v_add_co_ci_u32_e32 v40, vcc_lo, s1, v2, vcc_lo
	s_delay_alu instid0(VALU_DEP_4) | instskip(NEXT) | instid1(VALU_DEP_4)
	v_lshlrev_b64 v[1:2], 2, v[5:6]
	v_add_nc_u32_e32 v5, s3, v7
	v_add_co_u32 v41, vcc_lo, s0, v3
	v_ashrrev_i32_e32 v8, 31, v7
	v_add_co_ci_u32_e32 v42, vcc_lo, s1, v4, vcc_lo
	s_delay_alu instid0(VALU_DEP_4) | instskip(SKIP_2) | instid1(VALU_DEP_3)
	v_ashrrev_i32_e32 v6, 31, v5
	v_add_co_u32 v43, vcc_lo, s0, v1
	v_add_co_ci_u32_e32 v44, vcc_lo, s1, v2, vcc_lo
	v_lshlrev_b64 v[1:2], 2, v[5:6]
	v_add_nc_u32_e32 v5, s3, v5
	v_lshlrev_b64 v[3:4], 2, v[7:8]
	s_bitcmp0_b32 s17, 0
	s_delay_alu instid0(VALU_DEP_2) | instskip(SKIP_1) | instid1(VALU_DEP_3)
	v_add_nc_u32_e32 v11, s3, v5
	v_ashrrev_i32_e32 v6, 31, v5
	v_add_co_u32 v45, vcc_lo, s0, v3
	s_delay_alu instid0(VALU_DEP_4)
	v_add_co_ci_u32_e32 v46, vcc_lo, s1, v4, vcc_lo
	v_add_co_u32 v47, vcc_lo, s0, v1
	v_add_nc_u32_e32 v13, s3, v11
	v_add_co_ci_u32_e32 v48, vcc_lo, s1, v2, vcc_lo
	v_lshlrev_b64 v[1:2], 2, v[5:6]
	v_ashrrev_i32_e32 v12, 31, v11
	s_delay_alu instid0(VALU_DEP_4)
	v_ashrrev_i32_e32 v14, 31, v13
	v_add_nc_u32_e32 v17, s3, v13
	s_clause 0x7
	global_load_b32 v3, v[33:34], off
	global_load_b32 v4, v[35:36], off
	;; [unrolled: 1-line block ×8, first 2 shown]
	v_add_co_u32 v49, vcc_lo, s0, v1
	v_lshlrev_b64 v[11:12], 2, v[11:12]
	v_add_co_ci_u32_e32 v50, vcc_lo, s1, v2, vcc_lo
	v_lshlrev_b64 v[1:2], 2, v[13:14]
	v_add_nc_u32_e32 v13, s3, v17
	v_ashrrev_i32_e32 v18, 31, v17
	v_add_co_u32 v51, vcc_lo, s0, v11
	v_add_co_ci_u32_e32 v52, vcc_lo, s1, v12, vcc_lo
	s_delay_alu instid0(VALU_DEP_4) | instskip(NEXT) | instid1(VALU_DEP_4)
	v_ashrrev_i32_e32 v14, 31, v13
	v_lshlrev_b64 v[11:12], 2, v[17:18]
	v_add_co_u32 v53, vcc_lo, s0, v1
	v_add_co_ci_u32_e32 v54, vcc_lo, s1, v2, vcc_lo
	s_delay_alu instid0(VALU_DEP_4) | instskip(NEXT) | instid1(VALU_DEP_4)
	v_lshlrev_b64 v[1:2], 2, v[13:14]
	v_add_co_u32 v55, vcc_lo, s0, v11
	v_add_co_ci_u32_e32 v56, vcc_lo, s1, v12, vcc_lo
	s_delay_alu instid0(VALU_DEP_3)
	v_add_co_u32 v57, vcc_lo, s0, v1
	v_mov_b32_e32 v1, 0
	v_add_co_ci_u32_e32 v58, vcc_lo, s1, v2, vcc_lo
	s_clause 0x5
	global_load_b32 v11, v[49:50], off
	global_load_b32 v12, v[51:52], off
	;; [unrolled: 1-line block ×4, first 2 shown]
	global_load_b32 v2, v16, s[0:1]
	global_load_b32 v15, v[57:58], off
	s_mov_b32 s0, -1
	s_cbranch_scc1 .LBB13_14
; %bb.4:
	v_cmp_eq_u32_e64 s0, 0, v0
	s_delay_alu instid0(VALU_DEP_1)
	s_and_saveexec_b32 s1, s0
	s_cbranch_execz .LBB13_6
; %bb.5:
	v_mov_b32_e32 v17, 0
	ds_store_b32 v17, v17 offset:56
.LBB13_6:
	s_or_b32 exec_lo, exec_lo, s1
	v_cmp_eq_u32_e32 vcc_lo, 1, v0
	s_mov_b32 s2, exec_lo
	s_waitcnt vmcnt(0) lgkmcnt(0)
	s_barrier
	buffer_gl0_inv
	v_cndmask_b32_e32 v17, v2, v3, vcc_lo
	v_cmp_eq_u32_e32 vcc_lo, 2, v0
	s_delay_alu instid0(VALU_DEP_2) | instskip(SKIP_1) | instid1(VALU_DEP_2)
	v_cndmask_b32_e32 v17, v17, v4, vcc_lo
	v_cmp_eq_u32_e32 vcc_lo, 3, v0
	v_cndmask_b32_e32 v17, v17, v5, vcc_lo
	v_cmp_eq_u32_e32 vcc_lo, 4, v0
	s_delay_alu instid0(VALU_DEP_2) | instskip(SKIP_1) | instid1(VALU_DEP_2)
	v_cndmask_b32_e32 v17, v17, v6, vcc_lo
	v_cmp_eq_u32_e32 vcc_lo, 5, v0
	;; [unrolled: 5-line block ×6, first 2 shown]
	v_cndmask_b32_e32 v17, v17, v15, vcc_lo
	s_delay_alu instid0(VALU_DEP_1)
	v_cmpx_eq_f32_e32 0, v17
	s_cbranch_execz .LBB13_10
; %bb.7:
	v_mov_b32_e32 v18, 0
	ds_load_b32 v19, v18 offset:56
	s_waitcnt lgkmcnt(0)
	v_readfirstlane_b32 s1, v19
	v_add_nc_u32_e32 v19, 1, v0
	s_delay_alu instid0(VALU_DEP_2) | instskip(NEXT) | instid1(VALU_DEP_1)
	s_cmp_eq_u32 s1, 0
	v_cmp_gt_i32_e32 vcc_lo, s1, v19
	s_cselect_b32 s3, -1, 0
	s_delay_alu instid0(SALU_CYCLE_1) | instskip(NEXT) | instid1(SALU_CYCLE_1)
	s_or_b32 s3, s3, vcc_lo
	s_and_b32 exec_lo, exec_lo, s3
	s_cbranch_execz .LBB13_10
; %bb.8:
	v_mov_b32_e32 v20, s1
	s_mov_b32 s3, 0
.LBB13_9:                               ; =>This Inner Loop Header: Depth=1
	ds_cmpstore_rtn_b32 v20, v18, v19, v20 offset:56
	s_waitcnt lgkmcnt(0)
	v_cmp_ne_u32_e32 vcc_lo, 0, v20
	v_cmp_le_i32_e64 s1, v20, v19
	s_delay_alu instid0(VALU_DEP_1) | instskip(NEXT) | instid1(SALU_CYCLE_1)
	s_and_b32 s1, vcc_lo, s1
	s_and_b32 s1, exec_lo, s1
	s_delay_alu instid0(SALU_CYCLE_1) | instskip(NEXT) | instid1(SALU_CYCLE_1)
	s_or_b32 s3, s1, s3
	s_and_not1_b32 exec_lo, exec_lo, s3
	s_cbranch_execnz .LBB13_9
.LBB13_10:
	s_or_b32 exec_lo, exec_lo, s2
	v_mov_b32_e32 v18, 0
	s_barrier
	buffer_gl0_inv
	ds_load_b32 v19, v18 offset:56
	s_and_saveexec_b32 s1, s0
	s_cbranch_execz .LBB13_12
; %bb.11:
	s_lshl_b64 s[2:3], s[14:15], 2
	s_delay_alu instid0(SALU_CYCLE_1)
	s_add_u32 s2, s6, s2
	s_addc_u32 s3, s7, s3
	s_waitcnt lgkmcnt(0)
	global_store_b32 v18, v19, s[2:3]
.LBB13_12:
	s_or_b32 exec_lo, exec_lo, s1
	s_waitcnt lgkmcnt(0)
	v_cmp_ne_u32_e32 vcc_lo, 0, v19
	s_cbranch_vccz .LBB13_17
; %bb.13:
	s_mov_b32 s0, 0
                                        ; implicit-def: $vgpr2_vgpr3_vgpr4_vgpr5_vgpr6_vgpr7_vgpr8_vgpr9_vgpr10_vgpr11_vgpr12_vgpr13_vgpr14_vgpr15_vgpr16_vgpr17
.LBB13_14:
	s_delay_alu instid0(SALU_CYCLE_1)
	s_and_b32 vcc_lo, exec_lo, s0
	s_cbranch_vccz .LBB13_16
.LBB13_15:
	s_lshl_b64 s[0:1], s[14:15], 2
	v_mov_b32_e32 v1, 0
	s_add_u32 s0, s6, s0
	s_addc_u32 s1, s7, s1
	global_load_b32 v1, v1, s[0:1]
	s_waitcnt vmcnt(0)
	v_cmp_ne_u32_e32 vcc_lo, 0, v1
	s_cbranch_vccz .LBB13_78
.LBB13_16:
	s_nop 0
	s_sendmsg sendmsg(MSG_DEALLOC_VGPRS)
	s_endpgm
.LBB13_17:
	v_div_scale_f32 v18, null, v17, v17, 1.0
	v_div_scale_f32 v21, vcc_lo, 1.0, v17, 1.0
	s_delay_alu instid0(VALU_DEP_2) | instskip(SKIP_2) | instid1(VALU_DEP_1)
	v_rcp_f32_e32 v19, v18
	s_waitcnt_depctr 0xfff
	v_fma_f32 v20, -v18, v19, 1.0
	v_fmac_f32_e32 v19, v20, v19
	s_delay_alu instid0(VALU_DEP_1) | instskip(NEXT) | instid1(VALU_DEP_1)
	v_mul_f32_e32 v20, v21, v19
	v_fma_f32 v22, -v18, v20, v21
	s_delay_alu instid0(VALU_DEP_1) | instskip(NEXT) | instid1(VALU_DEP_1)
	v_fmac_f32_e32 v20, v22, v19
	v_fma_f32 v18, -v18, v20, v21
	s_delay_alu instid0(VALU_DEP_1) | instskip(SKIP_1) | instid1(VALU_DEP_2)
	v_div_fmas_f32 v18, v18, v19, v20
	v_cmp_eq_u32_e32 vcc_lo, 13, v0
	v_div_fixup_f32 v17, v18, v17, 1.0
	s_delay_alu instid0(VALU_DEP_1)
	v_dual_cndmask_b32 v15, v15, v17 :: v_dual_add_nc_u32 v18, 64, v16
	v_cmp_eq_u32_e32 vcc_lo, 12, v0
	v_xor_b32_e32 v19, 0x80000000, v17
	v_cndmask_b32_e32 v14, v14, v17, vcc_lo
	v_cmp_eq_u32_e32 vcc_lo, 11, v0
	v_cndmask_b32_e32 v13, v13, v17, vcc_lo
	v_cmp_eq_u32_e32 vcc_lo, 10, v0
	;; [unrolled: 2-line block ×11, first 2 shown]
	ds_store_2addr_b32 v16, v19, v3 offset1:16
	v_cndmask_b32_e32 v4, v4, v17, vcc_lo
	v_cmp_eq_u32_e32 vcc_lo, 0, v0
	s_waitcnt lgkmcnt(0)
	s_waitcnt_vscnt null, 0x0
	s_barrier
	buffer_gl0_inv
	v_cndmask_b32_e32 v2, v2, v17, vcc_lo
	s_and_saveexec_b32 s1, s0
	s_cbranch_execz .LBB13_19
; %bb.18:
	v_mov_b32_e32 v3, 0
	ds_load_b32 v16, v18
	ds_load_b32 v3, v3 offset:4
	s_waitcnt lgkmcnt(1)
	v_fma_f32 v16, v17, v16, 0
	s_waitcnt lgkmcnt(0)
	s_delay_alu instid0(VALU_DEP_1)
	v_mul_f32_e32 v3, v16, v3
.LBB13_19:
	s_or_b32 exec_lo, exec_lo, s1
	v_cmp_gt_u32_e32 vcc_lo, 2, v0
	s_barrier
	buffer_gl0_inv
	ds_store_b32 v18, v4
	s_waitcnt lgkmcnt(0)
	s_barrier
	buffer_gl0_inv
	s_and_saveexec_b32 s2, vcc_lo
	s_cbranch_execz .LBB13_21
; %bb.20:
	v_cmp_eq_u32_e64 s1, 1, v0
	ds_load_b32 v19, v18
	v_cndmask_b32_e64 v16, v2, v3, s1
	v_cmp_eq_u32_e64 s1, 2, v0
	s_delay_alu instid0(VALU_DEP_1) | instskip(SKIP_2) | instid1(VALU_DEP_2)
	v_cndmask_b32_e64 v4, v16, v4, s1
	v_cmp_eq_u32_e64 s1, 3, v0
	v_mov_b32_e32 v16, 0
	v_cndmask_b32_e64 v4, v4, v5, s1
	v_cmp_eq_u32_e64 s1, 4, v0
	ds_load_2addr_b32 v[16:17], v16 offset0:2 offset1:17
	v_cndmask_b32_e64 v4, v4, v6, s1
	v_cmp_eq_u32_e64 s1, 5, v0
	s_delay_alu instid0(VALU_DEP_1) | instskip(SKIP_1) | instid1(VALU_DEP_1)
	v_cndmask_b32_e64 v4, v4, v7, s1
	v_cmp_eq_u32_e64 s1, 6, v0
	v_cndmask_b32_e64 v4, v4, v8, s1
	v_cmp_eq_u32_e64 s1, 7, v0
	s_delay_alu instid0(VALU_DEP_1) | instskip(SKIP_1) | instid1(VALU_DEP_1)
	v_cndmask_b32_e64 v4, v4, v9, s1
	v_cmp_eq_u32_e64 s1, 8, v0
	;; [unrolled: 5-line block ×4, first 2 shown]
	v_cndmask_b32_e64 v4, v4, v14, s1
	v_cmp_eq_u32_e64 s1, 13, v0
	s_delay_alu instid0(VALU_DEP_1) | instskip(SKIP_1) | instid1(VALU_DEP_1)
	v_cndmask_b32_e64 v4, v4, v15, s1
	s_waitcnt lgkmcnt(1)
	v_fma_f32 v4, v4, v19, 0
	s_waitcnt lgkmcnt(0)
	s_delay_alu instid0(VALU_DEP_1) | instskip(NEXT) | instid1(VALU_DEP_1)
	v_fma_f32 v17, v3, v17, v4
	v_cndmask_b32_e64 v4, v4, v17, s0
	s_delay_alu instid0(VALU_DEP_1)
	v_mul_f32_e32 v4, v4, v16
.LBB13_21:
	s_or_b32 exec_lo, exec_lo, s2
	s_delay_alu instid0(SALU_CYCLE_1)
	s_mov_b32 s3, exec_lo
	s_barrier
	buffer_gl0_inv
	ds_store_b32 v18, v5
	s_waitcnt lgkmcnt(0)
	s_barrier
	buffer_gl0_inv
	v_cmpx_gt_u32_e32 3, v0
	s_cbranch_execz .LBB13_25
; %bb.22:
	v_mov_b32_e32 v17, v1
	v_lshl_add_u32 v20, v0, 2, 64
	v_dual_mov_b32 v19, 0 :: v_dual_mov_b32 v16, v0
	s_mov_b32 s4, 0
.LBB13_23:                              ; =>This Inner Loop Header: Depth=1
	s_delay_alu instid0(VALU_DEP_1) | instskip(SKIP_3) | instid1(VALU_DEP_1)
	v_cmp_eq_u32_e64 s1, 1, v16
	ds_load_b32 v22, v20
	v_cndmask_b32_e64 v21, v2, v3, s1
	v_cmp_eq_u32_e64 s1, 2, v16
	v_cndmask_b32_e64 v21, v21, v4, s1
	v_cmp_eq_u32_e64 s1, 3, v16
	s_delay_alu instid0(VALU_DEP_1) | instskip(SKIP_1) | instid1(VALU_DEP_1)
	v_cndmask_b32_e64 v21, v21, v5, s1
	v_cmp_eq_u32_e64 s1, 4, v16
	v_cndmask_b32_e64 v21, v21, v6, s1
	v_cmp_eq_u32_e64 s1, 5, v16
	s_delay_alu instid0(VALU_DEP_1) | instskip(SKIP_1) | instid1(VALU_DEP_1)
	;; [unrolled: 5-line block ×5, first 2 shown]
	v_cndmask_b32_e64 v21, v21, v13, s1
	v_cmp_eq_u32_e64 s1, 12, v16
	v_cndmask_b32_e64 v21, v21, v14, s1
	v_cmp_eq_u32_e64 s1, 13, v16
	v_add_co_u32 v16, s2, v16, 1
	s_delay_alu instid0(VALU_DEP_1) | instskip(NEXT) | instid1(VALU_DEP_3)
	v_add_co_ci_u32_e64 v17, s2, 0, v17, s2
	v_cndmask_b32_e64 v21, v21, v15, s1
	s_delay_alu instid0(VALU_DEP_3) | instskip(SKIP_1) | instid1(VALU_DEP_2)
	v_add_nc_u32_e32 v23, -1, v16
	s_waitcnt lgkmcnt(0)
	v_dual_fmac_f32 v19, v21, v22 :: v_dual_add_nc_u32 v20, 4, v20
	s_delay_alu instid0(VALU_DEP_2) | instskip(NEXT) | instid1(VALU_DEP_1)
	v_cmp_lt_u32_e64 s1, 1, v23
	s_or_b32 s4, s1, s4
	s_delay_alu instid0(SALU_CYCLE_1)
	s_and_not1_b32 exec_lo, exec_lo, s4
	s_cbranch_execnz .LBB13_23
; %bb.24:
	s_or_b32 exec_lo, exec_lo, s4
	v_mov_b32_e32 v5, 0
	ds_load_b32 v5, v5 offset:12
	s_waitcnt lgkmcnt(0)
	v_mul_f32_e32 v5, v19, v5
.LBB13_25:
	s_or_b32 exec_lo, exec_lo, s3
	v_cmp_gt_u32_e64 s1, 4, v0
	s_barrier
	buffer_gl0_inv
	ds_store_b32 v18, v6
	s_waitcnt lgkmcnt(0)
	s_barrier
	buffer_gl0_inv
	s_and_saveexec_b32 s4, s1
	s_cbranch_execz .LBB13_29
; %bb.26:
	v_mov_b32_e32 v17, v1
	v_lshl_add_u32 v20, v0, 2, 64
	v_dual_mov_b32 v19, 0 :: v_dual_mov_b32 v16, v0
	s_mov_b32 s5, 0
.LBB13_27:                              ; =>This Inner Loop Header: Depth=1
	s_delay_alu instid0(VALU_DEP_1) | instskip(SKIP_3) | instid1(VALU_DEP_1)
	v_cmp_eq_u32_e64 s2, 1, v16
	ds_load_b32 v22, v20
	v_cndmask_b32_e64 v21, v2, v3, s2
	v_cmp_eq_u32_e64 s2, 2, v16
	v_cndmask_b32_e64 v21, v21, v4, s2
	v_cmp_eq_u32_e64 s2, 3, v16
	s_delay_alu instid0(VALU_DEP_1) | instskip(SKIP_1) | instid1(VALU_DEP_1)
	v_cndmask_b32_e64 v21, v21, v5, s2
	v_cmp_eq_u32_e64 s2, 4, v16
	v_cndmask_b32_e64 v21, v21, v6, s2
	v_cmp_eq_u32_e64 s2, 5, v16
	s_delay_alu instid0(VALU_DEP_1) | instskip(SKIP_1) | instid1(VALU_DEP_1)
	;; [unrolled: 5-line block ×5, first 2 shown]
	v_cndmask_b32_e64 v21, v21, v13, s2
	v_cmp_eq_u32_e64 s2, 12, v16
	v_cndmask_b32_e64 v21, v21, v14, s2
	v_cmp_eq_u32_e64 s2, 13, v16
	v_add_co_u32 v16, s3, v16, 1
	s_delay_alu instid0(VALU_DEP_1) | instskip(NEXT) | instid1(VALU_DEP_3)
	v_add_co_ci_u32_e64 v17, s3, 0, v17, s3
	v_cndmask_b32_e64 v21, v21, v15, s2
	s_delay_alu instid0(VALU_DEP_3) | instskip(SKIP_1) | instid1(VALU_DEP_2)
	v_add_nc_u32_e32 v23, -1, v16
	s_waitcnt lgkmcnt(0)
	v_dual_fmac_f32 v19, v21, v22 :: v_dual_add_nc_u32 v20, 4, v20
	s_delay_alu instid0(VALU_DEP_2) | instskip(NEXT) | instid1(VALU_DEP_1)
	v_cmp_lt_u32_e64 s2, 2, v23
	s_or_b32 s5, s2, s5
	s_delay_alu instid0(SALU_CYCLE_1)
	s_and_not1_b32 exec_lo, exec_lo, s5
	s_cbranch_execnz .LBB13_27
; %bb.28:
	s_or_b32 exec_lo, exec_lo, s5
	v_mov_b32_e32 v6, 0
	ds_load_b32 v6, v6 offset:16
	s_waitcnt lgkmcnt(0)
	v_mul_f32_e32 v6, v19, v6
.LBB13_29:
	s_or_b32 exec_lo, exec_lo, s4
	s_delay_alu instid0(SALU_CYCLE_1)
	s_mov_b32 s4, exec_lo
	s_barrier
	buffer_gl0_inv
	ds_store_b32 v18, v7
	s_waitcnt lgkmcnt(0)
	s_barrier
	buffer_gl0_inv
	v_cmpx_gt_u32_e32 5, v0
	s_cbranch_execz .LBB13_33
; %bb.30:
	v_mov_b32_e32 v17, v1
	v_lshl_add_u32 v20, v0, 2, 64
	v_dual_mov_b32 v19, 0 :: v_dual_mov_b32 v16, v0
	s_mov_b32 s5, 0
.LBB13_31:                              ; =>This Inner Loop Header: Depth=1
	s_delay_alu instid0(VALU_DEP_1) | instskip(SKIP_3) | instid1(VALU_DEP_1)
	v_cmp_eq_u32_e64 s2, 1, v16
	ds_load_b32 v22, v20
	v_cndmask_b32_e64 v21, v2, v3, s2
	v_cmp_eq_u32_e64 s2, 2, v16
	v_cndmask_b32_e64 v21, v21, v4, s2
	v_cmp_eq_u32_e64 s2, 3, v16
	s_delay_alu instid0(VALU_DEP_1) | instskip(SKIP_1) | instid1(VALU_DEP_1)
	v_cndmask_b32_e64 v21, v21, v5, s2
	v_cmp_eq_u32_e64 s2, 4, v16
	v_cndmask_b32_e64 v21, v21, v6, s2
	v_cmp_eq_u32_e64 s2, 5, v16
	s_delay_alu instid0(VALU_DEP_1) | instskip(SKIP_1) | instid1(VALU_DEP_1)
	;; [unrolled: 5-line block ×5, first 2 shown]
	v_cndmask_b32_e64 v21, v21, v13, s2
	v_cmp_eq_u32_e64 s2, 12, v16
	v_cndmask_b32_e64 v21, v21, v14, s2
	v_cmp_eq_u32_e64 s2, 13, v16
	v_add_co_u32 v16, s3, v16, 1
	s_delay_alu instid0(VALU_DEP_1) | instskip(NEXT) | instid1(VALU_DEP_3)
	v_add_co_ci_u32_e64 v17, s3, 0, v17, s3
	v_cndmask_b32_e64 v21, v21, v15, s2
	s_delay_alu instid0(VALU_DEP_3) | instskip(SKIP_1) | instid1(VALU_DEP_2)
	v_add_nc_u32_e32 v23, -1, v16
	s_waitcnt lgkmcnt(0)
	v_dual_fmac_f32 v19, v21, v22 :: v_dual_add_nc_u32 v20, 4, v20
	s_delay_alu instid0(VALU_DEP_2) | instskip(NEXT) | instid1(VALU_DEP_1)
	v_cmp_lt_u32_e64 s2, 3, v23
	s_or_b32 s5, s2, s5
	s_delay_alu instid0(SALU_CYCLE_1)
	s_and_not1_b32 exec_lo, exec_lo, s5
	s_cbranch_execnz .LBB13_31
; %bb.32:
	s_or_b32 exec_lo, exec_lo, s5
	v_mov_b32_e32 v7, 0
	ds_load_b32 v7, v7 offset:20
	s_waitcnt lgkmcnt(0)
	v_mul_f32_e32 v7, v19, v7
.LBB13_33:
	s_or_b32 exec_lo, exec_lo, s4
	v_cmp_gt_u32_e64 s2, 6, v0
	s_barrier
	buffer_gl0_inv
	ds_store_b32 v18, v8
	s_waitcnt lgkmcnt(0)
	s_barrier
	buffer_gl0_inv
	s_and_saveexec_b32 s5, s2
	s_cbranch_execz .LBB13_37
; %bb.34:
	v_mov_b32_e32 v17, v1
	v_lshl_add_u32 v20, v0, 2, 64
	v_dual_mov_b32 v19, 0 :: v_dual_mov_b32 v16, v0
	s_mov_b32 s8, 0
.LBB13_35:                              ; =>This Inner Loop Header: Depth=1
	s_delay_alu instid0(VALU_DEP_1) | instskip(SKIP_3) | instid1(VALU_DEP_1)
	v_cmp_eq_u32_e64 s3, 1, v16
	ds_load_b32 v22, v20
	v_cndmask_b32_e64 v21, v2, v3, s3
	v_cmp_eq_u32_e64 s3, 2, v16
	v_cndmask_b32_e64 v21, v21, v4, s3
	v_cmp_eq_u32_e64 s3, 3, v16
	s_delay_alu instid0(VALU_DEP_1) | instskip(SKIP_1) | instid1(VALU_DEP_1)
	v_cndmask_b32_e64 v21, v21, v5, s3
	v_cmp_eq_u32_e64 s3, 4, v16
	v_cndmask_b32_e64 v21, v21, v6, s3
	v_cmp_eq_u32_e64 s3, 5, v16
	s_delay_alu instid0(VALU_DEP_1) | instskip(SKIP_1) | instid1(VALU_DEP_1)
	;; [unrolled: 5-line block ×5, first 2 shown]
	v_cndmask_b32_e64 v21, v21, v13, s3
	v_cmp_eq_u32_e64 s3, 12, v16
	v_cndmask_b32_e64 v21, v21, v14, s3
	v_cmp_eq_u32_e64 s3, 13, v16
	v_add_co_u32 v16, s4, v16, 1
	s_delay_alu instid0(VALU_DEP_1) | instskip(NEXT) | instid1(VALU_DEP_3)
	v_add_co_ci_u32_e64 v17, s4, 0, v17, s4
	v_cndmask_b32_e64 v21, v21, v15, s3
	s_delay_alu instid0(VALU_DEP_3) | instskip(SKIP_1) | instid1(VALU_DEP_2)
	v_add_nc_u32_e32 v23, -1, v16
	s_waitcnt lgkmcnt(0)
	v_dual_fmac_f32 v19, v21, v22 :: v_dual_add_nc_u32 v20, 4, v20
	s_delay_alu instid0(VALU_DEP_2) | instskip(NEXT) | instid1(VALU_DEP_1)
	v_cmp_lt_u32_e64 s3, 4, v23
	s_or_b32 s8, s3, s8
	s_delay_alu instid0(SALU_CYCLE_1)
	s_and_not1_b32 exec_lo, exec_lo, s8
	s_cbranch_execnz .LBB13_35
; %bb.36:
	s_or_b32 exec_lo, exec_lo, s8
	v_mov_b32_e32 v8, 0
	ds_load_b32 v8, v8 offset:24
	s_waitcnt lgkmcnt(0)
	v_mul_f32_e32 v8, v19, v8
.LBB13_37:
	s_or_b32 exec_lo, exec_lo, s5
	s_delay_alu instid0(SALU_CYCLE_1)
	s_mov_b32 s5, exec_lo
	s_barrier
	buffer_gl0_inv
	ds_store_b32 v18, v9
	s_waitcnt lgkmcnt(0)
	s_barrier
	buffer_gl0_inv
	v_cmpx_gt_u32_e32 7, v0
	s_cbranch_execz .LBB13_41
; %bb.38:
	v_mov_b32_e32 v17, v1
	v_lshl_add_u32 v20, v0, 2, 64
	v_dual_mov_b32 v19, 0 :: v_dual_mov_b32 v16, v0
	s_mov_b32 s8, 0
.LBB13_39:                              ; =>This Inner Loop Header: Depth=1
	s_delay_alu instid0(VALU_DEP_1) | instskip(SKIP_3) | instid1(VALU_DEP_1)
	v_cmp_eq_u32_e64 s3, 1, v16
	ds_load_b32 v22, v20
	v_cndmask_b32_e64 v21, v2, v3, s3
	v_cmp_eq_u32_e64 s3, 2, v16
	v_cndmask_b32_e64 v21, v21, v4, s3
	v_cmp_eq_u32_e64 s3, 3, v16
	s_delay_alu instid0(VALU_DEP_1) | instskip(SKIP_1) | instid1(VALU_DEP_1)
	v_cndmask_b32_e64 v21, v21, v5, s3
	v_cmp_eq_u32_e64 s3, 4, v16
	v_cndmask_b32_e64 v21, v21, v6, s3
	v_cmp_eq_u32_e64 s3, 5, v16
	s_delay_alu instid0(VALU_DEP_1) | instskip(SKIP_1) | instid1(VALU_DEP_1)
	;; [unrolled: 5-line block ×5, first 2 shown]
	v_cndmask_b32_e64 v21, v21, v13, s3
	v_cmp_eq_u32_e64 s3, 12, v16
	v_cndmask_b32_e64 v21, v21, v14, s3
	v_cmp_eq_u32_e64 s3, 13, v16
	v_add_co_u32 v16, s4, v16, 1
	s_delay_alu instid0(VALU_DEP_1) | instskip(NEXT) | instid1(VALU_DEP_3)
	v_add_co_ci_u32_e64 v17, s4, 0, v17, s4
	v_cndmask_b32_e64 v21, v21, v15, s3
	s_delay_alu instid0(VALU_DEP_3) | instskip(SKIP_1) | instid1(VALU_DEP_2)
	v_add_nc_u32_e32 v23, -1, v16
	s_waitcnt lgkmcnt(0)
	v_dual_fmac_f32 v19, v21, v22 :: v_dual_add_nc_u32 v20, 4, v20
	s_delay_alu instid0(VALU_DEP_2) | instskip(NEXT) | instid1(VALU_DEP_1)
	v_cmp_lt_u32_e64 s3, 5, v23
	s_or_b32 s8, s3, s8
	s_delay_alu instid0(SALU_CYCLE_1)
	s_and_not1_b32 exec_lo, exec_lo, s8
	s_cbranch_execnz .LBB13_39
; %bb.40:
	s_or_b32 exec_lo, exec_lo, s8
	v_mov_b32_e32 v9, 0
	ds_load_b32 v9, v9 offset:28
	s_waitcnt lgkmcnt(0)
	v_mul_f32_e32 v9, v19, v9
.LBB13_41:
	s_or_b32 exec_lo, exec_lo, s5
	s_delay_alu instid0(SALU_CYCLE_1)
	s_mov_b32 s4, exec_lo
	s_barrier
	buffer_gl0_inv
	ds_store_b32 v18, v10
	s_waitcnt lgkmcnt(0)
	s_barrier
	buffer_gl0_inv
	v_cmpx_gt_u32_e32 8, v0
	s_cbranch_execz .LBB13_57
; %bb.42:
	v_cmp_eq_u32_e64 s3, 1, v0
	ds_load_b32 v17, v18
	s_mov_b32 s5, exec_lo
	v_cndmask_b32_e64 v16, v2, v3, s3
	v_cmp_eq_u32_e64 s3, 2, v0
	s_delay_alu instid0(VALU_DEP_1) | instskip(SKIP_1) | instid1(VALU_DEP_1)
	v_cndmask_b32_e64 v16, v16, v4, s3
	v_cmp_eq_u32_e64 s3, 3, v0
	v_cndmask_b32_e64 v16, v16, v5, s3
	v_cmp_eq_u32_e64 s3, 4, v0
	s_delay_alu instid0(VALU_DEP_1) | instskip(SKIP_1) | instid1(VALU_DEP_1)
	v_cndmask_b32_e64 v16, v16, v6, s3
	v_cmp_eq_u32_e64 s3, 5, v0
	;; [unrolled: 5-line block ×6, first 2 shown]
	v_cndmask_b32_e64 v19, v16, v15, s3
	v_mov_b32_e32 v16, 0
	s_waitcnt lgkmcnt(0)
	s_delay_alu instid0(VALU_DEP_2)
	v_fma_f32 v17, v19, v17, 0
	v_cmpx_ne_u32_e32 7, v0
	s_cbranch_execz .LBB13_56
; %bb.43:
	v_add_nc_u32_e32 v19, 1, v0
	ds_load_b32 v21, v18 offset:4
	v_cmp_eq_u32_e64 s3, 1, v19
	s_delay_alu instid0(VALU_DEP_1) | instskip(SKIP_1) | instid1(VALU_DEP_1)
	v_cndmask_b32_e64 v20, v2, v3, s3
	v_cmp_eq_u32_e64 s3, 2, v19
	v_cndmask_b32_e64 v20, v20, v4, s3
	v_cmp_eq_u32_e64 s3, 3, v19
	s_delay_alu instid0(VALU_DEP_1) | instskip(SKIP_1) | instid1(VALU_DEP_1)
	v_cndmask_b32_e64 v20, v20, v5, s3
	v_cmp_eq_u32_e64 s3, 4, v19
	v_cndmask_b32_e64 v20, v20, v6, s3
	;; [unrolled: 5-line block ×6, first 2 shown]
	v_cmp_eq_u32_e64 s3, 13, v19
	s_delay_alu instid0(VALU_DEP_1) | instskip(SKIP_1) | instid1(VALU_DEP_1)
	v_cndmask_b32_e64 v19, v20, v15, s3
	s_waitcnt lgkmcnt(0)
	v_fmac_f32_e32 v17, v19, v21
	s_and_saveexec_b32 s3, s2
	s_cbranch_execz .LBB13_55
; %bb.44:
	v_add_nc_u32_e32 v19, 2, v0
	ds_load_b32 v21, v18 offset:8
	s_mov_b32 s8, exec_lo
	v_cmp_eq_u32_e64 s2, 1, v19
	s_delay_alu instid0(VALU_DEP_1) | instskip(SKIP_1) | instid1(VALU_DEP_1)
	v_cndmask_b32_e64 v20, v2, v3, s2
	v_cmp_eq_u32_e64 s2, 2, v19
	v_cndmask_b32_e64 v20, v20, v4, s2
	v_cmp_eq_u32_e64 s2, 3, v19
	s_delay_alu instid0(VALU_DEP_1) | instskip(SKIP_1) | instid1(VALU_DEP_1)
	v_cndmask_b32_e64 v20, v20, v5, s2
	v_cmp_eq_u32_e64 s2, 4, v19
	v_cndmask_b32_e64 v20, v20, v6, s2
	;; [unrolled: 5-line block ×6, first 2 shown]
	v_cmp_eq_u32_e64 s2, 13, v19
	s_delay_alu instid0(VALU_DEP_1) | instskip(SKIP_1) | instid1(VALU_DEP_1)
	v_cndmask_b32_e64 v19, v20, v15, s2
	s_waitcnt lgkmcnt(0)
	v_fmac_f32_e32 v17, v19, v21
	v_cmpx_ne_u32_e32 5, v0
	s_cbranch_execz .LBB13_54
; %bb.45:
	v_add_nc_u32_e32 v19, 3, v0
	ds_load_b32 v21, v18 offset:12
	v_cmp_eq_u32_e64 s2, 1, v19
	s_delay_alu instid0(VALU_DEP_1) | instskip(SKIP_1) | instid1(VALU_DEP_1)
	v_cndmask_b32_e64 v20, v2, v3, s2
	v_cmp_eq_u32_e64 s2, 2, v19
	v_cndmask_b32_e64 v20, v20, v4, s2
	v_cmp_eq_u32_e64 s2, 3, v19
	s_delay_alu instid0(VALU_DEP_1) | instskip(SKIP_1) | instid1(VALU_DEP_1)
	v_cndmask_b32_e64 v20, v20, v5, s2
	v_cmp_eq_u32_e64 s2, 4, v19
	v_cndmask_b32_e64 v20, v20, v6, s2
	;; [unrolled: 5-line block ×6, first 2 shown]
	v_cmp_eq_u32_e64 s2, 13, v19
	s_delay_alu instid0(VALU_DEP_1) | instskip(SKIP_1) | instid1(VALU_DEP_1)
	v_cndmask_b32_e64 v19, v20, v15, s2
	s_waitcnt lgkmcnt(0)
	v_fmac_f32_e32 v17, v19, v21
	s_and_saveexec_b32 s2, s1
	s_cbranch_execz .LBB13_53
; %bb.46:
	v_or_b32_e32 v19, 4, v0
	ds_load_b32 v21, v18 offset:16
	s_mov_b32 s9, exec_lo
	v_cmp_eq_u32_e64 s1, 1, v19
	s_delay_alu instid0(VALU_DEP_1) | instskip(SKIP_1) | instid1(VALU_DEP_1)
	v_cndmask_b32_e64 v20, v2, v3, s1
	v_cmp_eq_u32_e64 s1, 2, v19
	v_cndmask_b32_e64 v20, v20, v4, s1
	v_cmp_eq_u32_e64 s1, 3, v19
	s_delay_alu instid0(VALU_DEP_1) | instskip(SKIP_1) | instid1(VALU_DEP_1)
	v_cndmask_b32_e64 v20, v20, v5, s1
	v_cmp_eq_u32_e64 s1, 4, v19
	v_cndmask_b32_e64 v20, v20, v6, s1
	;; [unrolled: 5-line block ×6, first 2 shown]
	v_cmp_eq_u32_e64 s1, 13, v19
	s_delay_alu instid0(VALU_DEP_1) | instskip(SKIP_1) | instid1(VALU_DEP_1)
	v_cndmask_b32_e64 v19, v20, v15, s1
	s_waitcnt lgkmcnt(0)
	v_fmac_f32_e32 v17, v19, v21
	v_cmpx_ne_u32_e32 3, v0
	s_cbranch_execz .LBB13_52
; %bb.47:
	v_add_nc_u32_e32 v19, 5, v0
	ds_load_b32 v21, v18 offset:20
	v_cmp_eq_u32_e64 s1, 1, v19
	s_delay_alu instid0(VALU_DEP_1) | instskip(SKIP_1) | instid1(VALU_DEP_1)
	v_cndmask_b32_e64 v20, v2, v3, s1
	v_cmp_eq_u32_e64 s1, 2, v19
	v_cndmask_b32_e64 v20, v20, v4, s1
	v_cmp_eq_u32_e64 s1, 3, v19
	s_delay_alu instid0(VALU_DEP_1) | instskip(SKIP_1) | instid1(VALU_DEP_1)
	v_cndmask_b32_e64 v20, v20, v5, s1
	v_cmp_eq_u32_e64 s1, 4, v19
	v_cndmask_b32_e64 v20, v20, v6, s1
	;; [unrolled: 5-line block ×6, first 2 shown]
	v_cmp_eq_u32_e64 s1, 13, v19
	s_delay_alu instid0(VALU_DEP_1) | instskip(SKIP_1) | instid1(VALU_DEP_1)
	v_cndmask_b32_e64 v19, v20, v15, s1
	s_waitcnt lgkmcnt(0)
	v_fmac_f32_e32 v17, v19, v21
	s_and_saveexec_b32 s1, vcc_lo
	s_cbranch_execz .LBB13_51
; %bb.48:
	v_or_b32_e32 v19, 6, v0
	s_delay_alu instid0(VALU_DEP_1) | instskip(SKIP_2) | instid1(VALU_DEP_2)
	v_cmp_eq_u32_e32 vcc_lo, 1, v19
	v_cndmask_b32_e32 v20, v2, v3, vcc_lo
	v_cmp_eq_u32_e32 vcc_lo, 2, v19
	v_cndmask_b32_e32 v20, v20, v4, vcc_lo
	v_cmp_eq_u32_e32 vcc_lo, 3, v19
	s_delay_alu instid0(VALU_DEP_2) | instskip(SKIP_1) | instid1(VALU_DEP_2)
	v_cndmask_b32_e32 v20, v20, v5, vcc_lo
	v_cmp_eq_u32_e32 vcc_lo, 4, v19
	v_cndmask_b32_e32 v20, v20, v6, vcc_lo
	v_cmp_eq_u32_e32 vcc_lo, 5, v19
	s_delay_alu instid0(VALU_DEP_2) | instskip(SKIP_1) | instid1(VALU_DEP_2)
	;; [unrolled: 5-line block ×3, first 2 shown]
	v_cndmask_b32_e32 v20, v20, v9, vcc_lo
	v_cmp_eq_u32_e32 vcc_lo, 8, v19
	v_cndmask_b32_e32 v10, v20, v10, vcc_lo
	v_cmp_eq_u32_e32 vcc_lo, 9, v19
	ds_load_b32 v20, v18 offset:24
	v_cndmask_b32_e32 v10, v10, v11, vcc_lo
	v_cmp_eq_u32_e32 vcc_lo, 10, v19
	s_delay_alu instid0(VALU_DEP_2) | instskip(SKIP_1) | instid1(VALU_DEP_2)
	v_cndmask_b32_e32 v10, v10, v12, vcc_lo
	v_cmp_eq_u32_e32 vcc_lo, 11, v19
	v_cndmask_b32_e32 v10, v10, v13, vcc_lo
	v_cmp_eq_u32_e32 vcc_lo, 12, v19
	s_delay_alu instid0(VALU_DEP_2) | instskip(SKIP_1) | instid1(VALU_DEP_2)
	v_cndmask_b32_e32 v10, v10, v14, vcc_lo
	v_cmp_eq_u32_e32 vcc_lo, 13, v19
	v_cndmask_b32_e32 v10, v10, v15, vcc_lo
	s_waitcnt lgkmcnt(0)
	s_delay_alu instid0(VALU_DEP_1)
	v_fmac_f32_e32 v17, v10, v20
	s_and_saveexec_b32 s10, s0
	s_cbranch_execz .LBB13_50
; %bb.49:
	ds_load_b32 v10, v18 offset:28
	s_waitcnt lgkmcnt(0)
	v_fmac_f32_e32 v17, v9, v10
.LBB13_50:
	s_or_b32 exec_lo, exec_lo, s10
.LBB13_51:
	s_delay_alu instid0(SALU_CYCLE_1)
	s_or_b32 exec_lo, exec_lo, s1
.LBB13_52:
	s_delay_alu instid0(SALU_CYCLE_1)
	s_or_b32 exec_lo, exec_lo, s9
.LBB13_53:
	s_delay_alu instid0(SALU_CYCLE_1)
	s_or_b32 exec_lo, exec_lo, s2
.LBB13_54:
	s_delay_alu instid0(SALU_CYCLE_1)
	s_or_b32 exec_lo, exec_lo, s8
.LBB13_55:
	s_delay_alu instid0(SALU_CYCLE_1)
	s_or_b32 exec_lo, exec_lo, s3
.LBB13_56:
	s_delay_alu instid0(SALU_CYCLE_1)
	s_or_b32 exec_lo, exec_lo, s5
	ds_load_b32 v10, v16 offset:32
	s_waitcnt lgkmcnt(0)
	v_mul_f32_e32 v10, v17, v10
.LBB13_57:
	s_or_b32 exec_lo, exec_lo, s4
	s_delay_alu instid0(SALU_CYCLE_1)
	s_mov_b32 s1, exec_lo
	s_barrier
	buffer_gl0_inv
	ds_store_b32 v18, v11
	s_waitcnt lgkmcnt(0)
	s_barrier
	buffer_gl0_inv
	v_cmpx_gt_u32_e32 9, v0
	s_cbranch_execz .LBB13_61
; %bb.58:
	v_mov_b32_e32 v17, v1
	v_lshl_add_u32 v20, v0, 2, 64
	v_dual_mov_b32 v19, 0 :: v_dual_mov_b32 v16, v0
	s_mov_b32 s2, 0
	s_set_inst_prefetch_distance 0x1
	.p2align	6
.LBB13_59:                              ; =>This Inner Loop Header: Depth=1
	s_delay_alu instid0(VALU_DEP_1) | instskip(SKIP_3) | instid1(VALU_DEP_2)
	v_cmp_eq_u32_e32 vcc_lo, 1, v16
	ds_load_b32 v22, v20
	v_dual_cndmask_b32 v21, v2, v3 :: v_dual_add_nc_u32 v20, 4, v20
	v_cmp_eq_u32_e32 vcc_lo, 2, v16
	v_cndmask_b32_e32 v21, v21, v4, vcc_lo
	v_cmp_eq_u32_e32 vcc_lo, 3, v16
	s_delay_alu instid0(VALU_DEP_2) | instskip(SKIP_1) | instid1(VALU_DEP_2)
	v_cndmask_b32_e32 v21, v21, v5, vcc_lo
	v_cmp_eq_u32_e32 vcc_lo, 4, v16
	v_cndmask_b32_e32 v21, v21, v6, vcc_lo
	v_cmp_eq_u32_e32 vcc_lo, 5, v16
	s_delay_alu instid0(VALU_DEP_2) | instskip(SKIP_1) | instid1(VALU_DEP_2)
	v_cndmask_b32_e32 v21, v21, v7, vcc_lo
	;; [unrolled: 5-line block ×5, first 2 shown]
	v_cmp_eq_u32_e32 vcc_lo, 12, v16
	v_cndmask_b32_e32 v21, v21, v14, vcc_lo
	v_cmp_eq_u32_e32 vcc_lo, 13, v16
	v_add_co_u32 v16, s0, v16, 1
	s_delay_alu instid0(VALU_DEP_1) | instskip(NEXT) | instid1(VALU_DEP_4)
	v_add_co_ci_u32_e64 v17, s0, 0, v17, s0
	v_cndmask_b32_e32 v21, v21, v15, vcc_lo
	s_delay_alu instid0(VALU_DEP_3) | instskip(SKIP_1) | instid1(VALU_DEP_2)
	v_add_nc_u32_e32 v23, -1, v16
	s_waitcnt lgkmcnt(0)
	v_fmac_f32_e32 v19, v21, v22
	s_delay_alu instid0(VALU_DEP_2) | instskip(SKIP_1) | instid1(SALU_CYCLE_1)
	v_cmp_lt_u32_e32 vcc_lo, 7, v23
	s_or_b32 s2, vcc_lo, s2
	s_and_not1_b32 exec_lo, exec_lo, s2
	s_cbranch_execnz .LBB13_59
; %bb.60:
	s_set_inst_prefetch_distance 0x2
	s_or_b32 exec_lo, exec_lo, s2
	v_mov_b32_e32 v11, 0
	ds_load_b32 v11, v11 offset:36
	s_waitcnt lgkmcnt(0)
	v_mul_f32_e32 v11, v19, v11
.LBB13_61:
	s_or_b32 exec_lo, exec_lo, s1
	s_delay_alu instid0(SALU_CYCLE_1)
	s_mov_b32 s1, exec_lo
	s_barrier
	buffer_gl0_inv
	ds_store_b32 v18, v12
	s_waitcnt lgkmcnt(0)
	s_barrier
	buffer_gl0_inv
	v_cmpx_gt_u32_e32 10, v0
	s_cbranch_execz .LBB13_65
; %bb.62:
	v_mov_b32_e32 v17, v1
	v_lshl_add_u32 v20, v0, 2, 64
	v_dual_mov_b32 v19, 0 :: v_dual_mov_b32 v16, v0
	s_mov_b32 s2, 0
	s_set_inst_prefetch_distance 0x1
	.p2align	6
.LBB13_63:                              ; =>This Inner Loop Header: Depth=1
	s_delay_alu instid0(VALU_DEP_1) | instskip(SKIP_3) | instid1(VALU_DEP_2)
	v_cmp_eq_u32_e32 vcc_lo, 1, v16
	ds_load_b32 v22, v20
	v_dual_cndmask_b32 v21, v2, v3 :: v_dual_add_nc_u32 v20, 4, v20
	v_cmp_eq_u32_e32 vcc_lo, 2, v16
	v_cndmask_b32_e32 v21, v21, v4, vcc_lo
	v_cmp_eq_u32_e32 vcc_lo, 3, v16
	s_delay_alu instid0(VALU_DEP_2) | instskip(SKIP_1) | instid1(VALU_DEP_2)
	v_cndmask_b32_e32 v21, v21, v5, vcc_lo
	v_cmp_eq_u32_e32 vcc_lo, 4, v16
	v_cndmask_b32_e32 v21, v21, v6, vcc_lo
	v_cmp_eq_u32_e32 vcc_lo, 5, v16
	s_delay_alu instid0(VALU_DEP_2) | instskip(SKIP_1) | instid1(VALU_DEP_2)
	v_cndmask_b32_e32 v21, v21, v7, vcc_lo
	;; [unrolled: 5-line block ×5, first 2 shown]
	v_cmp_eq_u32_e32 vcc_lo, 12, v16
	v_cndmask_b32_e32 v21, v21, v14, vcc_lo
	v_cmp_eq_u32_e32 vcc_lo, 13, v16
	v_add_co_u32 v16, s0, v16, 1
	s_delay_alu instid0(VALU_DEP_1) | instskip(NEXT) | instid1(VALU_DEP_4)
	v_add_co_ci_u32_e64 v17, s0, 0, v17, s0
	v_cndmask_b32_e32 v21, v21, v15, vcc_lo
	s_delay_alu instid0(VALU_DEP_3) | instskip(SKIP_1) | instid1(VALU_DEP_2)
	v_add_nc_u32_e32 v23, -1, v16
	s_waitcnt lgkmcnt(0)
	v_fmac_f32_e32 v19, v21, v22
	s_delay_alu instid0(VALU_DEP_2) | instskip(SKIP_1) | instid1(SALU_CYCLE_1)
	v_cmp_lt_u32_e32 vcc_lo, 8, v23
	s_or_b32 s2, vcc_lo, s2
	s_and_not1_b32 exec_lo, exec_lo, s2
	s_cbranch_execnz .LBB13_63
; %bb.64:
	s_set_inst_prefetch_distance 0x2
	s_or_b32 exec_lo, exec_lo, s2
	v_mov_b32_e32 v12, 0
	ds_load_b32 v12, v12 offset:40
	s_waitcnt lgkmcnt(0)
	v_mul_f32_e32 v12, v19, v12
.LBB13_65:
	s_or_b32 exec_lo, exec_lo, s1
	s_delay_alu instid0(SALU_CYCLE_1)
	s_mov_b32 s1, exec_lo
	s_barrier
	buffer_gl0_inv
	ds_store_b32 v18, v13
	s_waitcnt lgkmcnt(0)
	s_barrier
	buffer_gl0_inv
	v_cmpx_gt_u32_e32 11, v0
	s_cbranch_execz .LBB13_69
; %bb.66:
	v_mov_b32_e32 v17, v1
	v_lshl_add_u32 v20, v0, 2, 64
	v_dual_mov_b32 v19, 0 :: v_dual_mov_b32 v16, v0
	s_mov_b32 s2, 0
	s_set_inst_prefetch_distance 0x1
	.p2align	6
.LBB13_67:                              ; =>This Inner Loop Header: Depth=1
	s_delay_alu instid0(VALU_DEP_1) | instskip(SKIP_3) | instid1(VALU_DEP_2)
	v_cmp_eq_u32_e32 vcc_lo, 1, v16
	ds_load_b32 v22, v20
	v_dual_cndmask_b32 v21, v2, v3 :: v_dual_add_nc_u32 v20, 4, v20
	v_cmp_eq_u32_e32 vcc_lo, 2, v16
	v_cndmask_b32_e32 v21, v21, v4, vcc_lo
	v_cmp_eq_u32_e32 vcc_lo, 3, v16
	s_delay_alu instid0(VALU_DEP_2) | instskip(SKIP_1) | instid1(VALU_DEP_2)
	v_cndmask_b32_e32 v21, v21, v5, vcc_lo
	v_cmp_eq_u32_e32 vcc_lo, 4, v16
	v_cndmask_b32_e32 v21, v21, v6, vcc_lo
	v_cmp_eq_u32_e32 vcc_lo, 5, v16
	s_delay_alu instid0(VALU_DEP_2) | instskip(SKIP_1) | instid1(VALU_DEP_2)
	v_cndmask_b32_e32 v21, v21, v7, vcc_lo
	;; [unrolled: 5-line block ×5, first 2 shown]
	v_cmp_eq_u32_e32 vcc_lo, 12, v16
	v_cndmask_b32_e32 v21, v21, v14, vcc_lo
	v_cmp_eq_u32_e32 vcc_lo, 13, v16
	v_add_co_u32 v16, s0, v16, 1
	s_delay_alu instid0(VALU_DEP_1) | instskip(NEXT) | instid1(VALU_DEP_4)
	v_add_co_ci_u32_e64 v17, s0, 0, v17, s0
	v_cndmask_b32_e32 v21, v21, v15, vcc_lo
	s_delay_alu instid0(VALU_DEP_3) | instskip(SKIP_1) | instid1(VALU_DEP_2)
	v_add_nc_u32_e32 v23, -1, v16
	s_waitcnt lgkmcnt(0)
	v_fmac_f32_e32 v19, v21, v22
	s_delay_alu instid0(VALU_DEP_2) | instskip(SKIP_1) | instid1(SALU_CYCLE_1)
	v_cmp_lt_u32_e32 vcc_lo, 9, v23
	s_or_b32 s2, vcc_lo, s2
	s_and_not1_b32 exec_lo, exec_lo, s2
	s_cbranch_execnz .LBB13_67
; %bb.68:
	s_set_inst_prefetch_distance 0x2
	s_or_b32 exec_lo, exec_lo, s2
	v_mov_b32_e32 v13, 0
	ds_load_b32 v13, v13 offset:44
	s_waitcnt lgkmcnt(0)
	v_mul_f32_e32 v13, v19, v13
.LBB13_69:
	s_or_b32 exec_lo, exec_lo, s1
	s_delay_alu instid0(SALU_CYCLE_1)
	s_mov_b32 s1, exec_lo
	s_barrier
	buffer_gl0_inv
	ds_store_b32 v18, v14
	s_waitcnt lgkmcnt(0)
	s_barrier
	buffer_gl0_inv
	v_cmpx_gt_u32_e32 12, v0
	s_cbranch_execz .LBB13_73
; %bb.70:
	v_mov_b32_e32 v17, v1
	v_lshl_add_u32 v20, v0, 2, 64
	v_dual_mov_b32 v19, 0 :: v_dual_mov_b32 v16, v0
	s_mov_b32 s2, 0
	s_set_inst_prefetch_distance 0x1
	.p2align	6
.LBB13_71:                              ; =>This Inner Loop Header: Depth=1
	s_delay_alu instid0(VALU_DEP_1) | instskip(SKIP_3) | instid1(VALU_DEP_2)
	v_cmp_eq_u32_e32 vcc_lo, 1, v16
	ds_load_b32 v22, v20
	v_dual_cndmask_b32 v21, v2, v3 :: v_dual_add_nc_u32 v20, 4, v20
	v_cmp_eq_u32_e32 vcc_lo, 2, v16
	v_cndmask_b32_e32 v21, v21, v4, vcc_lo
	v_cmp_eq_u32_e32 vcc_lo, 3, v16
	s_delay_alu instid0(VALU_DEP_2) | instskip(SKIP_1) | instid1(VALU_DEP_2)
	v_cndmask_b32_e32 v21, v21, v5, vcc_lo
	v_cmp_eq_u32_e32 vcc_lo, 4, v16
	v_cndmask_b32_e32 v21, v21, v6, vcc_lo
	v_cmp_eq_u32_e32 vcc_lo, 5, v16
	s_delay_alu instid0(VALU_DEP_2) | instskip(SKIP_1) | instid1(VALU_DEP_2)
	v_cndmask_b32_e32 v21, v21, v7, vcc_lo
	v_cmp_eq_u32_e32 vcc_lo, 6, v16
	v_cndmask_b32_e32 v21, v21, v8, vcc_lo
	v_cmp_eq_u32_e32 vcc_lo, 7, v16
	s_delay_alu instid0(VALU_DEP_2) | instskip(SKIP_1) | instid1(VALU_DEP_2)
	v_cndmask_b32_e32 v21, v21, v9, vcc_lo
	v_cmp_eq_u32_e32 vcc_lo, 8, v16
	v_cndmask_b32_e32 v21, v21, v10, vcc_lo
	v_cmp_eq_u32_e32 vcc_lo, 9, v16
	s_delay_alu instid0(VALU_DEP_2) | instskip(SKIP_1) | instid1(VALU_DEP_2)
	v_cndmask_b32_e32 v21, v21, v11, vcc_lo
	v_cmp_eq_u32_e32 vcc_lo, 10, v16
	v_cndmask_b32_e32 v21, v21, v12, vcc_lo
	v_cmp_eq_u32_e32 vcc_lo, 11, v16
	s_delay_alu instid0(VALU_DEP_2) | instskip(SKIP_1) | instid1(VALU_DEP_2)
	v_cndmask_b32_e32 v21, v21, v13, vcc_lo
	v_cmp_eq_u32_e32 vcc_lo, 12, v16
	v_cndmask_b32_e32 v21, v21, v14, vcc_lo
	v_cmp_eq_u32_e32 vcc_lo, 13, v16
	v_add_co_u32 v16, s0, v16, 1
	s_delay_alu instid0(VALU_DEP_1) | instskip(NEXT) | instid1(VALU_DEP_4)
	v_add_co_ci_u32_e64 v17, s0, 0, v17, s0
	v_cndmask_b32_e32 v21, v21, v15, vcc_lo
	s_delay_alu instid0(VALU_DEP_3) | instskip(SKIP_1) | instid1(VALU_DEP_2)
	v_add_nc_u32_e32 v23, -1, v16
	s_waitcnt lgkmcnt(0)
	v_fmac_f32_e32 v19, v21, v22
	s_delay_alu instid0(VALU_DEP_2) | instskip(SKIP_1) | instid1(SALU_CYCLE_1)
	v_cmp_lt_u32_e32 vcc_lo, 10, v23
	s_or_b32 s2, vcc_lo, s2
	s_and_not1_b32 exec_lo, exec_lo, s2
	s_cbranch_execnz .LBB13_71
; %bb.72:
	s_set_inst_prefetch_distance 0x2
	s_or_b32 exec_lo, exec_lo, s2
	v_mov_b32_e32 v14, 0
	ds_load_b32 v14, v14 offset:48
	s_waitcnt lgkmcnt(0)
	v_mul_f32_e32 v14, v19, v14
.LBB13_73:
	s_or_b32 exec_lo, exec_lo, s1
	s_delay_alu instid0(SALU_CYCLE_1)
	s_mov_b32 s1, exec_lo
	s_barrier
	buffer_gl0_inv
	ds_store_b32 v18, v15
	s_waitcnt lgkmcnt(0)
	s_barrier
	buffer_gl0_inv
	v_cmpx_ne_u32_e32 13, v0
	s_cbranch_execz .LBB13_77
; %bb.74:
	v_dual_mov_b32 v18, 0 :: v_dual_mov_b32 v17, v1
	v_lshl_add_u32 v19, v0, 2, 64
	v_mov_b32_e32 v16, v0
	s_mov_b32 s2, 0
	s_set_inst_prefetch_distance 0x1
	.p2align	6
.LBB13_75:                              ; =>This Inner Loop Header: Depth=1
	s_delay_alu instid0(VALU_DEP_1) | instskip(SKIP_3) | instid1(VALU_DEP_2)
	v_cmp_eq_u32_e32 vcc_lo, 1, v16
	ds_load_b32 v20, v19
	v_cndmask_b32_e32 v1, v2, v3, vcc_lo
	v_cmp_eq_u32_e32 vcc_lo, 2, v16
	v_cndmask_b32_e32 v1, v1, v4, vcc_lo
	v_cmp_eq_u32_e32 vcc_lo, 3, v16
	s_delay_alu instid0(VALU_DEP_2) | instskip(SKIP_1) | instid1(VALU_DEP_2)
	v_cndmask_b32_e32 v1, v1, v5, vcc_lo
	v_cmp_eq_u32_e32 vcc_lo, 4, v16
	v_cndmask_b32_e32 v1, v1, v6, vcc_lo
	v_cmp_eq_u32_e32 vcc_lo, 5, v16
	s_delay_alu instid0(VALU_DEP_2) | instskip(SKIP_1) | instid1(VALU_DEP_2)
	;; [unrolled: 5-line block ×5, first 2 shown]
	v_cndmask_b32_e32 v1, v1, v13, vcc_lo
	v_cmp_eq_u32_e32 vcc_lo, 12, v16
	v_cndmask_b32_e32 v1, v1, v14, vcc_lo
	v_cmp_eq_u32_e32 vcc_lo, 13, v16
	v_add_co_u32 v16, s0, v16, 1
	s_delay_alu instid0(VALU_DEP_1) | instskip(NEXT) | instid1(VALU_DEP_4)
	v_add_co_ci_u32_e64 v17, s0, 0, v17, s0
	v_cndmask_b32_e32 v1, v1, v15, vcc_lo
	s_delay_alu instid0(VALU_DEP_3) | instskip(SKIP_1) | instid1(VALU_DEP_2)
	v_add_nc_u32_e32 v21, -1, v16
	s_waitcnt lgkmcnt(0)
	v_dual_fmac_f32 v18, v1, v20 :: v_dual_add_nc_u32 v19, 4, v19
	s_delay_alu instid0(VALU_DEP_2) | instskip(SKIP_1) | instid1(SALU_CYCLE_1)
	v_cmp_lt_u32_e32 vcc_lo, 11, v21
	s_or_b32 s2, vcc_lo, s2
	s_and_not1_b32 exec_lo, exec_lo, s2
	s_cbranch_execnz .LBB13_75
; %bb.76:
	s_set_inst_prefetch_distance 0x2
	s_or_b32 exec_lo, exec_lo, s2
	v_mov_b32_e32 v1, 0
	ds_load_b32 v1, v1 offset:52
	s_waitcnt lgkmcnt(0)
	v_mul_f32_e32 v15, v18, v1
.LBB13_77:
	s_or_b32 exec_lo, exec_lo, s1
	s_barrier
	buffer_gl0_inv
	s_cbranch_execnz .LBB13_15
	s_branch .LBB13_16
.LBB13_78:
	v_lshl_add_u32 v1, v0, 2, 64
	s_mov_b32 s0, exec_lo
	v_cmpx_eq_u32_e32 13, v0
	s_cbranch_execz .LBB13_80
; %bb.79:
	v_dual_mov_b32 v16, v2 :: v_dual_mov_b32 v19, v5
	v_dual_mov_b32 v28, 0 :: v_dual_mov_b32 v17, v3
	;; [unrolled: 1-line block ×7, first 2 shown]
	ds_store_b32 v1, v14
	v_mov_b32_e32 v2, v16
	v_dual_mov_b32 v3, v17 :: v_dual_mov_b32 v4, v18
	v_dual_mov_b32 v5, v19 :: v_dual_mov_b32 v6, v20
	;; [unrolled: 1-line block ×7, first 2 shown]
	v_mov_b32_e32 v17, v31
.LBB13_80:
	s_or_b32 exec_lo, exec_lo, s0
	v_mov_b32_e32 v27, 0
	s_waitcnt lgkmcnt(0)
	s_waitcnt_vscnt null, 0x0
	s_barrier
	buffer_gl0_inv
	s_mov_b32 s0, exec_lo
	ds_load_b32 v16, v27 offset:116
	s_waitcnt lgkmcnt(0)
	v_fma_f32 v16, v15, v16, 0
	s_delay_alu instid0(VALU_DEP_1)
	v_sub_f32_e32 v14, v14, v16
	v_cmpx_lt_u32_e32 11, v0
	s_cbranch_execz .LBB13_82
; %bb.81:
	v_dual_mov_b32 v16, v2 :: v_dual_mov_b32 v17, v3
	v_dual_mov_b32 v18, v4 :: v_dual_mov_b32 v19, v5
	;; [unrolled: 1-line block ×6, first 2 shown]
	v_mov_b32_e32 v28, v14
	ds_store_b32 v1, v13
	v_mov_b32_e32 v2, v16
	v_dual_mov_b32 v3, v17 :: v_dual_mov_b32 v4, v18
	v_dual_mov_b32 v5, v19 :: v_dual_mov_b32 v6, v20
	;; [unrolled: 1-line block ×7, first 2 shown]
	v_mov_b32_e32 v17, v31
.LBB13_82:
	s_or_b32 exec_lo, exec_lo, s0
	s_waitcnt lgkmcnt(0)
	s_barrier
	buffer_gl0_inv
	ds_load_b64 v[16:17], v27 offset:112
	s_mov_b32 s0, exec_lo
	s_waitcnt lgkmcnt(0)
	v_fma_f32 v16, v14, v16, 0
	s_delay_alu instid0(VALU_DEP_1) | instskip(NEXT) | instid1(VALU_DEP_1)
	v_fmac_f32_e32 v16, v15, v17
	v_sub_f32_e32 v13, v13, v16
	v_cmpx_lt_u32_e32 10, v0
	s_cbranch_execz .LBB13_84
; %bb.83:
	v_dual_mov_b32 v16, v2 :: v_dual_mov_b32 v19, v5
	v_dual_mov_b32 v26, 0 :: v_dual_mov_b32 v17, v3
	;; [unrolled: 1-line block ×7, first 2 shown]
	ds_store_b32 v1, v12
	v_mov_b32_e32 v2, v16
	v_dual_mov_b32 v3, v17 :: v_dual_mov_b32 v4, v18
	v_dual_mov_b32 v5, v19 :: v_dual_mov_b32 v6, v20
	;; [unrolled: 1-line block ×7, first 2 shown]
	v_mov_b32_e32 v17, v31
.LBB13_84:
	s_or_b32 exec_lo, exec_lo, s0
	v_mov_b32_e32 v25, 0
	s_waitcnt lgkmcnt(0)
	s_barrier
	buffer_gl0_inv
	s_mov_b32 s0, exec_lo
	ds_load_2addr_b32 v[16:17], v25 offset0:27 offset1:28
	ds_load_b32 v18, v25 offset:116
	s_waitcnt lgkmcnt(1)
	v_fma_f32 v16, v13, v16, 0
	s_delay_alu instid0(VALU_DEP_1) | instskip(SKIP_1) | instid1(VALU_DEP_1)
	v_fmac_f32_e32 v16, v14, v17
	s_waitcnt lgkmcnt(0)
	v_fmac_f32_e32 v16, v15, v18
	s_delay_alu instid0(VALU_DEP_1)
	v_sub_f32_e32 v12, v12, v16
	v_cmpx_lt_u32_e32 9, v0
	s_cbranch_execz .LBB13_86
; %bb.85:
	v_dual_mov_b32 v16, v2 :: v_dual_mov_b32 v17, v3
	v_dual_mov_b32 v18, v4 :: v_dual_mov_b32 v19, v5
	v_dual_mov_b32 v20, v6 :: v_dual_mov_b32 v21, v7
	v_dual_mov_b32 v22, v8 :: v_dual_mov_b32 v23, v9
	v_dual_mov_b32 v24, v10 :: v_dual_mov_b32 v27, v13
	v_dual_mov_b32 v26, v12 :: v_dual_mov_b32 v29, v15
	v_mov_b32_e32 v28, v14
	ds_store_b32 v1, v11
	v_mov_b32_e32 v2, v16
	v_dual_mov_b32 v3, v17 :: v_dual_mov_b32 v4, v18
	v_dual_mov_b32 v5, v19 :: v_dual_mov_b32 v6, v20
	;; [unrolled: 1-line block ×7, first 2 shown]
	v_mov_b32_e32 v17, v31
.LBB13_86:
	s_or_b32 exec_lo, exec_lo, s0
	s_waitcnt lgkmcnt(0)
	s_barrier
	buffer_gl0_inv
	ds_load_2addr_b64 v[16:19], v25 offset0:13 offset1:14
	s_mov_b32 s0, exec_lo
	s_waitcnt lgkmcnt(0)
	v_fma_f32 v16, v12, v16, 0
	s_delay_alu instid0(VALU_DEP_1) | instskip(NEXT) | instid1(VALU_DEP_1)
	v_fmac_f32_e32 v16, v13, v17
	v_fmac_f32_e32 v16, v14, v18
	s_delay_alu instid0(VALU_DEP_1) | instskip(NEXT) | instid1(VALU_DEP_1)
	v_fmac_f32_e32 v16, v15, v19
	v_sub_f32_e32 v11, v11, v16
	v_cmpx_lt_u32_e32 8, v0
	s_cbranch_execz .LBB13_88
; %bb.87:
	v_dual_mov_b32 v16, v2 :: v_dual_mov_b32 v19, v5
	v_dual_mov_b32 v24, 0 :: v_dual_mov_b32 v17, v3
	;; [unrolled: 1-line block ×7, first 2 shown]
	ds_store_b32 v1, v10
	v_mov_b32_e32 v2, v16
	v_dual_mov_b32 v3, v17 :: v_dual_mov_b32 v4, v18
	v_dual_mov_b32 v5, v19 :: v_dual_mov_b32 v6, v20
	;; [unrolled: 1-line block ×7, first 2 shown]
	v_mov_b32_e32 v17, v31
.LBB13_88:
	s_or_b32 exec_lo, exec_lo, s0
	v_mov_b32_e32 v23, 0
	s_waitcnt lgkmcnt(0)
	s_barrier
	buffer_gl0_inv
	s_mov_b32 s0, exec_lo
	ds_load_2addr_b32 v[16:17], v23 offset0:25 offset1:26
	ds_load_2addr_b32 v[18:19], v23 offset0:27 offset1:28
	ds_load_b32 v20, v23 offset:116
	s_waitcnt lgkmcnt(2)
	v_fma_f32 v16, v11, v16, 0
	s_delay_alu instid0(VALU_DEP_1) | instskip(SKIP_1) | instid1(VALU_DEP_1)
	v_fmac_f32_e32 v16, v12, v17
	s_waitcnt lgkmcnt(1)
	v_fmac_f32_e32 v16, v13, v18
	s_delay_alu instid0(VALU_DEP_1) | instskip(SKIP_1) | instid1(VALU_DEP_1)
	v_fmac_f32_e32 v16, v14, v19
	s_waitcnt lgkmcnt(0)
	v_fmac_f32_e32 v16, v15, v20
	s_delay_alu instid0(VALU_DEP_1)
	v_sub_f32_e32 v10, v10, v16
	v_cmpx_lt_u32_e32 7, v0
	s_cbranch_execz .LBB13_90
; %bb.89:
	v_dual_mov_b32 v16, v2 :: v_dual_mov_b32 v17, v3
	v_dual_mov_b32 v18, v4 :: v_dual_mov_b32 v19, v5
	;; [unrolled: 1-line block ×6, first 2 shown]
	v_mov_b32_e32 v28, v14
	ds_store_b32 v1, v9
	v_mov_b32_e32 v2, v16
	v_dual_mov_b32 v3, v17 :: v_dual_mov_b32 v4, v18
	v_dual_mov_b32 v5, v19 :: v_dual_mov_b32 v6, v20
	;; [unrolled: 1-line block ×7, first 2 shown]
	v_mov_b32_e32 v17, v31
.LBB13_90:
	s_or_b32 exec_lo, exec_lo, s0
	s_waitcnt lgkmcnt(0)
	s_barrier
	buffer_gl0_inv
	ds_load_b128 v[16:19], v23 offset:96
	ds_load_b64 v[20:21], v23 offset:112
	s_mov_b32 s0, exec_lo
	s_waitcnt lgkmcnt(1)
	v_fma_f32 v16, v10, v16, 0
	s_delay_alu instid0(VALU_DEP_1) | instskip(NEXT) | instid1(VALU_DEP_1)
	v_fmac_f32_e32 v16, v11, v17
	v_fmac_f32_e32 v16, v12, v18
	s_delay_alu instid0(VALU_DEP_1) | instskip(SKIP_1) | instid1(VALU_DEP_1)
	v_fmac_f32_e32 v16, v13, v19
	s_waitcnt lgkmcnt(0)
	v_fmac_f32_e32 v16, v14, v20
	s_delay_alu instid0(VALU_DEP_1) | instskip(NEXT) | instid1(VALU_DEP_1)
	v_fmac_f32_e32 v16, v15, v21
	v_sub_f32_e32 v9, v9, v16
	v_cmpx_lt_u32_e32 6, v0
	s_cbranch_execz .LBB13_92
; %bb.91:
	v_dual_mov_b32 v16, v2 :: v_dual_mov_b32 v19, v5
	v_dual_mov_b32 v22, 0 :: v_dual_mov_b32 v17, v3
	;; [unrolled: 1-line block ×7, first 2 shown]
	ds_store_b32 v1, v8
	v_mov_b32_e32 v2, v16
	v_dual_mov_b32 v3, v17 :: v_dual_mov_b32 v4, v18
	v_dual_mov_b32 v5, v19 :: v_dual_mov_b32 v6, v20
	;; [unrolled: 1-line block ×7, first 2 shown]
	v_mov_b32_e32 v17, v31
.LBB13_92:
	s_or_b32 exec_lo, exec_lo, s0
	v_mov_b32_e32 v21, 0
	s_waitcnt lgkmcnt(0)
	s_barrier
	buffer_gl0_inv
	s_mov_b32 s0, exec_lo
	ds_load_2addr_b32 v[16:17], v21 offset0:23 offset1:24
	ds_load_2addr_b32 v[18:19], v21 offset0:25 offset1:26
	;; [unrolled: 1-line block ×3, first 2 shown]
	ds_load_b32 v20, v21 offset:116
	s_waitcnt lgkmcnt(3)
	v_fma_f32 v16, v9, v16, 0
	s_delay_alu instid0(VALU_DEP_1) | instskip(SKIP_1) | instid1(VALU_DEP_1)
	v_fmac_f32_e32 v16, v10, v17
	s_waitcnt lgkmcnt(2)
	v_fmac_f32_e32 v16, v11, v18
	s_delay_alu instid0(VALU_DEP_1) | instskip(SKIP_1) | instid1(VALU_DEP_1)
	v_fmac_f32_e32 v16, v12, v19
	s_waitcnt lgkmcnt(1)
	v_fmac_f32_e32 v16, v13, v22
	;; [unrolled: 4-line block ×3, first 2 shown]
	s_delay_alu instid0(VALU_DEP_1)
	v_sub_f32_e32 v8, v8, v16
	v_cmpx_lt_u32_e32 5, v0
	s_cbranch_execz .LBB13_94
; %bb.93:
	v_dual_mov_b32 v16, v2 :: v_dual_mov_b32 v17, v3
	v_dual_mov_b32 v18, v4 :: v_dual_mov_b32 v19, v5
	v_dual_mov_b32 v20, v6 :: v_dual_mov_b32 v23, v9
	v_dual_mov_b32 v22, v8 :: v_dual_mov_b32 v25, v11
	v_dual_mov_b32 v24, v10 :: v_dual_mov_b32 v27, v13
	v_dual_mov_b32 v26, v12 :: v_dual_mov_b32 v29, v15
	v_mov_b32_e32 v28, v14
	ds_store_b32 v1, v7
	v_mov_b32_e32 v2, v16
	v_dual_mov_b32 v3, v17 :: v_dual_mov_b32 v4, v18
	v_dual_mov_b32 v5, v19 :: v_dual_mov_b32 v6, v20
	;; [unrolled: 1-line block ×7, first 2 shown]
	v_mov_b32_e32 v17, v31
.LBB13_94:
	s_or_b32 exec_lo, exec_lo, s0
	s_waitcnt lgkmcnt(0)
	s_barrier
	buffer_gl0_inv
	ds_load_2addr_b64 v[16:19], v21 offset0:11 offset1:12
	ds_load_2addr_b64 v[20:23], v21 offset0:13 offset1:14
	s_mov_b32 s0, exec_lo
	s_waitcnt lgkmcnt(1)
	v_fma_f32 v16, v8, v16, 0
	s_delay_alu instid0(VALU_DEP_1) | instskip(NEXT) | instid1(VALU_DEP_1)
	v_fmac_f32_e32 v16, v9, v17
	v_fmac_f32_e32 v16, v10, v18
	s_delay_alu instid0(VALU_DEP_1) | instskip(SKIP_1) | instid1(VALU_DEP_1)
	v_fmac_f32_e32 v16, v11, v19
	s_waitcnt lgkmcnt(0)
	v_fmac_f32_e32 v16, v12, v20
	s_delay_alu instid0(VALU_DEP_1) | instskip(NEXT) | instid1(VALU_DEP_1)
	v_fmac_f32_e32 v16, v13, v21
	v_fmac_f32_e32 v16, v14, v22
	s_delay_alu instid0(VALU_DEP_1) | instskip(NEXT) | instid1(VALU_DEP_1)
	v_fmac_f32_e32 v16, v15, v23
	v_sub_f32_e32 v7, v7, v16
	v_cmpx_lt_u32_e32 4, v0
	s_cbranch_execz .LBB13_96
; %bb.95:
	v_dual_mov_b32 v16, v2 :: v_dual_mov_b32 v19, v5
	v_dual_mov_b32 v20, 0 :: v_dual_mov_b32 v17, v3
	;; [unrolled: 1-line block ×7, first 2 shown]
	ds_store_b32 v1, v6
	v_mov_b32_e32 v2, v16
	v_dual_mov_b32 v3, v17 :: v_dual_mov_b32 v4, v18
	v_dual_mov_b32 v5, v19 :: v_dual_mov_b32 v6, v20
	;; [unrolled: 1-line block ×7, first 2 shown]
	v_mov_b32_e32 v17, v31
.LBB13_96:
	s_or_b32 exec_lo, exec_lo, s0
	v_mov_b32_e32 v19, 0
	s_waitcnt lgkmcnt(0)
	s_barrier
	buffer_gl0_inv
	s_mov_b32 s0, exec_lo
	ds_load_2addr_b32 v[16:17], v19 offset0:21 offset1:22
	ds_load_2addr_b32 v[20:21], v19 offset0:23 offset1:24
	;; [unrolled: 1-line block ×4, first 2 shown]
	s_waitcnt lgkmcnt(3)
	v_fma_f32 v16, v7, v16, 0
	s_delay_alu instid0(VALU_DEP_1) | instskip(SKIP_3) | instid1(VALU_DEP_1)
	v_fmac_f32_e32 v16, v8, v17
	ds_load_b32 v17, v19 offset:116
	s_waitcnt lgkmcnt(3)
	v_fmac_f32_e32 v16, v9, v20
	v_fmac_f32_e32 v16, v10, v21
	s_waitcnt lgkmcnt(2)
	s_delay_alu instid0(VALU_DEP_1) | instskip(NEXT) | instid1(VALU_DEP_1)
	v_fmac_f32_e32 v16, v11, v22
	v_fmac_f32_e32 v16, v12, v23
	s_waitcnt lgkmcnt(1)
	s_delay_alu instid0(VALU_DEP_1) | instskip(NEXT) | instid1(VALU_DEP_1)
	;; [unrolled: 4-line block ×3, first 2 shown]
	v_fmac_f32_e32 v16, v15, v17
	v_sub_f32_e32 v6, v6, v16
	v_cmpx_lt_u32_e32 3, v0
	s_cbranch_execz .LBB13_98
; %bb.97:
	v_dual_mov_b32 v16, v2 :: v_dual_mov_b32 v17, v3
	v_dual_mov_b32 v18, v4 :: v_dual_mov_b32 v21, v7
	;; [unrolled: 1-line block ×6, first 2 shown]
	v_mov_b32_e32 v28, v14
	ds_store_b32 v1, v5
	v_mov_b32_e32 v2, v16
	v_dual_mov_b32 v3, v17 :: v_dual_mov_b32 v4, v18
	v_dual_mov_b32 v5, v19 :: v_dual_mov_b32 v6, v20
	;; [unrolled: 1-line block ×7, first 2 shown]
	v_mov_b32_e32 v17, v31
.LBB13_98:
	s_or_b32 exec_lo, exec_lo, s0
	s_waitcnt lgkmcnt(0)
	s_barrier
	buffer_gl0_inv
	ds_load_b128 v[20:23], v19 offset:80
	ds_load_b128 v[24:27], v19 offset:96
	ds_load_b64 v[16:17], v19 offset:112
	s_mov_b32 s0, exec_lo
	s_waitcnt lgkmcnt(2)
	v_fma_f32 v18, v6, v20, 0
	s_delay_alu instid0(VALU_DEP_1) | instskip(NEXT) | instid1(VALU_DEP_1)
	v_fmac_f32_e32 v18, v7, v21
	v_fmac_f32_e32 v18, v8, v22
	s_delay_alu instid0(VALU_DEP_1) | instskip(SKIP_1) | instid1(VALU_DEP_1)
	v_fmac_f32_e32 v18, v9, v23
	s_waitcnt lgkmcnt(1)
	v_fmac_f32_e32 v18, v10, v24
	s_delay_alu instid0(VALU_DEP_1) | instskip(NEXT) | instid1(VALU_DEP_1)
	v_fmac_f32_e32 v18, v11, v25
	v_fmac_f32_e32 v18, v12, v26
	s_delay_alu instid0(VALU_DEP_1) | instskip(SKIP_1) | instid1(VALU_DEP_1)
	v_fmac_f32_e32 v18, v13, v27
	s_waitcnt lgkmcnt(0)
	v_fmac_f32_e32 v18, v14, v16
	s_delay_alu instid0(VALU_DEP_1) | instskip(NEXT) | instid1(VALU_DEP_1)
	v_fmac_f32_e32 v18, v15, v17
	v_sub_f32_e32 v5, v5, v18
	v_cmpx_lt_u32_e32 2, v0
	s_cbranch_execz .LBB13_100
; %bb.99:
	s_delay_alu instid0(VALU_DEP_2)
	v_dual_mov_b32 v16, v2 :: v_dual_mov_b32 v19, v5
	v_dual_mov_b32 v18, 0 :: v_dual_mov_b32 v17, v3
	;; [unrolled: 1-line block ×7, first 2 shown]
	ds_store_b32 v1, v4
	v_mov_b32_e32 v2, v16
	v_dual_mov_b32 v3, v17 :: v_dual_mov_b32 v4, v18
	v_dual_mov_b32 v5, v19 :: v_dual_mov_b32 v6, v20
	;; [unrolled: 1-line block ×7, first 2 shown]
	v_mov_b32_e32 v17, v31
.LBB13_100:
	s_or_b32 exec_lo, exec_lo, s0
	v_mov_b32_e32 v18, 0
	s_waitcnt lgkmcnt(0)
	s_barrier
	buffer_gl0_inv
	s_mov_b32 s0, exec_lo
	ds_load_2addr_b32 v[16:17], v18 offset0:19 offset1:20
	ds_load_2addr_b32 v[19:20], v18 offset0:21 offset1:22
	;; [unrolled: 1-line block ×4, first 2 shown]
	s_waitcnt lgkmcnt(3)
	v_fma_f32 v25, v5, v16, 0
	s_delay_alu instid0(VALU_DEP_1)
	v_fmac_f32_e32 v25, v6, v17
	ds_load_2addr_b32 v[16:17], v18 offset0:27 offset1:28
	s_waitcnt lgkmcnt(3)
	v_fmac_f32_e32 v25, v7, v19
	ds_load_b32 v19, v18 offset:116
	v_fmac_f32_e32 v25, v8, v20
	s_waitcnt lgkmcnt(3)
	s_delay_alu instid0(VALU_DEP_1) | instskip(NEXT) | instid1(VALU_DEP_1)
	v_fmac_f32_e32 v25, v9, v21
	v_fmac_f32_e32 v25, v10, v22
	s_waitcnt lgkmcnt(2)
	s_delay_alu instid0(VALU_DEP_1) | instskip(NEXT) | instid1(VALU_DEP_1)
	v_fmac_f32_e32 v25, v11, v23
	;; [unrolled: 4-line block ×4, first 2 shown]
	v_sub_f32_e32 v4, v4, v25
	v_cmpx_lt_u32_e32 1, v0
	s_cbranch_execz .LBB13_102
; %bb.101:
	v_dual_mov_b32 v17, v2 :: v_dual_mov_b32 v20, v5
	s_delay_alu instid0(VALU_DEP_3)
	v_dual_mov_b32 v19, v4 :: v_dual_mov_b32 v22, v7
	v_dual_mov_b32 v21, v6 :: v_dual_mov_b32 v24, v9
	;; [unrolled: 1-line block ×5, first 2 shown]
	v_mov_b32_e32 v29, v14
	ds_store_b32 v1, v3
	v_mov_b32_e32 v2, v17
	v_dual_mov_b32 v3, v18 :: v_dual_mov_b32 v4, v19
	v_dual_mov_b32 v5, v20 :: v_dual_mov_b32 v6, v21
	;; [unrolled: 1-line block ×7, first 2 shown]
	v_mov_b32_e32 v17, v32
.LBB13_102:
	s_or_b32 exec_lo, exec_lo, s0
	s_waitcnt lgkmcnt(0)
	s_barrier
	buffer_gl0_inv
	ds_load_2addr_b64 v[19:22], v18 offset0:9 offset1:10
	ds_load_2addr_b64 v[23:26], v18 offset0:11 offset1:12
	s_mov_b32 s0, exec_lo
	s_waitcnt lgkmcnt(1)
	v_fma_f32 v27, v4, v19, 0
	ds_load_2addr_b64 v[16:19], v18 offset0:13 offset1:14
	v_fmac_f32_e32 v27, v5, v20
	s_delay_alu instid0(VALU_DEP_1) | instskip(NEXT) | instid1(VALU_DEP_1)
	v_fmac_f32_e32 v27, v6, v21
	v_fmac_f32_e32 v27, v7, v22
	s_waitcnt lgkmcnt(1)
	s_delay_alu instid0(VALU_DEP_1) | instskip(NEXT) | instid1(VALU_DEP_1)
	v_fmac_f32_e32 v27, v8, v23
	v_fmac_f32_e32 v27, v9, v24
	s_delay_alu instid0(VALU_DEP_1) | instskip(NEXT) | instid1(VALU_DEP_1)
	v_fmac_f32_e32 v27, v10, v25
	v_fmac_f32_e32 v27, v11, v26
	s_waitcnt lgkmcnt(0)
	s_delay_alu instid0(VALU_DEP_1) | instskip(NEXT) | instid1(VALU_DEP_1)
	v_fmac_f32_e32 v27, v12, v16
	v_fmac_f32_e32 v27, v13, v17
	s_delay_alu instid0(VALU_DEP_1) | instskip(NEXT) | instid1(VALU_DEP_1)
	v_fmac_f32_e32 v27, v14, v18
	v_fmac_f32_e32 v27, v15, v19
	s_delay_alu instid0(VALU_DEP_1)
	v_sub_f32_e32 v3, v3, v27
	v_cmpx_ne_u32_e32 0, v0
	s_cbranch_execz .LBB13_104
; %bb.103:
	s_delay_alu instid0(VALU_DEP_2)
	v_dual_mov_b32 v16, 0 :: v_dual_mov_b32 v17, v3
	v_dual_mov_b32 v18, v4 :: v_dual_mov_b32 v19, v5
	;; [unrolled: 1-line block ×7, first 2 shown]
	ds_store_b32 v1, v2
	v_mov_b32_e32 v2, v16
	v_dual_mov_b32 v3, v17 :: v_dual_mov_b32 v4, v18
	v_dual_mov_b32 v5, v19 :: v_dual_mov_b32 v6, v20
	v_dual_mov_b32 v7, v21 :: v_dual_mov_b32 v8, v22
	v_dual_mov_b32 v9, v23 :: v_dual_mov_b32 v10, v24
	v_dual_mov_b32 v11, v25 :: v_dual_mov_b32 v12, v26
	v_dual_mov_b32 v13, v27 :: v_dual_mov_b32 v14, v28
	v_dual_mov_b32 v15, v29 :: v_dual_mov_b32 v16, v30
	v_mov_b32_e32 v17, v31
.LBB13_104:
	s_or_b32 exec_lo, exec_lo, s0
	v_mov_b32_e32 v22, 0
	s_waitcnt lgkmcnt(0)
	s_barrier
	buffer_gl0_inv
	s_and_b32 vcc_lo, exec_lo, s16
	ds_load_2addr_b32 v[0:1], v22 offset0:17 offset1:18
	ds_load_2addr_b32 v[16:17], v22 offset0:19 offset1:20
	;; [unrolled: 1-line block ×4, first 2 shown]
	s_waitcnt lgkmcnt(3)
	v_fma_f32 v23, v3, v0, 0
	s_delay_alu instid0(VALU_DEP_1) | instskip(SKIP_3) | instid1(VALU_DEP_1)
	v_fmac_f32_e32 v23, v4, v1
	ds_load_2addr_b32 v[0:1], v22 offset0:25 offset1:26
	s_waitcnt lgkmcnt(3)
	v_fmac_f32_e32 v23, v5, v16
	v_fmac_f32_e32 v23, v6, v17
	ds_load_2addr_b32 v[16:17], v22 offset0:27 offset1:28
	s_waitcnt lgkmcnt(3)
	v_fmac_f32_e32 v23, v7, v18
	ds_load_b32 v18, v22 offset:116
	v_fmac_f32_e32 v23, v8, v19
	s_waitcnt lgkmcnt(3)
	s_delay_alu instid0(VALU_DEP_1) | instskip(NEXT) | instid1(VALU_DEP_1)
	v_fmac_f32_e32 v23, v9, v20
	v_fmac_f32_e32 v23, v10, v21
	s_waitcnt lgkmcnt(2)
	s_delay_alu instid0(VALU_DEP_1) | instskip(NEXT) | instid1(VALU_DEP_1)
	v_fmac_f32_e32 v23, v11, v0
	;; [unrolled: 4-line block ×4, first 2 shown]
	v_sub_f32_e32 v2, v2, v23
	s_cbranch_vccz .LBB13_132
; %bb.105:
	v_dual_mov_b32 v0, s12 :: v_dual_mov_b32 v1, s13
	s_mov_b32 s9, exec_lo
	flat_load_b32 v0, v[0:1] offset:48
	s_waitcnt vmcnt(0) lgkmcnt(0)
	v_add_nc_u32_e32 v0, -1, v0
	s_delay_alu instid0(VALU_DEP_1)
	v_cmpx_ne_u32_e32 12, v0
	s_cbranch_execz .LBB13_107
; %bb.106:
	v_cmp_eq_u32_e32 vcc_lo, 1, v0
	v_cmp_eq_u32_e64 s0, 2, v0
	v_cmp_eq_u32_e64 s1, 3, v0
	;; [unrolled: 1-line block ×4, first 2 shown]
	v_dual_cndmask_b32 v1, v2, v3 :: v_dual_cndmask_b32 v16, v3, v14
	v_cmp_eq_u32_e64 s4, 6, v0
	v_cmp_eq_u32_e64 s5, 7, v0
	;; [unrolled: 1-line block ×3, first 2 shown]
	s_delay_alu instid0(VALU_DEP_4)
	v_cndmask_b32_e64 v1, v1, v4, s0
	v_cmp_eq_u32_e64 s7, 9, v0
	v_cmp_eq_u32_e64 s8, 10, v0
	v_cmp_eq_u32_e32 vcc_lo, 11, v0
	v_cndmask_b32_e64 v18, v5, v14, s1
	v_cndmask_b32_e64 v1, v1, v5, s1
	v_cmp_eq_u32_e64 s1, 13, v0
	v_cndmask_b32_e64 v17, v4, v14, s0
	v_cndmask_b32_e64 v19, v6, v14, s2
	;; [unrolled: 1-line block ×4, first 2 shown]
	v_cmp_eq_u32_e64 s0, 12, v0
	v_cndmask_b32_e64 v21, v8, v14, s4
	v_cndmask_b32_e64 v22, v9, v14, s5
	;; [unrolled: 1-line block ×6, first 2 shown]
	v_cndmask_b32_e32 v26, v13, v14, vcc_lo
	v_cndmask_b32_e64 v28, v15, v14, s1
	v_cndmask_b32_e64 v1, v1, v8, s4
	s_delay_alu instid0(VALU_DEP_1) | instskip(NEXT) | instid1(VALU_DEP_1)
	v_cndmask_b32_e64 v1, v1, v9, s5
	v_cndmask_b32_e64 v1, v1, v10, s6
	s_delay_alu instid0(VALU_DEP_1) | instskip(NEXT) | instid1(VALU_DEP_1)
	v_cndmask_b32_e64 v1, v1, v11, s7
	v_cndmask_b32_e64 v1, v1, v12, s8
	s_delay_alu instid0(VALU_DEP_1) | instskip(SKIP_1) | instid1(VALU_DEP_2)
	v_cndmask_b32_e32 v1, v1, v13, vcc_lo
	v_cmp_eq_u32_e32 vcc_lo, 0, v0
	v_cndmask_b32_e64 v1, v1, v14, s0
	s_delay_alu instid0(VALU_DEP_1) | instskip(SKIP_1) | instid1(VALU_DEP_2)
	v_cndmask_b32_e64 v1, v1, v15, s1
	v_cndmask_b32_e32 v15, v2, v14, vcc_lo
	v_cndmask_b32_e64 v27, v1, v14, s0
	s_delay_alu instid0(VALU_DEP_2)
	v_mov_b32_e32 v2, v15
	v_dual_mov_b32 v3, v16 :: v_dual_mov_b32 v4, v17
	v_dual_mov_b32 v5, v18 :: v_dual_mov_b32 v6, v19
	;; [unrolled: 1-line block ×6, first 2 shown]
	v_mov_b32_e32 v15, v28
	v_mov_b32_e32 v16, v29
	;; [unrolled: 1-line block ×3, first 2 shown]
.LBB13_107:
	s_or_b32 exec_lo, exec_lo, s9
	v_dual_mov_b32 v0, s12 :: v_dual_mov_b32 v1, s13
	s_mov_b32 s9, exec_lo
	flat_load_b32 v0, v[0:1] offset:44
	s_waitcnt vmcnt(0) lgkmcnt(0)
	v_add_nc_u32_e32 v0, -1, v0
	s_delay_alu instid0(VALU_DEP_1)
	v_cmpx_ne_u32_e32 11, v0
	s_cbranch_execz .LBB13_109
; %bb.108:
	v_cmp_eq_u32_e32 vcc_lo, 1, v0
	v_cmp_eq_u32_e64 s0, 2, v0
	v_cmp_eq_u32_e64 s1, 3, v0
	;; [unrolled: 1-line block ×4, first 2 shown]
	v_dual_cndmask_b32 v1, v2, v3 :: v_dual_cndmask_b32 v16, v3, v13
	v_cmp_eq_u32_e64 s4, 6, v0
	v_cmp_eq_u32_e64 s5, 7, v0
	;; [unrolled: 1-line block ×3, first 2 shown]
	s_delay_alu instid0(VALU_DEP_4)
	v_cndmask_b32_e64 v1, v1, v4, s0
	v_cmp_eq_u32_e64 s7, 9, v0
	v_cmp_eq_u32_e64 s8, 10, v0
	v_cndmask_b32_e64 v17, v4, v13, s0
	v_cmp_eq_u32_e32 vcc_lo, 11, v0
	v_cndmask_b32_e64 v1, v1, v5, s1
	v_cndmask_b32_e64 v18, v5, v13, s1
	v_cmp_eq_u32_e64 s0, 12, v0
	v_cmp_eq_u32_e64 s1, 13, v0
	v_cndmask_b32_e64 v19, v6, v13, s2
	v_cndmask_b32_e64 v1, v1, v6, s2
	v_cndmask_b32_e64 v20, v7, v13, s3
	v_cndmask_b32_e64 v21, v8, v13, s4
	v_cndmask_b32_e64 v22, v9, v13, s5
	v_cndmask_b32_e64 v23, v10, v13, s6
	v_cndmask_b32_e64 v1, v1, v7, s3
	v_cndmask_b32_e64 v24, v11, v13, s7
	v_cndmask_b32_e64 v25, v12, v13, s8
	v_cndmask_b32_e64 v27, v14, v13, s0
	v_cndmask_b32_e64 v28, v15, v13, s1
	v_cndmask_b32_e64 v1, v1, v8, s4
	s_delay_alu instid0(VALU_DEP_1) | instskip(NEXT) | instid1(VALU_DEP_1)
	v_cndmask_b32_e64 v1, v1, v9, s5
	v_cndmask_b32_e64 v1, v1, v10, s6
	s_delay_alu instid0(VALU_DEP_1) | instskip(NEXT) | instid1(VALU_DEP_1)
	v_cndmask_b32_e64 v1, v1, v11, s7
	v_cndmask_b32_e64 v1, v1, v12, s8
	s_delay_alu instid0(VALU_DEP_1) | instskip(NEXT) | instid1(VALU_DEP_1)
	v_cndmask_b32_e32 v1, v1, v13, vcc_lo
	v_cndmask_b32_e64 v1, v1, v14, s0
	s_delay_alu instid0(VALU_DEP_1) | instskip(NEXT) | instid1(VALU_DEP_1)
	v_cndmask_b32_e64 v1, v1, v15, s1
	v_cndmask_b32_e32 v26, v1, v13, vcc_lo
	v_cmp_eq_u32_e32 vcc_lo, 0, v0
	v_cndmask_b32_e32 v15, v2, v13, vcc_lo
	s_delay_alu instid0(VALU_DEP_1)
	v_mov_b32_e32 v2, v15
	v_dual_mov_b32 v3, v16 :: v_dual_mov_b32 v4, v17
	v_dual_mov_b32 v5, v18 :: v_dual_mov_b32 v6, v19
	v_dual_mov_b32 v7, v20 :: v_dual_mov_b32 v8, v21
	v_dual_mov_b32 v9, v22 :: v_dual_mov_b32 v10, v23
	v_dual_mov_b32 v11, v24 :: v_dual_mov_b32 v12, v25
	v_dual_mov_b32 v13, v26 :: v_dual_mov_b32 v14, v27
	v_mov_b32_e32 v15, v28
	v_mov_b32_e32 v16, v29
	;; [unrolled: 1-line block ×3, first 2 shown]
.LBB13_109:
	s_or_b32 exec_lo, exec_lo, s9
	v_dual_mov_b32 v0, s12 :: v_dual_mov_b32 v1, s13
	s_mov_b32 s9, exec_lo
	flat_load_b32 v0, v[0:1] offset:40
	s_waitcnt vmcnt(0) lgkmcnt(0)
	v_add_nc_u32_e32 v0, -1, v0
	s_delay_alu instid0(VALU_DEP_1)
	v_cmpx_ne_u32_e32 10, v0
	s_cbranch_execz .LBB13_111
; %bb.110:
	v_cmp_eq_u32_e32 vcc_lo, 1, v0
	v_cmp_eq_u32_e64 s0, 2, v0
	v_cmp_eq_u32_e64 s1, 3, v0
	;; [unrolled: 1-line block ×4, first 2 shown]
	v_dual_cndmask_b32 v1, v2, v3 :: v_dual_cndmask_b32 v16, v3, v12
	v_cmp_eq_u32_e64 s4, 6, v0
	v_cmp_eq_u32_e64 s5, 7, v0
	;; [unrolled: 1-line block ×3, first 2 shown]
	s_delay_alu instid0(VALU_DEP_4)
	v_cndmask_b32_e64 v1, v1, v4, s0
	v_cmp_eq_u32_e64 s7, 9, v0
	v_cmp_eq_u32_e64 s8, 10, v0
	v_cndmask_b32_e64 v17, v4, v12, s0
	v_cmp_eq_u32_e32 vcc_lo, 11, v0
	v_cndmask_b32_e64 v1, v1, v5, s1
	v_cndmask_b32_e64 v18, v5, v12, s1
	v_cmp_eq_u32_e64 s0, 12, v0
	v_cmp_eq_u32_e64 s1, 13, v0
	v_cndmask_b32_e64 v19, v6, v12, s2
	v_cndmask_b32_e64 v1, v1, v6, s2
	;; [unrolled: 1-line block ×8, first 2 shown]
	v_cndmask_b32_e32 v26, v13, v12, vcc_lo
	v_cndmask_b32_e64 v27, v14, v12, s0
	v_cndmask_b32_e64 v28, v15, v12, s1
	v_cndmask_b32_e64 v1, v1, v8, s4
	s_delay_alu instid0(VALU_DEP_1) | instskip(NEXT) | instid1(VALU_DEP_1)
	v_cndmask_b32_e64 v1, v1, v9, s5
	v_cndmask_b32_e64 v1, v1, v10, s6
	s_delay_alu instid0(VALU_DEP_1) | instskip(NEXT) | instid1(VALU_DEP_1)
	v_cndmask_b32_e64 v1, v1, v11, s7
	v_cndmask_b32_e64 v1, v1, v12, s8
	s_delay_alu instid0(VALU_DEP_1) | instskip(SKIP_1) | instid1(VALU_DEP_2)
	v_cndmask_b32_e32 v1, v1, v13, vcc_lo
	v_cmp_eq_u32_e32 vcc_lo, 0, v0
	v_cndmask_b32_e64 v1, v1, v14, s0
	s_delay_alu instid0(VALU_DEP_1) | instskip(SKIP_1) | instid1(VALU_DEP_2)
	v_cndmask_b32_e64 v1, v1, v15, s1
	v_cndmask_b32_e32 v15, v2, v12, vcc_lo
	v_cndmask_b32_e64 v25, v1, v12, s8
	s_delay_alu instid0(VALU_DEP_2)
	v_mov_b32_e32 v2, v15
	v_dual_mov_b32 v3, v16 :: v_dual_mov_b32 v4, v17
	v_dual_mov_b32 v5, v18 :: v_dual_mov_b32 v6, v19
	;; [unrolled: 1-line block ×6, first 2 shown]
	v_mov_b32_e32 v15, v28
	v_mov_b32_e32 v16, v29
	;; [unrolled: 1-line block ×3, first 2 shown]
.LBB13_111:
	s_or_b32 exec_lo, exec_lo, s9
	v_dual_mov_b32 v0, s12 :: v_dual_mov_b32 v1, s13
	s_mov_b32 s9, exec_lo
	flat_load_b32 v0, v[0:1] offset:36
	s_waitcnt vmcnt(0) lgkmcnt(0)
	v_add_nc_u32_e32 v0, -1, v0
	s_delay_alu instid0(VALU_DEP_1)
	v_cmpx_ne_u32_e32 9, v0
	s_cbranch_execz .LBB13_113
; %bb.112:
	v_cmp_eq_u32_e32 vcc_lo, 1, v0
	v_cmp_eq_u32_e64 s0, 2, v0
	v_cmp_eq_u32_e64 s1, 3, v0
	;; [unrolled: 1-line block ×8, first 2 shown]
	v_cndmask_b32_e64 v17, v4, v11, s0
	v_cndmask_b32_e32 v16, v3, v11, vcc_lo
	v_cndmask_b32_e64 v18, v5, v11, s1
	v_cndmask_b32_e64 v19, v6, v11, s2
	;; [unrolled: 1-line block ×7, first 2 shown]
	v_cndmask_b32_e32 v1, v2, v3, vcc_lo
	v_cmp_eq_u32_e64 s7, 9, v0
	v_cmp_eq_u32_e32 vcc_lo, 11, v0
	s_delay_alu instid0(VALU_DEP_3) | instskip(SKIP_2) | instid1(VALU_DEP_3)
	v_cndmask_b32_e64 v1, v1, v4, s0
	v_cmp_eq_u32_e64 s0, 12, v0
	v_cndmask_b32_e32 v26, v13, v11, vcc_lo
	v_cndmask_b32_e64 v1, v1, v5, s1
	v_cmp_eq_u32_e64 s1, 13, v0
	s_delay_alu instid0(VALU_DEP_4) | instskip(NEXT) | instid1(VALU_DEP_3)
	v_cndmask_b32_e64 v27, v14, v11, s0
	v_cndmask_b32_e64 v1, v1, v6, s2
	s_delay_alu instid0(VALU_DEP_3) | instskip(NEXT) | instid1(VALU_DEP_2)
	v_cndmask_b32_e64 v28, v15, v11, s1
	v_cndmask_b32_e64 v1, v1, v7, s3
	s_delay_alu instid0(VALU_DEP_1) | instskip(NEXT) | instid1(VALU_DEP_1)
	v_cndmask_b32_e64 v1, v1, v8, s4
	v_cndmask_b32_e64 v1, v1, v9, s5
	s_delay_alu instid0(VALU_DEP_1) | instskip(NEXT) | instid1(VALU_DEP_1)
	;; [unrolled: 3-line block ×3, first 2 shown]
	v_cndmask_b32_e64 v1, v1, v12, s8
	v_cndmask_b32_e32 v1, v1, v13, vcc_lo
	v_cmp_eq_u32_e32 vcc_lo, 0, v0
	s_delay_alu instid0(VALU_DEP_2) | instskip(NEXT) | instid1(VALU_DEP_1)
	v_cndmask_b32_e64 v1, v1, v14, s0
	v_cndmask_b32_e64 v1, v1, v15, s1
	v_cndmask_b32_e32 v15, v2, v11, vcc_lo
	s_delay_alu instid0(VALU_DEP_2) | instskip(NEXT) | instid1(VALU_DEP_2)
	v_cndmask_b32_e64 v24, v1, v11, s7
	v_mov_b32_e32 v2, v15
	v_dual_mov_b32 v3, v16 :: v_dual_mov_b32 v4, v17
	v_dual_mov_b32 v5, v18 :: v_dual_mov_b32 v6, v19
	;; [unrolled: 1-line block ×6, first 2 shown]
	v_mov_b32_e32 v15, v28
	v_mov_b32_e32 v16, v29
	;; [unrolled: 1-line block ×3, first 2 shown]
.LBB13_113:
	s_or_b32 exec_lo, exec_lo, s9
	v_dual_mov_b32 v0, s12 :: v_dual_mov_b32 v1, s13
	s_mov_b32 s9, exec_lo
	flat_load_b32 v0, v[0:1] offset:32
	s_waitcnt vmcnt(0) lgkmcnt(0)
	v_add_nc_u32_e32 v0, -1, v0
	s_delay_alu instid0(VALU_DEP_1)
	v_cmpx_ne_u32_e32 8, v0
	s_cbranch_execz .LBB13_115
; %bb.114:
	v_cmp_eq_u32_e32 vcc_lo, 1, v0
	v_cmp_eq_u32_e64 s0, 2, v0
	v_cmp_eq_u32_e64 s1, 3, v0
	;; [unrolled: 1-line block ×4, first 2 shown]
	v_dual_cndmask_b32 v1, v2, v3 :: v_dual_cndmask_b32 v16, v3, v10
	v_cmp_eq_u32_e64 s4, 6, v0
	v_cmp_eq_u32_e64 s5, 7, v0
	v_cmp_eq_u32_e64 s6, 8, v0
	s_delay_alu instid0(VALU_DEP_4)
	v_cndmask_b32_e64 v1, v1, v4, s0
	v_cmp_eq_u32_e64 s7, 9, v0
	v_cmp_eq_u32_e64 s8, 10, v0
	v_cndmask_b32_e64 v17, v4, v10, s0
	v_cmp_eq_u32_e32 vcc_lo, 11, v0
	v_cndmask_b32_e64 v1, v1, v5, s1
	v_cndmask_b32_e64 v18, v5, v10, s1
	v_cmp_eq_u32_e64 s0, 12, v0
	v_cmp_eq_u32_e64 s1, 13, v0
	v_cndmask_b32_e64 v19, v6, v10, s2
	v_cndmask_b32_e64 v1, v1, v6, s2
	;; [unrolled: 1-line block ×8, first 2 shown]
	v_cndmask_b32_e32 v26, v13, v10, vcc_lo
	v_cndmask_b32_e64 v27, v14, v10, s0
	v_cndmask_b32_e64 v28, v15, v10, s1
	;; [unrolled: 1-line block ×3, first 2 shown]
	s_delay_alu instid0(VALU_DEP_1) | instskip(NEXT) | instid1(VALU_DEP_1)
	v_cndmask_b32_e64 v1, v1, v9, s5
	v_cndmask_b32_e64 v1, v1, v10, s6
	s_delay_alu instid0(VALU_DEP_1) | instskip(NEXT) | instid1(VALU_DEP_1)
	v_cndmask_b32_e64 v1, v1, v11, s7
	v_cndmask_b32_e64 v1, v1, v12, s8
	s_delay_alu instid0(VALU_DEP_1) | instskip(SKIP_1) | instid1(VALU_DEP_2)
	v_cndmask_b32_e32 v1, v1, v13, vcc_lo
	v_cmp_eq_u32_e32 vcc_lo, 0, v0
	v_cndmask_b32_e64 v1, v1, v14, s0
	s_delay_alu instid0(VALU_DEP_1) | instskip(SKIP_1) | instid1(VALU_DEP_2)
	v_cndmask_b32_e64 v1, v1, v15, s1
	v_cndmask_b32_e32 v15, v2, v10, vcc_lo
	v_cndmask_b32_e64 v23, v1, v10, s6
	s_delay_alu instid0(VALU_DEP_2)
	v_mov_b32_e32 v2, v15
	v_dual_mov_b32 v3, v16 :: v_dual_mov_b32 v4, v17
	v_dual_mov_b32 v5, v18 :: v_dual_mov_b32 v6, v19
	;; [unrolled: 1-line block ×6, first 2 shown]
	v_mov_b32_e32 v15, v28
	v_mov_b32_e32 v16, v29
	;; [unrolled: 1-line block ×3, first 2 shown]
.LBB13_115:
	s_or_b32 exec_lo, exec_lo, s9
	v_dual_mov_b32 v0, s12 :: v_dual_mov_b32 v1, s13
	s_mov_b32 s9, exec_lo
	flat_load_b32 v0, v[0:1] offset:28
	s_waitcnt vmcnt(0) lgkmcnt(0)
	v_add_nc_u32_e32 v0, -1, v0
	s_delay_alu instid0(VALU_DEP_1)
	v_cmpx_ne_u32_e32 7, v0
	s_cbranch_execz .LBB13_117
; %bb.116:
	v_cmp_eq_u32_e32 vcc_lo, 1, v0
	v_cmp_eq_u32_e64 s0, 2, v0
	v_cmp_eq_u32_e64 s1, 3, v0
	;; [unrolled: 1-line block ×4, first 2 shown]
	v_dual_cndmask_b32 v1, v2, v3 :: v_dual_cndmask_b32 v16, v3, v9
	v_cmp_eq_u32_e64 s4, 6, v0
	v_cmp_eq_u32_e64 s5, 7, v0
	;; [unrolled: 1-line block ×3, first 2 shown]
	s_delay_alu instid0(VALU_DEP_4)
	v_cndmask_b32_e64 v1, v1, v4, s0
	v_cmp_eq_u32_e64 s7, 9, v0
	v_cmp_eq_u32_e64 s8, 10, v0
	v_cndmask_b32_e64 v17, v4, v9, s0
	v_cmp_eq_u32_e32 vcc_lo, 11, v0
	v_cndmask_b32_e64 v1, v1, v5, s1
	v_cndmask_b32_e64 v18, v5, v9, s1
	v_cmp_eq_u32_e64 s0, 12, v0
	v_cmp_eq_u32_e64 s1, 13, v0
	v_cndmask_b32_e64 v19, v6, v9, s2
	v_cndmask_b32_e64 v1, v1, v6, s2
	;; [unrolled: 1-line block ×8, first 2 shown]
	v_cndmask_b32_e32 v26, v13, v9, vcc_lo
	v_cndmask_b32_e64 v27, v14, v9, s0
	v_cndmask_b32_e64 v28, v15, v9, s1
	;; [unrolled: 1-line block ×3, first 2 shown]
	s_delay_alu instid0(VALU_DEP_1) | instskip(NEXT) | instid1(VALU_DEP_1)
	v_cndmask_b32_e64 v1, v1, v9, s5
	v_cndmask_b32_e64 v1, v1, v10, s6
	s_delay_alu instid0(VALU_DEP_1) | instskip(NEXT) | instid1(VALU_DEP_1)
	v_cndmask_b32_e64 v1, v1, v11, s7
	v_cndmask_b32_e64 v1, v1, v12, s8
	s_delay_alu instid0(VALU_DEP_1) | instskip(SKIP_1) | instid1(VALU_DEP_2)
	v_cndmask_b32_e32 v1, v1, v13, vcc_lo
	v_cmp_eq_u32_e32 vcc_lo, 0, v0
	v_cndmask_b32_e64 v1, v1, v14, s0
	s_delay_alu instid0(VALU_DEP_1) | instskip(SKIP_1) | instid1(VALU_DEP_2)
	v_cndmask_b32_e64 v1, v1, v15, s1
	v_cndmask_b32_e32 v15, v2, v9, vcc_lo
	v_cndmask_b32_e64 v22, v1, v9, s5
	s_delay_alu instid0(VALU_DEP_2)
	v_mov_b32_e32 v2, v15
	v_dual_mov_b32 v3, v16 :: v_dual_mov_b32 v4, v17
	v_dual_mov_b32 v5, v18 :: v_dual_mov_b32 v6, v19
	;; [unrolled: 1-line block ×6, first 2 shown]
	v_mov_b32_e32 v15, v28
	v_mov_b32_e32 v16, v29
	;; [unrolled: 1-line block ×3, first 2 shown]
.LBB13_117:
	s_or_b32 exec_lo, exec_lo, s9
	v_dual_mov_b32 v0, s12 :: v_dual_mov_b32 v1, s13
	s_mov_b32 s9, exec_lo
	flat_load_b32 v0, v[0:1] offset:24
	s_waitcnt vmcnt(0) lgkmcnt(0)
	v_add_nc_u32_e32 v0, -1, v0
	s_delay_alu instid0(VALU_DEP_1)
	v_cmpx_ne_u32_e32 6, v0
	s_cbranch_execz .LBB13_119
; %bb.118:
	v_cmp_eq_u32_e32 vcc_lo, 1, v0
	v_cmp_eq_u32_e64 s0, 2, v0
	v_cmp_eq_u32_e64 s1, 3, v0
	;; [unrolled: 1-line block ×4, first 2 shown]
	v_dual_cndmask_b32 v1, v2, v3 :: v_dual_cndmask_b32 v16, v3, v8
	v_cmp_eq_u32_e64 s4, 6, v0
	v_cmp_eq_u32_e64 s5, 7, v0
	v_cmp_eq_u32_e64 s6, 8, v0
	s_delay_alu instid0(VALU_DEP_4)
	v_cndmask_b32_e64 v1, v1, v4, s0
	v_cmp_eq_u32_e64 s7, 9, v0
	v_cmp_eq_u32_e64 s8, 10, v0
	v_cndmask_b32_e64 v17, v4, v8, s0
	v_cmp_eq_u32_e32 vcc_lo, 11, v0
	v_cndmask_b32_e64 v1, v1, v5, s1
	v_cndmask_b32_e64 v18, v5, v8, s1
	v_cmp_eq_u32_e64 s0, 12, v0
	v_cmp_eq_u32_e64 s1, 13, v0
	v_cndmask_b32_e64 v19, v6, v8, s2
	v_cndmask_b32_e64 v1, v1, v6, s2
	;; [unrolled: 1-line block ×8, first 2 shown]
	v_cndmask_b32_e32 v26, v13, v8, vcc_lo
	v_cndmask_b32_e64 v27, v14, v8, s0
	v_cndmask_b32_e64 v28, v15, v8, s1
	;; [unrolled: 1-line block ×3, first 2 shown]
	s_delay_alu instid0(VALU_DEP_1) | instskip(NEXT) | instid1(VALU_DEP_1)
	v_cndmask_b32_e64 v1, v1, v9, s5
	v_cndmask_b32_e64 v1, v1, v10, s6
	s_delay_alu instid0(VALU_DEP_1) | instskip(NEXT) | instid1(VALU_DEP_1)
	v_cndmask_b32_e64 v1, v1, v11, s7
	v_cndmask_b32_e64 v1, v1, v12, s8
	s_delay_alu instid0(VALU_DEP_1) | instskip(SKIP_1) | instid1(VALU_DEP_2)
	v_cndmask_b32_e32 v1, v1, v13, vcc_lo
	v_cmp_eq_u32_e32 vcc_lo, 0, v0
	v_cndmask_b32_e64 v1, v1, v14, s0
	s_delay_alu instid0(VALU_DEP_1) | instskip(SKIP_1) | instid1(VALU_DEP_2)
	v_cndmask_b32_e64 v1, v1, v15, s1
	v_cndmask_b32_e32 v15, v2, v8, vcc_lo
	v_cndmask_b32_e64 v21, v1, v8, s4
	s_delay_alu instid0(VALU_DEP_2) | instskip(SKIP_2) | instid1(VALU_DEP_4)
	v_mov_b32_e32 v2, v15
	v_dual_mov_b32 v3, v16 :: v_dual_mov_b32 v4, v17
	v_dual_mov_b32 v5, v18 :: v_dual_mov_b32 v6, v19
	v_dual_mov_b32 v7, v20 :: v_dual_mov_b32 v8, v21
	v_dual_mov_b32 v9, v22 :: v_dual_mov_b32 v10, v23
	v_dual_mov_b32 v11, v24 :: v_dual_mov_b32 v12, v25
	v_dual_mov_b32 v13, v26 :: v_dual_mov_b32 v14, v27
	v_mov_b32_e32 v15, v28
	v_mov_b32_e32 v16, v29
	;; [unrolled: 1-line block ×3, first 2 shown]
.LBB13_119:
	s_or_b32 exec_lo, exec_lo, s9
	v_dual_mov_b32 v0, s12 :: v_dual_mov_b32 v1, s13
	s_mov_b32 s9, exec_lo
	flat_load_b32 v0, v[0:1] offset:20
	s_waitcnt vmcnt(0) lgkmcnt(0)
	v_add_nc_u32_e32 v0, -1, v0
	s_delay_alu instid0(VALU_DEP_1)
	v_cmpx_ne_u32_e32 5, v0
	s_cbranch_execz .LBB13_121
; %bb.120:
	v_cmp_eq_u32_e32 vcc_lo, 1, v0
	v_cmp_eq_u32_e64 s0, 2, v0
	v_cmp_eq_u32_e64 s1, 3, v0
	;; [unrolled: 1-line block ×8, first 2 shown]
	v_cndmask_b32_e64 v17, v4, v7, s0
	v_cndmask_b32_e32 v16, v3, v7, vcc_lo
	v_cndmask_b32_e64 v18, v5, v7, s1
	v_cndmask_b32_e64 v19, v6, v7, s2
	;; [unrolled: 1-line block ×7, first 2 shown]
	v_cndmask_b32_e32 v1, v2, v3, vcc_lo
	v_cmp_eq_u32_e64 s3, 5, v0
	v_cmp_eq_u32_e32 vcc_lo, 11, v0
	s_delay_alu instid0(VALU_DEP_3) | instskip(SKIP_2) | instid1(VALU_DEP_3)
	v_cndmask_b32_e64 v1, v1, v4, s0
	v_cmp_eq_u32_e64 s0, 12, v0
	v_cndmask_b32_e32 v26, v13, v7, vcc_lo
	v_cndmask_b32_e64 v1, v1, v5, s1
	v_cmp_eq_u32_e64 s1, 13, v0
	s_delay_alu instid0(VALU_DEP_4) | instskip(NEXT) | instid1(VALU_DEP_3)
	v_cndmask_b32_e64 v27, v14, v7, s0
	v_cndmask_b32_e64 v1, v1, v6, s2
	s_delay_alu instid0(VALU_DEP_3) | instskip(NEXT) | instid1(VALU_DEP_2)
	v_cndmask_b32_e64 v28, v15, v7, s1
	v_cndmask_b32_e64 v1, v1, v7, s3
	s_delay_alu instid0(VALU_DEP_1) | instskip(NEXT) | instid1(VALU_DEP_1)
	v_cndmask_b32_e64 v1, v1, v8, s4
	v_cndmask_b32_e64 v1, v1, v9, s5
	s_delay_alu instid0(VALU_DEP_1) | instskip(NEXT) | instid1(VALU_DEP_1)
	;; [unrolled: 3-line block ×3, first 2 shown]
	v_cndmask_b32_e64 v1, v1, v12, s8
	v_cndmask_b32_e32 v1, v1, v13, vcc_lo
	v_cmp_eq_u32_e32 vcc_lo, 0, v0
	s_delay_alu instid0(VALU_DEP_2) | instskip(NEXT) | instid1(VALU_DEP_1)
	v_cndmask_b32_e64 v1, v1, v14, s0
	v_cndmask_b32_e64 v1, v1, v15, s1
	v_cndmask_b32_e32 v15, v2, v7, vcc_lo
	s_delay_alu instid0(VALU_DEP_2) | instskip(NEXT) | instid1(VALU_DEP_2)
	v_cndmask_b32_e64 v20, v1, v7, s3
	v_mov_b32_e32 v2, v15
	v_dual_mov_b32 v3, v16 :: v_dual_mov_b32 v4, v17
	v_dual_mov_b32 v5, v18 :: v_dual_mov_b32 v6, v19
	s_delay_alu instid0(VALU_DEP_4)
	v_dual_mov_b32 v7, v20 :: v_dual_mov_b32 v8, v21
	v_dual_mov_b32 v9, v22 :: v_dual_mov_b32 v10, v23
	;; [unrolled: 1-line block ×4, first 2 shown]
	v_mov_b32_e32 v15, v28
	v_mov_b32_e32 v16, v29
	;; [unrolled: 1-line block ×3, first 2 shown]
.LBB13_121:
	s_or_b32 exec_lo, exec_lo, s9
	v_dual_mov_b32 v0, s12 :: v_dual_mov_b32 v1, s13
	s_mov_b32 s9, exec_lo
	flat_load_b32 v0, v[0:1] offset:16
	s_waitcnt vmcnt(0) lgkmcnt(0)
	v_add_nc_u32_e32 v0, -1, v0
	s_delay_alu instid0(VALU_DEP_1)
	v_cmpx_ne_u32_e32 4, v0
	s_cbranch_execz .LBB13_123
; %bb.122:
	v_cmp_eq_u32_e32 vcc_lo, 1, v0
	v_cmp_eq_u32_e64 s0, 2, v0
	v_cmp_eq_u32_e64 s1, 3, v0
	;; [unrolled: 1-line block ×4, first 2 shown]
	v_dual_cndmask_b32 v1, v2, v3 :: v_dual_cndmask_b32 v16, v3, v6
	v_cmp_eq_u32_e64 s4, 6, v0
	v_cmp_eq_u32_e64 s5, 7, v0
	;; [unrolled: 1-line block ×3, first 2 shown]
	s_delay_alu instid0(VALU_DEP_4)
	v_cndmask_b32_e64 v1, v1, v4, s0
	v_cmp_eq_u32_e64 s7, 9, v0
	v_cmp_eq_u32_e64 s8, 10, v0
	v_cndmask_b32_e64 v17, v4, v6, s0
	v_cmp_eq_u32_e32 vcc_lo, 11, v0
	v_cndmask_b32_e64 v1, v1, v5, s1
	v_cndmask_b32_e64 v18, v5, v6, s1
	v_cmp_eq_u32_e64 s0, 12, v0
	v_cmp_eq_u32_e64 s1, 13, v0
	v_cndmask_b32_e64 v20, v7, v6, s3
	v_cndmask_b32_e64 v1, v1, v6, s2
	;; [unrolled: 1-line block ×8, first 2 shown]
	v_cndmask_b32_e32 v26, v13, v6, vcc_lo
	v_cndmask_b32_e64 v27, v14, v6, s0
	v_cndmask_b32_e64 v28, v15, v6, s1
	;; [unrolled: 1-line block ×3, first 2 shown]
	s_delay_alu instid0(VALU_DEP_1) | instskip(NEXT) | instid1(VALU_DEP_1)
	v_cndmask_b32_e64 v1, v1, v9, s5
	v_cndmask_b32_e64 v1, v1, v10, s6
	s_delay_alu instid0(VALU_DEP_1) | instskip(NEXT) | instid1(VALU_DEP_1)
	v_cndmask_b32_e64 v1, v1, v11, s7
	v_cndmask_b32_e64 v1, v1, v12, s8
	s_delay_alu instid0(VALU_DEP_1) | instskip(SKIP_1) | instid1(VALU_DEP_2)
	v_cndmask_b32_e32 v1, v1, v13, vcc_lo
	v_cmp_eq_u32_e32 vcc_lo, 0, v0
	v_cndmask_b32_e64 v1, v1, v14, s0
	s_delay_alu instid0(VALU_DEP_1) | instskip(SKIP_1) | instid1(VALU_DEP_2)
	v_cndmask_b32_e64 v1, v1, v15, s1
	v_cndmask_b32_e32 v15, v2, v6, vcc_lo
	v_cndmask_b32_e64 v19, v1, v6, s2
	s_delay_alu instid0(VALU_DEP_2) | instskip(SKIP_1) | instid1(VALU_DEP_3)
	v_mov_b32_e32 v2, v15
	v_dual_mov_b32 v3, v16 :: v_dual_mov_b32 v4, v17
	v_dual_mov_b32 v5, v18 :: v_dual_mov_b32 v6, v19
	;; [unrolled: 1-line block ×6, first 2 shown]
	v_mov_b32_e32 v15, v28
	v_mov_b32_e32 v16, v29
	v_mov_b32_e32 v17, v30
.LBB13_123:
	s_or_b32 exec_lo, exec_lo, s9
	v_dual_mov_b32 v0, s12 :: v_dual_mov_b32 v1, s13
	s_mov_b32 s9, exec_lo
	flat_load_b32 v0, v[0:1] offset:12
	s_waitcnt vmcnt(0) lgkmcnt(0)
	v_add_nc_u32_e32 v0, -1, v0
	s_delay_alu instid0(VALU_DEP_1)
	v_cmpx_ne_u32_e32 3, v0
	s_cbranch_execz .LBB13_125
; %bb.124:
	v_cmp_eq_u32_e32 vcc_lo, 1, v0
	v_cmp_eq_u32_e64 s0, 2, v0
	v_cmp_eq_u32_e64 s1, 3, v0
	v_cmp_eq_u32_e64 s2, 4, v0
	v_cmp_eq_u32_e64 s3, 5, v0
	v_dual_cndmask_b32 v1, v2, v3 :: v_dual_cndmask_b32 v16, v3, v5
	v_cmp_eq_u32_e64 s4, 6, v0
	v_cmp_eq_u32_e64 s5, 7, v0
	;; [unrolled: 1-line block ×3, first 2 shown]
	s_delay_alu instid0(VALU_DEP_4)
	v_cndmask_b32_e64 v1, v1, v4, s0
	v_cmp_eq_u32_e64 s7, 9, v0
	v_cmp_eq_u32_e64 s8, 10, v0
	v_cndmask_b32_e64 v17, v4, v5, s0
	v_cmp_eq_u32_e32 vcc_lo, 11, v0
	v_cndmask_b32_e64 v1, v1, v5, s1
	v_cndmask_b32_e64 v19, v6, v5, s2
	v_cmp_eq_u32_e64 s0, 12, v0
	v_cndmask_b32_e64 v20, v7, v5, s3
	v_cndmask_b32_e64 v21, v8, v5, s4
	;; [unrolled: 1-line block ×3, first 2 shown]
	v_cmp_eq_u32_e64 s2, 13, v0
	v_cndmask_b32_e64 v22, v9, v5, s5
	v_cndmask_b32_e64 v23, v10, v5, s6
	;; [unrolled: 1-line block ×5, first 2 shown]
	v_cndmask_b32_e32 v26, v13, v5, vcc_lo
	v_cndmask_b32_e64 v27, v14, v5, s0
	v_cndmask_b32_e64 v28, v15, v5, s2
	;; [unrolled: 1-line block ×3, first 2 shown]
	s_delay_alu instid0(VALU_DEP_1) | instskip(NEXT) | instid1(VALU_DEP_1)
	v_cndmask_b32_e64 v1, v1, v9, s5
	v_cndmask_b32_e64 v1, v1, v10, s6
	s_delay_alu instid0(VALU_DEP_1) | instskip(NEXT) | instid1(VALU_DEP_1)
	v_cndmask_b32_e64 v1, v1, v11, s7
	v_cndmask_b32_e64 v1, v1, v12, s8
	s_delay_alu instid0(VALU_DEP_1) | instskip(SKIP_1) | instid1(VALU_DEP_2)
	v_cndmask_b32_e32 v1, v1, v13, vcc_lo
	v_cmp_eq_u32_e32 vcc_lo, 0, v0
	v_cndmask_b32_e64 v1, v1, v14, s0
	s_delay_alu instid0(VALU_DEP_1) | instskip(SKIP_1) | instid1(VALU_DEP_2)
	v_cndmask_b32_e64 v1, v1, v15, s2
	v_cndmask_b32_e32 v15, v2, v5, vcc_lo
	v_cndmask_b32_e64 v18, v1, v5, s1
	s_delay_alu instid0(VALU_DEP_2) | instskip(SKIP_2) | instid1(VALU_DEP_4)
	v_mov_b32_e32 v2, v15
	v_dual_mov_b32 v3, v16 :: v_dual_mov_b32 v4, v17
	v_dual_mov_b32 v7, v20 :: v_dual_mov_b32 v8, v21
	;; [unrolled: 1-line block ×6, first 2 shown]
	v_mov_b32_e32 v15, v28
	v_mov_b32_e32 v16, v29
	;; [unrolled: 1-line block ×3, first 2 shown]
.LBB13_125:
	s_or_b32 exec_lo, exec_lo, s9
	v_dual_mov_b32 v0, s12 :: v_dual_mov_b32 v1, s13
	s_mov_b32 s9, exec_lo
	flat_load_b32 v0, v[0:1] offset:8
	s_waitcnt vmcnt(0) lgkmcnt(0)
	v_add_nc_u32_e32 v0, -1, v0
	s_delay_alu instid0(VALU_DEP_1)
	v_cmpx_ne_u32_e32 2, v0
	s_cbranch_execz .LBB13_127
; %bb.126:
	v_cmp_eq_u32_e32 vcc_lo, 1, v0
	v_cmp_eq_u32_e64 s0, 2, v0
	v_cmp_eq_u32_e64 s1, 3, v0
	;; [unrolled: 1-line block ×4, first 2 shown]
	v_dual_cndmask_b32 v1, v2, v3 :: v_dual_cndmask_b32 v16, v3, v4
	v_cmp_eq_u32_e64 s4, 6, v0
	v_cmp_eq_u32_e64 s5, 7, v0
	;; [unrolled: 1-line block ×3, first 2 shown]
	s_delay_alu instid0(VALU_DEP_4)
	v_cndmask_b32_e64 v1, v1, v4, s0
	v_cmp_eq_u32_e64 s7, 9, v0
	v_cmp_eq_u32_e64 s8, 10, v0
	v_cndmask_b32_e64 v18, v5, v4, s1
	v_cmp_eq_u32_e32 vcc_lo, 11, v0
	v_cndmask_b32_e64 v1, v1, v5, s1
	v_cndmask_b32_e64 v19, v6, v4, s2
	v_cmp_eq_u32_e64 s1, 12, v0
	v_cndmask_b32_e64 v20, v7, v4, s3
	v_cndmask_b32_e64 v21, v8, v4, s4
	;; [unrolled: 1-line block ×3, first 2 shown]
	v_cmp_eq_u32_e64 s2, 13, v0
	v_cndmask_b32_e64 v22, v9, v4, s5
	v_cndmask_b32_e64 v23, v10, v4, s6
	;; [unrolled: 1-line block ×5, first 2 shown]
	v_cndmask_b32_e32 v26, v13, v4, vcc_lo
	v_cndmask_b32_e64 v27, v14, v4, s1
	v_cndmask_b32_e64 v28, v15, v4, s2
	;; [unrolled: 1-line block ×3, first 2 shown]
	s_delay_alu instid0(VALU_DEP_1) | instskip(NEXT) | instid1(VALU_DEP_1)
	v_cndmask_b32_e64 v1, v1, v9, s5
	v_cndmask_b32_e64 v1, v1, v10, s6
	s_delay_alu instid0(VALU_DEP_1) | instskip(NEXT) | instid1(VALU_DEP_1)
	v_cndmask_b32_e64 v1, v1, v11, s7
	v_cndmask_b32_e64 v1, v1, v12, s8
	s_delay_alu instid0(VALU_DEP_1) | instskip(SKIP_1) | instid1(VALU_DEP_2)
	v_cndmask_b32_e32 v1, v1, v13, vcc_lo
	v_cmp_eq_u32_e32 vcc_lo, 0, v0
	v_cndmask_b32_e64 v1, v1, v14, s1
	s_delay_alu instid0(VALU_DEP_1) | instskip(SKIP_1) | instid1(VALU_DEP_2)
	v_cndmask_b32_e64 v1, v1, v15, s2
	v_cndmask_b32_e32 v15, v2, v4, vcc_lo
	v_cndmask_b32_e64 v17, v1, v4, s0
	s_delay_alu instid0(VALU_DEP_2) | instskip(NEXT) | instid1(VALU_DEP_2)
	v_mov_b32_e32 v2, v15
	v_dual_mov_b32 v3, v16 :: v_dual_mov_b32 v4, v17
	v_dual_mov_b32 v5, v18 :: v_dual_mov_b32 v6, v19
	;; [unrolled: 1-line block ×6, first 2 shown]
	v_mov_b32_e32 v15, v28
	v_mov_b32_e32 v16, v29
	;; [unrolled: 1-line block ×3, first 2 shown]
.LBB13_127:
	s_or_b32 exec_lo, exec_lo, s9
	v_dual_mov_b32 v0, s12 :: v_dual_mov_b32 v1, s13
	s_mov_b32 s9, exec_lo
	flat_load_b32 v0, v[0:1] offset:4
	s_waitcnt vmcnt(0) lgkmcnt(0)
	v_add_nc_u32_e32 v0, -1, v0
	s_delay_alu instid0(VALU_DEP_1)
	v_cmpx_ne_u32_e32 1, v0
	s_cbranch_execz .LBB13_129
; %bb.128:
	v_cmp_eq_u32_e32 vcc_lo, 1, v0
	v_cmp_eq_u32_e64 s2, 4, v0
	v_cmp_eq_u32_e64 s3, 5, v0
	;; [unrolled: 1-line block ×8, first 2 shown]
	v_cndmask_b32_e64 v18, v6, v3, s2
	v_cndmask_b32_e64 v19, v7, v3, s3
	;; [unrolled: 1-line block ×7, first 2 shown]
	v_cndmask_b32_e32 v1, v2, v3, vcc_lo
	v_cmp_eq_u32_e64 s1, 3, v0
	v_cndmask_b32_e64 v16, v4, v3, s0
	s_delay_alu instid0(VALU_DEP_3) | instskip(SKIP_1) | instid1(VALU_DEP_4)
	v_cndmask_b32_e64 v1, v1, v4, s0
	v_cmp_eq_u32_e64 s0, 11, v0
	v_cndmask_b32_e64 v17, v5, v3, s1
	s_delay_alu instid0(VALU_DEP_3) | instskip(SKIP_1) | instid1(VALU_DEP_4)
	v_cndmask_b32_e64 v1, v1, v5, s1
	;; [unrolled: 4-line block ×3, first 2 shown]
	v_cmp_eq_u32_e64 s2, 13, v0
	v_cndmask_b32_e64 v26, v14, v3, s1
	s_delay_alu instid0(VALU_DEP_3) | instskip(NEXT) | instid1(VALU_DEP_3)
	v_cndmask_b32_e64 v1, v1, v7, s3
	v_cndmask_b32_e64 v27, v15, v3, s2
	s_delay_alu instid0(VALU_DEP_2) | instskip(NEXT) | instid1(VALU_DEP_1)
	v_cndmask_b32_e64 v1, v1, v8, s4
	v_cndmask_b32_e64 v1, v1, v9, s5
	s_delay_alu instid0(VALU_DEP_1) | instskip(NEXT) | instid1(VALU_DEP_1)
	v_cndmask_b32_e64 v1, v1, v10, s6
	v_cndmask_b32_e64 v1, v1, v11, s7
	s_delay_alu instid0(VALU_DEP_1) | instskip(NEXT) | instid1(VALU_DEP_1)
	;; [unrolled: 3-line block ×3, first 2 shown]
	v_cndmask_b32_e64 v1, v1, v14, s1
	v_cndmask_b32_e64 v1, v1, v15, s2
	s_delay_alu instid0(VALU_DEP_1) | instskip(SKIP_2) | instid1(VALU_DEP_1)
	v_cndmask_b32_e32 v15, v1, v3, vcc_lo
	v_cmp_eq_u32_e32 vcc_lo, 0, v0
	v_cndmask_b32_e32 v14, v2, v3, vcc_lo
	v_mov_b32_e32 v2, v14
	s_delay_alu instid0(VALU_DEP_4)
	v_dual_mov_b32 v4, v16 :: v_dual_mov_b32 v3, v15
	v_dual_mov_b32 v6, v18 :: v_dual_mov_b32 v5, v17
	;; [unrolled: 1-line block ×6, first 2 shown]
	v_mov_b32_e32 v15, v27
	v_mov_b32_e32 v16, v28
	;; [unrolled: 1-line block ×3, first 2 shown]
.LBB13_129:
	s_or_b32 exec_lo, exec_lo, s9
	v_dual_mov_b32 v0, s12 :: v_dual_mov_b32 v1, s13
	s_mov_b32 s9, exec_lo
	flat_load_b32 v0, v[0:1]
	s_waitcnt vmcnt(0) lgkmcnt(0)
	v_add_nc_u32_e32 v0, -1, v0
	s_delay_alu instid0(VALU_DEP_1)
	v_cmpx_ne_u32_e32 0, v0
	s_cbranch_execz .LBB13_131
; %bb.130:
	v_cmp_eq_u32_e32 vcc_lo, 1, v0
	v_cmp_eq_u32_e64 s2, 4, v0
	v_cmp_eq_u32_e64 s3, 5, v0
	v_cmp_eq_u32_e64 s4, 6, v0
	v_cmp_eq_u32_e64 s5, 7, v0
	v_cmp_eq_u32_e64 s6, 8, v0
	v_cmp_eq_u32_e64 s7, 9, v0
	v_cmp_eq_u32_e64 s8, 10, v0
	v_cmp_eq_u32_e64 s0, 2, v0
	v_cndmask_b32_e64 v18, v6, v2, s2
	v_cndmask_b32_e64 v19, v7, v2, s3
	;; [unrolled: 1-line block ×7, first 2 shown]
	v_cndmask_b32_e32 v1, v2, v3, vcc_lo
	v_cmp_eq_u32_e64 s1, 3, v0
	v_cndmask_b32_e64 v16, v4, v2, s0
	s_delay_alu instid0(VALU_DEP_3) | instskip(SKIP_1) | instid1(VALU_DEP_4)
	v_cndmask_b32_e64 v1, v1, v4, s0
	v_cmp_eq_u32_e64 s0, 11, v0
	v_cndmask_b32_e64 v17, v5, v2, s1
	s_delay_alu instid0(VALU_DEP_3) | instskip(SKIP_1) | instid1(VALU_DEP_4)
	v_cndmask_b32_e64 v1, v1, v5, s1
	;; [unrolled: 4-line block ×3, first 2 shown]
	v_cmp_eq_u32_e64 s2, 13, v0
	v_cndmask_b32_e64 v26, v14, v2, s1
	s_delay_alu instid0(VALU_DEP_3) | instskip(NEXT) | instid1(VALU_DEP_3)
	v_cndmask_b32_e64 v1, v1, v7, s3
	v_cndmask_b32_e64 v27, v15, v2, s2
	s_delay_alu instid0(VALU_DEP_2) | instskip(NEXT) | instid1(VALU_DEP_1)
	v_cndmask_b32_e64 v1, v1, v8, s4
	v_cndmask_b32_e64 v1, v1, v9, s5
	s_delay_alu instid0(VALU_DEP_1) | instskip(NEXT) | instid1(VALU_DEP_1)
	v_cndmask_b32_e64 v1, v1, v10, s6
	v_cndmask_b32_e64 v1, v1, v11, s7
	s_delay_alu instid0(VALU_DEP_1) | instskip(NEXT) | instid1(VALU_DEP_1)
	v_cndmask_b32_e64 v1, v1, v12, s8
	v_cndmask_b32_e64 v1, v1, v13, s0
	v_cmp_eq_u32_e64 s0, 0, v0
	s_delay_alu instid0(VALU_DEP_2) | instskip(NEXT) | instid1(VALU_DEP_1)
	v_cndmask_b32_e64 v1, v1, v14, s1
	v_cndmask_b32_e64 v1, v1, v15, s2
	v_cndmask_b32_e32 v15, v3, v2, vcc_lo
	s_delay_alu instid0(VALU_DEP_2) | instskip(NEXT) | instid1(VALU_DEP_1)
	v_cndmask_b32_e64 v14, v1, v2, s0
	v_mov_b32_e32 v2, v14
	s_delay_alu instid0(VALU_DEP_3)
	v_dual_mov_b32 v4, v16 :: v_dual_mov_b32 v3, v15
	v_dual_mov_b32 v6, v18 :: v_dual_mov_b32 v5, v17
	v_dual_mov_b32 v8, v20 :: v_dual_mov_b32 v7, v19
	v_dual_mov_b32 v10, v22 :: v_dual_mov_b32 v9, v21
	v_dual_mov_b32 v12, v24 :: v_dual_mov_b32 v11, v23
	v_dual_mov_b32 v13, v25 :: v_dual_mov_b32 v14, v26
	v_mov_b32_e32 v15, v27
	v_mov_b32_e32 v16, v28
	;; [unrolled: 1-line block ×3, first 2 shown]
.LBB13_131:
	s_or_b32 exec_lo, exec_lo, s9
.LBB13_132:
	s_clause 0xd
	global_store_b32 v[31:32], v2, off
	global_store_b32 v[33:34], v3, off
	;; [unrolled: 1-line block ×14, first 2 shown]
	s_nop 0
	s_sendmsg sendmsg(MSG_DEALLOC_VGPRS)
	s_endpgm
	.section	.rodata,"a",@progbits
	.p2align	6, 0x0
	.amdhsa_kernel _ZN9rocsolver6v33100L18getri_kernel_smallILi14EfPfEEvT1_iilPiilS4_bb
		.amdhsa_group_segment_fixed_size 120
		.amdhsa_private_segment_fixed_size 0
		.amdhsa_kernarg_size 60
		.amdhsa_user_sgpr_count 15
		.amdhsa_user_sgpr_dispatch_ptr 0
		.amdhsa_user_sgpr_queue_ptr 0
		.amdhsa_user_sgpr_kernarg_segment_ptr 1
		.amdhsa_user_sgpr_dispatch_id 0
		.amdhsa_user_sgpr_private_segment_size 0
		.amdhsa_wavefront_size32 1
		.amdhsa_uses_dynamic_stack 0
		.amdhsa_enable_private_segment 0
		.amdhsa_system_sgpr_workgroup_id_x 1
		.amdhsa_system_sgpr_workgroup_id_y 0
		.amdhsa_system_sgpr_workgroup_id_z 0
		.amdhsa_system_sgpr_workgroup_info 0
		.amdhsa_system_vgpr_workitem_id 0
		.amdhsa_next_free_vgpr 59
		.amdhsa_next_free_sgpr 18
		.amdhsa_reserve_vcc 1
		.amdhsa_float_round_mode_32 0
		.amdhsa_float_round_mode_16_64 0
		.amdhsa_float_denorm_mode_32 3
		.amdhsa_float_denorm_mode_16_64 3
		.amdhsa_dx10_clamp 1
		.amdhsa_ieee_mode 1
		.amdhsa_fp16_overflow 0
		.amdhsa_workgroup_processor_mode 1
		.amdhsa_memory_ordered 1
		.amdhsa_forward_progress 0
		.amdhsa_shared_vgpr_count 0
		.amdhsa_exception_fp_ieee_invalid_op 0
		.amdhsa_exception_fp_denorm_src 0
		.amdhsa_exception_fp_ieee_div_zero 0
		.amdhsa_exception_fp_ieee_overflow 0
		.amdhsa_exception_fp_ieee_underflow 0
		.amdhsa_exception_fp_ieee_inexact 0
		.amdhsa_exception_int_div_zero 0
	.end_amdhsa_kernel
	.section	.text._ZN9rocsolver6v33100L18getri_kernel_smallILi14EfPfEEvT1_iilPiilS4_bb,"axG",@progbits,_ZN9rocsolver6v33100L18getri_kernel_smallILi14EfPfEEvT1_iilPiilS4_bb,comdat
.Lfunc_end13:
	.size	_ZN9rocsolver6v33100L18getri_kernel_smallILi14EfPfEEvT1_iilPiilS4_bb, .Lfunc_end13-_ZN9rocsolver6v33100L18getri_kernel_smallILi14EfPfEEvT1_iilPiilS4_bb
                                        ; -- End function
	.section	.AMDGPU.csdata,"",@progbits
; Kernel info:
; codeLenInByte = 16420
; NumSgprs: 20
; NumVgprs: 59
; ScratchSize: 0
; MemoryBound: 0
; FloatMode: 240
; IeeeMode: 1
; LDSByteSize: 120 bytes/workgroup (compile time only)
; SGPRBlocks: 2
; VGPRBlocks: 7
; NumSGPRsForWavesPerEU: 20
; NumVGPRsForWavesPerEU: 59
; Occupancy: 16
; WaveLimiterHint : 0
; COMPUTE_PGM_RSRC2:SCRATCH_EN: 0
; COMPUTE_PGM_RSRC2:USER_SGPR: 15
; COMPUTE_PGM_RSRC2:TRAP_HANDLER: 0
; COMPUTE_PGM_RSRC2:TGID_X_EN: 1
; COMPUTE_PGM_RSRC2:TGID_Y_EN: 0
; COMPUTE_PGM_RSRC2:TGID_Z_EN: 0
; COMPUTE_PGM_RSRC2:TIDIG_COMP_CNT: 0
	.section	.text._ZN9rocsolver6v33100L18getri_kernel_smallILi15EfPfEEvT1_iilPiilS4_bb,"axG",@progbits,_ZN9rocsolver6v33100L18getri_kernel_smallILi15EfPfEEvT1_iilPiilS4_bb,comdat
	.globl	_ZN9rocsolver6v33100L18getri_kernel_smallILi15EfPfEEvT1_iilPiilS4_bb ; -- Begin function _ZN9rocsolver6v33100L18getri_kernel_smallILi15EfPfEEvT1_iilPiilS4_bb
	.p2align	8
	.type	_ZN9rocsolver6v33100L18getri_kernel_smallILi15EfPfEEvT1_iilPiilS4_bb,@function
_ZN9rocsolver6v33100L18getri_kernel_smallILi15EfPfEEvT1_iilPiilS4_bb: ; @_ZN9rocsolver6v33100L18getri_kernel_smallILi15EfPfEEvT1_iilPiilS4_bb
; %bb.0:
	s_mov_b32 s2, exec_lo
	v_cmpx_gt_u32_e32 15, v0
	s_cbranch_execz .LBB14_16
; %bb.1:
	s_clause 0x2
	s_load_b32 s17, s[0:1], 0x38
	s_load_b128 s[8:11], s[0:1], 0x10
	s_load_b128 s[4:7], s[0:1], 0x28
	s_mov_b32 s14, s15
                                        ; implicit-def: $sgpr12_sgpr13
	s_waitcnt lgkmcnt(0)
	s_bitcmp1_b32 s17, 8
	s_cselect_b32 s16, -1, 0
	s_bfe_u32 s2, s17, 0x10008
	s_ashr_i32 s15, s15, 31
	s_cmp_eq_u32 s2, 0
	s_cbranch_scc1 .LBB14_3
; %bb.2:
	s_load_b32 s2, s[0:1], 0x20
	s_mul_i32 s3, s14, s5
	s_mul_hi_u32 s5, s14, s4
	s_mul_i32 s12, s15, s4
	s_add_i32 s3, s5, s3
	s_mul_i32 s4, s14, s4
	s_add_i32 s5, s3, s12
	s_delay_alu instid0(SALU_CYCLE_1)
	s_lshl_b64 s[4:5], s[4:5], 2
	s_waitcnt lgkmcnt(0)
	s_ashr_i32 s3, s2, 31
	s_add_u32 s4, s10, s4
	s_addc_u32 s5, s11, s5
	s_lshl_b64 s[2:3], s[2:3], 2
	s_delay_alu instid0(SALU_CYCLE_1)
	s_add_u32 s12, s4, s2
	s_addc_u32 s13, s5, s3
.LBB14_3:
	s_load_b128 s[0:3], s[0:1], 0x0
	s_mul_i32 s4, s14, s9
	s_mul_hi_u32 s5, s14, s8
	s_mul_i32 s9, s15, s8
	s_add_i32 s5, s5, s4
	s_mul_i32 s4, s14, s8
	s_add_i32 s5, s5, s9
	v_lshlrev_b32_e32 v17, 2, v0
	s_lshl_b64 s[4:5], s[4:5], 2
	s_waitcnt lgkmcnt(0)
	v_add3_u32 v1, s3, s3, v0
	s_ashr_i32 s9, s2, 31
	s_mov_b32 s8, s2
	s_add_u32 s2, s0, s4
	s_addc_u32 s5, s1, s5
	v_add_nc_u32_e32 v3, s3, v1
	s_lshl_b64 s[0:1], s[8:9], 2
	v_ashrrev_i32_e32 v2, 31, v1
	s_add_u32 s0, s2, s0
	s_addc_u32 s1, s5, s1
	v_add_co_u32 v33, s2, s0, v17
	v_add_nc_u32_e32 v5, s3, v3
	s_mov_b32 s4, s3
	s_ashr_i32 s5, s3, 31
	v_add_co_ci_u32_e64 v34, null, s1, 0, s2
	v_lshlrev_b64 v[1:2], 2, v[1:2]
	v_ashrrev_i32_e32 v4, 31, v3
	s_lshl_b64 s[4:5], s[4:5], 2
	v_ashrrev_i32_e32 v6, 31, v5
	v_add_co_u32 v35, vcc_lo, v33, s4
	v_add_nc_u32_e32 v7, s3, v5
	v_add_co_ci_u32_e32 v36, vcc_lo, s5, v34, vcc_lo
	v_lshlrev_b64 v[3:4], 2, v[3:4]
	v_add_co_u32 v37, vcc_lo, s0, v1
	v_add_co_ci_u32_e32 v38, vcc_lo, s1, v2, vcc_lo
	v_lshlrev_b64 v[1:2], 2, v[5:6]
	v_ashrrev_i32_e32 v8, 31, v7
	v_add_nc_u32_e32 v5, s3, v7
	v_add_co_u32 v39, vcc_lo, s0, v3
	v_add_co_ci_u32_e32 v40, vcc_lo, s1, v4, vcc_lo
	s_delay_alu instid0(VALU_DEP_4) | instskip(NEXT) | instid1(VALU_DEP_4)
	v_lshlrev_b64 v[3:4], 2, v[7:8]
	v_ashrrev_i32_e32 v6, 31, v5
	v_add_nc_u32_e32 v7, s3, v5
	v_add_co_u32 v41, vcc_lo, s0, v1
	v_add_co_ci_u32_e32 v42, vcc_lo, s1, v2, vcc_lo
	s_delay_alu instid0(VALU_DEP_4) | instskip(NEXT) | instid1(VALU_DEP_4)
	v_lshlrev_b64 v[1:2], 2, v[5:6]
	v_add_nc_u32_e32 v5, s3, v7
	v_add_co_u32 v43, vcc_lo, s0, v3
	v_ashrrev_i32_e32 v8, 31, v7
	v_add_co_ci_u32_e32 v44, vcc_lo, s1, v4, vcc_lo
	s_delay_alu instid0(VALU_DEP_4) | instskip(SKIP_2) | instid1(VALU_DEP_3)
	v_ashrrev_i32_e32 v6, 31, v5
	v_add_co_u32 v45, vcc_lo, s0, v1
	v_add_co_ci_u32_e32 v46, vcc_lo, s1, v2, vcc_lo
	v_lshlrev_b64 v[1:2], 2, v[5:6]
	v_add_nc_u32_e32 v5, s3, v5
	v_lshlrev_b64 v[3:4], 2, v[7:8]
	s_bitcmp0_b32 s17, 0
	s_delay_alu instid0(VALU_DEP_2) | instskip(SKIP_1) | instid1(VALU_DEP_3)
	v_add_nc_u32_e32 v11, s3, v5
	v_ashrrev_i32_e32 v6, 31, v5
	v_add_co_u32 v47, vcc_lo, s0, v3
	s_delay_alu instid0(VALU_DEP_4)
	v_add_co_ci_u32_e32 v48, vcc_lo, s1, v4, vcc_lo
	v_add_co_u32 v49, vcc_lo, s0, v1
	v_add_nc_u32_e32 v13, s3, v11
	v_add_co_ci_u32_e32 v50, vcc_lo, s1, v2, vcc_lo
	v_lshlrev_b64 v[1:2], 2, v[5:6]
	v_ashrrev_i32_e32 v12, 31, v11
	s_delay_alu instid0(VALU_DEP_4)
	v_ashrrev_i32_e32 v14, 31, v13
	v_add_nc_u32_e32 v15, s3, v13
	s_clause 0x7
	global_load_b32 v3, v[35:36], off
	global_load_b32 v4, v[37:38], off
	;; [unrolled: 1-line block ×8, first 2 shown]
	v_lshlrev_b64 v[11:12], 2, v[11:12]
	v_add_co_u32 v51, vcc_lo, s0, v1
	v_add_co_ci_u32_e32 v52, vcc_lo, s1, v2, vcc_lo
	v_lshlrev_b64 v[1:2], 2, v[13:14]
	v_ashrrev_i32_e32 v16, 31, v15
	v_add_nc_u32_e32 v13, s3, v15
	v_add_co_u32 v53, vcc_lo, s0, v11
	v_add_co_ci_u32_e32 v54, vcc_lo, s1, v12, vcc_lo
	s_delay_alu instid0(VALU_DEP_4) | instskip(NEXT) | instid1(VALU_DEP_4)
	v_lshlrev_b64 v[11:12], 2, v[15:16]
	v_add_nc_u32_e32 v15, s3, v13
	v_ashrrev_i32_e32 v14, 31, v13
	v_add_co_u32 v55, vcc_lo, s0, v1
	v_add_co_ci_u32_e32 v56, vcc_lo, s1, v2, vcc_lo
	s_delay_alu instid0(VALU_DEP_4) | instskip(NEXT) | instid1(VALU_DEP_4)
	v_ashrrev_i32_e32 v16, 31, v15
	v_lshlrev_b64 v[1:2], 2, v[13:14]
	v_add_co_u32 v57, vcc_lo, s0, v11
	v_add_co_ci_u32_e32 v58, vcc_lo, s1, v12, vcc_lo
	s_delay_alu instid0(VALU_DEP_4) | instskip(NEXT) | instid1(VALU_DEP_4)
	v_lshlrev_b64 v[11:12], 2, v[15:16]
	v_add_co_u32 v59, vcc_lo, s0, v1
	v_add_co_ci_u32_e32 v60, vcc_lo, s1, v2, vcc_lo
	v_mov_b32_e32 v1, 0
	s_delay_alu instid0(VALU_DEP_4)
	v_add_co_u32 v61, vcc_lo, s0, v11
	v_add_co_ci_u32_e32 v62, vcc_lo, s1, v12, vcc_lo
	s_clause 0x6
	global_load_b32 v11, v[51:52], off
	global_load_b32 v12, v[53:54], off
	;; [unrolled: 1-line block ×5, first 2 shown]
	global_load_b32 v2, v17, s[0:1]
	global_load_b32 v16, v[61:62], off
	s_mov_b32 s0, -1
	s_cbranch_scc1 .LBB14_14
; %bb.4:
	v_cmp_eq_u32_e64 s0, 0, v0
	s_delay_alu instid0(VALU_DEP_1)
	s_and_saveexec_b32 s1, s0
	s_cbranch_execz .LBB14_6
; %bb.5:
	v_mov_b32_e32 v18, 0
	ds_store_b32 v18, v18 offset:60
.LBB14_6:
	s_or_b32 exec_lo, exec_lo, s1
	v_cmp_eq_u32_e32 vcc_lo, 1, v0
	s_mov_b32 s2, exec_lo
	s_waitcnt vmcnt(0) lgkmcnt(0)
	s_barrier
	buffer_gl0_inv
	v_cndmask_b32_e32 v18, v2, v3, vcc_lo
	v_cmp_eq_u32_e32 vcc_lo, 2, v0
	s_delay_alu instid0(VALU_DEP_2) | instskip(SKIP_1) | instid1(VALU_DEP_2)
	v_cndmask_b32_e32 v18, v18, v4, vcc_lo
	v_cmp_eq_u32_e32 vcc_lo, 3, v0
	v_cndmask_b32_e32 v18, v18, v5, vcc_lo
	v_cmp_eq_u32_e32 vcc_lo, 4, v0
	s_delay_alu instid0(VALU_DEP_2) | instskip(SKIP_1) | instid1(VALU_DEP_2)
	v_cndmask_b32_e32 v18, v18, v6, vcc_lo
	v_cmp_eq_u32_e32 vcc_lo, 5, v0
	;; [unrolled: 5-line block ×6, first 2 shown]
	v_cndmask_b32_e32 v18, v18, v15, vcc_lo
	v_cmp_eq_u32_e32 vcc_lo, 14, v0
	s_delay_alu instid0(VALU_DEP_2) | instskip(NEXT) | instid1(VALU_DEP_1)
	v_cndmask_b32_e32 v18, v18, v16, vcc_lo
	v_cmpx_eq_f32_e32 0, v18
	s_cbranch_execz .LBB14_10
; %bb.7:
	v_mov_b32_e32 v19, 0
	ds_load_b32 v20, v19 offset:60
	s_waitcnt lgkmcnt(0)
	v_readfirstlane_b32 s1, v20
	v_add_nc_u32_e32 v20, 1, v0
	s_delay_alu instid0(VALU_DEP_2) | instskip(NEXT) | instid1(VALU_DEP_1)
	s_cmp_eq_u32 s1, 0
	v_cmp_gt_i32_e32 vcc_lo, s1, v20
	s_cselect_b32 s3, -1, 0
	s_delay_alu instid0(SALU_CYCLE_1) | instskip(NEXT) | instid1(SALU_CYCLE_1)
	s_or_b32 s3, s3, vcc_lo
	s_and_b32 exec_lo, exec_lo, s3
	s_cbranch_execz .LBB14_10
; %bb.8:
	v_mov_b32_e32 v21, s1
	s_mov_b32 s3, 0
.LBB14_9:                               ; =>This Inner Loop Header: Depth=1
	ds_cmpstore_rtn_b32 v21, v19, v20, v21 offset:60
	s_waitcnt lgkmcnt(0)
	v_cmp_ne_u32_e32 vcc_lo, 0, v21
	v_cmp_le_i32_e64 s1, v21, v20
	s_delay_alu instid0(VALU_DEP_1) | instskip(NEXT) | instid1(SALU_CYCLE_1)
	s_and_b32 s1, vcc_lo, s1
	s_and_b32 s1, exec_lo, s1
	s_delay_alu instid0(SALU_CYCLE_1) | instskip(NEXT) | instid1(SALU_CYCLE_1)
	s_or_b32 s3, s1, s3
	s_and_not1_b32 exec_lo, exec_lo, s3
	s_cbranch_execnz .LBB14_9
.LBB14_10:
	s_or_b32 exec_lo, exec_lo, s2
	v_mov_b32_e32 v19, 0
	s_barrier
	buffer_gl0_inv
	ds_load_b32 v20, v19 offset:60
	s_and_saveexec_b32 s1, s0
	s_cbranch_execz .LBB14_12
; %bb.11:
	s_lshl_b64 s[2:3], s[14:15], 2
	s_delay_alu instid0(SALU_CYCLE_1)
	s_add_u32 s2, s6, s2
	s_addc_u32 s3, s7, s3
	s_waitcnt lgkmcnt(0)
	global_store_b32 v19, v20, s[2:3]
.LBB14_12:
	s_or_b32 exec_lo, exec_lo, s1
	s_waitcnt lgkmcnt(0)
	v_cmp_ne_u32_e32 vcc_lo, 0, v20
	s_cbranch_vccz .LBB14_17
; %bb.13:
	s_mov_b32 s0, 0
                                        ; implicit-def: $vgpr2_vgpr3_vgpr4_vgpr5_vgpr6_vgpr7_vgpr8_vgpr9_vgpr10_vgpr11_vgpr12_vgpr13_vgpr14_vgpr15_vgpr16_vgpr17
.LBB14_14:
	s_delay_alu instid0(SALU_CYCLE_1)
	s_and_b32 vcc_lo, exec_lo, s0
	s_cbranch_vccz .LBB14_16
.LBB14_15:
	s_lshl_b64 s[0:1], s[14:15], 2
	v_mov_b32_e32 v1, 0
	s_add_u32 s0, s6, s0
	s_addc_u32 s1, s7, s1
	global_load_b32 v1, v1, s[0:1]
	s_waitcnt vmcnt(0)
	v_cmp_ne_u32_e32 vcc_lo, 0, v1
	s_cbranch_vccz .LBB14_82
.LBB14_16:
	s_nop 0
	s_sendmsg sendmsg(MSG_DEALLOC_VGPRS)
	s_endpgm
.LBB14_17:
	v_div_scale_f32 v19, null, v18, v18, 1.0
	v_div_scale_f32 v22, vcc_lo, 1.0, v18, 1.0
	s_delay_alu instid0(VALU_DEP_2) | instskip(SKIP_2) | instid1(VALU_DEP_1)
	v_rcp_f32_e32 v20, v19
	s_waitcnt_depctr 0xfff
	v_fma_f32 v21, -v19, v20, 1.0
	v_fmac_f32_e32 v20, v21, v20
	s_delay_alu instid0(VALU_DEP_1) | instskip(NEXT) | instid1(VALU_DEP_1)
	v_mul_f32_e32 v21, v22, v20
	v_fma_f32 v23, -v19, v21, v22
	s_delay_alu instid0(VALU_DEP_1) | instskip(NEXT) | instid1(VALU_DEP_1)
	v_fmac_f32_e32 v21, v23, v20
	v_fma_f32 v19, -v19, v21, v22
	s_delay_alu instid0(VALU_DEP_1) | instskip(SKIP_1) | instid1(VALU_DEP_2)
	v_div_fmas_f32 v19, v19, v20, v21
	v_cmp_eq_u32_e32 vcc_lo, 14, v0
	v_div_fixup_f32 v18, v19, v18, 1.0
	s_delay_alu instid0(VALU_DEP_1)
	v_dual_cndmask_b32 v16, v16, v18 :: v_dual_add_nc_u32 v19, 64, v17
	v_cmp_eq_u32_e32 vcc_lo, 13, v0
	v_xor_b32_e32 v20, 0x80000000, v18
	v_cndmask_b32_e32 v15, v15, v18, vcc_lo
	v_cmp_eq_u32_e32 vcc_lo, 12, v0
	v_cndmask_b32_e32 v14, v14, v18, vcc_lo
	v_cmp_eq_u32_e32 vcc_lo, 11, v0
	;; [unrolled: 2-line block ×12, first 2 shown]
	ds_store_2addr_b32 v17, v20, v3 offset1:16
	v_cndmask_b32_e32 v4, v4, v18, vcc_lo
	v_cmp_eq_u32_e32 vcc_lo, 0, v0
	s_waitcnt lgkmcnt(0)
	s_waitcnt_vscnt null, 0x0
	s_barrier
	buffer_gl0_inv
	v_cndmask_b32_e32 v2, v2, v18, vcc_lo
	s_and_saveexec_b32 s1, s0
	s_cbranch_execz .LBB14_19
; %bb.18:
	v_mov_b32_e32 v3, 0
	ds_load_b32 v17, v19
	ds_load_b32 v3, v3 offset:4
	s_waitcnt lgkmcnt(1)
	v_fma_f32 v17, v18, v17, 0
	s_waitcnt lgkmcnt(0)
	s_delay_alu instid0(VALU_DEP_1)
	v_mul_f32_e32 v3, v17, v3
.LBB14_19:
	s_or_b32 exec_lo, exec_lo, s1
	v_cmp_gt_u32_e32 vcc_lo, 2, v0
	s_barrier
	buffer_gl0_inv
	ds_store_b32 v19, v4
	s_waitcnt lgkmcnt(0)
	s_barrier
	buffer_gl0_inv
	s_and_saveexec_b32 s2, vcc_lo
	s_cbranch_execz .LBB14_21
; %bb.20:
	v_cmp_eq_u32_e64 s1, 1, v0
	ds_load_b32 v20, v19
	v_cndmask_b32_e64 v17, v2, v3, s1
	v_cmp_eq_u32_e64 s1, 2, v0
	s_delay_alu instid0(VALU_DEP_1) | instskip(SKIP_2) | instid1(VALU_DEP_2)
	v_cndmask_b32_e64 v4, v17, v4, s1
	v_cmp_eq_u32_e64 s1, 3, v0
	v_mov_b32_e32 v17, 0
	v_cndmask_b32_e64 v4, v4, v5, s1
	v_cmp_eq_u32_e64 s1, 4, v0
	ds_load_2addr_b32 v[17:18], v17 offset0:2 offset1:17
	v_cndmask_b32_e64 v4, v4, v6, s1
	v_cmp_eq_u32_e64 s1, 5, v0
	s_delay_alu instid0(VALU_DEP_1) | instskip(SKIP_1) | instid1(VALU_DEP_1)
	v_cndmask_b32_e64 v4, v4, v7, s1
	v_cmp_eq_u32_e64 s1, 6, v0
	v_cndmask_b32_e64 v4, v4, v8, s1
	v_cmp_eq_u32_e64 s1, 7, v0
	s_delay_alu instid0(VALU_DEP_1) | instskip(SKIP_1) | instid1(VALU_DEP_1)
	v_cndmask_b32_e64 v4, v4, v9, s1
	v_cmp_eq_u32_e64 s1, 8, v0
	;; [unrolled: 5-line block ×5, first 2 shown]
	v_cndmask_b32_e64 v4, v4, v16, s1
	s_waitcnt lgkmcnt(1)
	s_delay_alu instid0(VALU_DEP_1) | instskip(SKIP_1) | instid1(VALU_DEP_1)
	v_fma_f32 v4, v4, v20, 0
	s_waitcnt lgkmcnt(0)
	v_fma_f32 v18, v3, v18, v4
	s_delay_alu instid0(VALU_DEP_1) | instskip(NEXT) | instid1(VALU_DEP_1)
	v_cndmask_b32_e64 v4, v4, v18, s0
	v_mul_f32_e32 v4, v4, v17
.LBB14_21:
	s_or_b32 exec_lo, exec_lo, s2
	s_delay_alu instid0(SALU_CYCLE_1)
	s_mov_b32 s3, exec_lo
	s_barrier
	buffer_gl0_inv
	ds_store_b32 v19, v5
	s_waitcnt lgkmcnt(0)
	s_barrier
	buffer_gl0_inv
	v_cmpx_gt_u32_e32 3, v0
	s_cbranch_execz .LBB14_25
; %bb.22:
	v_mov_b32_e32 v18, v1
	v_lshl_add_u32 v21, v0, 2, 64
	v_dual_mov_b32 v20, 0 :: v_dual_mov_b32 v17, v0
	s_mov_b32 s4, 0
.LBB14_23:                              ; =>This Inner Loop Header: Depth=1
	s_delay_alu instid0(VALU_DEP_1) | instskip(SKIP_3) | instid1(VALU_DEP_1)
	v_cmp_eq_u32_e64 s1, 1, v17
	ds_load_b32 v23, v21
	v_cndmask_b32_e64 v22, v2, v3, s1
	v_cmp_eq_u32_e64 s1, 2, v17
	v_cndmask_b32_e64 v22, v22, v4, s1
	v_cmp_eq_u32_e64 s1, 3, v17
	s_delay_alu instid0(VALU_DEP_1) | instskip(SKIP_1) | instid1(VALU_DEP_1)
	v_cndmask_b32_e64 v22, v22, v5, s1
	v_cmp_eq_u32_e64 s1, 4, v17
	v_cndmask_b32_e64 v22, v22, v6, s1
	v_cmp_eq_u32_e64 s1, 5, v17
	s_delay_alu instid0(VALU_DEP_1) | instskip(SKIP_1) | instid1(VALU_DEP_1)
	;; [unrolled: 5-line block ×5, first 2 shown]
	v_cndmask_b32_e64 v22, v22, v13, s1
	v_cmp_eq_u32_e64 s1, 12, v17
	v_cndmask_b32_e64 v22, v22, v14, s1
	v_cmp_eq_u32_e64 s1, 13, v17
	s_delay_alu instid0(VALU_DEP_1) | instskip(SKIP_2) | instid1(VALU_DEP_1)
	v_cndmask_b32_e64 v22, v22, v15, s1
	v_cmp_eq_u32_e64 s1, 14, v17
	v_add_co_u32 v17, s2, v17, 1
	v_add_co_ci_u32_e64 v18, s2, 0, v18, s2
	s_delay_alu instid0(VALU_DEP_3) | instskip(NEXT) | instid1(VALU_DEP_3)
	v_cndmask_b32_e64 v22, v22, v16, s1
	v_add_nc_u32_e32 v24, -1, v17
	s_waitcnt lgkmcnt(0)
	s_delay_alu instid0(VALU_DEP_2) | instskip(NEXT) | instid1(VALU_DEP_2)
	v_dual_fmac_f32 v20, v22, v23 :: v_dual_add_nc_u32 v21, 4, v21
	v_cmp_lt_u32_e64 s1, 1, v24
	s_delay_alu instid0(VALU_DEP_1) | instskip(NEXT) | instid1(SALU_CYCLE_1)
	s_or_b32 s4, s1, s4
	s_and_not1_b32 exec_lo, exec_lo, s4
	s_cbranch_execnz .LBB14_23
; %bb.24:
	s_or_b32 exec_lo, exec_lo, s4
	v_mov_b32_e32 v5, 0
	ds_load_b32 v5, v5 offset:12
	s_waitcnt lgkmcnt(0)
	v_mul_f32_e32 v5, v20, v5
.LBB14_25:
	s_or_b32 exec_lo, exec_lo, s3
	v_cmp_gt_u32_e64 s1, 4, v0
	s_barrier
	buffer_gl0_inv
	ds_store_b32 v19, v6
	s_waitcnt lgkmcnt(0)
	s_barrier
	buffer_gl0_inv
	s_and_saveexec_b32 s4, s1
	s_cbranch_execz .LBB14_29
; %bb.26:
	v_mov_b32_e32 v18, v1
	v_lshl_add_u32 v21, v0, 2, 64
	v_dual_mov_b32 v20, 0 :: v_dual_mov_b32 v17, v0
	s_mov_b32 s5, 0
.LBB14_27:                              ; =>This Inner Loop Header: Depth=1
	s_delay_alu instid0(VALU_DEP_1) | instskip(SKIP_3) | instid1(VALU_DEP_1)
	v_cmp_eq_u32_e64 s2, 1, v17
	ds_load_b32 v23, v21
	v_cndmask_b32_e64 v22, v2, v3, s2
	v_cmp_eq_u32_e64 s2, 2, v17
	v_cndmask_b32_e64 v22, v22, v4, s2
	v_cmp_eq_u32_e64 s2, 3, v17
	s_delay_alu instid0(VALU_DEP_1) | instskip(SKIP_1) | instid1(VALU_DEP_1)
	v_cndmask_b32_e64 v22, v22, v5, s2
	v_cmp_eq_u32_e64 s2, 4, v17
	v_cndmask_b32_e64 v22, v22, v6, s2
	v_cmp_eq_u32_e64 s2, 5, v17
	s_delay_alu instid0(VALU_DEP_1) | instskip(SKIP_1) | instid1(VALU_DEP_1)
	v_cndmask_b32_e64 v22, v22, v7, s2
	v_cmp_eq_u32_e64 s2, 6, v17
	v_cndmask_b32_e64 v22, v22, v8, s2
	v_cmp_eq_u32_e64 s2, 7, v17
	s_delay_alu instid0(VALU_DEP_1) | instskip(SKIP_1) | instid1(VALU_DEP_1)
	v_cndmask_b32_e64 v22, v22, v9, s2
	v_cmp_eq_u32_e64 s2, 8, v17
	v_cndmask_b32_e64 v22, v22, v10, s2
	v_cmp_eq_u32_e64 s2, 9, v17
	s_delay_alu instid0(VALU_DEP_1) | instskip(SKIP_1) | instid1(VALU_DEP_1)
	v_cndmask_b32_e64 v22, v22, v11, s2
	v_cmp_eq_u32_e64 s2, 10, v17
	v_cndmask_b32_e64 v22, v22, v12, s2
	v_cmp_eq_u32_e64 s2, 11, v17
	s_delay_alu instid0(VALU_DEP_1) | instskip(SKIP_1) | instid1(VALU_DEP_1)
	v_cndmask_b32_e64 v22, v22, v13, s2
	v_cmp_eq_u32_e64 s2, 12, v17
	v_cndmask_b32_e64 v22, v22, v14, s2
	v_cmp_eq_u32_e64 s2, 13, v17
	s_delay_alu instid0(VALU_DEP_1) | instskip(SKIP_2) | instid1(VALU_DEP_1)
	v_cndmask_b32_e64 v22, v22, v15, s2
	v_cmp_eq_u32_e64 s2, 14, v17
	v_add_co_u32 v17, s3, v17, 1
	v_add_co_ci_u32_e64 v18, s3, 0, v18, s3
	s_delay_alu instid0(VALU_DEP_3) | instskip(NEXT) | instid1(VALU_DEP_3)
	v_cndmask_b32_e64 v22, v22, v16, s2
	v_add_nc_u32_e32 v24, -1, v17
	s_waitcnt lgkmcnt(0)
	s_delay_alu instid0(VALU_DEP_2) | instskip(NEXT) | instid1(VALU_DEP_2)
	v_dual_fmac_f32 v20, v22, v23 :: v_dual_add_nc_u32 v21, 4, v21
	v_cmp_lt_u32_e64 s2, 2, v24
	s_delay_alu instid0(VALU_DEP_1) | instskip(NEXT) | instid1(SALU_CYCLE_1)
	s_or_b32 s5, s2, s5
	s_and_not1_b32 exec_lo, exec_lo, s5
	s_cbranch_execnz .LBB14_27
; %bb.28:
	s_or_b32 exec_lo, exec_lo, s5
	v_mov_b32_e32 v6, 0
	ds_load_b32 v6, v6 offset:16
	s_waitcnt lgkmcnt(0)
	v_mul_f32_e32 v6, v20, v6
.LBB14_29:
	s_or_b32 exec_lo, exec_lo, s4
	s_delay_alu instid0(SALU_CYCLE_1)
	s_mov_b32 s4, exec_lo
	s_barrier
	buffer_gl0_inv
	ds_store_b32 v19, v7
	s_waitcnt lgkmcnt(0)
	s_barrier
	buffer_gl0_inv
	v_cmpx_gt_u32_e32 5, v0
	s_cbranch_execz .LBB14_33
; %bb.30:
	v_mov_b32_e32 v18, v1
	v_lshl_add_u32 v21, v0, 2, 64
	v_dual_mov_b32 v20, 0 :: v_dual_mov_b32 v17, v0
	s_mov_b32 s5, 0
.LBB14_31:                              ; =>This Inner Loop Header: Depth=1
	s_delay_alu instid0(VALU_DEP_1) | instskip(SKIP_3) | instid1(VALU_DEP_1)
	v_cmp_eq_u32_e64 s2, 1, v17
	ds_load_b32 v23, v21
	v_cndmask_b32_e64 v22, v2, v3, s2
	v_cmp_eq_u32_e64 s2, 2, v17
	v_cndmask_b32_e64 v22, v22, v4, s2
	v_cmp_eq_u32_e64 s2, 3, v17
	s_delay_alu instid0(VALU_DEP_1) | instskip(SKIP_1) | instid1(VALU_DEP_1)
	v_cndmask_b32_e64 v22, v22, v5, s2
	v_cmp_eq_u32_e64 s2, 4, v17
	v_cndmask_b32_e64 v22, v22, v6, s2
	v_cmp_eq_u32_e64 s2, 5, v17
	s_delay_alu instid0(VALU_DEP_1) | instskip(SKIP_1) | instid1(VALU_DEP_1)
	;; [unrolled: 5-line block ×5, first 2 shown]
	v_cndmask_b32_e64 v22, v22, v13, s2
	v_cmp_eq_u32_e64 s2, 12, v17
	v_cndmask_b32_e64 v22, v22, v14, s2
	v_cmp_eq_u32_e64 s2, 13, v17
	s_delay_alu instid0(VALU_DEP_1) | instskip(SKIP_2) | instid1(VALU_DEP_1)
	v_cndmask_b32_e64 v22, v22, v15, s2
	v_cmp_eq_u32_e64 s2, 14, v17
	v_add_co_u32 v17, s3, v17, 1
	v_add_co_ci_u32_e64 v18, s3, 0, v18, s3
	s_delay_alu instid0(VALU_DEP_3) | instskip(NEXT) | instid1(VALU_DEP_3)
	v_cndmask_b32_e64 v22, v22, v16, s2
	v_add_nc_u32_e32 v24, -1, v17
	s_waitcnt lgkmcnt(0)
	s_delay_alu instid0(VALU_DEP_2) | instskip(NEXT) | instid1(VALU_DEP_2)
	v_dual_fmac_f32 v20, v22, v23 :: v_dual_add_nc_u32 v21, 4, v21
	v_cmp_lt_u32_e64 s2, 3, v24
	s_delay_alu instid0(VALU_DEP_1) | instskip(NEXT) | instid1(SALU_CYCLE_1)
	s_or_b32 s5, s2, s5
	s_and_not1_b32 exec_lo, exec_lo, s5
	s_cbranch_execnz .LBB14_31
; %bb.32:
	s_or_b32 exec_lo, exec_lo, s5
	v_mov_b32_e32 v7, 0
	ds_load_b32 v7, v7 offset:20
	s_waitcnt lgkmcnt(0)
	v_mul_f32_e32 v7, v20, v7
.LBB14_33:
	s_or_b32 exec_lo, exec_lo, s4
	v_cmp_gt_u32_e64 s2, 6, v0
	s_barrier
	buffer_gl0_inv
	ds_store_b32 v19, v8
	s_waitcnt lgkmcnt(0)
	s_barrier
	buffer_gl0_inv
	s_and_saveexec_b32 s5, s2
	s_cbranch_execz .LBB14_37
; %bb.34:
	v_mov_b32_e32 v18, v1
	v_lshl_add_u32 v21, v0, 2, 64
	v_dual_mov_b32 v20, 0 :: v_dual_mov_b32 v17, v0
	s_mov_b32 s8, 0
.LBB14_35:                              ; =>This Inner Loop Header: Depth=1
	s_delay_alu instid0(VALU_DEP_1) | instskip(SKIP_3) | instid1(VALU_DEP_1)
	v_cmp_eq_u32_e64 s3, 1, v17
	ds_load_b32 v23, v21
	v_cndmask_b32_e64 v22, v2, v3, s3
	v_cmp_eq_u32_e64 s3, 2, v17
	v_cndmask_b32_e64 v22, v22, v4, s3
	v_cmp_eq_u32_e64 s3, 3, v17
	s_delay_alu instid0(VALU_DEP_1) | instskip(SKIP_1) | instid1(VALU_DEP_1)
	v_cndmask_b32_e64 v22, v22, v5, s3
	v_cmp_eq_u32_e64 s3, 4, v17
	v_cndmask_b32_e64 v22, v22, v6, s3
	v_cmp_eq_u32_e64 s3, 5, v17
	s_delay_alu instid0(VALU_DEP_1) | instskip(SKIP_1) | instid1(VALU_DEP_1)
	;; [unrolled: 5-line block ×5, first 2 shown]
	v_cndmask_b32_e64 v22, v22, v13, s3
	v_cmp_eq_u32_e64 s3, 12, v17
	v_cndmask_b32_e64 v22, v22, v14, s3
	v_cmp_eq_u32_e64 s3, 13, v17
	s_delay_alu instid0(VALU_DEP_1) | instskip(SKIP_2) | instid1(VALU_DEP_1)
	v_cndmask_b32_e64 v22, v22, v15, s3
	v_cmp_eq_u32_e64 s3, 14, v17
	v_add_co_u32 v17, s4, v17, 1
	v_add_co_ci_u32_e64 v18, s4, 0, v18, s4
	s_delay_alu instid0(VALU_DEP_3) | instskip(NEXT) | instid1(VALU_DEP_3)
	v_cndmask_b32_e64 v22, v22, v16, s3
	v_add_nc_u32_e32 v24, -1, v17
	s_waitcnt lgkmcnt(0)
	s_delay_alu instid0(VALU_DEP_2) | instskip(NEXT) | instid1(VALU_DEP_2)
	v_dual_fmac_f32 v20, v22, v23 :: v_dual_add_nc_u32 v21, 4, v21
	v_cmp_lt_u32_e64 s3, 4, v24
	s_delay_alu instid0(VALU_DEP_1) | instskip(NEXT) | instid1(SALU_CYCLE_1)
	s_or_b32 s8, s3, s8
	s_and_not1_b32 exec_lo, exec_lo, s8
	s_cbranch_execnz .LBB14_35
; %bb.36:
	s_or_b32 exec_lo, exec_lo, s8
	v_mov_b32_e32 v8, 0
	ds_load_b32 v8, v8 offset:24
	s_waitcnt lgkmcnt(0)
	v_mul_f32_e32 v8, v20, v8
.LBB14_37:
	s_or_b32 exec_lo, exec_lo, s5
	s_delay_alu instid0(SALU_CYCLE_1)
	s_mov_b32 s5, exec_lo
	s_barrier
	buffer_gl0_inv
	ds_store_b32 v19, v9
	s_waitcnt lgkmcnt(0)
	s_barrier
	buffer_gl0_inv
	v_cmpx_gt_u32_e32 7, v0
	s_cbranch_execz .LBB14_41
; %bb.38:
	v_mov_b32_e32 v18, v1
	v_lshl_add_u32 v21, v0, 2, 64
	v_dual_mov_b32 v20, 0 :: v_dual_mov_b32 v17, v0
	s_mov_b32 s8, 0
.LBB14_39:                              ; =>This Inner Loop Header: Depth=1
	s_delay_alu instid0(VALU_DEP_1) | instskip(SKIP_3) | instid1(VALU_DEP_1)
	v_cmp_eq_u32_e64 s3, 1, v17
	ds_load_b32 v23, v21
	v_cndmask_b32_e64 v22, v2, v3, s3
	v_cmp_eq_u32_e64 s3, 2, v17
	v_cndmask_b32_e64 v22, v22, v4, s3
	v_cmp_eq_u32_e64 s3, 3, v17
	s_delay_alu instid0(VALU_DEP_1) | instskip(SKIP_1) | instid1(VALU_DEP_1)
	v_cndmask_b32_e64 v22, v22, v5, s3
	v_cmp_eq_u32_e64 s3, 4, v17
	v_cndmask_b32_e64 v22, v22, v6, s3
	v_cmp_eq_u32_e64 s3, 5, v17
	s_delay_alu instid0(VALU_DEP_1) | instskip(SKIP_1) | instid1(VALU_DEP_1)
	;; [unrolled: 5-line block ×5, first 2 shown]
	v_cndmask_b32_e64 v22, v22, v13, s3
	v_cmp_eq_u32_e64 s3, 12, v17
	v_cndmask_b32_e64 v22, v22, v14, s3
	v_cmp_eq_u32_e64 s3, 13, v17
	s_delay_alu instid0(VALU_DEP_1) | instskip(SKIP_2) | instid1(VALU_DEP_1)
	v_cndmask_b32_e64 v22, v22, v15, s3
	v_cmp_eq_u32_e64 s3, 14, v17
	v_add_co_u32 v17, s4, v17, 1
	v_add_co_ci_u32_e64 v18, s4, 0, v18, s4
	s_delay_alu instid0(VALU_DEP_3) | instskip(NEXT) | instid1(VALU_DEP_3)
	v_cndmask_b32_e64 v22, v22, v16, s3
	v_add_nc_u32_e32 v24, -1, v17
	s_waitcnt lgkmcnt(0)
	s_delay_alu instid0(VALU_DEP_2) | instskip(NEXT) | instid1(VALU_DEP_2)
	v_dual_fmac_f32 v20, v22, v23 :: v_dual_add_nc_u32 v21, 4, v21
	v_cmp_lt_u32_e64 s3, 5, v24
	s_delay_alu instid0(VALU_DEP_1) | instskip(NEXT) | instid1(SALU_CYCLE_1)
	s_or_b32 s8, s3, s8
	s_and_not1_b32 exec_lo, exec_lo, s8
	s_cbranch_execnz .LBB14_39
; %bb.40:
	s_or_b32 exec_lo, exec_lo, s8
	v_mov_b32_e32 v9, 0
	ds_load_b32 v9, v9 offset:28
	s_waitcnt lgkmcnt(0)
	v_mul_f32_e32 v9, v20, v9
.LBB14_41:
	s_or_b32 exec_lo, exec_lo, s5
	s_delay_alu instid0(SALU_CYCLE_1)
	s_mov_b32 s4, exec_lo
	s_barrier
	buffer_gl0_inv
	ds_store_b32 v19, v10
	s_waitcnt lgkmcnt(0)
	s_barrier
	buffer_gl0_inv
	v_cmpx_gt_u32_e32 8, v0
	s_cbranch_execz .LBB14_57
; %bb.42:
	v_cmp_eq_u32_e64 s3, 1, v0
	ds_load_b32 v18, v19
	s_mov_b32 s5, exec_lo
	v_cndmask_b32_e64 v17, v2, v3, s3
	v_cmp_eq_u32_e64 s3, 2, v0
	s_delay_alu instid0(VALU_DEP_1) | instskip(SKIP_1) | instid1(VALU_DEP_1)
	v_cndmask_b32_e64 v17, v17, v4, s3
	v_cmp_eq_u32_e64 s3, 3, v0
	v_cndmask_b32_e64 v17, v17, v5, s3
	v_cmp_eq_u32_e64 s3, 4, v0
	s_delay_alu instid0(VALU_DEP_1) | instskip(SKIP_1) | instid1(VALU_DEP_1)
	v_cndmask_b32_e64 v17, v17, v6, s3
	v_cmp_eq_u32_e64 s3, 5, v0
	;; [unrolled: 5-line block ×6, first 2 shown]
	v_cndmask_b32_e64 v17, v17, v15, s3
	v_cmp_eq_u32_e64 s3, 14, v0
	s_delay_alu instid0(VALU_DEP_1) | instskip(SKIP_2) | instid1(VALU_DEP_2)
	v_cndmask_b32_e64 v20, v17, v16, s3
	v_mov_b32_e32 v17, 0
	s_waitcnt lgkmcnt(0)
	v_fma_f32 v18, v20, v18, 0
	v_cmpx_ne_u32_e32 7, v0
	s_cbranch_execz .LBB14_56
; %bb.43:
	v_add_nc_u32_e32 v20, 1, v0
	ds_load_b32 v22, v19 offset:4
	v_cmp_eq_u32_e64 s3, 1, v20
	s_delay_alu instid0(VALU_DEP_1) | instskip(SKIP_1) | instid1(VALU_DEP_1)
	v_cndmask_b32_e64 v21, v2, v3, s3
	v_cmp_eq_u32_e64 s3, 2, v20
	v_cndmask_b32_e64 v21, v21, v4, s3
	v_cmp_eq_u32_e64 s3, 3, v20
	s_delay_alu instid0(VALU_DEP_1) | instskip(SKIP_1) | instid1(VALU_DEP_1)
	v_cndmask_b32_e64 v21, v21, v5, s3
	v_cmp_eq_u32_e64 s3, 4, v20
	v_cndmask_b32_e64 v21, v21, v6, s3
	;; [unrolled: 5-line block ×7, first 2 shown]
	s_waitcnt lgkmcnt(0)
	s_delay_alu instid0(VALU_DEP_1)
	v_fmac_f32_e32 v18, v20, v22
	s_and_saveexec_b32 s3, s2
	s_cbranch_execz .LBB14_55
; %bb.44:
	v_add_nc_u32_e32 v20, 2, v0
	ds_load_b32 v22, v19 offset:8
	s_mov_b32 s8, exec_lo
	v_cmp_eq_u32_e64 s2, 1, v20
	s_delay_alu instid0(VALU_DEP_1) | instskip(SKIP_1) | instid1(VALU_DEP_1)
	v_cndmask_b32_e64 v21, v2, v3, s2
	v_cmp_eq_u32_e64 s2, 2, v20
	v_cndmask_b32_e64 v21, v21, v4, s2
	v_cmp_eq_u32_e64 s2, 3, v20
	s_delay_alu instid0(VALU_DEP_1) | instskip(SKIP_1) | instid1(VALU_DEP_1)
	v_cndmask_b32_e64 v21, v21, v5, s2
	v_cmp_eq_u32_e64 s2, 4, v20
	v_cndmask_b32_e64 v21, v21, v6, s2
	;; [unrolled: 5-line block ×7, first 2 shown]
	s_waitcnt lgkmcnt(0)
	s_delay_alu instid0(VALU_DEP_1)
	v_fmac_f32_e32 v18, v20, v22
	v_cmpx_ne_u32_e32 5, v0
	s_cbranch_execz .LBB14_54
; %bb.45:
	v_add_nc_u32_e32 v20, 3, v0
	ds_load_b32 v22, v19 offset:12
	v_cmp_eq_u32_e64 s2, 1, v20
	s_delay_alu instid0(VALU_DEP_1) | instskip(SKIP_1) | instid1(VALU_DEP_1)
	v_cndmask_b32_e64 v21, v2, v3, s2
	v_cmp_eq_u32_e64 s2, 2, v20
	v_cndmask_b32_e64 v21, v21, v4, s2
	v_cmp_eq_u32_e64 s2, 3, v20
	s_delay_alu instid0(VALU_DEP_1) | instskip(SKIP_1) | instid1(VALU_DEP_1)
	v_cndmask_b32_e64 v21, v21, v5, s2
	v_cmp_eq_u32_e64 s2, 4, v20
	v_cndmask_b32_e64 v21, v21, v6, s2
	;; [unrolled: 5-line block ×7, first 2 shown]
	s_waitcnt lgkmcnt(0)
	s_delay_alu instid0(VALU_DEP_1)
	v_fmac_f32_e32 v18, v20, v22
	s_and_saveexec_b32 s2, s1
	s_cbranch_execz .LBB14_53
; %bb.46:
	v_or_b32_e32 v20, 4, v0
	ds_load_b32 v22, v19 offset:16
	s_mov_b32 s9, exec_lo
	v_cmp_eq_u32_e64 s1, 1, v20
	s_delay_alu instid0(VALU_DEP_1) | instskip(SKIP_1) | instid1(VALU_DEP_1)
	v_cndmask_b32_e64 v21, v2, v3, s1
	v_cmp_eq_u32_e64 s1, 2, v20
	v_cndmask_b32_e64 v21, v21, v4, s1
	v_cmp_eq_u32_e64 s1, 3, v20
	s_delay_alu instid0(VALU_DEP_1) | instskip(SKIP_1) | instid1(VALU_DEP_1)
	v_cndmask_b32_e64 v21, v21, v5, s1
	v_cmp_eq_u32_e64 s1, 4, v20
	v_cndmask_b32_e64 v21, v21, v6, s1
	;; [unrolled: 5-line block ×7, first 2 shown]
	s_waitcnt lgkmcnt(0)
	s_delay_alu instid0(VALU_DEP_1)
	v_fmac_f32_e32 v18, v20, v22
	v_cmpx_ne_u32_e32 3, v0
	s_cbranch_execz .LBB14_52
; %bb.47:
	v_add_nc_u32_e32 v20, 5, v0
	ds_load_b32 v22, v19 offset:20
	v_cmp_eq_u32_e64 s1, 1, v20
	s_delay_alu instid0(VALU_DEP_1) | instskip(SKIP_1) | instid1(VALU_DEP_1)
	v_cndmask_b32_e64 v21, v2, v3, s1
	v_cmp_eq_u32_e64 s1, 2, v20
	v_cndmask_b32_e64 v21, v21, v4, s1
	v_cmp_eq_u32_e64 s1, 3, v20
	s_delay_alu instid0(VALU_DEP_1) | instskip(SKIP_1) | instid1(VALU_DEP_1)
	v_cndmask_b32_e64 v21, v21, v5, s1
	v_cmp_eq_u32_e64 s1, 4, v20
	v_cndmask_b32_e64 v21, v21, v6, s1
	v_cmp_eq_u32_e64 s1, 5, v20
	s_delay_alu instid0(VALU_DEP_1) | instskip(SKIP_1) | instid1(VALU_DEP_1)
	v_cndmask_b32_e64 v21, v21, v7, s1
	v_cmp_eq_u32_e64 s1, 6, v20
	v_cndmask_b32_e64 v21, v21, v8, s1
	v_cmp_eq_u32_e64 s1, 7, v20
	s_delay_alu instid0(VALU_DEP_1) | instskip(SKIP_1) | instid1(VALU_DEP_1)
	v_cndmask_b32_e64 v21, v21, v9, s1
	v_cmp_eq_u32_e64 s1, 8, v20
	v_cndmask_b32_e64 v21, v21, v10, s1
	v_cmp_eq_u32_e64 s1, 9, v20
	s_delay_alu instid0(VALU_DEP_1) | instskip(SKIP_1) | instid1(VALU_DEP_1)
	v_cndmask_b32_e64 v21, v21, v11, s1
	v_cmp_eq_u32_e64 s1, 10, v20
	v_cndmask_b32_e64 v21, v21, v12, s1
	v_cmp_eq_u32_e64 s1, 11, v20
	s_delay_alu instid0(VALU_DEP_1) | instskip(SKIP_1) | instid1(VALU_DEP_1)
	v_cndmask_b32_e64 v21, v21, v13, s1
	v_cmp_eq_u32_e64 s1, 12, v20
	v_cndmask_b32_e64 v21, v21, v14, s1
	v_cmp_eq_u32_e64 s1, 13, v20
	s_delay_alu instid0(VALU_DEP_1) | instskip(SKIP_1) | instid1(VALU_DEP_1)
	v_cndmask_b32_e64 v21, v21, v15, s1
	v_cmp_eq_u32_e64 s1, 14, v20
	v_cndmask_b32_e64 v20, v21, v16, s1
	s_waitcnt lgkmcnt(0)
	s_delay_alu instid0(VALU_DEP_1)
	v_fmac_f32_e32 v18, v20, v22
	s_and_saveexec_b32 s1, vcc_lo
	s_cbranch_execz .LBB14_51
; %bb.48:
	v_or_b32_e32 v20, 6, v0
	s_delay_alu instid0(VALU_DEP_1) | instskip(SKIP_2) | instid1(VALU_DEP_2)
	v_cmp_eq_u32_e32 vcc_lo, 1, v20
	v_cndmask_b32_e32 v21, v2, v3, vcc_lo
	v_cmp_eq_u32_e32 vcc_lo, 2, v20
	v_cndmask_b32_e32 v21, v21, v4, vcc_lo
	v_cmp_eq_u32_e32 vcc_lo, 3, v20
	s_delay_alu instid0(VALU_DEP_2) | instskip(SKIP_1) | instid1(VALU_DEP_2)
	v_cndmask_b32_e32 v21, v21, v5, vcc_lo
	v_cmp_eq_u32_e32 vcc_lo, 4, v20
	v_cndmask_b32_e32 v21, v21, v6, vcc_lo
	v_cmp_eq_u32_e32 vcc_lo, 5, v20
	s_delay_alu instid0(VALU_DEP_2) | instskip(SKIP_1) | instid1(VALU_DEP_2)
	;; [unrolled: 5-line block ×3, first 2 shown]
	v_cndmask_b32_e32 v21, v21, v9, vcc_lo
	v_cmp_eq_u32_e32 vcc_lo, 8, v20
	v_cndmask_b32_e32 v10, v21, v10, vcc_lo
	v_cmp_eq_u32_e32 vcc_lo, 9, v20
	ds_load_b32 v21, v19 offset:24
	v_cndmask_b32_e32 v10, v10, v11, vcc_lo
	v_cmp_eq_u32_e32 vcc_lo, 10, v20
	s_delay_alu instid0(VALU_DEP_2) | instskip(SKIP_1) | instid1(VALU_DEP_2)
	v_cndmask_b32_e32 v10, v10, v12, vcc_lo
	v_cmp_eq_u32_e32 vcc_lo, 11, v20
	v_cndmask_b32_e32 v10, v10, v13, vcc_lo
	v_cmp_eq_u32_e32 vcc_lo, 12, v20
	s_delay_alu instid0(VALU_DEP_2) | instskip(SKIP_1) | instid1(VALU_DEP_2)
	v_cndmask_b32_e32 v10, v10, v14, vcc_lo
	v_cmp_eq_u32_e32 vcc_lo, 13, v20
	v_cndmask_b32_e32 v10, v10, v15, vcc_lo
	v_cmp_eq_u32_e32 vcc_lo, 14, v20
	s_delay_alu instid0(VALU_DEP_2) | instskip(SKIP_1) | instid1(VALU_DEP_1)
	v_cndmask_b32_e32 v10, v10, v16, vcc_lo
	s_waitcnt lgkmcnt(0)
	v_fmac_f32_e32 v18, v10, v21
	s_and_saveexec_b32 s10, s0
	s_cbranch_execz .LBB14_50
; %bb.49:
	ds_load_b32 v10, v19 offset:28
	s_waitcnt lgkmcnt(0)
	v_fmac_f32_e32 v18, v9, v10
.LBB14_50:
	s_or_b32 exec_lo, exec_lo, s10
.LBB14_51:
	s_delay_alu instid0(SALU_CYCLE_1)
	s_or_b32 exec_lo, exec_lo, s1
.LBB14_52:
	s_delay_alu instid0(SALU_CYCLE_1)
	s_or_b32 exec_lo, exec_lo, s9
.LBB14_53:
	s_delay_alu instid0(SALU_CYCLE_1)
	s_or_b32 exec_lo, exec_lo, s2
.LBB14_54:
	s_delay_alu instid0(SALU_CYCLE_1)
	s_or_b32 exec_lo, exec_lo, s8
.LBB14_55:
	s_delay_alu instid0(SALU_CYCLE_1)
	s_or_b32 exec_lo, exec_lo, s3
.LBB14_56:
	s_delay_alu instid0(SALU_CYCLE_1)
	s_or_b32 exec_lo, exec_lo, s5
	ds_load_b32 v10, v17 offset:32
	s_waitcnt lgkmcnt(0)
	v_mul_f32_e32 v10, v18, v10
.LBB14_57:
	s_or_b32 exec_lo, exec_lo, s4
	s_delay_alu instid0(SALU_CYCLE_1)
	s_mov_b32 s1, exec_lo
	s_barrier
	buffer_gl0_inv
	ds_store_b32 v19, v11
	s_waitcnt lgkmcnt(0)
	s_barrier
	buffer_gl0_inv
	v_cmpx_gt_u32_e32 9, v0
	s_cbranch_execz .LBB14_61
; %bb.58:
	v_mov_b32_e32 v18, v1
	v_lshl_add_u32 v21, v0, 2, 64
	v_dual_mov_b32 v20, 0 :: v_dual_mov_b32 v17, v0
	s_mov_b32 s2, 0
	s_set_inst_prefetch_distance 0x1
	.p2align	6
.LBB14_59:                              ; =>This Inner Loop Header: Depth=1
	s_delay_alu instid0(VALU_DEP_1) | instskip(SKIP_3) | instid1(VALU_DEP_2)
	v_cmp_eq_u32_e32 vcc_lo, 1, v17
	ds_load_b32 v23, v21
	v_dual_cndmask_b32 v22, v2, v3 :: v_dual_add_nc_u32 v21, 4, v21
	v_cmp_eq_u32_e32 vcc_lo, 2, v17
	v_cndmask_b32_e32 v22, v22, v4, vcc_lo
	v_cmp_eq_u32_e32 vcc_lo, 3, v17
	s_delay_alu instid0(VALU_DEP_2) | instskip(SKIP_1) | instid1(VALU_DEP_2)
	v_cndmask_b32_e32 v22, v22, v5, vcc_lo
	v_cmp_eq_u32_e32 vcc_lo, 4, v17
	v_cndmask_b32_e32 v22, v22, v6, vcc_lo
	v_cmp_eq_u32_e32 vcc_lo, 5, v17
	s_delay_alu instid0(VALU_DEP_2) | instskip(SKIP_1) | instid1(VALU_DEP_2)
	v_cndmask_b32_e32 v22, v22, v7, vcc_lo
	;; [unrolled: 5-line block ×5, first 2 shown]
	v_cmp_eq_u32_e32 vcc_lo, 12, v17
	v_cndmask_b32_e32 v22, v22, v14, vcc_lo
	v_cmp_eq_u32_e32 vcc_lo, 13, v17
	s_delay_alu instid0(VALU_DEP_2) | instskip(SKIP_2) | instid1(VALU_DEP_1)
	v_cndmask_b32_e32 v22, v22, v15, vcc_lo
	v_cmp_eq_u32_e32 vcc_lo, 14, v17
	v_add_co_u32 v17, s0, v17, 1
	v_add_co_ci_u32_e64 v18, s0, 0, v18, s0
	s_delay_alu instid0(VALU_DEP_4) | instskip(NEXT) | instid1(VALU_DEP_3)
	v_cndmask_b32_e32 v22, v22, v16, vcc_lo
	v_add_nc_u32_e32 v24, -1, v17
	s_waitcnt lgkmcnt(0)
	s_delay_alu instid0(VALU_DEP_2) | instskip(NEXT) | instid1(VALU_DEP_2)
	v_fmac_f32_e32 v20, v22, v23
	v_cmp_lt_u32_e32 vcc_lo, 7, v24
	s_or_b32 s2, vcc_lo, s2
	s_delay_alu instid0(SALU_CYCLE_1)
	s_and_not1_b32 exec_lo, exec_lo, s2
	s_cbranch_execnz .LBB14_59
; %bb.60:
	s_set_inst_prefetch_distance 0x2
	s_or_b32 exec_lo, exec_lo, s2
	v_mov_b32_e32 v11, 0
	ds_load_b32 v11, v11 offset:36
	s_waitcnt lgkmcnt(0)
	v_mul_f32_e32 v11, v20, v11
.LBB14_61:
	s_or_b32 exec_lo, exec_lo, s1
	s_delay_alu instid0(SALU_CYCLE_1)
	s_mov_b32 s1, exec_lo
	s_barrier
	buffer_gl0_inv
	ds_store_b32 v19, v12
	s_waitcnt lgkmcnt(0)
	s_barrier
	buffer_gl0_inv
	v_cmpx_gt_u32_e32 10, v0
	s_cbranch_execz .LBB14_65
; %bb.62:
	v_mov_b32_e32 v18, v1
	v_lshl_add_u32 v21, v0, 2, 64
	v_dual_mov_b32 v20, 0 :: v_dual_mov_b32 v17, v0
	s_mov_b32 s2, 0
	s_set_inst_prefetch_distance 0x1
	.p2align	6
.LBB14_63:                              ; =>This Inner Loop Header: Depth=1
	s_delay_alu instid0(VALU_DEP_1) | instskip(SKIP_3) | instid1(VALU_DEP_2)
	v_cmp_eq_u32_e32 vcc_lo, 1, v17
	ds_load_b32 v23, v21
	v_dual_cndmask_b32 v22, v2, v3 :: v_dual_add_nc_u32 v21, 4, v21
	v_cmp_eq_u32_e32 vcc_lo, 2, v17
	v_cndmask_b32_e32 v22, v22, v4, vcc_lo
	v_cmp_eq_u32_e32 vcc_lo, 3, v17
	s_delay_alu instid0(VALU_DEP_2) | instskip(SKIP_1) | instid1(VALU_DEP_2)
	v_cndmask_b32_e32 v22, v22, v5, vcc_lo
	v_cmp_eq_u32_e32 vcc_lo, 4, v17
	v_cndmask_b32_e32 v22, v22, v6, vcc_lo
	v_cmp_eq_u32_e32 vcc_lo, 5, v17
	s_delay_alu instid0(VALU_DEP_2) | instskip(SKIP_1) | instid1(VALU_DEP_2)
	v_cndmask_b32_e32 v22, v22, v7, vcc_lo
	;; [unrolled: 5-line block ×5, first 2 shown]
	v_cmp_eq_u32_e32 vcc_lo, 12, v17
	v_cndmask_b32_e32 v22, v22, v14, vcc_lo
	v_cmp_eq_u32_e32 vcc_lo, 13, v17
	s_delay_alu instid0(VALU_DEP_2) | instskip(SKIP_2) | instid1(VALU_DEP_1)
	v_cndmask_b32_e32 v22, v22, v15, vcc_lo
	v_cmp_eq_u32_e32 vcc_lo, 14, v17
	v_add_co_u32 v17, s0, v17, 1
	v_add_co_ci_u32_e64 v18, s0, 0, v18, s0
	s_delay_alu instid0(VALU_DEP_4) | instskip(NEXT) | instid1(VALU_DEP_3)
	v_cndmask_b32_e32 v22, v22, v16, vcc_lo
	v_add_nc_u32_e32 v24, -1, v17
	s_waitcnt lgkmcnt(0)
	s_delay_alu instid0(VALU_DEP_2) | instskip(NEXT) | instid1(VALU_DEP_2)
	v_fmac_f32_e32 v20, v22, v23
	v_cmp_lt_u32_e32 vcc_lo, 8, v24
	s_or_b32 s2, vcc_lo, s2
	s_delay_alu instid0(SALU_CYCLE_1)
	s_and_not1_b32 exec_lo, exec_lo, s2
	s_cbranch_execnz .LBB14_63
; %bb.64:
	s_set_inst_prefetch_distance 0x2
	s_or_b32 exec_lo, exec_lo, s2
	v_mov_b32_e32 v12, 0
	ds_load_b32 v12, v12 offset:40
	s_waitcnt lgkmcnt(0)
	v_mul_f32_e32 v12, v20, v12
.LBB14_65:
	s_or_b32 exec_lo, exec_lo, s1
	s_delay_alu instid0(SALU_CYCLE_1)
	s_mov_b32 s1, exec_lo
	s_barrier
	buffer_gl0_inv
	ds_store_b32 v19, v13
	s_waitcnt lgkmcnt(0)
	s_barrier
	buffer_gl0_inv
	v_cmpx_gt_u32_e32 11, v0
	s_cbranch_execz .LBB14_69
; %bb.66:
	v_mov_b32_e32 v18, v1
	v_lshl_add_u32 v21, v0, 2, 64
	v_dual_mov_b32 v20, 0 :: v_dual_mov_b32 v17, v0
	s_mov_b32 s2, 0
	s_set_inst_prefetch_distance 0x1
	.p2align	6
.LBB14_67:                              ; =>This Inner Loop Header: Depth=1
	s_delay_alu instid0(VALU_DEP_1) | instskip(SKIP_3) | instid1(VALU_DEP_2)
	v_cmp_eq_u32_e32 vcc_lo, 1, v17
	ds_load_b32 v23, v21
	v_dual_cndmask_b32 v22, v2, v3 :: v_dual_add_nc_u32 v21, 4, v21
	v_cmp_eq_u32_e32 vcc_lo, 2, v17
	v_cndmask_b32_e32 v22, v22, v4, vcc_lo
	v_cmp_eq_u32_e32 vcc_lo, 3, v17
	s_delay_alu instid0(VALU_DEP_2) | instskip(SKIP_1) | instid1(VALU_DEP_2)
	v_cndmask_b32_e32 v22, v22, v5, vcc_lo
	v_cmp_eq_u32_e32 vcc_lo, 4, v17
	v_cndmask_b32_e32 v22, v22, v6, vcc_lo
	v_cmp_eq_u32_e32 vcc_lo, 5, v17
	s_delay_alu instid0(VALU_DEP_2) | instskip(SKIP_1) | instid1(VALU_DEP_2)
	v_cndmask_b32_e32 v22, v22, v7, vcc_lo
	;; [unrolled: 5-line block ×5, first 2 shown]
	v_cmp_eq_u32_e32 vcc_lo, 12, v17
	v_cndmask_b32_e32 v22, v22, v14, vcc_lo
	v_cmp_eq_u32_e32 vcc_lo, 13, v17
	s_delay_alu instid0(VALU_DEP_2) | instskip(SKIP_2) | instid1(VALU_DEP_1)
	v_cndmask_b32_e32 v22, v22, v15, vcc_lo
	v_cmp_eq_u32_e32 vcc_lo, 14, v17
	v_add_co_u32 v17, s0, v17, 1
	v_add_co_ci_u32_e64 v18, s0, 0, v18, s0
	s_delay_alu instid0(VALU_DEP_4) | instskip(NEXT) | instid1(VALU_DEP_3)
	v_cndmask_b32_e32 v22, v22, v16, vcc_lo
	v_add_nc_u32_e32 v24, -1, v17
	s_waitcnt lgkmcnt(0)
	s_delay_alu instid0(VALU_DEP_2) | instskip(NEXT) | instid1(VALU_DEP_2)
	v_fmac_f32_e32 v20, v22, v23
	v_cmp_lt_u32_e32 vcc_lo, 9, v24
	s_or_b32 s2, vcc_lo, s2
	s_delay_alu instid0(SALU_CYCLE_1)
	s_and_not1_b32 exec_lo, exec_lo, s2
	s_cbranch_execnz .LBB14_67
; %bb.68:
	s_set_inst_prefetch_distance 0x2
	s_or_b32 exec_lo, exec_lo, s2
	v_mov_b32_e32 v13, 0
	ds_load_b32 v13, v13 offset:44
	s_waitcnt lgkmcnt(0)
	v_mul_f32_e32 v13, v20, v13
.LBB14_69:
	s_or_b32 exec_lo, exec_lo, s1
	s_delay_alu instid0(SALU_CYCLE_1)
	s_mov_b32 s1, exec_lo
	s_barrier
	buffer_gl0_inv
	ds_store_b32 v19, v14
	s_waitcnt lgkmcnt(0)
	s_barrier
	buffer_gl0_inv
	v_cmpx_gt_u32_e32 12, v0
	s_cbranch_execz .LBB14_73
; %bb.70:
	v_mov_b32_e32 v18, v1
	v_lshl_add_u32 v21, v0, 2, 64
	v_dual_mov_b32 v20, 0 :: v_dual_mov_b32 v17, v0
	s_mov_b32 s2, 0
	s_set_inst_prefetch_distance 0x1
	.p2align	6
.LBB14_71:                              ; =>This Inner Loop Header: Depth=1
	s_delay_alu instid0(VALU_DEP_1) | instskip(SKIP_3) | instid1(VALU_DEP_2)
	v_cmp_eq_u32_e32 vcc_lo, 1, v17
	ds_load_b32 v23, v21
	v_dual_cndmask_b32 v22, v2, v3 :: v_dual_add_nc_u32 v21, 4, v21
	v_cmp_eq_u32_e32 vcc_lo, 2, v17
	v_cndmask_b32_e32 v22, v22, v4, vcc_lo
	v_cmp_eq_u32_e32 vcc_lo, 3, v17
	s_delay_alu instid0(VALU_DEP_2) | instskip(SKIP_1) | instid1(VALU_DEP_2)
	v_cndmask_b32_e32 v22, v22, v5, vcc_lo
	v_cmp_eq_u32_e32 vcc_lo, 4, v17
	v_cndmask_b32_e32 v22, v22, v6, vcc_lo
	v_cmp_eq_u32_e32 vcc_lo, 5, v17
	s_delay_alu instid0(VALU_DEP_2) | instskip(SKIP_1) | instid1(VALU_DEP_2)
	v_cndmask_b32_e32 v22, v22, v7, vcc_lo
	;; [unrolled: 5-line block ×5, first 2 shown]
	v_cmp_eq_u32_e32 vcc_lo, 12, v17
	v_cndmask_b32_e32 v22, v22, v14, vcc_lo
	v_cmp_eq_u32_e32 vcc_lo, 13, v17
	s_delay_alu instid0(VALU_DEP_2) | instskip(SKIP_2) | instid1(VALU_DEP_1)
	v_cndmask_b32_e32 v22, v22, v15, vcc_lo
	v_cmp_eq_u32_e32 vcc_lo, 14, v17
	v_add_co_u32 v17, s0, v17, 1
	v_add_co_ci_u32_e64 v18, s0, 0, v18, s0
	s_delay_alu instid0(VALU_DEP_4) | instskip(NEXT) | instid1(VALU_DEP_3)
	v_cndmask_b32_e32 v22, v22, v16, vcc_lo
	v_add_nc_u32_e32 v24, -1, v17
	s_waitcnt lgkmcnt(0)
	s_delay_alu instid0(VALU_DEP_2) | instskip(NEXT) | instid1(VALU_DEP_2)
	v_fmac_f32_e32 v20, v22, v23
	v_cmp_lt_u32_e32 vcc_lo, 10, v24
	s_or_b32 s2, vcc_lo, s2
	s_delay_alu instid0(SALU_CYCLE_1)
	s_and_not1_b32 exec_lo, exec_lo, s2
	s_cbranch_execnz .LBB14_71
; %bb.72:
	s_set_inst_prefetch_distance 0x2
	s_or_b32 exec_lo, exec_lo, s2
	v_mov_b32_e32 v14, 0
	ds_load_b32 v14, v14 offset:48
	s_waitcnt lgkmcnt(0)
	v_mul_f32_e32 v14, v20, v14
.LBB14_73:
	s_or_b32 exec_lo, exec_lo, s1
	s_delay_alu instid0(SALU_CYCLE_1)
	s_mov_b32 s1, exec_lo
	s_barrier
	buffer_gl0_inv
	ds_store_b32 v19, v15
	s_waitcnt lgkmcnt(0)
	s_barrier
	buffer_gl0_inv
	v_cmpx_gt_u32_e32 13, v0
	s_cbranch_execz .LBB14_77
; %bb.74:
	v_mov_b32_e32 v18, v1
	v_lshl_add_u32 v21, v0, 2, 64
	v_dual_mov_b32 v20, 0 :: v_dual_mov_b32 v17, v0
	s_mov_b32 s2, 0
	s_set_inst_prefetch_distance 0x1
	.p2align	6
.LBB14_75:                              ; =>This Inner Loop Header: Depth=1
	s_delay_alu instid0(VALU_DEP_1) | instskip(SKIP_3) | instid1(VALU_DEP_2)
	v_cmp_eq_u32_e32 vcc_lo, 1, v17
	ds_load_b32 v23, v21
	v_dual_cndmask_b32 v22, v2, v3 :: v_dual_add_nc_u32 v21, 4, v21
	v_cmp_eq_u32_e32 vcc_lo, 2, v17
	v_cndmask_b32_e32 v22, v22, v4, vcc_lo
	v_cmp_eq_u32_e32 vcc_lo, 3, v17
	s_delay_alu instid0(VALU_DEP_2) | instskip(SKIP_1) | instid1(VALU_DEP_2)
	v_cndmask_b32_e32 v22, v22, v5, vcc_lo
	v_cmp_eq_u32_e32 vcc_lo, 4, v17
	v_cndmask_b32_e32 v22, v22, v6, vcc_lo
	v_cmp_eq_u32_e32 vcc_lo, 5, v17
	s_delay_alu instid0(VALU_DEP_2) | instskip(SKIP_1) | instid1(VALU_DEP_2)
	v_cndmask_b32_e32 v22, v22, v7, vcc_lo
	;; [unrolled: 5-line block ×5, first 2 shown]
	v_cmp_eq_u32_e32 vcc_lo, 12, v17
	v_cndmask_b32_e32 v22, v22, v14, vcc_lo
	v_cmp_eq_u32_e32 vcc_lo, 13, v17
	s_delay_alu instid0(VALU_DEP_2) | instskip(SKIP_2) | instid1(VALU_DEP_1)
	v_cndmask_b32_e32 v22, v22, v15, vcc_lo
	v_cmp_eq_u32_e32 vcc_lo, 14, v17
	v_add_co_u32 v17, s0, v17, 1
	v_add_co_ci_u32_e64 v18, s0, 0, v18, s0
	s_delay_alu instid0(VALU_DEP_4) | instskip(NEXT) | instid1(VALU_DEP_3)
	v_cndmask_b32_e32 v22, v22, v16, vcc_lo
	v_add_nc_u32_e32 v24, -1, v17
	s_waitcnt lgkmcnt(0)
	s_delay_alu instid0(VALU_DEP_2) | instskip(NEXT) | instid1(VALU_DEP_2)
	v_fmac_f32_e32 v20, v22, v23
	v_cmp_lt_u32_e32 vcc_lo, 11, v24
	s_or_b32 s2, vcc_lo, s2
	s_delay_alu instid0(SALU_CYCLE_1)
	s_and_not1_b32 exec_lo, exec_lo, s2
	s_cbranch_execnz .LBB14_75
; %bb.76:
	s_set_inst_prefetch_distance 0x2
	s_or_b32 exec_lo, exec_lo, s2
	v_mov_b32_e32 v15, 0
	ds_load_b32 v15, v15 offset:52
	s_waitcnt lgkmcnt(0)
	v_mul_f32_e32 v15, v20, v15
.LBB14_77:
	s_or_b32 exec_lo, exec_lo, s1
	s_delay_alu instid0(SALU_CYCLE_1)
	s_mov_b32 s1, exec_lo
	s_barrier
	buffer_gl0_inv
	ds_store_b32 v19, v16
	s_waitcnt lgkmcnt(0)
	s_barrier
	buffer_gl0_inv
	v_cmpx_ne_u32_e32 14, v0
	s_cbranch_execz .LBB14_81
; %bb.78:
	v_dual_mov_b32 v19, 0 :: v_dual_mov_b32 v18, v1
	v_lshl_add_u32 v20, v0, 2, 64
	v_mov_b32_e32 v17, v0
	s_mov_b32 s2, 0
	s_set_inst_prefetch_distance 0x1
	.p2align	6
.LBB14_79:                              ; =>This Inner Loop Header: Depth=1
	s_delay_alu instid0(VALU_DEP_1) | instskip(SKIP_3) | instid1(VALU_DEP_2)
	v_cmp_eq_u32_e32 vcc_lo, 1, v17
	ds_load_b32 v21, v20
	v_dual_cndmask_b32 v1, v2, v3 :: v_dual_add_nc_u32 v20, 4, v20
	v_cmp_eq_u32_e32 vcc_lo, 2, v17
	v_cndmask_b32_e32 v1, v1, v4, vcc_lo
	v_cmp_eq_u32_e32 vcc_lo, 3, v17
	s_delay_alu instid0(VALU_DEP_2) | instskip(SKIP_1) | instid1(VALU_DEP_2)
	v_cndmask_b32_e32 v1, v1, v5, vcc_lo
	v_cmp_eq_u32_e32 vcc_lo, 4, v17
	v_cndmask_b32_e32 v1, v1, v6, vcc_lo
	v_cmp_eq_u32_e32 vcc_lo, 5, v17
	s_delay_alu instid0(VALU_DEP_2) | instskip(SKIP_1) | instid1(VALU_DEP_2)
	v_cndmask_b32_e32 v1, v1, v7, vcc_lo
	;; [unrolled: 5-line block ×5, first 2 shown]
	v_cmp_eq_u32_e32 vcc_lo, 12, v17
	v_cndmask_b32_e32 v1, v1, v14, vcc_lo
	v_cmp_eq_u32_e32 vcc_lo, 13, v17
	s_delay_alu instid0(VALU_DEP_2) | instskip(SKIP_2) | instid1(VALU_DEP_1)
	v_cndmask_b32_e32 v1, v1, v15, vcc_lo
	v_cmp_eq_u32_e32 vcc_lo, 14, v17
	v_add_co_u32 v17, s0, v17, 1
	v_add_co_ci_u32_e64 v18, s0, 0, v18, s0
	s_delay_alu instid0(VALU_DEP_2) | instskip(SKIP_1) | instid1(VALU_DEP_1)
	v_dual_cndmask_b32 v1, v1, v16 :: v_dual_add_nc_u32 v22, -1, v17
	s_waitcnt lgkmcnt(0)
	v_fmac_f32_e32 v19, v1, v21
	s_delay_alu instid0(VALU_DEP_2) | instskip(SKIP_1) | instid1(SALU_CYCLE_1)
	v_cmp_lt_u32_e32 vcc_lo, 12, v22
	s_or_b32 s2, vcc_lo, s2
	s_and_not1_b32 exec_lo, exec_lo, s2
	s_cbranch_execnz .LBB14_79
; %bb.80:
	s_set_inst_prefetch_distance 0x2
	s_or_b32 exec_lo, exec_lo, s2
	v_mov_b32_e32 v1, 0
	ds_load_b32 v1, v1 offset:56
	s_waitcnt lgkmcnt(0)
	v_mul_f32_e32 v16, v19, v1
.LBB14_81:
	s_or_b32 exec_lo, exec_lo, s1
	s_barrier
	buffer_gl0_inv
	s_cbranch_execnz .LBB14_15
	s_branch .LBB14_16
.LBB14_82:
	v_lshl_add_u32 v1, v0, 2, 64
	s_mov_b32 s0, exec_lo
	v_cmpx_eq_u32_e32 14, v0
	s_cbranch_execz .LBB14_84
; %bb.83:
	v_dual_mov_b32 v30, 0 :: v_dual_mov_b32 v17, v2
	v_dual_mov_b32 v18, v3 :: v_dual_mov_b32 v19, v4
	;; [unrolled: 1-line block ×7, first 2 shown]
	v_mov_b32_e32 v31, v16
	ds_store_b32 v1, v15
	v_mov_b32_e32 v2, v17
	v_dual_mov_b32 v3, v18 :: v_dual_mov_b32 v4, v19
	v_dual_mov_b32 v5, v20 :: v_dual_mov_b32 v6, v21
	v_dual_mov_b32 v7, v22 :: v_dual_mov_b32 v8, v23
	v_dual_mov_b32 v9, v24 :: v_dual_mov_b32 v10, v25
	v_dual_mov_b32 v11, v26 :: v_dual_mov_b32 v12, v27
	v_dual_mov_b32 v13, v28 :: v_dual_mov_b32 v14, v29
	v_dual_mov_b32 v15, v30 :: v_dual_mov_b32 v16, v31
	v_mov_b32_e32 v17, v32
.LBB14_84:
	s_or_b32 exec_lo, exec_lo, s0
	v_mov_b32_e32 v29, 0
	s_waitcnt lgkmcnt(0)
	s_waitcnt_vscnt null, 0x0
	s_barrier
	buffer_gl0_inv
	s_mov_b32 s0, exec_lo
	ds_load_b32 v17, v29 offset:120
	s_waitcnt lgkmcnt(0)
	v_fma_f32 v17, v16, v17, 0
	s_delay_alu instid0(VALU_DEP_1)
	v_sub_f32_e32 v15, v15, v17
	v_cmpx_lt_u32_e32 12, v0
	s_cbranch_execz .LBB14_86
; %bb.85:
	v_dual_mov_b32 v17, v2 :: v_dual_mov_b32 v18, v3
	v_dual_mov_b32 v19, v4 :: v_dual_mov_b32 v20, v5
	;; [unrolled: 1-line block ×7, first 2 shown]
	ds_store_b32 v1, v14
	v_mov_b32_e32 v2, v17
	v_dual_mov_b32 v3, v18 :: v_dual_mov_b32 v4, v19
	v_dual_mov_b32 v5, v20 :: v_dual_mov_b32 v6, v21
	;; [unrolled: 1-line block ×7, first 2 shown]
	v_mov_b32_e32 v17, v32
.LBB14_86:
	s_or_b32 exec_lo, exec_lo, s0
	s_waitcnt lgkmcnt(0)
	s_barrier
	buffer_gl0_inv
	ds_load_2addr_b32 v[17:18], v29 offset0:29 offset1:30
	s_mov_b32 s0, exec_lo
	s_waitcnt lgkmcnt(0)
	v_fma_f32 v17, v15, v17, 0
	s_delay_alu instid0(VALU_DEP_1) | instskip(NEXT) | instid1(VALU_DEP_1)
	v_fmac_f32_e32 v17, v16, v18
	v_sub_f32_e32 v14, v14, v17
	v_cmpx_lt_u32_e32 11, v0
	s_cbranch_execz .LBB14_88
; %bb.87:
	v_dual_mov_b32 v28, 0 :: v_dual_mov_b32 v17, v2
	v_dual_mov_b32 v18, v3 :: v_dual_mov_b32 v19, v4
	;; [unrolled: 1-line block ×7, first 2 shown]
	v_mov_b32_e32 v31, v16
	ds_store_b32 v1, v13
	v_mov_b32_e32 v2, v17
	v_dual_mov_b32 v3, v18 :: v_dual_mov_b32 v4, v19
	v_dual_mov_b32 v5, v20 :: v_dual_mov_b32 v6, v21
	v_dual_mov_b32 v7, v22 :: v_dual_mov_b32 v8, v23
	v_dual_mov_b32 v9, v24 :: v_dual_mov_b32 v10, v25
	v_dual_mov_b32 v11, v26 :: v_dual_mov_b32 v12, v27
	v_dual_mov_b32 v13, v28 :: v_dual_mov_b32 v14, v29
	v_dual_mov_b32 v15, v30 :: v_dual_mov_b32 v16, v31
	v_mov_b32_e32 v17, v32
.LBB14_88:
	s_or_b32 exec_lo, exec_lo, s0
	v_mov_b32_e32 v27, 0
	s_waitcnt lgkmcnt(0)
	s_barrier
	buffer_gl0_inv
	s_mov_b32 s0, exec_lo
	ds_load_b96 v[17:19], v27 offset:112
	s_waitcnt lgkmcnt(0)
	v_fma_f32 v17, v14, v17, 0
	s_delay_alu instid0(VALU_DEP_1) | instskip(NEXT) | instid1(VALU_DEP_1)
	v_fmac_f32_e32 v17, v15, v18
	v_fmac_f32_e32 v17, v16, v19
	s_delay_alu instid0(VALU_DEP_1)
	v_sub_f32_e32 v13, v13, v17
	v_cmpx_lt_u32_e32 10, v0
	s_cbranch_execz .LBB14_90
; %bb.89:
	v_dual_mov_b32 v17, v2 :: v_dual_mov_b32 v18, v3
	v_dual_mov_b32 v19, v4 :: v_dual_mov_b32 v20, v5
	;; [unrolled: 1-line block ×7, first 2 shown]
	ds_store_b32 v1, v12
	v_mov_b32_e32 v2, v17
	v_dual_mov_b32 v3, v18 :: v_dual_mov_b32 v4, v19
	v_dual_mov_b32 v5, v20 :: v_dual_mov_b32 v6, v21
	;; [unrolled: 1-line block ×7, first 2 shown]
	v_mov_b32_e32 v17, v32
.LBB14_90:
	s_or_b32 exec_lo, exec_lo, s0
	s_waitcnt lgkmcnt(0)
	s_barrier
	buffer_gl0_inv
	ds_load_2addr_b32 v[17:18], v27 offset0:27 offset1:28
	ds_load_2addr_b32 v[19:20], v27 offset0:29 offset1:30
	s_mov_b32 s0, exec_lo
	s_waitcnt lgkmcnt(1)
	v_fma_f32 v17, v13, v17, 0
	s_delay_alu instid0(VALU_DEP_1) | instskip(SKIP_1) | instid1(VALU_DEP_1)
	v_fmac_f32_e32 v17, v14, v18
	s_waitcnt lgkmcnt(0)
	v_fmac_f32_e32 v17, v15, v19
	s_delay_alu instid0(VALU_DEP_1) | instskip(NEXT) | instid1(VALU_DEP_1)
	v_fmac_f32_e32 v17, v16, v20
	v_sub_f32_e32 v12, v12, v17
	v_cmpx_lt_u32_e32 9, v0
	s_cbranch_execz .LBB14_92
; %bb.91:
	v_dual_mov_b32 v26, 0 :: v_dual_mov_b32 v17, v2
	v_dual_mov_b32 v18, v3 :: v_dual_mov_b32 v19, v4
	;; [unrolled: 1-line block ×7, first 2 shown]
	v_mov_b32_e32 v31, v16
	ds_store_b32 v1, v11
	v_mov_b32_e32 v2, v17
	v_dual_mov_b32 v3, v18 :: v_dual_mov_b32 v4, v19
	v_dual_mov_b32 v5, v20 :: v_dual_mov_b32 v6, v21
	;; [unrolled: 1-line block ×7, first 2 shown]
	v_mov_b32_e32 v17, v32
.LBB14_92:
	s_or_b32 exec_lo, exec_lo, s0
	v_mov_b32_e32 v25, 0
	s_waitcnt lgkmcnt(0)
	s_barrier
	buffer_gl0_inv
	s_mov_b32 s0, exec_lo
	ds_load_2addr_b64 v[17:20], v25 offset0:13 offset1:14
	ds_load_b32 v21, v25 offset:120
	s_waitcnt lgkmcnt(1)
	v_fma_f32 v17, v12, v17, 0
	s_delay_alu instid0(VALU_DEP_1) | instskip(NEXT) | instid1(VALU_DEP_1)
	v_fmac_f32_e32 v17, v13, v18
	v_fmac_f32_e32 v17, v14, v19
	s_delay_alu instid0(VALU_DEP_1) | instskip(SKIP_1) | instid1(VALU_DEP_1)
	v_fmac_f32_e32 v17, v15, v20
	s_waitcnt lgkmcnt(0)
	v_fmac_f32_e32 v17, v16, v21
	s_delay_alu instid0(VALU_DEP_1)
	v_sub_f32_e32 v11, v11, v17
	v_cmpx_lt_u32_e32 8, v0
	s_cbranch_execz .LBB14_94
; %bb.93:
	v_dual_mov_b32 v17, v2 :: v_dual_mov_b32 v18, v3
	v_dual_mov_b32 v19, v4 :: v_dual_mov_b32 v20, v5
	;; [unrolled: 1-line block ×7, first 2 shown]
	ds_store_b32 v1, v10
	v_mov_b32_e32 v2, v17
	v_dual_mov_b32 v3, v18 :: v_dual_mov_b32 v4, v19
	v_dual_mov_b32 v5, v20 :: v_dual_mov_b32 v6, v21
	;; [unrolled: 1-line block ×7, first 2 shown]
	v_mov_b32_e32 v17, v32
.LBB14_94:
	s_or_b32 exec_lo, exec_lo, s0
	s_waitcnt lgkmcnt(0)
	s_barrier
	buffer_gl0_inv
	ds_load_2addr_b32 v[17:18], v25 offset0:25 offset1:26
	ds_load_2addr_b32 v[19:20], v25 offset0:27 offset1:28
	;; [unrolled: 1-line block ×3, first 2 shown]
	s_mov_b32 s0, exec_lo
	s_waitcnt lgkmcnt(2)
	v_fma_f32 v17, v11, v17, 0
	s_delay_alu instid0(VALU_DEP_1) | instskip(SKIP_1) | instid1(VALU_DEP_1)
	v_fmac_f32_e32 v17, v12, v18
	s_waitcnt lgkmcnt(1)
	v_fmac_f32_e32 v17, v13, v19
	s_delay_alu instid0(VALU_DEP_1) | instskip(SKIP_1) | instid1(VALU_DEP_1)
	v_fmac_f32_e32 v17, v14, v20
	s_waitcnt lgkmcnt(0)
	v_fmac_f32_e32 v17, v15, v21
	s_delay_alu instid0(VALU_DEP_1) | instskip(NEXT) | instid1(VALU_DEP_1)
	v_fmac_f32_e32 v17, v16, v22
	v_sub_f32_e32 v10, v10, v17
	v_cmpx_lt_u32_e32 7, v0
	s_cbranch_execz .LBB14_96
; %bb.95:
	v_dual_mov_b32 v24, 0 :: v_dual_mov_b32 v17, v2
	v_dual_mov_b32 v18, v3 :: v_dual_mov_b32 v19, v4
	;; [unrolled: 1-line block ×7, first 2 shown]
	v_mov_b32_e32 v31, v16
	ds_store_b32 v1, v9
	v_mov_b32_e32 v2, v17
	v_dual_mov_b32 v3, v18 :: v_dual_mov_b32 v4, v19
	v_dual_mov_b32 v5, v20 :: v_dual_mov_b32 v6, v21
	;; [unrolled: 1-line block ×7, first 2 shown]
	v_mov_b32_e32 v17, v32
.LBB14_96:
	s_or_b32 exec_lo, exec_lo, s0
	v_mov_b32_e32 v23, 0
	s_waitcnt lgkmcnt(0)
	s_barrier
	buffer_gl0_inv
	s_mov_b32 s0, exec_lo
	ds_load_b128 v[17:20], v23 offset:96
	ds_load_b96 v[24:26], v23 offset:112
	s_waitcnt lgkmcnt(1)
	v_fma_f32 v17, v10, v17, 0
	s_delay_alu instid0(VALU_DEP_1) | instskip(NEXT) | instid1(VALU_DEP_1)
	v_fmac_f32_e32 v17, v11, v18
	v_fmac_f32_e32 v17, v12, v19
	s_delay_alu instid0(VALU_DEP_1) | instskip(SKIP_1) | instid1(VALU_DEP_1)
	v_fmac_f32_e32 v17, v13, v20
	s_waitcnt lgkmcnt(0)
	v_fmac_f32_e32 v17, v14, v24
	s_delay_alu instid0(VALU_DEP_1) | instskip(NEXT) | instid1(VALU_DEP_1)
	v_fmac_f32_e32 v17, v15, v25
	v_fmac_f32_e32 v17, v16, v26
	s_delay_alu instid0(VALU_DEP_1)
	v_sub_f32_e32 v9, v9, v17
	v_cmpx_lt_u32_e32 6, v0
	s_cbranch_execz .LBB14_98
; %bb.97:
	v_dual_mov_b32 v17, v2 :: v_dual_mov_b32 v18, v3
	v_dual_mov_b32 v19, v4 :: v_dual_mov_b32 v20, v5
	;; [unrolled: 1-line block ×7, first 2 shown]
	ds_store_b32 v1, v8
	v_mov_b32_e32 v2, v17
	v_dual_mov_b32 v3, v18 :: v_dual_mov_b32 v4, v19
	v_dual_mov_b32 v5, v20 :: v_dual_mov_b32 v6, v21
	v_dual_mov_b32 v7, v22 :: v_dual_mov_b32 v8, v23
	v_dual_mov_b32 v9, v24 :: v_dual_mov_b32 v10, v25
	v_dual_mov_b32 v11, v26 :: v_dual_mov_b32 v12, v27
	v_dual_mov_b32 v13, v28 :: v_dual_mov_b32 v14, v29
	v_dual_mov_b32 v15, v30 :: v_dual_mov_b32 v16, v31
	v_mov_b32_e32 v17, v32
.LBB14_98:
	s_or_b32 exec_lo, exec_lo, s0
	s_waitcnt lgkmcnt(0)
	s_barrier
	buffer_gl0_inv
	ds_load_2addr_b32 v[17:18], v23 offset0:23 offset1:24
	ds_load_2addr_b32 v[19:20], v23 offset0:25 offset1:26
	;; [unrolled: 1-line block ×4, first 2 shown]
	s_mov_b32 s0, exec_lo
	s_waitcnt lgkmcnt(3)
	v_fma_f32 v17, v9, v17, 0
	s_delay_alu instid0(VALU_DEP_1) | instskip(SKIP_1) | instid1(VALU_DEP_1)
	v_fmac_f32_e32 v17, v10, v18
	s_waitcnt lgkmcnt(2)
	v_fmac_f32_e32 v17, v11, v19
	s_delay_alu instid0(VALU_DEP_1) | instskip(SKIP_1) | instid1(VALU_DEP_1)
	v_fmac_f32_e32 v17, v12, v20
	s_waitcnt lgkmcnt(1)
	v_fmac_f32_e32 v17, v13, v21
	;; [unrolled: 4-line block ×3, first 2 shown]
	s_delay_alu instid0(VALU_DEP_1) | instskip(NEXT) | instid1(VALU_DEP_1)
	v_fmac_f32_e32 v17, v16, v24
	v_sub_f32_e32 v8, v8, v17
	v_cmpx_lt_u32_e32 5, v0
	s_cbranch_execz .LBB14_100
; %bb.99:
	v_dual_mov_b32 v22, 0 :: v_dual_mov_b32 v17, v2
	v_dual_mov_b32 v18, v3 :: v_dual_mov_b32 v19, v4
	;; [unrolled: 1-line block ×7, first 2 shown]
	v_mov_b32_e32 v31, v16
	ds_store_b32 v1, v7
	v_mov_b32_e32 v2, v17
	v_dual_mov_b32 v3, v18 :: v_dual_mov_b32 v4, v19
	v_dual_mov_b32 v5, v20 :: v_dual_mov_b32 v6, v21
	;; [unrolled: 1-line block ×7, first 2 shown]
	v_mov_b32_e32 v17, v32
.LBB14_100:
	s_or_b32 exec_lo, exec_lo, s0
	v_mov_b32_e32 v21, 0
	s_waitcnt lgkmcnt(0)
	s_barrier
	buffer_gl0_inv
	s_mov_b32 s0, exec_lo
	ds_load_2addr_b64 v[17:20], v21 offset0:11 offset1:12
	ds_load_2addr_b64 v[22:25], v21 offset0:13 offset1:14
	s_waitcnt lgkmcnt(1)
	v_fma_f32 v17, v8, v17, 0
	s_delay_alu instid0(VALU_DEP_1) | instskip(SKIP_2) | instid1(VALU_DEP_1)
	v_fmac_f32_e32 v17, v9, v18
	ds_load_b32 v18, v21 offset:120
	v_fmac_f32_e32 v17, v10, v19
	v_fmac_f32_e32 v17, v11, v20
	s_waitcnt lgkmcnt(1)
	s_delay_alu instid0(VALU_DEP_1) | instskip(NEXT) | instid1(VALU_DEP_1)
	v_fmac_f32_e32 v17, v12, v22
	v_fmac_f32_e32 v17, v13, v23
	s_delay_alu instid0(VALU_DEP_1) | instskip(NEXT) | instid1(VALU_DEP_1)
	v_fmac_f32_e32 v17, v14, v24
	v_fmac_f32_e32 v17, v15, v25
	s_waitcnt lgkmcnt(0)
	s_delay_alu instid0(VALU_DEP_1) | instskip(NEXT) | instid1(VALU_DEP_1)
	v_fmac_f32_e32 v17, v16, v18
	v_sub_f32_e32 v7, v7, v17
	v_cmpx_lt_u32_e32 4, v0
	s_cbranch_execz .LBB14_102
; %bb.101:
	v_dual_mov_b32 v17, v2 :: v_dual_mov_b32 v18, v3
	v_dual_mov_b32 v19, v4 :: v_dual_mov_b32 v20, v5
	;; [unrolled: 1-line block ×7, first 2 shown]
	ds_store_b32 v1, v6
	v_mov_b32_e32 v2, v17
	v_dual_mov_b32 v3, v18 :: v_dual_mov_b32 v4, v19
	v_dual_mov_b32 v5, v20 :: v_dual_mov_b32 v6, v21
	v_dual_mov_b32 v7, v22 :: v_dual_mov_b32 v8, v23
	v_dual_mov_b32 v9, v24 :: v_dual_mov_b32 v10, v25
	v_dual_mov_b32 v11, v26 :: v_dual_mov_b32 v12, v27
	v_dual_mov_b32 v13, v28 :: v_dual_mov_b32 v14, v29
	v_dual_mov_b32 v15, v30 :: v_dual_mov_b32 v16, v31
	v_mov_b32_e32 v17, v32
.LBB14_102:
	s_or_b32 exec_lo, exec_lo, s0
	s_waitcnt lgkmcnt(0)
	s_barrier
	buffer_gl0_inv
	ds_load_2addr_b32 v[17:18], v21 offset0:21 offset1:22
	ds_load_2addr_b32 v[19:20], v21 offset0:23 offset1:24
	ds_load_2addr_b32 v[22:23], v21 offset0:25 offset1:26
	ds_load_2addr_b32 v[24:25], v21 offset0:27 offset1:28
	s_mov_b32 s0, exec_lo
	s_waitcnt lgkmcnt(3)
	v_fma_f32 v26, v7, v17, 0
	s_delay_alu instid0(VALU_DEP_1) | instskip(SKIP_3) | instid1(VALU_DEP_1)
	v_fmac_f32_e32 v26, v8, v18
	ds_load_2addr_b32 v[17:18], v21 offset0:29 offset1:30
	s_waitcnt lgkmcnt(3)
	v_fmac_f32_e32 v26, v9, v19
	v_fmac_f32_e32 v26, v10, v20
	s_waitcnt lgkmcnt(2)
	s_delay_alu instid0(VALU_DEP_1) | instskip(NEXT) | instid1(VALU_DEP_1)
	v_fmac_f32_e32 v26, v11, v22
	v_fmac_f32_e32 v26, v12, v23
	s_waitcnt lgkmcnt(1)
	s_delay_alu instid0(VALU_DEP_1) | instskip(NEXT) | instid1(VALU_DEP_1)
	;; [unrolled: 4-line block ×3, first 2 shown]
	v_fmac_f32_e32 v26, v15, v17
	v_fmac_f32_e32 v26, v16, v18
	s_delay_alu instid0(VALU_DEP_1)
	v_sub_f32_e32 v6, v6, v26
	v_cmpx_lt_u32_e32 3, v0
	s_cbranch_execz .LBB14_104
; %bb.103:
	v_dual_mov_b32 v20, 0 :: v_dual_mov_b32 v17, v2
	v_dual_mov_b32 v18, v3 :: v_dual_mov_b32 v19, v4
	;; [unrolled: 1-line block ×7, first 2 shown]
	v_mov_b32_e32 v31, v16
	ds_store_b32 v1, v5
	v_mov_b32_e32 v2, v17
	v_dual_mov_b32 v3, v18 :: v_dual_mov_b32 v4, v19
	v_dual_mov_b32 v5, v20 :: v_dual_mov_b32 v6, v21
	;; [unrolled: 1-line block ×7, first 2 shown]
	v_mov_b32_e32 v17, v32
.LBB14_104:
	s_or_b32 exec_lo, exec_lo, s0
	v_mov_b32_e32 v19, 0
	s_waitcnt lgkmcnt(0)
	s_barrier
	buffer_gl0_inv
	s_mov_b32 s0, exec_lo
	ds_load_b128 v[20:23], v19 offset:80
	ds_load_b128 v[24:27], v19 offset:96
	s_waitcnt lgkmcnt(1)
	v_fma_f32 v17, v6, v20, 0
	s_delay_alu instid0(VALU_DEP_1) | instskip(NEXT) | instid1(VALU_DEP_1)
	v_fmac_f32_e32 v17, v7, v21
	v_fmac_f32_e32 v17, v8, v22
	ds_load_b96 v[20:22], v19 offset:112
	v_fmac_f32_e32 v17, v9, v23
	s_waitcnt lgkmcnt(1)
	s_delay_alu instid0(VALU_DEP_1) | instskip(NEXT) | instid1(VALU_DEP_1)
	v_fmac_f32_e32 v17, v10, v24
	v_fmac_f32_e32 v17, v11, v25
	s_delay_alu instid0(VALU_DEP_1) | instskip(NEXT) | instid1(VALU_DEP_1)
	v_fmac_f32_e32 v17, v12, v26
	v_fmac_f32_e32 v17, v13, v27
	s_waitcnt lgkmcnt(0)
	s_delay_alu instid0(VALU_DEP_1) | instskip(NEXT) | instid1(VALU_DEP_1)
	v_fmac_f32_e32 v17, v14, v20
	v_fmac_f32_e32 v17, v15, v21
	s_delay_alu instid0(VALU_DEP_1) | instskip(NEXT) | instid1(VALU_DEP_1)
	v_fmac_f32_e32 v17, v16, v22
	v_sub_f32_e32 v5, v5, v17
	v_cmpx_lt_u32_e32 2, v0
	s_cbranch_execz .LBB14_106
; %bb.105:
	v_dual_mov_b32 v17, v2 :: v_dual_mov_b32 v18, v3
	s_delay_alu instid0(VALU_DEP_3)
	v_dual_mov_b32 v20, v5 :: v_dual_mov_b32 v21, v6
	v_dual_mov_b32 v22, v7 :: v_dual_mov_b32 v23, v8
	;; [unrolled: 1-line block ×6, first 2 shown]
	ds_store_b32 v1, v4
	v_mov_b32_e32 v2, v17
	v_dual_mov_b32 v3, v18 :: v_dual_mov_b32 v4, v19
	v_dual_mov_b32 v5, v20 :: v_dual_mov_b32 v6, v21
	;; [unrolled: 1-line block ×7, first 2 shown]
	v_mov_b32_e32 v17, v32
.LBB14_106:
	s_or_b32 exec_lo, exec_lo, s0
	s_waitcnt lgkmcnt(0)
	s_barrier
	buffer_gl0_inv
	ds_load_2addr_b32 v[17:18], v19 offset0:19 offset1:20
	ds_load_2addr_b32 v[20:21], v19 offset0:21 offset1:22
	;; [unrolled: 1-line block ×4, first 2 shown]
	s_mov_b32 s0, exec_lo
	s_waitcnt lgkmcnt(3)
	v_fma_f32 v26, v5, v17, 0
	s_delay_alu instid0(VALU_DEP_1)
	v_fmac_f32_e32 v26, v6, v18
	ds_load_2addr_b32 v[17:18], v19 offset0:27 offset1:28
	s_waitcnt lgkmcnt(3)
	v_fmac_f32_e32 v26, v7, v20
	ds_load_2addr_b32 v[19:20], v19 offset0:29 offset1:30
	v_fmac_f32_e32 v26, v8, v21
	s_waitcnt lgkmcnt(3)
	s_delay_alu instid0(VALU_DEP_1) | instskip(NEXT) | instid1(VALU_DEP_1)
	v_fmac_f32_e32 v26, v9, v22
	v_fmac_f32_e32 v26, v10, v23
	s_waitcnt lgkmcnt(2)
	s_delay_alu instid0(VALU_DEP_1) | instskip(NEXT) | instid1(VALU_DEP_1)
	v_fmac_f32_e32 v26, v11, v24
	;; [unrolled: 4-line block ×4, first 2 shown]
	v_fmac_f32_e32 v26, v16, v20
	s_delay_alu instid0(VALU_DEP_1)
	v_sub_f32_e32 v4, v4, v26
	v_cmpx_lt_u32_e32 1, v0
	s_cbranch_execz .LBB14_108
; %bb.107:
	v_dual_mov_b32 v18, 0 :: v_dual_mov_b32 v17, v2
	s_delay_alu instid0(VALU_DEP_3)
	v_dual_mov_b32 v19, v4 :: v_dual_mov_b32 v20, v5
	v_dual_mov_b32 v21, v6 :: v_dual_mov_b32 v22, v7
	;; [unrolled: 1-line block ×6, first 2 shown]
	v_mov_b32_e32 v31, v16
	ds_store_b32 v1, v3
	v_mov_b32_e32 v2, v17
	v_dual_mov_b32 v3, v18 :: v_dual_mov_b32 v4, v19
	v_dual_mov_b32 v5, v20 :: v_dual_mov_b32 v6, v21
	;; [unrolled: 1-line block ×7, first 2 shown]
	v_mov_b32_e32 v17, v32
.LBB14_108:
	s_or_b32 exec_lo, exec_lo, s0
	v_mov_b32_e32 v18, 0
	s_waitcnt lgkmcnt(0)
	s_barrier
	buffer_gl0_inv
	s_mov_b32 s0, exec_lo
	ds_load_2addr_b64 v[19:22], v18 offset0:9 offset1:10
	ds_load_2addr_b64 v[23:26], v18 offset0:11 offset1:12
	s_waitcnt lgkmcnt(1)
	v_fma_f32 v17, v4, v19, 0
	s_delay_alu instid0(VALU_DEP_1) | instskip(NEXT) | instid1(VALU_DEP_1)
	v_fmac_f32_e32 v17, v5, v20
	v_fmac_f32_e32 v17, v6, v21
	s_delay_alu instid0(VALU_DEP_1)
	v_fmac_f32_e32 v17, v7, v22
	ds_load_2addr_b64 v[19:22], v18 offset0:13 offset1:14
	s_waitcnt lgkmcnt(1)
	v_fmac_f32_e32 v17, v8, v23
	ds_load_b32 v23, v18 offset:120
	v_fmac_f32_e32 v17, v9, v24
	s_delay_alu instid0(VALU_DEP_1) | instskip(NEXT) | instid1(VALU_DEP_1)
	v_fmac_f32_e32 v17, v10, v25
	v_fmac_f32_e32 v17, v11, v26
	s_waitcnt lgkmcnt(1)
	s_delay_alu instid0(VALU_DEP_1) | instskip(NEXT) | instid1(VALU_DEP_1)
	v_fmac_f32_e32 v17, v12, v19
	v_fmac_f32_e32 v17, v13, v20
	s_delay_alu instid0(VALU_DEP_1) | instskip(NEXT) | instid1(VALU_DEP_1)
	v_fmac_f32_e32 v17, v14, v21
	v_fmac_f32_e32 v17, v15, v22
	s_waitcnt lgkmcnt(0)
	s_delay_alu instid0(VALU_DEP_1) | instskip(NEXT) | instid1(VALU_DEP_1)
	v_fmac_f32_e32 v17, v16, v23
	v_sub_f32_e32 v3, v3, v17
	v_cmpx_ne_u32_e32 0, v0
	s_cbranch_execz .LBB14_110
; %bb.109:
	s_delay_alu instid0(VALU_DEP_2)
	v_dual_mov_b32 v19, v3 :: v_dual_mov_b32 v20, v4
	v_dual_mov_b32 v21, v5 :: v_dual_mov_b32 v22, v6
	;; [unrolled: 1-line block ×7, first 2 shown]
	ds_store_b32 v1, v2
	v_dual_mov_b32 v2, v18 :: v_dual_mov_b32 v3, v19
	v_dual_mov_b32 v4, v20 :: v_dual_mov_b32 v5, v21
	;; [unrolled: 1-line block ×8, first 2 shown]
.LBB14_110:
	s_or_b32 exec_lo, exec_lo, s0
	s_waitcnt lgkmcnt(0)
	s_barrier
	buffer_gl0_inv
	ds_load_2addr_b32 v[0:1], v18 offset0:17 offset1:18
	ds_load_2addr_b32 v[19:20], v18 offset0:19 offset1:20
	;; [unrolled: 1-line block ×4, first 2 shown]
	s_and_b32 vcc_lo, exec_lo, s16
	s_waitcnt lgkmcnt(3)
	v_fma_f32 v25, v3, v0, 0
	s_delay_alu instid0(VALU_DEP_1) | instskip(SKIP_3) | instid1(VALU_DEP_1)
	v_fmac_f32_e32 v25, v4, v1
	ds_load_2addr_b32 v[0:1], v18 offset0:25 offset1:26
	s_waitcnt lgkmcnt(3)
	v_fmac_f32_e32 v25, v5, v19
	v_fmac_f32_e32 v25, v6, v20
	ds_load_2addr_b32 v[19:20], v18 offset0:27 offset1:28
	ds_load_2addr_b32 v[17:18], v18 offset0:29 offset1:30
	s_waitcnt lgkmcnt(4)
	v_fmac_f32_e32 v25, v7, v21
	s_delay_alu instid0(VALU_DEP_1) | instskip(SKIP_1) | instid1(VALU_DEP_1)
	v_fmac_f32_e32 v25, v8, v22
	s_waitcnt lgkmcnt(3)
	v_fmac_f32_e32 v25, v9, v23
	s_delay_alu instid0(VALU_DEP_1) | instskip(SKIP_1) | instid1(VALU_DEP_1)
	v_fmac_f32_e32 v25, v10, v24
	;; [unrolled: 4-line block ×4, first 2 shown]
	s_waitcnt lgkmcnt(0)
	v_fmac_f32_e32 v25, v15, v17
	s_delay_alu instid0(VALU_DEP_1) | instskip(NEXT) | instid1(VALU_DEP_1)
	v_fmac_f32_e32 v25, v16, v18
	v_sub_f32_e32 v2, v2, v25
	s_cbranch_vccz .LBB14_140
; %bb.111:
	v_dual_mov_b32 v0, s12 :: v_dual_mov_b32 v1, s13
	s_mov_b32 s10, exec_lo
	flat_load_b32 v0, v[0:1] offset:52
	s_waitcnt vmcnt(0) lgkmcnt(0)
	v_add_nc_u32_e32 v0, -1, v0
	s_delay_alu instid0(VALU_DEP_1)
	v_cmpx_ne_u32_e32 13, v0
	s_cbranch_execz .LBB14_113
; %bb.112:
	v_cmp_eq_u32_e32 vcc_lo, 1, v0
	v_cmp_eq_u32_e64 s0, 2, v0
	v_cmp_eq_u32_e64 s1, 3, v0
	;; [unrolled: 1-line block ×10, first 2 shown]
	v_cndmask_b32_e64 v18, v4, v15, s0
	v_cndmask_b32_e32 v17, v3, v15, vcc_lo
	v_cndmask_b32_e64 v19, v5, v15, s1
	v_cndmask_b32_e64 v20, v6, v15, s2
	;; [unrolled: 1-line block ×9, first 2 shown]
	v_cndmask_b32_e32 v1, v2, v3, vcc_lo
	v_cmp_eq_u32_e32 vcc_lo, 12, v0
	s_delay_alu instid0(VALU_DEP_2) | instskip(SKIP_2) | instid1(VALU_DEP_3)
	v_cndmask_b32_e64 v1, v1, v4, s0
	v_cmp_eq_u32_e64 s0, 13, v0
	v_cndmask_b32_e32 v28, v14, v15, vcc_lo
	v_cndmask_b32_e64 v1, v1, v5, s1
	v_cmp_eq_u32_e64 s1, 14, v0
	s_delay_alu instid0(VALU_DEP_2) | instskip(NEXT) | instid1(VALU_DEP_2)
	v_cndmask_b32_e64 v1, v1, v6, s2
	v_cndmask_b32_e64 v30, v16, v15, s1
	s_delay_alu instid0(VALU_DEP_2) | instskip(NEXT) | instid1(VALU_DEP_1)
	v_cndmask_b32_e64 v1, v1, v7, s3
	v_cndmask_b32_e64 v1, v1, v8, s4
	s_delay_alu instid0(VALU_DEP_1) | instskip(NEXT) | instid1(VALU_DEP_1)
	v_cndmask_b32_e64 v1, v1, v9, s5
	v_cndmask_b32_e64 v1, v1, v10, s6
	s_delay_alu instid0(VALU_DEP_1) | instskip(NEXT) | instid1(VALU_DEP_1)
	;; [unrolled: 3-line block ×3, first 2 shown]
	v_cndmask_b32_e64 v1, v1, v13, s9
	v_cndmask_b32_e32 v1, v1, v14, vcc_lo
	v_cmp_eq_u32_e32 vcc_lo, 0, v0
	s_delay_alu instid0(VALU_DEP_2) | instskip(NEXT) | instid1(VALU_DEP_1)
	v_cndmask_b32_e64 v1, v1, v15, s0
	v_cndmask_b32_e64 v1, v1, v16, s1
	v_cndmask_b32_e32 v16, v2, v15, vcc_lo
	s_delay_alu instid0(VALU_DEP_2) | instskip(NEXT) | instid1(VALU_DEP_2)
	v_cndmask_b32_e64 v29, v1, v15, s0
	v_mov_b32_e32 v2, v16
	v_dual_mov_b32 v3, v17 :: v_dual_mov_b32 v4, v18
	v_dual_mov_b32 v5, v19 :: v_dual_mov_b32 v6, v20
	;; [unrolled: 1-line block ×7, first 2 shown]
	v_mov_b32_e32 v17, v31
.LBB14_113:
	s_or_b32 exec_lo, exec_lo, s10
	v_dual_mov_b32 v0, s12 :: v_dual_mov_b32 v1, s13
	s_mov_b32 s10, exec_lo
	flat_load_b32 v0, v[0:1] offset:48
	s_waitcnt vmcnt(0) lgkmcnt(0)
	v_add_nc_u32_e32 v0, -1, v0
	s_delay_alu instid0(VALU_DEP_1)
	v_cmpx_ne_u32_e32 12, v0
	s_cbranch_execz .LBB14_115
; %bb.114:
	v_cmp_eq_u32_e32 vcc_lo, 1, v0
	v_cmp_eq_u32_e64 s0, 2, v0
	v_cmp_eq_u32_e64 s1, 3, v0
	;; [unrolled: 1-line block ×10, first 2 shown]
	v_cndmask_b32_e64 v18, v4, v14, s0
	v_cndmask_b32_e32 v17, v3, v14, vcc_lo
	v_cndmask_b32_e64 v19, v5, v14, s1
	v_cndmask_b32_e64 v20, v6, v14, s2
	;; [unrolled: 1-line block ×9, first 2 shown]
	v_cndmask_b32_e32 v1, v2, v3, vcc_lo
	v_cmp_eq_u32_e32 vcc_lo, 12, v0
	s_delay_alu instid0(VALU_DEP_2) | instskip(SKIP_1) | instid1(VALU_DEP_2)
	v_cndmask_b32_e64 v1, v1, v4, s0
	v_cmp_eq_u32_e64 s0, 13, v0
	v_cndmask_b32_e64 v1, v1, v5, s1
	v_cmp_eq_u32_e64 s1, 14, v0
	s_delay_alu instid0(VALU_DEP_3) | instskip(NEXT) | instid1(VALU_DEP_3)
	v_cndmask_b32_e64 v29, v15, v14, s0
	v_cndmask_b32_e64 v1, v1, v6, s2
	s_delay_alu instid0(VALU_DEP_3) | instskip(NEXT) | instid1(VALU_DEP_2)
	v_cndmask_b32_e64 v30, v16, v14, s1
	v_cndmask_b32_e64 v1, v1, v7, s3
	s_delay_alu instid0(VALU_DEP_1) | instskip(NEXT) | instid1(VALU_DEP_1)
	v_cndmask_b32_e64 v1, v1, v8, s4
	v_cndmask_b32_e64 v1, v1, v9, s5
	s_delay_alu instid0(VALU_DEP_1) | instskip(NEXT) | instid1(VALU_DEP_1)
	;; [unrolled: 3-line block ×4, first 2 shown]
	v_cndmask_b32_e32 v1, v1, v14, vcc_lo
	v_cndmask_b32_e64 v1, v1, v15, s0
	s_delay_alu instid0(VALU_DEP_1) | instskip(NEXT) | instid1(VALU_DEP_1)
	v_cndmask_b32_e64 v1, v1, v16, s1
	v_cndmask_b32_e32 v28, v1, v14, vcc_lo
	v_cmp_eq_u32_e32 vcc_lo, 0, v0
	v_cndmask_b32_e32 v16, v2, v14, vcc_lo
	s_delay_alu instid0(VALU_DEP_1)
	v_mov_b32_e32 v2, v16
	v_dual_mov_b32 v4, v18 :: v_dual_mov_b32 v3, v17
	v_dual_mov_b32 v6, v20 :: v_dual_mov_b32 v5, v19
	v_dual_mov_b32 v8, v22 :: v_dual_mov_b32 v7, v21
	v_dual_mov_b32 v10, v24 :: v_dual_mov_b32 v9, v23
	v_dual_mov_b32 v12, v26 :: v_dual_mov_b32 v11, v25
	v_dual_mov_b32 v14, v28 :: v_dual_mov_b32 v13, v27
	v_dual_mov_b32 v15, v29 :: v_dual_mov_b32 v16, v30
	v_mov_b32_e32 v17, v31
.LBB14_115:
	s_or_b32 exec_lo, exec_lo, s10
	v_dual_mov_b32 v0, s12 :: v_dual_mov_b32 v1, s13
	s_mov_b32 s10, exec_lo
	flat_load_b32 v0, v[0:1] offset:44
	s_waitcnt vmcnt(0) lgkmcnt(0)
	v_add_nc_u32_e32 v0, -1, v0
	s_delay_alu instid0(VALU_DEP_1)
	v_cmpx_ne_u32_e32 11, v0
	s_cbranch_execz .LBB14_117
; %bb.116:
	v_cmp_eq_u32_e32 vcc_lo, 1, v0
	v_cmp_eq_u32_e64 s0, 2, v0
	v_cmp_eq_u32_e64 s1, 3, v0
	;; [unrolled: 1-line block ×9, first 2 shown]
	v_cndmask_b32_e64 v18, v4, v13, s0
	v_cndmask_b32_e32 v17, v3, v13, vcc_lo
	v_cndmask_b32_e64 v19, v5, v13, s1
	v_cndmask_b32_e64 v20, v6, v13, s2
	;; [unrolled: 1-line block ×8, first 2 shown]
	v_cndmask_b32_e32 v1, v2, v3, vcc_lo
	v_cmp_eq_u32_e64 s9, 11, v0
	v_cmp_eq_u32_e32 vcc_lo, 12, v0
	s_delay_alu instid0(VALU_DEP_3) | instskip(SKIP_2) | instid1(VALU_DEP_3)
	v_cndmask_b32_e64 v1, v1, v4, s0
	v_cmp_eq_u32_e64 s0, 13, v0
	v_cndmask_b32_e32 v28, v14, v13, vcc_lo
	v_cndmask_b32_e64 v1, v1, v5, s1
	v_cmp_eq_u32_e64 s1, 14, v0
	s_delay_alu instid0(VALU_DEP_4) | instskip(NEXT) | instid1(VALU_DEP_3)
	v_cndmask_b32_e64 v29, v15, v13, s0
	v_cndmask_b32_e64 v1, v1, v6, s2
	s_delay_alu instid0(VALU_DEP_3) | instskip(NEXT) | instid1(VALU_DEP_2)
	v_cndmask_b32_e64 v30, v16, v13, s1
	v_cndmask_b32_e64 v1, v1, v7, s3
	s_delay_alu instid0(VALU_DEP_1) | instskip(NEXT) | instid1(VALU_DEP_1)
	v_cndmask_b32_e64 v1, v1, v8, s4
	v_cndmask_b32_e64 v1, v1, v9, s5
	s_delay_alu instid0(VALU_DEP_1) | instskip(NEXT) | instid1(VALU_DEP_1)
	;; [unrolled: 3-line block ×3, first 2 shown]
	v_cndmask_b32_e64 v1, v1, v12, s8
	v_cndmask_b32_e64 v1, v1, v13, s9
	s_delay_alu instid0(VALU_DEP_1) | instskip(SKIP_1) | instid1(VALU_DEP_2)
	v_cndmask_b32_e32 v1, v1, v14, vcc_lo
	v_cmp_eq_u32_e32 vcc_lo, 0, v0
	v_cndmask_b32_e64 v1, v1, v15, s0
	s_delay_alu instid0(VALU_DEP_1) | instskip(SKIP_1) | instid1(VALU_DEP_2)
	v_cndmask_b32_e64 v1, v1, v16, s1
	v_cndmask_b32_e32 v16, v2, v13, vcc_lo
	v_cndmask_b32_e64 v27, v1, v13, s9
	s_delay_alu instid0(VALU_DEP_2)
	v_mov_b32_e32 v2, v16
	v_dual_mov_b32 v3, v17 :: v_dual_mov_b32 v4, v18
	v_dual_mov_b32 v5, v19 :: v_dual_mov_b32 v6, v20
	;; [unrolled: 1-line block ×7, first 2 shown]
	v_mov_b32_e32 v17, v31
.LBB14_117:
	s_or_b32 exec_lo, exec_lo, s10
	v_dual_mov_b32 v0, s12 :: v_dual_mov_b32 v1, s13
	s_mov_b32 s10, exec_lo
	flat_load_b32 v0, v[0:1] offset:40
	s_waitcnt vmcnt(0) lgkmcnt(0)
	v_add_nc_u32_e32 v0, -1, v0
	s_delay_alu instid0(VALU_DEP_1)
	v_cmpx_ne_u32_e32 10, v0
	s_cbranch_execz .LBB14_119
; %bb.118:
	v_cmp_eq_u32_e32 vcc_lo, 1, v0
	v_cmp_eq_u32_e64 s0, 2, v0
	v_cmp_eq_u32_e64 s1, 3, v0
	;; [unrolled: 1-line block ×9, first 2 shown]
	v_cndmask_b32_e64 v18, v4, v12, s0
	v_cndmask_b32_e32 v17, v3, v12, vcc_lo
	v_cndmask_b32_e64 v19, v5, v12, s1
	v_cndmask_b32_e64 v20, v6, v12, s2
	;; [unrolled: 1-line block ×8, first 2 shown]
	v_cndmask_b32_e32 v1, v2, v3, vcc_lo
	v_cmp_eq_u32_e64 s8, 10, v0
	v_cmp_eq_u32_e32 vcc_lo, 12, v0
	s_delay_alu instid0(VALU_DEP_3) | instskip(SKIP_2) | instid1(VALU_DEP_3)
	v_cndmask_b32_e64 v1, v1, v4, s0
	v_cmp_eq_u32_e64 s0, 13, v0
	v_cndmask_b32_e32 v28, v14, v12, vcc_lo
	v_cndmask_b32_e64 v1, v1, v5, s1
	v_cmp_eq_u32_e64 s1, 14, v0
	s_delay_alu instid0(VALU_DEP_4) | instskip(NEXT) | instid1(VALU_DEP_3)
	v_cndmask_b32_e64 v29, v15, v12, s0
	v_cndmask_b32_e64 v1, v1, v6, s2
	s_delay_alu instid0(VALU_DEP_3) | instskip(NEXT) | instid1(VALU_DEP_2)
	v_cndmask_b32_e64 v30, v16, v12, s1
	v_cndmask_b32_e64 v1, v1, v7, s3
	s_delay_alu instid0(VALU_DEP_1) | instskip(NEXT) | instid1(VALU_DEP_1)
	v_cndmask_b32_e64 v1, v1, v8, s4
	v_cndmask_b32_e64 v1, v1, v9, s5
	s_delay_alu instid0(VALU_DEP_1) | instskip(NEXT) | instid1(VALU_DEP_1)
	;; [unrolled: 3-line block ×3, first 2 shown]
	v_cndmask_b32_e64 v1, v1, v12, s8
	v_cndmask_b32_e64 v1, v1, v13, s9
	s_delay_alu instid0(VALU_DEP_1) | instskip(SKIP_1) | instid1(VALU_DEP_2)
	v_cndmask_b32_e32 v1, v1, v14, vcc_lo
	v_cmp_eq_u32_e32 vcc_lo, 0, v0
	v_cndmask_b32_e64 v1, v1, v15, s0
	s_delay_alu instid0(VALU_DEP_1) | instskip(SKIP_1) | instid1(VALU_DEP_2)
	v_cndmask_b32_e64 v1, v1, v16, s1
	v_cndmask_b32_e32 v16, v2, v12, vcc_lo
	v_cndmask_b32_e64 v26, v1, v12, s8
	s_delay_alu instid0(VALU_DEP_2)
	v_mov_b32_e32 v2, v16
	v_dual_mov_b32 v3, v17 :: v_dual_mov_b32 v4, v18
	v_dual_mov_b32 v5, v19 :: v_dual_mov_b32 v6, v20
	v_dual_mov_b32 v7, v21 :: v_dual_mov_b32 v8, v22
	v_dual_mov_b32 v9, v23 :: v_dual_mov_b32 v10, v24
	v_dual_mov_b32 v11, v25 :: v_dual_mov_b32 v12, v26
	v_dual_mov_b32 v13, v27 :: v_dual_mov_b32 v14, v28
	v_dual_mov_b32 v15, v29 :: v_dual_mov_b32 v16, v30
	v_mov_b32_e32 v17, v31
.LBB14_119:
	s_or_b32 exec_lo, exec_lo, s10
	v_dual_mov_b32 v0, s12 :: v_dual_mov_b32 v1, s13
	s_mov_b32 s10, exec_lo
	flat_load_b32 v0, v[0:1] offset:36
	s_waitcnt vmcnt(0) lgkmcnt(0)
	v_add_nc_u32_e32 v0, -1, v0
	s_delay_alu instid0(VALU_DEP_1)
	v_cmpx_ne_u32_e32 9, v0
	s_cbranch_execz .LBB14_121
; %bb.120:
	v_cmp_eq_u32_e32 vcc_lo, 1, v0
	v_cmp_eq_u32_e64 s0, 2, v0
	v_cmp_eq_u32_e64 s1, 3, v0
	;; [unrolled: 1-line block ×9, first 2 shown]
	v_cndmask_b32_e64 v18, v4, v11, s0
	v_cndmask_b32_e32 v17, v3, v11, vcc_lo
	v_cndmask_b32_e64 v19, v5, v11, s1
	v_cndmask_b32_e64 v20, v6, v11, s2
	;; [unrolled: 1-line block ×8, first 2 shown]
	v_cndmask_b32_e32 v1, v2, v3, vcc_lo
	v_cmp_eq_u32_e64 s7, 9, v0
	v_cmp_eq_u32_e32 vcc_lo, 12, v0
	s_delay_alu instid0(VALU_DEP_3) | instskip(SKIP_2) | instid1(VALU_DEP_3)
	v_cndmask_b32_e64 v1, v1, v4, s0
	v_cmp_eq_u32_e64 s0, 13, v0
	v_cndmask_b32_e32 v28, v14, v11, vcc_lo
	v_cndmask_b32_e64 v1, v1, v5, s1
	v_cmp_eq_u32_e64 s1, 14, v0
	s_delay_alu instid0(VALU_DEP_4) | instskip(NEXT) | instid1(VALU_DEP_3)
	v_cndmask_b32_e64 v29, v15, v11, s0
	v_cndmask_b32_e64 v1, v1, v6, s2
	s_delay_alu instid0(VALU_DEP_3) | instskip(NEXT) | instid1(VALU_DEP_2)
	v_cndmask_b32_e64 v30, v16, v11, s1
	v_cndmask_b32_e64 v1, v1, v7, s3
	s_delay_alu instid0(VALU_DEP_1) | instskip(NEXT) | instid1(VALU_DEP_1)
	v_cndmask_b32_e64 v1, v1, v8, s4
	v_cndmask_b32_e64 v1, v1, v9, s5
	s_delay_alu instid0(VALU_DEP_1) | instskip(NEXT) | instid1(VALU_DEP_1)
	;; [unrolled: 3-line block ×3, first 2 shown]
	v_cndmask_b32_e64 v1, v1, v12, s8
	v_cndmask_b32_e64 v1, v1, v13, s9
	s_delay_alu instid0(VALU_DEP_1) | instskip(SKIP_1) | instid1(VALU_DEP_2)
	v_cndmask_b32_e32 v1, v1, v14, vcc_lo
	v_cmp_eq_u32_e32 vcc_lo, 0, v0
	v_cndmask_b32_e64 v1, v1, v15, s0
	s_delay_alu instid0(VALU_DEP_1) | instskip(SKIP_1) | instid1(VALU_DEP_2)
	v_cndmask_b32_e64 v1, v1, v16, s1
	v_cndmask_b32_e32 v16, v2, v11, vcc_lo
	v_cndmask_b32_e64 v25, v1, v11, s7
	s_delay_alu instid0(VALU_DEP_2)
	v_mov_b32_e32 v2, v16
	v_dual_mov_b32 v3, v17 :: v_dual_mov_b32 v4, v18
	v_dual_mov_b32 v5, v19 :: v_dual_mov_b32 v6, v20
	;; [unrolled: 1-line block ×7, first 2 shown]
	v_mov_b32_e32 v17, v31
.LBB14_121:
	s_or_b32 exec_lo, exec_lo, s10
	v_dual_mov_b32 v0, s12 :: v_dual_mov_b32 v1, s13
	s_mov_b32 s10, exec_lo
	flat_load_b32 v0, v[0:1] offset:32
	s_waitcnt vmcnt(0) lgkmcnt(0)
	v_add_nc_u32_e32 v0, -1, v0
	s_delay_alu instid0(VALU_DEP_1)
	v_cmpx_ne_u32_e32 8, v0
	s_cbranch_execz .LBB14_123
; %bb.122:
	v_cmp_eq_u32_e32 vcc_lo, 1, v0
	v_cmp_eq_u32_e64 s0, 2, v0
	v_cmp_eq_u32_e64 s1, 3, v0
	;; [unrolled: 1-line block ×9, first 2 shown]
	v_cndmask_b32_e64 v18, v4, v10, s0
	v_cndmask_b32_e32 v17, v3, v10, vcc_lo
	v_cndmask_b32_e64 v19, v5, v10, s1
	v_cndmask_b32_e64 v20, v6, v10, s2
	;; [unrolled: 1-line block ×8, first 2 shown]
	v_cndmask_b32_e32 v1, v2, v3, vcc_lo
	v_cmp_eq_u32_e64 s6, 8, v0
	v_cmp_eq_u32_e32 vcc_lo, 12, v0
	s_delay_alu instid0(VALU_DEP_3) | instskip(SKIP_2) | instid1(VALU_DEP_3)
	v_cndmask_b32_e64 v1, v1, v4, s0
	v_cmp_eq_u32_e64 s0, 13, v0
	v_cndmask_b32_e32 v28, v14, v10, vcc_lo
	v_cndmask_b32_e64 v1, v1, v5, s1
	v_cmp_eq_u32_e64 s1, 14, v0
	s_delay_alu instid0(VALU_DEP_4) | instskip(NEXT) | instid1(VALU_DEP_3)
	v_cndmask_b32_e64 v29, v15, v10, s0
	v_cndmask_b32_e64 v1, v1, v6, s2
	s_delay_alu instid0(VALU_DEP_3) | instskip(NEXT) | instid1(VALU_DEP_2)
	v_cndmask_b32_e64 v30, v16, v10, s1
	v_cndmask_b32_e64 v1, v1, v7, s3
	s_delay_alu instid0(VALU_DEP_1) | instskip(NEXT) | instid1(VALU_DEP_1)
	v_cndmask_b32_e64 v1, v1, v8, s4
	v_cndmask_b32_e64 v1, v1, v9, s5
	s_delay_alu instid0(VALU_DEP_1) | instskip(NEXT) | instid1(VALU_DEP_1)
	;; [unrolled: 3-line block ×3, first 2 shown]
	v_cndmask_b32_e64 v1, v1, v12, s8
	v_cndmask_b32_e64 v1, v1, v13, s9
	s_delay_alu instid0(VALU_DEP_1) | instskip(SKIP_1) | instid1(VALU_DEP_2)
	v_cndmask_b32_e32 v1, v1, v14, vcc_lo
	v_cmp_eq_u32_e32 vcc_lo, 0, v0
	v_cndmask_b32_e64 v1, v1, v15, s0
	s_delay_alu instid0(VALU_DEP_1) | instskip(SKIP_1) | instid1(VALU_DEP_2)
	v_cndmask_b32_e64 v1, v1, v16, s1
	v_cndmask_b32_e32 v16, v2, v10, vcc_lo
	v_cndmask_b32_e64 v24, v1, v10, s6
	s_delay_alu instid0(VALU_DEP_2)
	v_mov_b32_e32 v2, v16
	v_dual_mov_b32 v4, v18 :: v_dual_mov_b32 v3, v17
	v_dual_mov_b32 v6, v20 :: v_dual_mov_b32 v5, v19
	;; [unrolled: 1-line block ×7, first 2 shown]
	v_mov_b32_e32 v17, v31
.LBB14_123:
	s_or_b32 exec_lo, exec_lo, s10
	v_dual_mov_b32 v0, s12 :: v_dual_mov_b32 v1, s13
	s_mov_b32 s10, exec_lo
	flat_load_b32 v0, v[0:1] offset:28
	s_waitcnt vmcnt(0) lgkmcnt(0)
	v_add_nc_u32_e32 v0, -1, v0
	s_delay_alu instid0(VALU_DEP_1)
	v_cmpx_ne_u32_e32 7, v0
	s_cbranch_execz .LBB14_125
; %bb.124:
	v_cmp_eq_u32_e32 vcc_lo, 1, v0
	v_cmp_eq_u32_e64 s0, 2, v0
	v_cmp_eq_u32_e64 s1, 3, v0
	;; [unrolled: 1-line block ×9, first 2 shown]
	v_cndmask_b32_e64 v18, v4, v9, s0
	v_cndmask_b32_e32 v17, v3, v9, vcc_lo
	v_cndmask_b32_e64 v19, v5, v9, s1
	v_cndmask_b32_e64 v20, v6, v9, s2
	;; [unrolled: 1-line block ×8, first 2 shown]
	v_cndmask_b32_e32 v1, v2, v3, vcc_lo
	v_cmp_eq_u32_e64 s5, 7, v0
	v_cmp_eq_u32_e32 vcc_lo, 12, v0
	s_delay_alu instid0(VALU_DEP_3) | instskip(SKIP_2) | instid1(VALU_DEP_3)
	v_cndmask_b32_e64 v1, v1, v4, s0
	v_cmp_eq_u32_e64 s0, 13, v0
	v_cndmask_b32_e32 v28, v14, v9, vcc_lo
	v_cndmask_b32_e64 v1, v1, v5, s1
	v_cmp_eq_u32_e64 s1, 14, v0
	s_delay_alu instid0(VALU_DEP_4) | instskip(NEXT) | instid1(VALU_DEP_3)
	v_cndmask_b32_e64 v29, v15, v9, s0
	v_cndmask_b32_e64 v1, v1, v6, s2
	s_delay_alu instid0(VALU_DEP_3) | instskip(NEXT) | instid1(VALU_DEP_2)
	v_cndmask_b32_e64 v30, v16, v9, s1
	v_cndmask_b32_e64 v1, v1, v7, s3
	s_delay_alu instid0(VALU_DEP_1) | instskip(NEXT) | instid1(VALU_DEP_1)
	v_cndmask_b32_e64 v1, v1, v8, s4
	v_cndmask_b32_e64 v1, v1, v9, s5
	s_delay_alu instid0(VALU_DEP_1) | instskip(NEXT) | instid1(VALU_DEP_1)
	;; [unrolled: 3-line block ×3, first 2 shown]
	v_cndmask_b32_e64 v1, v1, v12, s8
	v_cndmask_b32_e64 v1, v1, v13, s9
	s_delay_alu instid0(VALU_DEP_1) | instskip(SKIP_1) | instid1(VALU_DEP_2)
	v_cndmask_b32_e32 v1, v1, v14, vcc_lo
	v_cmp_eq_u32_e32 vcc_lo, 0, v0
	v_cndmask_b32_e64 v1, v1, v15, s0
	s_delay_alu instid0(VALU_DEP_1) | instskip(SKIP_1) | instid1(VALU_DEP_2)
	v_cndmask_b32_e64 v1, v1, v16, s1
	v_cndmask_b32_e32 v16, v2, v9, vcc_lo
	v_cndmask_b32_e64 v23, v1, v9, s5
	s_delay_alu instid0(VALU_DEP_2)
	v_mov_b32_e32 v2, v16
	v_dual_mov_b32 v3, v17 :: v_dual_mov_b32 v4, v18
	v_dual_mov_b32 v5, v19 :: v_dual_mov_b32 v6, v20
	;; [unrolled: 1-line block ×7, first 2 shown]
	v_mov_b32_e32 v17, v31
.LBB14_125:
	s_or_b32 exec_lo, exec_lo, s10
	v_dual_mov_b32 v0, s12 :: v_dual_mov_b32 v1, s13
	s_mov_b32 s10, exec_lo
	flat_load_b32 v0, v[0:1] offset:24
	s_waitcnt vmcnt(0) lgkmcnt(0)
	v_add_nc_u32_e32 v0, -1, v0
	s_delay_alu instid0(VALU_DEP_1)
	v_cmpx_ne_u32_e32 6, v0
	s_cbranch_execz .LBB14_127
; %bb.126:
	v_cmp_eq_u32_e32 vcc_lo, 1, v0
	v_cmp_eq_u32_e64 s0, 2, v0
	v_cmp_eq_u32_e64 s1, 3, v0
	;; [unrolled: 1-line block ×9, first 2 shown]
	v_cndmask_b32_e64 v18, v4, v8, s0
	v_cndmask_b32_e32 v17, v3, v8, vcc_lo
	v_cndmask_b32_e64 v19, v5, v8, s1
	v_cndmask_b32_e64 v20, v6, v8, s2
	;; [unrolled: 1-line block ×8, first 2 shown]
	v_cndmask_b32_e32 v1, v2, v3, vcc_lo
	v_cmp_eq_u32_e64 s4, 6, v0
	v_cmp_eq_u32_e32 vcc_lo, 12, v0
	s_delay_alu instid0(VALU_DEP_3) | instskip(SKIP_2) | instid1(VALU_DEP_3)
	v_cndmask_b32_e64 v1, v1, v4, s0
	v_cmp_eq_u32_e64 s0, 13, v0
	v_cndmask_b32_e32 v28, v14, v8, vcc_lo
	v_cndmask_b32_e64 v1, v1, v5, s1
	v_cmp_eq_u32_e64 s1, 14, v0
	s_delay_alu instid0(VALU_DEP_4) | instskip(NEXT) | instid1(VALU_DEP_3)
	v_cndmask_b32_e64 v29, v15, v8, s0
	v_cndmask_b32_e64 v1, v1, v6, s2
	s_delay_alu instid0(VALU_DEP_3) | instskip(NEXT) | instid1(VALU_DEP_2)
	v_cndmask_b32_e64 v30, v16, v8, s1
	v_cndmask_b32_e64 v1, v1, v7, s3
	s_delay_alu instid0(VALU_DEP_1) | instskip(NEXT) | instid1(VALU_DEP_1)
	v_cndmask_b32_e64 v1, v1, v8, s4
	v_cndmask_b32_e64 v1, v1, v9, s5
	s_delay_alu instid0(VALU_DEP_1) | instskip(NEXT) | instid1(VALU_DEP_1)
	v_cndmask_b32_e64 v1, v1, v10, s6
	v_cndmask_b32_e64 v1, v1, v11, s7
	s_delay_alu instid0(VALU_DEP_1) | instskip(NEXT) | instid1(VALU_DEP_1)
	v_cndmask_b32_e64 v1, v1, v12, s8
	v_cndmask_b32_e64 v1, v1, v13, s9
	s_delay_alu instid0(VALU_DEP_1) | instskip(SKIP_1) | instid1(VALU_DEP_2)
	v_cndmask_b32_e32 v1, v1, v14, vcc_lo
	v_cmp_eq_u32_e32 vcc_lo, 0, v0
	v_cndmask_b32_e64 v1, v1, v15, s0
	s_delay_alu instid0(VALU_DEP_1) | instskip(SKIP_1) | instid1(VALU_DEP_2)
	v_cndmask_b32_e64 v1, v1, v16, s1
	v_cndmask_b32_e32 v16, v2, v8, vcc_lo
	v_cndmask_b32_e64 v22, v1, v8, s4
	s_delay_alu instid0(VALU_DEP_2) | instskip(SKIP_2) | instid1(VALU_DEP_4)
	v_mov_b32_e32 v2, v16
	v_dual_mov_b32 v3, v17 :: v_dual_mov_b32 v4, v18
	v_dual_mov_b32 v5, v19 :: v_dual_mov_b32 v6, v20
	;; [unrolled: 1-line block ×7, first 2 shown]
	v_mov_b32_e32 v17, v31
.LBB14_127:
	s_or_b32 exec_lo, exec_lo, s10
	v_dual_mov_b32 v0, s12 :: v_dual_mov_b32 v1, s13
	s_mov_b32 s10, exec_lo
	flat_load_b32 v0, v[0:1] offset:20
	s_waitcnt vmcnt(0) lgkmcnt(0)
	v_add_nc_u32_e32 v0, -1, v0
	s_delay_alu instid0(VALU_DEP_1)
	v_cmpx_ne_u32_e32 5, v0
	s_cbranch_execz .LBB14_129
; %bb.128:
	v_cmp_eq_u32_e32 vcc_lo, 1, v0
	v_cmp_eq_u32_e64 s0, 2, v0
	v_cmp_eq_u32_e64 s1, 3, v0
	;; [unrolled: 1-line block ×9, first 2 shown]
	v_cndmask_b32_e64 v18, v4, v7, s0
	v_cndmask_b32_e32 v17, v3, v7, vcc_lo
	v_cndmask_b32_e64 v19, v5, v7, s1
	v_cndmask_b32_e64 v20, v6, v7, s2
	;; [unrolled: 1-line block ×8, first 2 shown]
	v_cndmask_b32_e32 v1, v2, v3, vcc_lo
	v_cmp_eq_u32_e64 s3, 5, v0
	v_cmp_eq_u32_e32 vcc_lo, 12, v0
	s_delay_alu instid0(VALU_DEP_3) | instskip(SKIP_2) | instid1(VALU_DEP_3)
	v_cndmask_b32_e64 v1, v1, v4, s0
	v_cmp_eq_u32_e64 s0, 13, v0
	v_cndmask_b32_e32 v28, v14, v7, vcc_lo
	v_cndmask_b32_e64 v1, v1, v5, s1
	v_cmp_eq_u32_e64 s1, 14, v0
	s_delay_alu instid0(VALU_DEP_4) | instskip(NEXT) | instid1(VALU_DEP_3)
	v_cndmask_b32_e64 v29, v15, v7, s0
	v_cndmask_b32_e64 v1, v1, v6, s2
	s_delay_alu instid0(VALU_DEP_3) | instskip(NEXT) | instid1(VALU_DEP_2)
	v_cndmask_b32_e64 v30, v16, v7, s1
	v_cndmask_b32_e64 v1, v1, v7, s3
	s_delay_alu instid0(VALU_DEP_1) | instskip(NEXT) | instid1(VALU_DEP_1)
	v_cndmask_b32_e64 v1, v1, v8, s4
	v_cndmask_b32_e64 v1, v1, v9, s5
	s_delay_alu instid0(VALU_DEP_1) | instskip(NEXT) | instid1(VALU_DEP_1)
	;; [unrolled: 3-line block ×3, first 2 shown]
	v_cndmask_b32_e64 v1, v1, v12, s8
	v_cndmask_b32_e64 v1, v1, v13, s9
	s_delay_alu instid0(VALU_DEP_1) | instskip(SKIP_1) | instid1(VALU_DEP_2)
	v_cndmask_b32_e32 v1, v1, v14, vcc_lo
	v_cmp_eq_u32_e32 vcc_lo, 0, v0
	v_cndmask_b32_e64 v1, v1, v15, s0
	s_delay_alu instid0(VALU_DEP_1) | instskip(SKIP_1) | instid1(VALU_DEP_2)
	v_cndmask_b32_e64 v1, v1, v16, s1
	v_cndmask_b32_e32 v16, v2, v7, vcc_lo
	v_cndmask_b32_e64 v21, v1, v7, s3
	s_delay_alu instid0(VALU_DEP_2) | instskip(SKIP_2) | instid1(VALU_DEP_4)
	v_mov_b32_e32 v2, v16
	v_dual_mov_b32 v3, v17 :: v_dual_mov_b32 v4, v18
	v_dual_mov_b32 v5, v19 :: v_dual_mov_b32 v6, v20
	v_dual_mov_b32 v7, v21 :: v_dual_mov_b32 v8, v22
	v_dual_mov_b32 v9, v23 :: v_dual_mov_b32 v10, v24
	v_dual_mov_b32 v11, v25 :: v_dual_mov_b32 v12, v26
	v_dual_mov_b32 v13, v27 :: v_dual_mov_b32 v14, v28
	v_dual_mov_b32 v15, v29 :: v_dual_mov_b32 v16, v30
	v_mov_b32_e32 v17, v31
.LBB14_129:
	s_or_b32 exec_lo, exec_lo, s10
	v_dual_mov_b32 v0, s12 :: v_dual_mov_b32 v1, s13
	s_mov_b32 s10, exec_lo
	flat_load_b32 v0, v[0:1] offset:16
	s_waitcnt vmcnt(0) lgkmcnt(0)
	v_add_nc_u32_e32 v0, -1, v0
	s_delay_alu instid0(VALU_DEP_1)
	v_cmpx_ne_u32_e32 4, v0
	s_cbranch_execz .LBB14_131
; %bb.130:
	v_cmp_eq_u32_e32 vcc_lo, 1, v0
	v_cmp_eq_u32_e64 s0, 2, v0
	v_cmp_eq_u32_e64 s1, 3, v0
	;; [unrolled: 1-line block ×9, first 2 shown]
	v_cndmask_b32_e64 v18, v4, v6, s0
	v_cndmask_b32_e32 v17, v3, v6, vcc_lo
	v_cndmask_b32_e64 v19, v5, v6, s1
	v_cndmask_b32_e64 v21, v7, v6, s3
	;; [unrolled: 1-line block ×8, first 2 shown]
	v_cndmask_b32_e32 v1, v2, v3, vcc_lo
	v_cmp_eq_u32_e64 s2, 4, v0
	v_cmp_eq_u32_e32 vcc_lo, 12, v0
	s_delay_alu instid0(VALU_DEP_3) | instskip(SKIP_2) | instid1(VALU_DEP_3)
	v_cndmask_b32_e64 v1, v1, v4, s0
	v_cmp_eq_u32_e64 s0, 13, v0
	v_cndmask_b32_e32 v28, v14, v6, vcc_lo
	v_cndmask_b32_e64 v1, v1, v5, s1
	v_cmp_eq_u32_e64 s1, 14, v0
	s_delay_alu instid0(VALU_DEP_4) | instskip(NEXT) | instid1(VALU_DEP_3)
	v_cndmask_b32_e64 v29, v15, v6, s0
	v_cndmask_b32_e64 v1, v1, v6, s2
	s_delay_alu instid0(VALU_DEP_3) | instskip(NEXT) | instid1(VALU_DEP_2)
	v_cndmask_b32_e64 v30, v16, v6, s1
	v_cndmask_b32_e64 v1, v1, v7, s3
	s_delay_alu instid0(VALU_DEP_1) | instskip(NEXT) | instid1(VALU_DEP_1)
	v_cndmask_b32_e64 v1, v1, v8, s4
	v_cndmask_b32_e64 v1, v1, v9, s5
	s_delay_alu instid0(VALU_DEP_1) | instskip(NEXT) | instid1(VALU_DEP_1)
	;; [unrolled: 3-line block ×3, first 2 shown]
	v_cndmask_b32_e64 v1, v1, v12, s8
	v_cndmask_b32_e64 v1, v1, v13, s9
	s_delay_alu instid0(VALU_DEP_1) | instskip(SKIP_1) | instid1(VALU_DEP_2)
	v_cndmask_b32_e32 v1, v1, v14, vcc_lo
	v_cmp_eq_u32_e32 vcc_lo, 0, v0
	v_cndmask_b32_e64 v1, v1, v15, s0
	s_delay_alu instid0(VALU_DEP_1) | instskip(SKIP_1) | instid1(VALU_DEP_2)
	v_cndmask_b32_e64 v1, v1, v16, s1
	v_cndmask_b32_e32 v16, v2, v6, vcc_lo
	v_cndmask_b32_e64 v20, v1, v6, s2
	s_delay_alu instid0(VALU_DEP_2) | instskip(SKIP_2) | instid1(VALU_DEP_4)
	v_mov_b32_e32 v2, v16
	v_dual_mov_b32 v4, v18 :: v_dual_mov_b32 v3, v17
	v_dual_mov_b32 v5, v19 :: v_dual_mov_b32 v8, v22
	;; [unrolled: 1-line block ×7, first 2 shown]
	v_mov_b32_e32 v17, v31
.LBB14_131:
	s_or_b32 exec_lo, exec_lo, s10
	v_dual_mov_b32 v0, s12 :: v_dual_mov_b32 v1, s13
	s_mov_b32 s10, exec_lo
	flat_load_b32 v0, v[0:1] offset:12
	s_waitcnt vmcnt(0) lgkmcnt(0)
	v_add_nc_u32_e32 v0, -1, v0
	s_delay_alu instid0(VALU_DEP_1)
	v_cmpx_ne_u32_e32 3, v0
	s_cbranch_execz .LBB14_133
; %bb.132:
	v_cmp_eq_u32_e32 vcc_lo, 1, v0
	v_cmp_eq_u32_e64 s0, 2, v0
	v_cmp_eq_u32_e64 s2, 4, v0
	;; [unrolled: 1-line block ×9, first 2 shown]
	v_cndmask_b32_e64 v18, v4, v5, s0
	v_cndmask_b32_e32 v17, v3, v5, vcc_lo
	v_cndmask_b32_e64 v20, v6, v5, s2
	v_cndmask_b32_e64 v21, v7, v5, s3
	;; [unrolled: 1-line block ×8, first 2 shown]
	v_cndmask_b32_e32 v1, v2, v3, vcc_lo
	v_cmp_eq_u32_e64 s1, 3, v0
	v_cmp_eq_u32_e32 vcc_lo, 12, v0
	s_delay_alu instid0(VALU_DEP_3) | instskip(SKIP_2) | instid1(VALU_DEP_3)
	v_cndmask_b32_e64 v1, v1, v4, s0
	v_cmp_eq_u32_e64 s0, 13, v0
	v_cndmask_b32_e32 v28, v14, v5, vcc_lo
	v_cndmask_b32_e64 v1, v1, v5, s1
	s_delay_alu instid0(VALU_DEP_3) | instskip(NEXT) | instid1(VALU_DEP_2)
	v_cndmask_b32_e64 v29, v15, v5, s0
	v_cndmask_b32_e64 v1, v1, v6, s2
	v_cmp_eq_u32_e64 s2, 14, v0
	s_delay_alu instid0(VALU_DEP_2) | instskip(NEXT) | instid1(VALU_DEP_2)
	v_cndmask_b32_e64 v1, v1, v7, s3
	v_cndmask_b32_e64 v30, v16, v5, s2
	s_delay_alu instid0(VALU_DEP_2) | instskip(NEXT) | instid1(VALU_DEP_1)
	v_cndmask_b32_e64 v1, v1, v8, s4
	v_cndmask_b32_e64 v1, v1, v9, s5
	s_delay_alu instid0(VALU_DEP_1) | instskip(NEXT) | instid1(VALU_DEP_1)
	v_cndmask_b32_e64 v1, v1, v10, s6
	v_cndmask_b32_e64 v1, v1, v11, s7
	s_delay_alu instid0(VALU_DEP_1) | instskip(NEXT) | instid1(VALU_DEP_1)
	v_cndmask_b32_e64 v1, v1, v12, s8
	v_cndmask_b32_e64 v1, v1, v13, s9
	s_delay_alu instid0(VALU_DEP_1) | instskip(SKIP_1) | instid1(VALU_DEP_2)
	v_cndmask_b32_e32 v1, v1, v14, vcc_lo
	v_cmp_eq_u32_e32 vcc_lo, 0, v0
	v_cndmask_b32_e64 v1, v1, v15, s0
	s_delay_alu instid0(VALU_DEP_1) | instskip(SKIP_1) | instid1(VALU_DEP_2)
	v_cndmask_b32_e64 v1, v1, v16, s2
	v_cndmask_b32_e32 v16, v2, v5, vcc_lo
	v_cndmask_b32_e64 v19, v1, v5, s1
	s_delay_alu instid0(VALU_DEP_2) | instskip(SKIP_1) | instid1(VALU_DEP_3)
	v_mov_b32_e32 v2, v16
	v_dual_mov_b32 v3, v17 :: v_dual_mov_b32 v4, v18
	v_dual_mov_b32 v6, v20 :: v_dual_mov_b32 v5, v19
	;; [unrolled: 1-line block ×7, first 2 shown]
	v_mov_b32_e32 v17, v31
.LBB14_133:
	s_or_b32 exec_lo, exec_lo, s10
	v_dual_mov_b32 v0, s12 :: v_dual_mov_b32 v1, s13
	s_mov_b32 s10, exec_lo
	flat_load_b32 v0, v[0:1] offset:8
	s_waitcnt vmcnt(0) lgkmcnt(0)
	v_add_nc_u32_e32 v0, -1, v0
	s_delay_alu instid0(VALU_DEP_1)
	v_cmpx_ne_u32_e32 2, v0
	s_cbranch_execz .LBB14_135
; %bb.134:
	v_cmp_eq_u32_e32 vcc_lo, 1, v0
	v_cmp_eq_u32_e64 s1, 3, v0
	v_cmp_eq_u32_e64 s2, 4, v0
	;; [unrolled: 1-line block ×10, first 2 shown]
	v_cndmask_b32_e32 v17, v3, v4, vcc_lo
	v_cndmask_b32_e64 v19, v5, v4, s1
	v_cndmask_b32_e64 v20, v6, v4, s2
	;; [unrolled: 1-line block ×9, first 2 shown]
	v_cndmask_b32_e32 v1, v2, v3, vcc_lo
	v_cmp_eq_u32_e32 vcc_lo, 12, v0
	s_delay_alu instid0(VALU_DEP_2) | instskip(SKIP_1) | instid1(VALU_DEP_2)
	v_cndmask_b32_e64 v1, v1, v4, s0
	v_cndmask_b32_e32 v28, v14, v4, vcc_lo
	v_cndmask_b32_e64 v1, v1, v5, s1
	v_cmp_eq_u32_e64 s1, 13, v0
	s_delay_alu instid0(VALU_DEP_2) | instskip(SKIP_1) | instid1(VALU_DEP_3)
	v_cndmask_b32_e64 v1, v1, v6, s2
	v_cmp_eq_u32_e64 s2, 14, v0
	v_cndmask_b32_e64 v29, v15, v4, s1
	s_delay_alu instid0(VALU_DEP_3) | instskip(NEXT) | instid1(VALU_DEP_3)
	v_cndmask_b32_e64 v1, v1, v7, s3
	v_cndmask_b32_e64 v30, v16, v4, s2
	s_delay_alu instid0(VALU_DEP_2) | instskip(NEXT) | instid1(VALU_DEP_1)
	v_cndmask_b32_e64 v1, v1, v8, s4
	v_cndmask_b32_e64 v1, v1, v9, s5
	s_delay_alu instid0(VALU_DEP_1) | instskip(NEXT) | instid1(VALU_DEP_1)
	v_cndmask_b32_e64 v1, v1, v10, s6
	v_cndmask_b32_e64 v1, v1, v11, s7
	s_delay_alu instid0(VALU_DEP_1) | instskip(NEXT) | instid1(VALU_DEP_1)
	v_cndmask_b32_e64 v1, v1, v12, s8
	v_cndmask_b32_e64 v1, v1, v13, s9
	s_delay_alu instid0(VALU_DEP_1) | instskip(SKIP_1) | instid1(VALU_DEP_2)
	v_cndmask_b32_e32 v1, v1, v14, vcc_lo
	v_cmp_eq_u32_e32 vcc_lo, 0, v0
	v_cndmask_b32_e64 v1, v1, v15, s1
	s_delay_alu instid0(VALU_DEP_1) | instskip(SKIP_1) | instid1(VALU_DEP_2)
	v_cndmask_b32_e64 v1, v1, v16, s2
	v_cndmask_b32_e32 v16, v2, v4, vcc_lo
	v_cndmask_b32_e64 v18, v1, v4, s0
	s_delay_alu instid0(VALU_DEP_2) | instskip(SKIP_2) | instid1(VALU_DEP_4)
	v_mov_b32_e32 v2, v16
	v_mov_b32_e32 v3, v17
	v_dual_mov_b32 v5, v19 :: v_dual_mov_b32 v6, v20
	v_dual_mov_b32 v4, v18 :: v_dual_mov_b32 v7, v21
	;; [unrolled: 1-line block ×6, first 2 shown]
	v_mov_b32_e32 v16, v30
	v_mov_b32_e32 v17, v31
.LBB14_135:
	s_or_b32 exec_lo, exec_lo, s10
	v_dual_mov_b32 v0, s12 :: v_dual_mov_b32 v1, s13
	s_mov_b32 s10, exec_lo
	flat_load_b32 v0, v[0:1] offset:4
	s_waitcnt vmcnt(0) lgkmcnt(0)
	v_add_nc_u32_e32 v0, -1, v0
	s_delay_alu instid0(VALU_DEP_1)
	v_cmpx_ne_u32_e32 1, v0
	s_cbranch_execz .LBB14_137
; %bb.136:
	v_cmp_eq_u32_e32 vcc_lo, 1, v0
	v_cmp_eq_u32_e64 s0, 2, v0
	v_cmp_eq_u32_e64 s1, 3, v0
	;; [unrolled: 1-line block ×10, first 2 shown]
	v_cndmask_b32_e64 v17, v4, v3, s0
	v_cndmask_b32_e64 v18, v5, v3, s1
	;; [unrolled: 1-line block ×10, first 2 shown]
	v_cndmask_b32_e32 v1, v2, v3, vcc_lo
	s_delay_alu instid0(VALU_DEP_1) | instskip(SKIP_1) | instid1(VALU_DEP_2)
	v_cndmask_b32_e64 v1, v1, v4, s0
	v_cmp_eq_u32_e64 s0, 12, v0
	v_cndmask_b32_e64 v1, v1, v5, s1
	v_cmp_eq_u32_e64 s1, 13, v0
	s_delay_alu instid0(VALU_DEP_3) | instskip(NEXT) | instid1(VALU_DEP_3)
	v_cndmask_b32_e64 v27, v14, v3, s0
	v_cndmask_b32_e64 v1, v1, v6, s2
	v_cmp_eq_u32_e64 s2, 14, v0
	s_delay_alu instid0(VALU_DEP_4) | instskip(NEXT) | instid1(VALU_DEP_3)
	v_cndmask_b32_e64 v28, v15, v3, s1
	v_cndmask_b32_e64 v1, v1, v7, s3
	s_delay_alu instid0(VALU_DEP_3) | instskip(NEXT) | instid1(VALU_DEP_2)
	v_cndmask_b32_e64 v29, v16, v3, s2
	v_cndmask_b32_e64 v1, v1, v8, s4
	s_delay_alu instid0(VALU_DEP_1) | instskip(NEXT) | instid1(VALU_DEP_1)
	v_cndmask_b32_e64 v1, v1, v9, s5
	v_cndmask_b32_e64 v1, v1, v10, s6
	s_delay_alu instid0(VALU_DEP_1) | instskip(NEXT) | instid1(VALU_DEP_1)
	v_cndmask_b32_e64 v1, v1, v11, s7
	v_cndmask_b32_e64 v1, v1, v12, s8
	s_delay_alu instid0(VALU_DEP_1) | instskip(NEXT) | instid1(VALU_DEP_1)
	v_cndmask_b32_e64 v1, v1, v13, s9
	v_cndmask_b32_e64 v1, v1, v14, s0
	s_delay_alu instid0(VALU_DEP_1) | instskip(NEXT) | instid1(VALU_DEP_1)
	v_cndmask_b32_e64 v1, v1, v15, s1
	v_cndmask_b32_e64 v1, v1, v16, s2
	s_delay_alu instid0(VALU_DEP_1) | instskip(SKIP_2) | instid1(VALU_DEP_1)
	v_cndmask_b32_e32 v16, v1, v3, vcc_lo
	v_cmp_eq_u32_e32 vcc_lo, 0, v0
	v_cndmask_b32_e32 v15, v2, v3, vcc_lo
	v_mov_b32_e32 v2, v15
	s_delay_alu instid0(VALU_DEP_4)
	v_dual_mov_b32 v3, v16 :: v_dual_mov_b32 v4, v17
	v_dual_mov_b32 v5, v18 :: v_dual_mov_b32 v6, v19
	v_dual_mov_b32 v7, v20 :: v_dual_mov_b32 v8, v21
	v_dual_mov_b32 v9, v22 :: v_dual_mov_b32 v10, v23
	v_dual_mov_b32 v11, v24 :: v_dual_mov_b32 v12, v25
	v_dual_mov_b32 v13, v26 :: v_dual_mov_b32 v14, v27
	v_mov_b32_e32 v15, v28
	v_mov_b32_e32 v16, v29
	;; [unrolled: 1-line block ×3, first 2 shown]
.LBB14_137:
	s_or_b32 exec_lo, exec_lo, s10
	v_dual_mov_b32 v0, s12 :: v_dual_mov_b32 v1, s13
	s_mov_b32 s9, exec_lo
	flat_load_b32 v0, v[0:1]
	s_waitcnt vmcnt(0) lgkmcnt(0)
	v_add_nc_u32_e32 v0, -1, v0
	s_delay_alu instid0(VALU_DEP_1)
	v_cmpx_ne_u32_e32 0, v0
	s_cbranch_execz .LBB14_139
; %bb.138:
	v_cmp_eq_u32_e32 vcc_lo, 1, v0
	v_cmp_eq_u32_e64 s0, 2, v0
	v_cmp_eq_u32_e64 s1, 3, v0
	;; [unrolled: 1-line block ×4, first 2 shown]
	v_cndmask_b32_e32 v1, v2, v3, vcc_lo
	v_cmp_eq_u32_e64 s4, 6, v0
	v_cmp_eq_u32_e64 s5, 7, v0
	;; [unrolled: 1-line block ×4, first 2 shown]
	v_cndmask_b32_e64 v1, v1, v4, s0
	v_cmp_eq_u32_e64 s8, 10, v0
	v_cndmask_b32_e64 v17, v4, v2, s0
	v_cmp_eq_u32_e64 s0, 11, v0
	v_cndmask_b32_e64 v18, v5, v2, s1
	v_cndmask_b32_e64 v1, v1, v5, s1
	v_cmp_eq_u32_e64 s1, 12, v0
	v_cndmask_b32_e64 v19, v6, v2, s2
	v_cndmask_b32_e64 v20, v7, v2, s3
	v_cndmask_b32_e64 v26, v13, v2, s0
	v_cndmask_b32_e64 v1, v1, v6, s2
	v_cmp_eq_u32_e64 s2, 13, v0
	v_cndmask_b32_e64 v21, v8, v2, s4
	v_cndmask_b32_e64 v22, v9, v2, s5
	;; [unrolled: 5-line block ×3, first 2 shown]
	v_cndmask_b32_e64 v25, v12, v2, s8
	v_cndmask_b32_e64 v1, v1, v8, s4
	;; [unrolled: 1-line block ×4, first 2 shown]
	s_delay_alu instid0(VALU_DEP_3) | instskip(NEXT) | instid1(VALU_DEP_1)
	v_cndmask_b32_e64 v1, v1, v9, s5
	v_cndmask_b32_e64 v1, v1, v10, s6
	s_delay_alu instid0(VALU_DEP_1) | instskip(NEXT) | instid1(VALU_DEP_1)
	v_cndmask_b32_e64 v1, v1, v11, s7
	v_cndmask_b32_e64 v1, v1, v12, s8
	s_delay_alu instid0(VALU_DEP_1) | instskip(SKIP_1) | instid1(VALU_DEP_2)
	v_cndmask_b32_e64 v1, v1, v13, s0
	v_cmp_eq_u32_e64 s0, 0, v0
	v_cndmask_b32_e64 v1, v1, v14, s1
	s_delay_alu instid0(VALU_DEP_1) | instskip(NEXT) | instid1(VALU_DEP_1)
	v_cndmask_b32_e64 v1, v1, v15, s2
	v_cndmask_b32_e64 v1, v1, v16, s3
	v_cndmask_b32_e32 v16, v3, v2, vcc_lo
	s_delay_alu instid0(VALU_DEP_2) | instskip(NEXT) | instid1(VALU_DEP_1)
	v_cndmask_b32_e64 v15, v1, v2, s0
	v_mov_b32_e32 v2, v15
	s_delay_alu instid0(VALU_DEP_3)
	v_dual_mov_b32 v3, v16 :: v_dual_mov_b32 v4, v17
	v_dual_mov_b32 v5, v18 :: v_dual_mov_b32 v6, v19
	;; [unrolled: 1-line block ×6, first 2 shown]
	v_mov_b32_e32 v15, v28
	v_mov_b32_e32 v16, v29
	;; [unrolled: 1-line block ×3, first 2 shown]
.LBB14_139:
	s_or_b32 exec_lo, exec_lo, s9
.LBB14_140:
	s_clause 0xe
	global_store_b32 v[33:34], v2, off
	global_store_b32 v[35:36], v3, off
	;; [unrolled: 1-line block ×15, first 2 shown]
	s_nop 0
	s_sendmsg sendmsg(MSG_DEALLOC_VGPRS)
	s_endpgm
	.section	.rodata,"a",@progbits
	.p2align	6, 0x0
	.amdhsa_kernel _ZN9rocsolver6v33100L18getri_kernel_smallILi15EfPfEEvT1_iilPiilS4_bb
		.amdhsa_group_segment_fixed_size 124
		.amdhsa_private_segment_fixed_size 0
		.amdhsa_kernarg_size 60
		.amdhsa_user_sgpr_count 15
		.amdhsa_user_sgpr_dispatch_ptr 0
		.amdhsa_user_sgpr_queue_ptr 0
		.amdhsa_user_sgpr_kernarg_segment_ptr 1
		.amdhsa_user_sgpr_dispatch_id 0
		.amdhsa_user_sgpr_private_segment_size 0
		.amdhsa_wavefront_size32 1
		.amdhsa_uses_dynamic_stack 0
		.amdhsa_enable_private_segment 0
		.amdhsa_system_sgpr_workgroup_id_x 1
		.amdhsa_system_sgpr_workgroup_id_y 0
		.amdhsa_system_sgpr_workgroup_id_z 0
		.amdhsa_system_sgpr_workgroup_info 0
		.amdhsa_system_vgpr_workitem_id 0
		.amdhsa_next_free_vgpr 63
		.amdhsa_next_free_sgpr 18
		.amdhsa_reserve_vcc 1
		.amdhsa_float_round_mode_32 0
		.amdhsa_float_round_mode_16_64 0
		.amdhsa_float_denorm_mode_32 3
		.amdhsa_float_denorm_mode_16_64 3
		.amdhsa_dx10_clamp 1
		.amdhsa_ieee_mode 1
		.amdhsa_fp16_overflow 0
		.amdhsa_workgroup_processor_mode 1
		.amdhsa_memory_ordered 1
		.amdhsa_forward_progress 0
		.amdhsa_shared_vgpr_count 0
		.amdhsa_exception_fp_ieee_invalid_op 0
		.amdhsa_exception_fp_denorm_src 0
		.amdhsa_exception_fp_ieee_div_zero 0
		.amdhsa_exception_fp_ieee_overflow 0
		.amdhsa_exception_fp_ieee_underflow 0
		.amdhsa_exception_fp_ieee_inexact 0
		.amdhsa_exception_int_div_zero 0
	.end_amdhsa_kernel
	.section	.text._ZN9rocsolver6v33100L18getri_kernel_smallILi15EfPfEEvT1_iilPiilS4_bb,"axG",@progbits,_ZN9rocsolver6v33100L18getri_kernel_smallILi15EfPfEEvT1_iilPiilS4_bb,comdat
.Lfunc_end14:
	.size	_ZN9rocsolver6v33100L18getri_kernel_smallILi15EfPfEEvT1_iilPiilS4_bb, .Lfunc_end14-_ZN9rocsolver6v33100L18getri_kernel_smallILi15EfPfEEvT1_iilPiilS4_bb
                                        ; -- End function
	.section	.AMDGPU.csdata,"",@progbits
; Kernel info:
; codeLenInByte = 18300
; NumSgprs: 20
; NumVgprs: 63
; ScratchSize: 0
; MemoryBound: 0
; FloatMode: 240
; IeeeMode: 1
; LDSByteSize: 124 bytes/workgroup (compile time only)
; SGPRBlocks: 2
; VGPRBlocks: 7
; NumSGPRsForWavesPerEU: 20
; NumVGPRsForWavesPerEU: 63
; Occupancy: 16
; WaveLimiterHint : 0
; COMPUTE_PGM_RSRC2:SCRATCH_EN: 0
; COMPUTE_PGM_RSRC2:USER_SGPR: 15
; COMPUTE_PGM_RSRC2:TRAP_HANDLER: 0
; COMPUTE_PGM_RSRC2:TGID_X_EN: 1
; COMPUTE_PGM_RSRC2:TGID_Y_EN: 0
; COMPUTE_PGM_RSRC2:TGID_Z_EN: 0
; COMPUTE_PGM_RSRC2:TIDIG_COMP_CNT: 0
	.section	.text._ZN9rocsolver6v33100L18getri_kernel_smallILi16EfPfEEvT1_iilPiilS4_bb,"axG",@progbits,_ZN9rocsolver6v33100L18getri_kernel_smallILi16EfPfEEvT1_iilPiilS4_bb,comdat
	.globl	_ZN9rocsolver6v33100L18getri_kernel_smallILi16EfPfEEvT1_iilPiilS4_bb ; -- Begin function _ZN9rocsolver6v33100L18getri_kernel_smallILi16EfPfEEvT1_iilPiilS4_bb
	.p2align	8
	.type	_ZN9rocsolver6v33100L18getri_kernel_smallILi16EfPfEEvT1_iilPiilS4_bb,@function
_ZN9rocsolver6v33100L18getri_kernel_smallILi16EfPfEEvT1_iilPiilS4_bb: ; @_ZN9rocsolver6v33100L18getri_kernel_smallILi16EfPfEEvT1_iilPiilS4_bb
; %bb.0:
	s_mov_b32 s2, exec_lo
	v_cmpx_gt_u32_e32 16, v0
	s_cbranch_execz .LBB15_16
; %bb.1:
	s_clause 0x2
	s_load_b32 s17, s[0:1], 0x38
	s_load_b128 s[8:11], s[0:1], 0x10
	s_load_b128 s[4:7], s[0:1], 0x28
	s_mov_b32 s14, s15
                                        ; implicit-def: $sgpr12_sgpr13
	s_waitcnt lgkmcnt(0)
	s_bitcmp1_b32 s17, 8
	s_cselect_b32 s16, -1, 0
	s_bfe_u32 s2, s17, 0x10008
	s_ashr_i32 s15, s15, 31
	s_cmp_eq_u32 s2, 0
	s_cbranch_scc1 .LBB15_3
; %bb.2:
	s_load_b32 s2, s[0:1], 0x20
	s_mul_i32 s3, s14, s5
	s_mul_hi_u32 s5, s14, s4
	s_mul_i32 s12, s15, s4
	s_add_i32 s3, s5, s3
	s_mul_i32 s4, s14, s4
	s_add_i32 s5, s3, s12
	s_delay_alu instid0(SALU_CYCLE_1)
	s_lshl_b64 s[4:5], s[4:5], 2
	s_waitcnt lgkmcnt(0)
	s_ashr_i32 s3, s2, 31
	s_add_u32 s4, s10, s4
	s_addc_u32 s5, s11, s5
	s_lshl_b64 s[2:3], s[2:3], 2
	s_delay_alu instid0(SALU_CYCLE_1)
	s_add_u32 s12, s4, s2
	s_addc_u32 s13, s5, s3
.LBB15_3:
	s_load_b128 s[0:3], s[0:1], 0x0
	s_mul_i32 s4, s14, s9
	s_mul_hi_u32 s5, s14, s8
	s_mul_i32 s9, s15, s8
	s_add_i32 s5, s5, s4
	s_mul_i32 s4, s14, s8
	s_add_i32 s5, s5, s9
	v_lshlrev_b32_e32 v18, 2, v0
	s_lshl_b64 s[4:5], s[4:5], 2
	s_waitcnt lgkmcnt(0)
	v_add3_u32 v1, s3, s3, v0
	s_ashr_i32 s9, s2, 31
	s_mov_b32 s8, s2
	s_add_u32 s2, s0, s4
	s_addc_u32 s5, s1, s5
	v_add_nc_u32_e32 v3, s3, v1
	s_lshl_b64 s[0:1], s[8:9], 2
	v_ashrrev_i32_e32 v2, 31, v1
	s_add_u32 s0, s2, s0
	s_addc_u32 s1, s5, s1
	v_add_co_u32 v33, s2, s0, v18
	v_add_nc_u32_e32 v5, s3, v3
	s_mov_b32 s4, s3
	s_ashr_i32 s5, s3, 31
	v_add_co_ci_u32_e64 v34, null, s1, 0, s2
	v_lshlrev_b64 v[1:2], 2, v[1:2]
	v_ashrrev_i32_e32 v4, 31, v3
	s_lshl_b64 s[4:5], s[4:5], 2
	v_ashrrev_i32_e32 v6, 31, v5
	v_add_co_u32 v35, vcc_lo, v33, s4
	v_add_nc_u32_e32 v7, s3, v5
	v_add_co_ci_u32_e32 v36, vcc_lo, s5, v34, vcc_lo
	v_lshlrev_b64 v[3:4], 2, v[3:4]
	v_add_co_u32 v37, vcc_lo, s0, v1
	v_add_co_ci_u32_e32 v38, vcc_lo, s1, v2, vcc_lo
	v_lshlrev_b64 v[1:2], 2, v[5:6]
	v_ashrrev_i32_e32 v8, 31, v7
	v_add_nc_u32_e32 v5, s3, v7
	v_add_co_u32 v39, vcc_lo, s0, v3
	v_add_co_ci_u32_e32 v40, vcc_lo, s1, v4, vcc_lo
	s_delay_alu instid0(VALU_DEP_4) | instskip(NEXT) | instid1(VALU_DEP_4)
	v_lshlrev_b64 v[3:4], 2, v[7:8]
	v_ashrrev_i32_e32 v6, 31, v5
	v_add_nc_u32_e32 v7, s3, v5
	v_add_co_u32 v41, vcc_lo, s0, v1
	v_add_co_ci_u32_e32 v42, vcc_lo, s1, v2, vcc_lo
	s_delay_alu instid0(VALU_DEP_4) | instskip(NEXT) | instid1(VALU_DEP_4)
	v_lshlrev_b64 v[1:2], 2, v[5:6]
	v_add_nc_u32_e32 v5, s3, v7
	v_add_co_u32 v43, vcc_lo, s0, v3
	v_ashrrev_i32_e32 v8, 31, v7
	v_add_co_ci_u32_e32 v44, vcc_lo, s1, v4, vcc_lo
	s_delay_alu instid0(VALU_DEP_4) | instskip(SKIP_2) | instid1(VALU_DEP_3)
	v_ashrrev_i32_e32 v6, 31, v5
	v_add_co_u32 v45, vcc_lo, s0, v1
	v_add_co_ci_u32_e32 v46, vcc_lo, s1, v2, vcc_lo
	v_lshlrev_b64 v[1:2], 2, v[5:6]
	v_add_nc_u32_e32 v5, s3, v5
	v_lshlrev_b64 v[3:4], 2, v[7:8]
	s_bitcmp0_b32 s17, 0
	s_delay_alu instid0(VALU_DEP_2) | instskip(SKIP_1) | instid1(VALU_DEP_3)
	v_add_nc_u32_e32 v11, s3, v5
	v_ashrrev_i32_e32 v6, 31, v5
	v_add_co_u32 v47, vcc_lo, s0, v3
	s_delay_alu instid0(VALU_DEP_4)
	v_add_co_ci_u32_e32 v48, vcc_lo, s1, v4, vcc_lo
	v_add_co_u32 v49, vcc_lo, s0, v1
	v_add_nc_u32_e32 v13, s3, v11
	v_add_co_ci_u32_e32 v50, vcc_lo, s1, v2, vcc_lo
	v_lshlrev_b64 v[1:2], 2, v[5:6]
	v_ashrrev_i32_e32 v12, 31, v11
	s_delay_alu instid0(VALU_DEP_4)
	v_ashrrev_i32_e32 v14, 31, v13
	v_add_nc_u32_e32 v15, s3, v13
	s_clause 0x7
	global_load_b32 v3, v[35:36], off
	global_load_b32 v4, v[37:38], off
	;; [unrolled: 1-line block ×8, first 2 shown]
	v_lshlrev_b64 v[11:12], 2, v[11:12]
	v_add_co_u32 v51, vcc_lo, s0, v1
	v_add_co_ci_u32_e32 v52, vcc_lo, s1, v2, vcc_lo
	v_lshlrev_b64 v[1:2], 2, v[13:14]
	v_ashrrev_i32_e32 v16, 31, v15
	v_add_nc_u32_e32 v13, s3, v15
	v_add_co_u32 v53, vcc_lo, s0, v11
	v_add_co_ci_u32_e32 v54, vcc_lo, s1, v12, vcc_lo
	s_delay_alu instid0(VALU_DEP_4) | instskip(NEXT) | instid1(VALU_DEP_4)
	v_lshlrev_b64 v[11:12], 2, v[15:16]
	v_ashrrev_i32_e32 v14, 31, v13
	v_add_nc_u32_e32 v15, s3, v13
	v_add_co_u32 v55, vcc_lo, s0, v1
	v_add_co_ci_u32_e32 v56, vcc_lo, s1, v2, vcc_lo
	s_delay_alu instid0(VALU_DEP_4) | instskip(NEXT) | instid1(VALU_DEP_4)
	v_lshlrev_b64 v[1:2], 2, v[13:14]
	v_add_nc_u32_e32 v13, s3, v15
	v_ashrrev_i32_e32 v16, 31, v15
	v_add_co_u32 v57, vcc_lo, s0, v11
	v_add_co_ci_u32_e32 v58, vcc_lo, s1, v12, vcc_lo
	s_delay_alu instid0(VALU_DEP_4) | instskip(NEXT) | instid1(VALU_DEP_4)
	v_ashrrev_i32_e32 v14, 31, v13
	v_lshlrev_b64 v[11:12], 2, v[15:16]
	v_add_co_u32 v59, vcc_lo, s0, v1
	v_add_co_ci_u32_e32 v60, vcc_lo, s1, v2, vcc_lo
	s_delay_alu instid0(VALU_DEP_4) | instskip(NEXT) | instid1(VALU_DEP_4)
	v_lshlrev_b64 v[1:2], 2, v[13:14]
	v_add_co_u32 v61, vcc_lo, s0, v11
	v_add_co_ci_u32_e32 v62, vcc_lo, s1, v12, vcc_lo
	s_delay_alu instid0(VALU_DEP_3)
	v_add_co_u32 v63, vcc_lo, s0, v1
	v_mov_b32_e32 v1, 0
	v_add_co_ci_u32_e32 v64, vcc_lo, s1, v2, vcc_lo
	s_clause 0x7
	global_load_b32 v11, v[51:52], off
	global_load_b32 v12, v[53:54], off
	global_load_b32 v13, v[55:56], off
	global_load_b32 v14, v[57:58], off
	global_load_b32 v15, v[59:60], off
	global_load_b32 v16, v[61:62], off
	global_load_b32 v2, v18, s[0:1]
	global_load_b32 v17, v[63:64], off
	s_mov_b32 s0, -1
	s_cbranch_scc1 .LBB15_14
; %bb.4:
	v_cmp_eq_u32_e64 s0, 0, v0
	s_delay_alu instid0(VALU_DEP_1)
	s_and_saveexec_b32 s1, s0
	s_cbranch_execz .LBB15_6
; %bb.5:
	v_mov_b32_e32 v19, 0
	ds_store_b32 v19, v19 offset:128
.LBB15_6:
	s_or_b32 exec_lo, exec_lo, s1
	v_cmp_eq_u32_e32 vcc_lo, 1, v0
	s_mov_b32 s2, exec_lo
	s_waitcnt vmcnt(0) lgkmcnt(0)
	s_barrier
	buffer_gl0_inv
	v_cndmask_b32_e32 v19, v2, v3, vcc_lo
	v_cmp_eq_u32_e32 vcc_lo, 2, v0
	s_delay_alu instid0(VALU_DEP_2) | instskip(SKIP_1) | instid1(VALU_DEP_2)
	v_cndmask_b32_e32 v19, v19, v4, vcc_lo
	v_cmp_eq_u32_e32 vcc_lo, 3, v0
	v_cndmask_b32_e32 v19, v19, v5, vcc_lo
	v_cmp_eq_u32_e32 vcc_lo, 4, v0
	s_delay_alu instid0(VALU_DEP_2) | instskip(SKIP_1) | instid1(VALU_DEP_2)
	v_cndmask_b32_e32 v19, v19, v6, vcc_lo
	v_cmp_eq_u32_e32 vcc_lo, 5, v0
	;; [unrolled: 5-line block ×7, first 2 shown]
	v_cndmask_b32_e32 v19, v19, v17, vcc_lo
	s_delay_alu instid0(VALU_DEP_1)
	v_cmpx_eq_f32_e32 0, v19
	s_cbranch_execz .LBB15_10
; %bb.7:
	v_mov_b32_e32 v20, 0
	ds_load_b32 v21, v20 offset:128
	s_waitcnt lgkmcnt(0)
	v_readfirstlane_b32 s1, v21
	v_add_nc_u32_e32 v21, 1, v0
	s_delay_alu instid0(VALU_DEP_2) | instskip(NEXT) | instid1(VALU_DEP_1)
	s_cmp_eq_u32 s1, 0
	v_cmp_gt_i32_e32 vcc_lo, s1, v21
	s_cselect_b32 s3, -1, 0
	s_delay_alu instid0(SALU_CYCLE_1) | instskip(NEXT) | instid1(SALU_CYCLE_1)
	s_or_b32 s3, s3, vcc_lo
	s_and_b32 exec_lo, exec_lo, s3
	s_cbranch_execz .LBB15_10
; %bb.8:
	v_mov_b32_e32 v22, s1
	s_mov_b32 s3, 0
.LBB15_9:                               ; =>This Inner Loop Header: Depth=1
	ds_cmpstore_rtn_b32 v22, v20, v21, v22 offset:128
	s_waitcnt lgkmcnt(0)
	v_cmp_ne_u32_e32 vcc_lo, 0, v22
	v_cmp_le_i32_e64 s1, v22, v21
	s_delay_alu instid0(VALU_DEP_1) | instskip(NEXT) | instid1(SALU_CYCLE_1)
	s_and_b32 s1, vcc_lo, s1
	s_and_b32 s1, exec_lo, s1
	s_delay_alu instid0(SALU_CYCLE_1) | instskip(NEXT) | instid1(SALU_CYCLE_1)
	s_or_b32 s3, s1, s3
	s_and_not1_b32 exec_lo, exec_lo, s3
	s_cbranch_execnz .LBB15_9
.LBB15_10:
	s_or_b32 exec_lo, exec_lo, s2
	v_mov_b32_e32 v20, 0
	s_barrier
	buffer_gl0_inv
	ds_load_b32 v21, v20 offset:128
	s_and_saveexec_b32 s1, s0
	s_cbranch_execz .LBB15_12
; %bb.11:
	s_lshl_b64 s[2:3], s[14:15], 2
	s_delay_alu instid0(SALU_CYCLE_1)
	s_add_u32 s2, s6, s2
	s_addc_u32 s3, s7, s3
	s_waitcnt lgkmcnt(0)
	global_store_b32 v20, v21, s[2:3]
.LBB15_12:
	s_or_b32 exec_lo, exec_lo, s1
	s_waitcnt lgkmcnt(0)
	v_cmp_ne_u32_e32 vcc_lo, 0, v21
	s_cbranch_vccz .LBB15_17
; %bb.13:
	s_mov_b32 s0, 0
                                        ; implicit-def: $vgpr2_vgpr3_vgpr4_vgpr5_vgpr6_vgpr7_vgpr8_vgpr9_vgpr10_vgpr11_vgpr12_vgpr13_vgpr14_vgpr15_vgpr16_vgpr17
.LBB15_14:
	s_delay_alu instid0(SALU_CYCLE_1)
	s_and_b32 vcc_lo, exec_lo, s0
	s_cbranch_vccz .LBB15_16
.LBB15_15:
	s_lshl_b64 s[0:1], s[14:15], 2
	v_mov_b32_e32 v1, 0
	s_add_u32 s0, s6, s0
	s_addc_u32 s1, s7, s1
	global_load_b32 v1, v1, s[0:1]
	s_waitcnt vmcnt(0)
	v_cmp_ne_u32_e32 vcc_lo, 0, v1
	s_cbranch_vccz .LBB15_86
.LBB15_16:
	s_nop 0
	s_sendmsg sendmsg(MSG_DEALLOC_VGPRS)
	s_endpgm
.LBB15_17:
	v_div_scale_f32 v20, null, v19, v19, 1.0
	v_div_scale_f32 v23, vcc_lo, 1.0, v19, 1.0
	s_delay_alu instid0(VALU_DEP_2) | instskip(SKIP_2) | instid1(VALU_DEP_1)
	v_rcp_f32_e32 v21, v20
	s_waitcnt_depctr 0xfff
	v_fma_f32 v22, -v20, v21, 1.0
	v_fmac_f32_e32 v21, v22, v21
	s_delay_alu instid0(VALU_DEP_1) | instskip(NEXT) | instid1(VALU_DEP_1)
	v_mul_f32_e32 v22, v23, v21
	v_fma_f32 v24, -v20, v22, v23
	s_delay_alu instid0(VALU_DEP_1) | instskip(NEXT) | instid1(VALU_DEP_1)
	v_fmac_f32_e32 v22, v24, v21
	v_fma_f32 v20, -v20, v22, v23
	s_delay_alu instid0(VALU_DEP_1) | instskip(SKIP_1) | instid1(VALU_DEP_2)
	v_div_fmas_f32 v20, v20, v21, v22
	v_cmp_eq_u32_e32 vcc_lo, 15, v0
	v_div_fixup_f32 v19, v20, v19, 1.0
	s_delay_alu instid0(VALU_DEP_1)
	v_dual_cndmask_b32 v17, v17, v19 :: v_dual_add_nc_u32 v20, 64, v18
	v_cmp_eq_u32_e32 vcc_lo, 14, v0
	v_xor_b32_e32 v21, 0x80000000, v19
	v_cndmask_b32_e32 v16, v16, v19, vcc_lo
	v_cmp_eq_u32_e32 vcc_lo, 13, v0
	v_cndmask_b32_e32 v15, v15, v19, vcc_lo
	v_cmp_eq_u32_e32 vcc_lo, 12, v0
	;; [unrolled: 2-line block ×13, first 2 shown]
	ds_store_2addr_b32 v18, v21, v3 offset1:16
	v_cndmask_b32_e32 v4, v4, v19, vcc_lo
	v_cmp_eq_u32_e32 vcc_lo, 0, v0
	s_waitcnt lgkmcnt(0)
	s_waitcnt_vscnt null, 0x0
	s_barrier
	buffer_gl0_inv
	v_cndmask_b32_e32 v2, v2, v19, vcc_lo
	s_and_saveexec_b32 s1, s0
	s_cbranch_execz .LBB15_19
; %bb.18:
	v_mov_b32_e32 v3, 0
	ds_load_b32 v18, v20
	ds_load_b32 v3, v3 offset:4
	s_waitcnt lgkmcnt(1)
	v_fma_f32 v18, v19, v18, 0
	s_waitcnt lgkmcnt(0)
	s_delay_alu instid0(VALU_DEP_1)
	v_mul_f32_e32 v3, v18, v3
.LBB15_19:
	s_or_b32 exec_lo, exec_lo, s1
	v_cmp_gt_u32_e32 vcc_lo, 2, v0
	s_barrier
	buffer_gl0_inv
	ds_store_b32 v20, v4
	s_waitcnt lgkmcnt(0)
	s_barrier
	buffer_gl0_inv
	s_and_saveexec_b32 s2, vcc_lo
	s_cbranch_execz .LBB15_21
; %bb.20:
	v_cmp_eq_u32_e64 s1, 1, v0
	ds_load_b32 v21, v20
	v_cndmask_b32_e64 v18, v2, v3, s1
	v_cmp_eq_u32_e64 s1, 2, v0
	s_delay_alu instid0(VALU_DEP_1) | instskip(SKIP_2) | instid1(VALU_DEP_2)
	v_cndmask_b32_e64 v4, v18, v4, s1
	v_cmp_eq_u32_e64 s1, 3, v0
	v_mov_b32_e32 v18, 0
	v_cndmask_b32_e64 v4, v4, v5, s1
	v_cmp_eq_u32_e64 s1, 4, v0
	ds_load_2addr_b32 v[18:19], v18 offset0:2 offset1:17
	v_cndmask_b32_e64 v4, v4, v6, s1
	v_cmp_eq_u32_e64 s1, 5, v0
	s_delay_alu instid0(VALU_DEP_1) | instskip(SKIP_1) | instid1(VALU_DEP_1)
	v_cndmask_b32_e64 v4, v4, v7, s1
	v_cmp_eq_u32_e64 s1, 6, v0
	v_cndmask_b32_e64 v4, v4, v8, s1
	v_cmp_eq_u32_e64 s1, 7, v0
	s_delay_alu instid0(VALU_DEP_1) | instskip(SKIP_1) | instid1(VALU_DEP_1)
	v_cndmask_b32_e64 v4, v4, v9, s1
	v_cmp_eq_u32_e64 s1, 8, v0
	;; [unrolled: 5-line block ×5, first 2 shown]
	v_cndmask_b32_e64 v4, v4, v16, s1
	v_cmp_eq_u32_e64 s1, 15, v0
	s_delay_alu instid0(VALU_DEP_1) | instskip(SKIP_1) | instid1(VALU_DEP_1)
	v_cndmask_b32_e64 v4, v4, v17, s1
	s_waitcnt lgkmcnt(1)
	v_fma_f32 v4, v4, v21, 0
	s_waitcnt lgkmcnt(0)
	s_delay_alu instid0(VALU_DEP_1) | instskip(NEXT) | instid1(VALU_DEP_1)
	v_fma_f32 v19, v3, v19, v4
	v_cndmask_b32_e64 v4, v4, v19, s0
	s_delay_alu instid0(VALU_DEP_1)
	v_mul_f32_e32 v4, v4, v18
.LBB15_21:
	s_or_b32 exec_lo, exec_lo, s2
	s_delay_alu instid0(SALU_CYCLE_1)
	s_mov_b32 s3, exec_lo
	s_barrier
	buffer_gl0_inv
	ds_store_b32 v20, v5
	s_waitcnt lgkmcnt(0)
	s_barrier
	buffer_gl0_inv
	v_cmpx_gt_u32_e32 3, v0
	s_cbranch_execz .LBB15_25
; %bb.22:
	v_mov_b32_e32 v19, v1
	v_lshl_add_u32 v22, v0, 2, 64
	v_dual_mov_b32 v21, 0 :: v_dual_mov_b32 v18, v0
	s_mov_b32 s4, 0
.LBB15_23:                              ; =>This Inner Loop Header: Depth=1
	s_delay_alu instid0(VALU_DEP_1) | instskip(SKIP_3) | instid1(VALU_DEP_1)
	v_cmp_eq_u32_e64 s1, 1, v18
	ds_load_b32 v24, v22
	v_cndmask_b32_e64 v23, v2, v3, s1
	v_cmp_eq_u32_e64 s1, 2, v18
	v_cndmask_b32_e64 v23, v23, v4, s1
	v_cmp_eq_u32_e64 s1, 3, v18
	s_delay_alu instid0(VALU_DEP_1) | instskip(SKIP_1) | instid1(VALU_DEP_1)
	v_cndmask_b32_e64 v23, v23, v5, s1
	v_cmp_eq_u32_e64 s1, 4, v18
	v_cndmask_b32_e64 v23, v23, v6, s1
	v_cmp_eq_u32_e64 s1, 5, v18
	s_delay_alu instid0(VALU_DEP_1) | instskip(SKIP_1) | instid1(VALU_DEP_1)
	;; [unrolled: 5-line block ×6, first 2 shown]
	v_cndmask_b32_e64 v23, v23, v15, s1
	v_cmp_eq_u32_e64 s1, 14, v18
	v_cndmask_b32_e64 v23, v23, v16, s1
	v_cmp_eq_u32_e64 s1, 15, v18
	v_add_co_u32 v18, s2, v18, 1
	s_delay_alu instid0(VALU_DEP_1) | instskip(NEXT) | instid1(VALU_DEP_3)
	v_add_co_ci_u32_e64 v19, s2, 0, v19, s2
	v_cndmask_b32_e64 v23, v23, v17, s1
	s_delay_alu instid0(VALU_DEP_3) | instskip(SKIP_1) | instid1(VALU_DEP_2)
	v_add_nc_u32_e32 v25, -1, v18
	s_waitcnt lgkmcnt(0)
	v_dual_fmac_f32 v21, v23, v24 :: v_dual_add_nc_u32 v22, 4, v22
	s_delay_alu instid0(VALU_DEP_2) | instskip(NEXT) | instid1(VALU_DEP_1)
	v_cmp_lt_u32_e64 s1, 1, v25
	s_or_b32 s4, s1, s4
	s_delay_alu instid0(SALU_CYCLE_1)
	s_and_not1_b32 exec_lo, exec_lo, s4
	s_cbranch_execnz .LBB15_23
; %bb.24:
	s_or_b32 exec_lo, exec_lo, s4
	v_mov_b32_e32 v5, 0
	ds_load_b32 v5, v5 offset:12
	s_waitcnt lgkmcnt(0)
	v_mul_f32_e32 v5, v21, v5
.LBB15_25:
	s_or_b32 exec_lo, exec_lo, s3
	v_cmp_gt_u32_e64 s1, 4, v0
	s_barrier
	buffer_gl0_inv
	ds_store_b32 v20, v6
	s_waitcnt lgkmcnt(0)
	s_barrier
	buffer_gl0_inv
	s_and_saveexec_b32 s4, s1
	s_cbranch_execz .LBB15_29
; %bb.26:
	v_mov_b32_e32 v19, v1
	v_lshl_add_u32 v22, v0, 2, 64
	v_dual_mov_b32 v21, 0 :: v_dual_mov_b32 v18, v0
	s_mov_b32 s5, 0
.LBB15_27:                              ; =>This Inner Loop Header: Depth=1
	s_delay_alu instid0(VALU_DEP_1) | instskip(SKIP_3) | instid1(VALU_DEP_1)
	v_cmp_eq_u32_e64 s2, 1, v18
	ds_load_b32 v24, v22
	v_cndmask_b32_e64 v23, v2, v3, s2
	v_cmp_eq_u32_e64 s2, 2, v18
	v_cndmask_b32_e64 v23, v23, v4, s2
	v_cmp_eq_u32_e64 s2, 3, v18
	s_delay_alu instid0(VALU_DEP_1) | instskip(SKIP_1) | instid1(VALU_DEP_1)
	v_cndmask_b32_e64 v23, v23, v5, s2
	v_cmp_eq_u32_e64 s2, 4, v18
	v_cndmask_b32_e64 v23, v23, v6, s2
	v_cmp_eq_u32_e64 s2, 5, v18
	s_delay_alu instid0(VALU_DEP_1) | instskip(SKIP_1) | instid1(VALU_DEP_1)
	;; [unrolled: 5-line block ×6, first 2 shown]
	v_cndmask_b32_e64 v23, v23, v15, s2
	v_cmp_eq_u32_e64 s2, 14, v18
	v_cndmask_b32_e64 v23, v23, v16, s2
	v_cmp_eq_u32_e64 s2, 15, v18
	v_add_co_u32 v18, s3, v18, 1
	s_delay_alu instid0(VALU_DEP_1) | instskip(NEXT) | instid1(VALU_DEP_3)
	v_add_co_ci_u32_e64 v19, s3, 0, v19, s3
	v_cndmask_b32_e64 v23, v23, v17, s2
	s_delay_alu instid0(VALU_DEP_3) | instskip(SKIP_1) | instid1(VALU_DEP_2)
	v_add_nc_u32_e32 v25, -1, v18
	s_waitcnt lgkmcnt(0)
	v_dual_fmac_f32 v21, v23, v24 :: v_dual_add_nc_u32 v22, 4, v22
	s_delay_alu instid0(VALU_DEP_2) | instskip(NEXT) | instid1(VALU_DEP_1)
	v_cmp_lt_u32_e64 s2, 2, v25
	s_or_b32 s5, s2, s5
	s_delay_alu instid0(SALU_CYCLE_1)
	s_and_not1_b32 exec_lo, exec_lo, s5
	s_cbranch_execnz .LBB15_27
; %bb.28:
	s_or_b32 exec_lo, exec_lo, s5
	v_mov_b32_e32 v6, 0
	ds_load_b32 v6, v6 offset:16
	s_waitcnt lgkmcnt(0)
	v_mul_f32_e32 v6, v21, v6
.LBB15_29:
	s_or_b32 exec_lo, exec_lo, s4
	s_delay_alu instid0(SALU_CYCLE_1)
	s_mov_b32 s4, exec_lo
	s_barrier
	buffer_gl0_inv
	ds_store_b32 v20, v7
	s_waitcnt lgkmcnt(0)
	s_barrier
	buffer_gl0_inv
	v_cmpx_gt_u32_e32 5, v0
	s_cbranch_execz .LBB15_33
; %bb.30:
	v_mov_b32_e32 v19, v1
	v_lshl_add_u32 v22, v0, 2, 64
	v_dual_mov_b32 v21, 0 :: v_dual_mov_b32 v18, v0
	s_mov_b32 s5, 0
.LBB15_31:                              ; =>This Inner Loop Header: Depth=1
	s_delay_alu instid0(VALU_DEP_1) | instskip(SKIP_3) | instid1(VALU_DEP_1)
	v_cmp_eq_u32_e64 s2, 1, v18
	ds_load_b32 v24, v22
	v_cndmask_b32_e64 v23, v2, v3, s2
	v_cmp_eq_u32_e64 s2, 2, v18
	v_cndmask_b32_e64 v23, v23, v4, s2
	v_cmp_eq_u32_e64 s2, 3, v18
	s_delay_alu instid0(VALU_DEP_1) | instskip(SKIP_1) | instid1(VALU_DEP_1)
	v_cndmask_b32_e64 v23, v23, v5, s2
	v_cmp_eq_u32_e64 s2, 4, v18
	v_cndmask_b32_e64 v23, v23, v6, s2
	v_cmp_eq_u32_e64 s2, 5, v18
	s_delay_alu instid0(VALU_DEP_1) | instskip(SKIP_1) | instid1(VALU_DEP_1)
	;; [unrolled: 5-line block ×6, first 2 shown]
	v_cndmask_b32_e64 v23, v23, v15, s2
	v_cmp_eq_u32_e64 s2, 14, v18
	v_cndmask_b32_e64 v23, v23, v16, s2
	v_cmp_eq_u32_e64 s2, 15, v18
	v_add_co_u32 v18, s3, v18, 1
	s_delay_alu instid0(VALU_DEP_1) | instskip(NEXT) | instid1(VALU_DEP_3)
	v_add_co_ci_u32_e64 v19, s3, 0, v19, s3
	v_cndmask_b32_e64 v23, v23, v17, s2
	s_delay_alu instid0(VALU_DEP_3) | instskip(SKIP_1) | instid1(VALU_DEP_2)
	v_add_nc_u32_e32 v25, -1, v18
	s_waitcnt lgkmcnt(0)
	v_dual_fmac_f32 v21, v23, v24 :: v_dual_add_nc_u32 v22, 4, v22
	s_delay_alu instid0(VALU_DEP_2) | instskip(NEXT) | instid1(VALU_DEP_1)
	v_cmp_lt_u32_e64 s2, 3, v25
	s_or_b32 s5, s2, s5
	s_delay_alu instid0(SALU_CYCLE_1)
	s_and_not1_b32 exec_lo, exec_lo, s5
	s_cbranch_execnz .LBB15_31
; %bb.32:
	s_or_b32 exec_lo, exec_lo, s5
	v_mov_b32_e32 v7, 0
	ds_load_b32 v7, v7 offset:20
	s_waitcnt lgkmcnt(0)
	v_mul_f32_e32 v7, v21, v7
.LBB15_33:
	s_or_b32 exec_lo, exec_lo, s4
	v_cmp_gt_u32_e64 s2, 6, v0
	s_barrier
	buffer_gl0_inv
	ds_store_b32 v20, v8
	s_waitcnt lgkmcnt(0)
	s_barrier
	buffer_gl0_inv
	s_and_saveexec_b32 s5, s2
	s_cbranch_execz .LBB15_37
; %bb.34:
	v_mov_b32_e32 v19, v1
	v_lshl_add_u32 v22, v0, 2, 64
	v_dual_mov_b32 v21, 0 :: v_dual_mov_b32 v18, v0
	s_mov_b32 s8, 0
.LBB15_35:                              ; =>This Inner Loop Header: Depth=1
	s_delay_alu instid0(VALU_DEP_1) | instskip(SKIP_3) | instid1(VALU_DEP_1)
	v_cmp_eq_u32_e64 s3, 1, v18
	ds_load_b32 v24, v22
	v_cndmask_b32_e64 v23, v2, v3, s3
	v_cmp_eq_u32_e64 s3, 2, v18
	v_cndmask_b32_e64 v23, v23, v4, s3
	v_cmp_eq_u32_e64 s3, 3, v18
	s_delay_alu instid0(VALU_DEP_1) | instskip(SKIP_1) | instid1(VALU_DEP_1)
	v_cndmask_b32_e64 v23, v23, v5, s3
	v_cmp_eq_u32_e64 s3, 4, v18
	v_cndmask_b32_e64 v23, v23, v6, s3
	v_cmp_eq_u32_e64 s3, 5, v18
	s_delay_alu instid0(VALU_DEP_1) | instskip(SKIP_1) | instid1(VALU_DEP_1)
	;; [unrolled: 5-line block ×6, first 2 shown]
	v_cndmask_b32_e64 v23, v23, v15, s3
	v_cmp_eq_u32_e64 s3, 14, v18
	v_cndmask_b32_e64 v23, v23, v16, s3
	v_cmp_eq_u32_e64 s3, 15, v18
	v_add_co_u32 v18, s4, v18, 1
	s_delay_alu instid0(VALU_DEP_1) | instskip(NEXT) | instid1(VALU_DEP_3)
	v_add_co_ci_u32_e64 v19, s4, 0, v19, s4
	v_cndmask_b32_e64 v23, v23, v17, s3
	s_delay_alu instid0(VALU_DEP_3) | instskip(SKIP_1) | instid1(VALU_DEP_2)
	v_add_nc_u32_e32 v25, -1, v18
	s_waitcnt lgkmcnt(0)
	v_dual_fmac_f32 v21, v23, v24 :: v_dual_add_nc_u32 v22, 4, v22
	s_delay_alu instid0(VALU_DEP_2) | instskip(NEXT) | instid1(VALU_DEP_1)
	v_cmp_lt_u32_e64 s3, 4, v25
	s_or_b32 s8, s3, s8
	s_delay_alu instid0(SALU_CYCLE_1)
	s_and_not1_b32 exec_lo, exec_lo, s8
	s_cbranch_execnz .LBB15_35
; %bb.36:
	s_or_b32 exec_lo, exec_lo, s8
	v_mov_b32_e32 v8, 0
	ds_load_b32 v8, v8 offset:24
	s_waitcnt lgkmcnt(0)
	v_mul_f32_e32 v8, v21, v8
.LBB15_37:
	s_or_b32 exec_lo, exec_lo, s5
	s_delay_alu instid0(SALU_CYCLE_1)
	s_mov_b32 s5, exec_lo
	s_barrier
	buffer_gl0_inv
	ds_store_b32 v20, v9
	s_waitcnt lgkmcnt(0)
	s_barrier
	buffer_gl0_inv
	v_cmpx_gt_u32_e32 7, v0
	s_cbranch_execz .LBB15_41
; %bb.38:
	v_mov_b32_e32 v19, v1
	v_lshl_add_u32 v22, v0, 2, 64
	v_dual_mov_b32 v21, 0 :: v_dual_mov_b32 v18, v0
	s_mov_b32 s8, 0
.LBB15_39:                              ; =>This Inner Loop Header: Depth=1
	s_delay_alu instid0(VALU_DEP_1) | instskip(SKIP_3) | instid1(VALU_DEP_1)
	v_cmp_eq_u32_e64 s3, 1, v18
	ds_load_b32 v24, v22
	v_cndmask_b32_e64 v23, v2, v3, s3
	v_cmp_eq_u32_e64 s3, 2, v18
	v_cndmask_b32_e64 v23, v23, v4, s3
	v_cmp_eq_u32_e64 s3, 3, v18
	s_delay_alu instid0(VALU_DEP_1) | instskip(SKIP_1) | instid1(VALU_DEP_1)
	v_cndmask_b32_e64 v23, v23, v5, s3
	v_cmp_eq_u32_e64 s3, 4, v18
	v_cndmask_b32_e64 v23, v23, v6, s3
	v_cmp_eq_u32_e64 s3, 5, v18
	s_delay_alu instid0(VALU_DEP_1) | instskip(SKIP_1) | instid1(VALU_DEP_1)
	;; [unrolled: 5-line block ×6, first 2 shown]
	v_cndmask_b32_e64 v23, v23, v15, s3
	v_cmp_eq_u32_e64 s3, 14, v18
	v_cndmask_b32_e64 v23, v23, v16, s3
	v_cmp_eq_u32_e64 s3, 15, v18
	v_add_co_u32 v18, s4, v18, 1
	s_delay_alu instid0(VALU_DEP_1) | instskip(NEXT) | instid1(VALU_DEP_3)
	v_add_co_ci_u32_e64 v19, s4, 0, v19, s4
	v_cndmask_b32_e64 v23, v23, v17, s3
	s_delay_alu instid0(VALU_DEP_3) | instskip(SKIP_1) | instid1(VALU_DEP_2)
	v_add_nc_u32_e32 v25, -1, v18
	s_waitcnt lgkmcnt(0)
	v_dual_fmac_f32 v21, v23, v24 :: v_dual_add_nc_u32 v22, 4, v22
	s_delay_alu instid0(VALU_DEP_2) | instskip(NEXT) | instid1(VALU_DEP_1)
	v_cmp_lt_u32_e64 s3, 5, v25
	s_or_b32 s8, s3, s8
	s_delay_alu instid0(SALU_CYCLE_1)
	s_and_not1_b32 exec_lo, exec_lo, s8
	s_cbranch_execnz .LBB15_39
; %bb.40:
	s_or_b32 exec_lo, exec_lo, s8
	v_mov_b32_e32 v9, 0
	ds_load_b32 v9, v9 offset:28
	s_waitcnt lgkmcnt(0)
	v_mul_f32_e32 v9, v21, v9
.LBB15_41:
	s_or_b32 exec_lo, exec_lo, s5
	s_delay_alu instid0(SALU_CYCLE_1)
	s_mov_b32 s4, exec_lo
	s_barrier
	buffer_gl0_inv
	ds_store_b32 v20, v10
	s_waitcnt lgkmcnt(0)
	s_barrier
	buffer_gl0_inv
	v_cmpx_gt_u32_e32 8, v0
	s_cbranch_execz .LBB15_57
; %bb.42:
	v_cmp_eq_u32_e64 s3, 1, v0
	ds_load_b32 v19, v20
	s_mov_b32 s5, exec_lo
	v_cndmask_b32_e64 v18, v2, v3, s3
	v_cmp_eq_u32_e64 s3, 2, v0
	s_delay_alu instid0(VALU_DEP_1) | instskip(SKIP_1) | instid1(VALU_DEP_1)
	v_cndmask_b32_e64 v18, v18, v4, s3
	v_cmp_eq_u32_e64 s3, 3, v0
	v_cndmask_b32_e64 v18, v18, v5, s3
	v_cmp_eq_u32_e64 s3, 4, v0
	s_delay_alu instid0(VALU_DEP_1) | instskip(SKIP_1) | instid1(VALU_DEP_1)
	v_cndmask_b32_e64 v18, v18, v6, s3
	v_cmp_eq_u32_e64 s3, 5, v0
	;; [unrolled: 5-line block ×7, first 2 shown]
	v_cndmask_b32_e64 v21, v18, v17, s3
	v_mov_b32_e32 v18, 0
	s_waitcnt lgkmcnt(0)
	s_delay_alu instid0(VALU_DEP_2)
	v_fma_f32 v19, v21, v19, 0
	v_cmpx_ne_u32_e32 7, v0
	s_cbranch_execz .LBB15_56
; %bb.43:
	v_add_nc_u32_e32 v21, 1, v0
	ds_load_b32 v23, v20 offset:4
	v_cmp_eq_u32_e64 s3, 1, v21
	s_delay_alu instid0(VALU_DEP_1) | instskip(SKIP_1) | instid1(VALU_DEP_1)
	v_cndmask_b32_e64 v22, v2, v3, s3
	v_cmp_eq_u32_e64 s3, 2, v21
	v_cndmask_b32_e64 v22, v22, v4, s3
	v_cmp_eq_u32_e64 s3, 3, v21
	s_delay_alu instid0(VALU_DEP_1) | instskip(SKIP_1) | instid1(VALU_DEP_1)
	v_cndmask_b32_e64 v22, v22, v5, s3
	v_cmp_eq_u32_e64 s3, 4, v21
	v_cndmask_b32_e64 v22, v22, v6, s3
	;; [unrolled: 5-line block ×7, first 2 shown]
	v_cmp_eq_u32_e64 s3, 15, v21
	s_delay_alu instid0(VALU_DEP_1) | instskip(SKIP_1) | instid1(VALU_DEP_1)
	v_cndmask_b32_e64 v21, v22, v17, s3
	s_waitcnt lgkmcnt(0)
	v_fmac_f32_e32 v19, v21, v23
	s_and_saveexec_b32 s3, s2
	s_cbranch_execz .LBB15_55
; %bb.44:
	v_add_nc_u32_e32 v21, 2, v0
	ds_load_b32 v23, v20 offset:8
	s_mov_b32 s8, exec_lo
	v_cmp_eq_u32_e64 s2, 1, v21
	s_delay_alu instid0(VALU_DEP_1) | instskip(SKIP_1) | instid1(VALU_DEP_1)
	v_cndmask_b32_e64 v22, v2, v3, s2
	v_cmp_eq_u32_e64 s2, 2, v21
	v_cndmask_b32_e64 v22, v22, v4, s2
	v_cmp_eq_u32_e64 s2, 3, v21
	s_delay_alu instid0(VALU_DEP_1) | instskip(SKIP_1) | instid1(VALU_DEP_1)
	v_cndmask_b32_e64 v22, v22, v5, s2
	v_cmp_eq_u32_e64 s2, 4, v21
	v_cndmask_b32_e64 v22, v22, v6, s2
	;; [unrolled: 5-line block ×7, first 2 shown]
	v_cmp_eq_u32_e64 s2, 15, v21
	s_delay_alu instid0(VALU_DEP_1) | instskip(SKIP_1) | instid1(VALU_DEP_1)
	v_cndmask_b32_e64 v21, v22, v17, s2
	s_waitcnt lgkmcnt(0)
	v_fmac_f32_e32 v19, v21, v23
	v_cmpx_ne_u32_e32 5, v0
	s_cbranch_execz .LBB15_54
; %bb.45:
	v_add_nc_u32_e32 v21, 3, v0
	ds_load_b32 v23, v20 offset:12
	v_cmp_eq_u32_e64 s2, 1, v21
	s_delay_alu instid0(VALU_DEP_1) | instskip(SKIP_1) | instid1(VALU_DEP_1)
	v_cndmask_b32_e64 v22, v2, v3, s2
	v_cmp_eq_u32_e64 s2, 2, v21
	v_cndmask_b32_e64 v22, v22, v4, s2
	v_cmp_eq_u32_e64 s2, 3, v21
	s_delay_alu instid0(VALU_DEP_1) | instskip(SKIP_1) | instid1(VALU_DEP_1)
	v_cndmask_b32_e64 v22, v22, v5, s2
	v_cmp_eq_u32_e64 s2, 4, v21
	v_cndmask_b32_e64 v22, v22, v6, s2
	;; [unrolled: 5-line block ×7, first 2 shown]
	v_cmp_eq_u32_e64 s2, 15, v21
	s_delay_alu instid0(VALU_DEP_1) | instskip(SKIP_1) | instid1(VALU_DEP_1)
	v_cndmask_b32_e64 v21, v22, v17, s2
	s_waitcnt lgkmcnt(0)
	v_fmac_f32_e32 v19, v21, v23
	s_and_saveexec_b32 s2, s1
	s_cbranch_execz .LBB15_53
; %bb.46:
	v_or_b32_e32 v21, 4, v0
	ds_load_b32 v23, v20 offset:16
	s_mov_b32 s9, exec_lo
	v_cmp_eq_u32_e64 s1, 1, v21
	s_delay_alu instid0(VALU_DEP_1) | instskip(SKIP_1) | instid1(VALU_DEP_1)
	v_cndmask_b32_e64 v22, v2, v3, s1
	v_cmp_eq_u32_e64 s1, 2, v21
	v_cndmask_b32_e64 v22, v22, v4, s1
	v_cmp_eq_u32_e64 s1, 3, v21
	s_delay_alu instid0(VALU_DEP_1) | instskip(SKIP_1) | instid1(VALU_DEP_1)
	v_cndmask_b32_e64 v22, v22, v5, s1
	v_cmp_eq_u32_e64 s1, 4, v21
	v_cndmask_b32_e64 v22, v22, v6, s1
	;; [unrolled: 5-line block ×7, first 2 shown]
	v_cmp_eq_u32_e64 s1, 15, v21
	s_delay_alu instid0(VALU_DEP_1) | instskip(SKIP_1) | instid1(VALU_DEP_1)
	v_cndmask_b32_e64 v21, v22, v17, s1
	s_waitcnt lgkmcnt(0)
	v_fmac_f32_e32 v19, v21, v23
	v_cmpx_ne_u32_e32 3, v0
	s_cbranch_execz .LBB15_52
; %bb.47:
	v_add_nc_u32_e32 v21, 5, v0
	ds_load_b32 v23, v20 offset:20
	v_cmp_eq_u32_e64 s1, 1, v21
	s_delay_alu instid0(VALU_DEP_1) | instskip(SKIP_1) | instid1(VALU_DEP_1)
	v_cndmask_b32_e64 v22, v2, v3, s1
	v_cmp_eq_u32_e64 s1, 2, v21
	v_cndmask_b32_e64 v22, v22, v4, s1
	v_cmp_eq_u32_e64 s1, 3, v21
	s_delay_alu instid0(VALU_DEP_1) | instskip(SKIP_1) | instid1(VALU_DEP_1)
	v_cndmask_b32_e64 v22, v22, v5, s1
	v_cmp_eq_u32_e64 s1, 4, v21
	v_cndmask_b32_e64 v22, v22, v6, s1
	v_cmp_eq_u32_e64 s1, 5, v21
	s_delay_alu instid0(VALU_DEP_1) | instskip(SKIP_1) | instid1(VALU_DEP_1)
	v_cndmask_b32_e64 v22, v22, v7, s1
	v_cmp_eq_u32_e64 s1, 6, v21
	v_cndmask_b32_e64 v22, v22, v8, s1
	v_cmp_eq_u32_e64 s1, 7, v21
	s_delay_alu instid0(VALU_DEP_1) | instskip(SKIP_1) | instid1(VALU_DEP_1)
	v_cndmask_b32_e64 v22, v22, v9, s1
	v_cmp_eq_u32_e64 s1, 8, v21
	v_cndmask_b32_e64 v22, v22, v10, s1
	v_cmp_eq_u32_e64 s1, 9, v21
	s_delay_alu instid0(VALU_DEP_1) | instskip(SKIP_1) | instid1(VALU_DEP_1)
	v_cndmask_b32_e64 v22, v22, v11, s1
	v_cmp_eq_u32_e64 s1, 10, v21
	v_cndmask_b32_e64 v22, v22, v12, s1
	v_cmp_eq_u32_e64 s1, 11, v21
	s_delay_alu instid0(VALU_DEP_1) | instskip(SKIP_1) | instid1(VALU_DEP_1)
	v_cndmask_b32_e64 v22, v22, v13, s1
	v_cmp_eq_u32_e64 s1, 12, v21
	v_cndmask_b32_e64 v22, v22, v14, s1
	v_cmp_eq_u32_e64 s1, 13, v21
	s_delay_alu instid0(VALU_DEP_1) | instskip(SKIP_1) | instid1(VALU_DEP_1)
	v_cndmask_b32_e64 v22, v22, v15, s1
	v_cmp_eq_u32_e64 s1, 14, v21
	v_cndmask_b32_e64 v22, v22, v16, s1
	v_cmp_eq_u32_e64 s1, 15, v21
	s_delay_alu instid0(VALU_DEP_1) | instskip(SKIP_1) | instid1(VALU_DEP_1)
	v_cndmask_b32_e64 v21, v22, v17, s1
	s_waitcnt lgkmcnt(0)
	v_fmac_f32_e32 v19, v21, v23
	s_and_saveexec_b32 s1, vcc_lo
	s_cbranch_execz .LBB15_51
; %bb.48:
	v_or_b32_e32 v21, 6, v0
	s_delay_alu instid0(VALU_DEP_1) | instskip(SKIP_2) | instid1(VALU_DEP_2)
	v_cmp_eq_u32_e32 vcc_lo, 1, v21
	v_cndmask_b32_e32 v22, v2, v3, vcc_lo
	v_cmp_eq_u32_e32 vcc_lo, 2, v21
	v_cndmask_b32_e32 v22, v22, v4, vcc_lo
	v_cmp_eq_u32_e32 vcc_lo, 3, v21
	s_delay_alu instid0(VALU_DEP_2) | instskip(SKIP_1) | instid1(VALU_DEP_2)
	v_cndmask_b32_e32 v22, v22, v5, vcc_lo
	v_cmp_eq_u32_e32 vcc_lo, 4, v21
	v_cndmask_b32_e32 v22, v22, v6, vcc_lo
	v_cmp_eq_u32_e32 vcc_lo, 5, v21
	s_delay_alu instid0(VALU_DEP_2) | instskip(SKIP_1) | instid1(VALU_DEP_2)
	;; [unrolled: 5-line block ×3, first 2 shown]
	v_cndmask_b32_e32 v22, v22, v9, vcc_lo
	v_cmp_eq_u32_e32 vcc_lo, 8, v21
	v_cndmask_b32_e32 v10, v22, v10, vcc_lo
	v_cmp_eq_u32_e32 vcc_lo, 9, v21
	ds_load_b32 v22, v20 offset:24
	v_cndmask_b32_e32 v10, v10, v11, vcc_lo
	v_cmp_eq_u32_e32 vcc_lo, 10, v21
	s_delay_alu instid0(VALU_DEP_2) | instskip(SKIP_1) | instid1(VALU_DEP_2)
	v_cndmask_b32_e32 v10, v10, v12, vcc_lo
	v_cmp_eq_u32_e32 vcc_lo, 11, v21
	v_cndmask_b32_e32 v10, v10, v13, vcc_lo
	v_cmp_eq_u32_e32 vcc_lo, 12, v21
	s_delay_alu instid0(VALU_DEP_2) | instskip(SKIP_1) | instid1(VALU_DEP_2)
	v_cndmask_b32_e32 v10, v10, v14, vcc_lo
	v_cmp_eq_u32_e32 vcc_lo, 13, v21
	;; [unrolled: 5-line block ×3, first 2 shown]
	v_cndmask_b32_e32 v10, v10, v17, vcc_lo
	s_waitcnt lgkmcnt(0)
	s_delay_alu instid0(VALU_DEP_1)
	v_fmac_f32_e32 v19, v10, v22
	s_and_saveexec_b32 s10, s0
	s_cbranch_execz .LBB15_50
; %bb.49:
	ds_load_b32 v10, v20 offset:28
	s_waitcnt lgkmcnt(0)
	v_fmac_f32_e32 v19, v9, v10
.LBB15_50:
	s_or_b32 exec_lo, exec_lo, s10
.LBB15_51:
	s_delay_alu instid0(SALU_CYCLE_1)
	s_or_b32 exec_lo, exec_lo, s1
.LBB15_52:
	s_delay_alu instid0(SALU_CYCLE_1)
	s_or_b32 exec_lo, exec_lo, s9
.LBB15_53:
	s_delay_alu instid0(SALU_CYCLE_1)
	s_or_b32 exec_lo, exec_lo, s2
.LBB15_54:
	s_delay_alu instid0(SALU_CYCLE_1)
	s_or_b32 exec_lo, exec_lo, s8
.LBB15_55:
	s_delay_alu instid0(SALU_CYCLE_1)
	s_or_b32 exec_lo, exec_lo, s3
.LBB15_56:
	s_delay_alu instid0(SALU_CYCLE_1)
	s_or_b32 exec_lo, exec_lo, s5
	ds_load_b32 v10, v18 offset:32
	s_waitcnt lgkmcnt(0)
	v_mul_f32_e32 v10, v19, v10
.LBB15_57:
	s_or_b32 exec_lo, exec_lo, s4
	s_delay_alu instid0(SALU_CYCLE_1)
	s_mov_b32 s1, exec_lo
	s_barrier
	buffer_gl0_inv
	ds_store_b32 v20, v11
	s_waitcnt lgkmcnt(0)
	s_barrier
	buffer_gl0_inv
	v_cmpx_gt_u32_e32 9, v0
	s_cbranch_execz .LBB15_61
; %bb.58:
	v_mov_b32_e32 v19, v1
	v_lshl_add_u32 v22, v0, 2, 64
	v_dual_mov_b32 v21, 0 :: v_dual_mov_b32 v18, v0
	s_mov_b32 s2, 0
	s_set_inst_prefetch_distance 0x1
	.p2align	6
.LBB15_59:                              ; =>This Inner Loop Header: Depth=1
	s_delay_alu instid0(VALU_DEP_1) | instskip(SKIP_3) | instid1(VALU_DEP_2)
	v_cmp_eq_u32_e32 vcc_lo, 1, v18
	ds_load_b32 v24, v22
	v_dual_cndmask_b32 v23, v2, v3 :: v_dual_add_nc_u32 v22, 4, v22
	v_cmp_eq_u32_e32 vcc_lo, 2, v18
	v_cndmask_b32_e32 v23, v23, v4, vcc_lo
	v_cmp_eq_u32_e32 vcc_lo, 3, v18
	s_delay_alu instid0(VALU_DEP_2) | instskip(SKIP_1) | instid1(VALU_DEP_2)
	v_cndmask_b32_e32 v23, v23, v5, vcc_lo
	v_cmp_eq_u32_e32 vcc_lo, 4, v18
	v_cndmask_b32_e32 v23, v23, v6, vcc_lo
	v_cmp_eq_u32_e32 vcc_lo, 5, v18
	s_delay_alu instid0(VALU_DEP_2) | instskip(SKIP_1) | instid1(VALU_DEP_2)
	v_cndmask_b32_e32 v23, v23, v7, vcc_lo
	;; [unrolled: 5-line block ×6, first 2 shown]
	v_cmp_eq_u32_e32 vcc_lo, 14, v18
	v_cndmask_b32_e32 v23, v23, v16, vcc_lo
	v_cmp_eq_u32_e32 vcc_lo, 15, v18
	v_add_co_u32 v18, s0, v18, 1
	s_delay_alu instid0(VALU_DEP_1) | instskip(NEXT) | instid1(VALU_DEP_4)
	v_add_co_ci_u32_e64 v19, s0, 0, v19, s0
	v_cndmask_b32_e32 v23, v23, v17, vcc_lo
	s_delay_alu instid0(VALU_DEP_3) | instskip(SKIP_1) | instid1(VALU_DEP_2)
	v_add_nc_u32_e32 v25, -1, v18
	s_waitcnt lgkmcnt(0)
	v_fmac_f32_e32 v21, v23, v24
	s_delay_alu instid0(VALU_DEP_2) | instskip(SKIP_1) | instid1(SALU_CYCLE_1)
	v_cmp_lt_u32_e32 vcc_lo, 7, v25
	s_or_b32 s2, vcc_lo, s2
	s_and_not1_b32 exec_lo, exec_lo, s2
	s_cbranch_execnz .LBB15_59
; %bb.60:
	s_set_inst_prefetch_distance 0x2
	s_or_b32 exec_lo, exec_lo, s2
	v_mov_b32_e32 v11, 0
	ds_load_b32 v11, v11 offset:36
	s_waitcnt lgkmcnt(0)
	v_mul_f32_e32 v11, v21, v11
.LBB15_61:
	s_or_b32 exec_lo, exec_lo, s1
	s_delay_alu instid0(SALU_CYCLE_1)
	s_mov_b32 s1, exec_lo
	s_barrier
	buffer_gl0_inv
	ds_store_b32 v20, v12
	s_waitcnt lgkmcnt(0)
	s_barrier
	buffer_gl0_inv
	v_cmpx_gt_u32_e32 10, v0
	s_cbranch_execz .LBB15_65
; %bb.62:
	v_mov_b32_e32 v19, v1
	v_lshl_add_u32 v22, v0, 2, 64
	v_dual_mov_b32 v21, 0 :: v_dual_mov_b32 v18, v0
	s_mov_b32 s2, 0
	s_set_inst_prefetch_distance 0x1
	.p2align	6
.LBB15_63:                              ; =>This Inner Loop Header: Depth=1
	s_delay_alu instid0(VALU_DEP_1) | instskip(SKIP_3) | instid1(VALU_DEP_2)
	v_cmp_eq_u32_e32 vcc_lo, 1, v18
	ds_load_b32 v24, v22
	v_dual_cndmask_b32 v23, v2, v3 :: v_dual_add_nc_u32 v22, 4, v22
	v_cmp_eq_u32_e32 vcc_lo, 2, v18
	v_cndmask_b32_e32 v23, v23, v4, vcc_lo
	v_cmp_eq_u32_e32 vcc_lo, 3, v18
	s_delay_alu instid0(VALU_DEP_2) | instskip(SKIP_1) | instid1(VALU_DEP_2)
	v_cndmask_b32_e32 v23, v23, v5, vcc_lo
	v_cmp_eq_u32_e32 vcc_lo, 4, v18
	v_cndmask_b32_e32 v23, v23, v6, vcc_lo
	v_cmp_eq_u32_e32 vcc_lo, 5, v18
	s_delay_alu instid0(VALU_DEP_2) | instskip(SKIP_1) | instid1(VALU_DEP_2)
	v_cndmask_b32_e32 v23, v23, v7, vcc_lo
	;; [unrolled: 5-line block ×6, first 2 shown]
	v_cmp_eq_u32_e32 vcc_lo, 14, v18
	v_cndmask_b32_e32 v23, v23, v16, vcc_lo
	v_cmp_eq_u32_e32 vcc_lo, 15, v18
	v_add_co_u32 v18, s0, v18, 1
	s_delay_alu instid0(VALU_DEP_1) | instskip(NEXT) | instid1(VALU_DEP_4)
	v_add_co_ci_u32_e64 v19, s0, 0, v19, s0
	v_cndmask_b32_e32 v23, v23, v17, vcc_lo
	s_delay_alu instid0(VALU_DEP_3) | instskip(SKIP_1) | instid1(VALU_DEP_2)
	v_add_nc_u32_e32 v25, -1, v18
	s_waitcnt lgkmcnt(0)
	v_fmac_f32_e32 v21, v23, v24
	s_delay_alu instid0(VALU_DEP_2) | instskip(SKIP_1) | instid1(SALU_CYCLE_1)
	v_cmp_lt_u32_e32 vcc_lo, 8, v25
	s_or_b32 s2, vcc_lo, s2
	s_and_not1_b32 exec_lo, exec_lo, s2
	s_cbranch_execnz .LBB15_63
; %bb.64:
	s_set_inst_prefetch_distance 0x2
	s_or_b32 exec_lo, exec_lo, s2
	v_mov_b32_e32 v12, 0
	ds_load_b32 v12, v12 offset:40
	s_waitcnt lgkmcnt(0)
	v_mul_f32_e32 v12, v21, v12
.LBB15_65:
	s_or_b32 exec_lo, exec_lo, s1
	s_delay_alu instid0(SALU_CYCLE_1)
	s_mov_b32 s1, exec_lo
	s_barrier
	buffer_gl0_inv
	ds_store_b32 v20, v13
	s_waitcnt lgkmcnt(0)
	s_barrier
	buffer_gl0_inv
	v_cmpx_gt_u32_e32 11, v0
	s_cbranch_execz .LBB15_69
; %bb.66:
	v_mov_b32_e32 v19, v1
	v_lshl_add_u32 v22, v0, 2, 64
	v_dual_mov_b32 v21, 0 :: v_dual_mov_b32 v18, v0
	s_mov_b32 s2, 0
	s_set_inst_prefetch_distance 0x1
	.p2align	6
.LBB15_67:                              ; =>This Inner Loop Header: Depth=1
	s_delay_alu instid0(VALU_DEP_1) | instskip(SKIP_3) | instid1(VALU_DEP_2)
	v_cmp_eq_u32_e32 vcc_lo, 1, v18
	ds_load_b32 v24, v22
	v_dual_cndmask_b32 v23, v2, v3 :: v_dual_add_nc_u32 v22, 4, v22
	v_cmp_eq_u32_e32 vcc_lo, 2, v18
	v_cndmask_b32_e32 v23, v23, v4, vcc_lo
	v_cmp_eq_u32_e32 vcc_lo, 3, v18
	s_delay_alu instid0(VALU_DEP_2) | instskip(SKIP_1) | instid1(VALU_DEP_2)
	v_cndmask_b32_e32 v23, v23, v5, vcc_lo
	v_cmp_eq_u32_e32 vcc_lo, 4, v18
	v_cndmask_b32_e32 v23, v23, v6, vcc_lo
	v_cmp_eq_u32_e32 vcc_lo, 5, v18
	s_delay_alu instid0(VALU_DEP_2) | instskip(SKIP_1) | instid1(VALU_DEP_2)
	v_cndmask_b32_e32 v23, v23, v7, vcc_lo
	;; [unrolled: 5-line block ×6, first 2 shown]
	v_cmp_eq_u32_e32 vcc_lo, 14, v18
	v_cndmask_b32_e32 v23, v23, v16, vcc_lo
	v_cmp_eq_u32_e32 vcc_lo, 15, v18
	v_add_co_u32 v18, s0, v18, 1
	s_delay_alu instid0(VALU_DEP_1) | instskip(NEXT) | instid1(VALU_DEP_4)
	v_add_co_ci_u32_e64 v19, s0, 0, v19, s0
	v_cndmask_b32_e32 v23, v23, v17, vcc_lo
	s_delay_alu instid0(VALU_DEP_3) | instskip(SKIP_1) | instid1(VALU_DEP_2)
	v_add_nc_u32_e32 v25, -1, v18
	s_waitcnt lgkmcnt(0)
	v_fmac_f32_e32 v21, v23, v24
	s_delay_alu instid0(VALU_DEP_2) | instskip(SKIP_1) | instid1(SALU_CYCLE_1)
	v_cmp_lt_u32_e32 vcc_lo, 9, v25
	s_or_b32 s2, vcc_lo, s2
	s_and_not1_b32 exec_lo, exec_lo, s2
	s_cbranch_execnz .LBB15_67
; %bb.68:
	s_set_inst_prefetch_distance 0x2
	s_or_b32 exec_lo, exec_lo, s2
	v_mov_b32_e32 v13, 0
	ds_load_b32 v13, v13 offset:44
	s_waitcnt lgkmcnt(0)
	v_mul_f32_e32 v13, v21, v13
.LBB15_69:
	s_or_b32 exec_lo, exec_lo, s1
	s_delay_alu instid0(SALU_CYCLE_1)
	s_mov_b32 s1, exec_lo
	s_barrier
	buffer_gl0_inv
	ds_store_b32 v20, v14
	s_waitcnt lgkmcnt(0)
	s_barrier
	buffer_gl0_inv
	v_cmpx_gt_u32_e32 12, v0
	s_cbranch_execz .LBB15_73
; %bb.70:
	v_mov_b32_e32 v19, v1
	v_lshl_add_u32 v22, v0, 2, 64
	v_dual_mov_b32 v21, 0 :: v_dual_mov_b32 v18, v0
	s_mov_b32 s2, 0
	s_set_inst_prefetch_distance 0x1
	.p2align	6
.LBB15_71:                              ; =>This Inner Loop Header: Depth=1
	s_delay_alu instid0(VALU_DEP_1) | instskip(SKIP_3) | instid1(VALU_DEP_2)
	v_cmp_eq_u32_e32 vcc_lo, 1, v18
	ds_load_b32 v24, v22
	v_dual_cndmask_b32 v23, v2, v3 :: v_dual_add_nc_u32 v22, 4, v22
	v_cmp_eq_u32_e32 vcc_lo, 2, v18
	v_cndmask_b32_e32 v23, v23, v4, vcc_lo
	v_cmp_eq_u32_e32 vcc_lo, 3, v18
	s_delay_alu instid0(VALU_DEP_2) | instskip(SKIP_1) | instid1(VALU_DEP_2)
	v_cndmask_b32_e32 v23, v23, v5, vcc_lo
	v_cmp_eq_u32_e32 vcc_lo, 4, v18
	v_cndmask_b32_e32 v23, v23, v6, vcc_lo
	v_cmp_eq_u32_e32 vcc_lo, 5, v18
	s_delay_alu instid0(VALU_DEP_2) | instskip(SKIP_1) | instid1(VALU_DEP_2)
	v_cndmask_b32_e32 v23, v23, v7, vcc_lo
	;; [unrolled: 5-line block ×6, first 2 shown]
	v_cmp_eq_u32_e32 vcc_lo, 14, v18
	v_cndmask_b32_e32 v23, v23, v16, vcc_lo
	v_cmp_eq_u32_e32 vcc_lo, 15, v18
	v_add_co_u32 v18, s0, v18, 1
	s_delay_alu instid0(VALU_DEP_1) | instskip(NEXT) | instid1(VALU_DEP_4)
	v_add_co_ci_u32_e64 v19, s0, 0, v19, s0
	v_cndmask_b32_e32 v23, v23, v17, vcc_lo
	s_delay_alu instid0(VALU_DEP_3) | instskip(SKIP_1) | instid1(VALU_DEP_2)
	v_add_nc_u32_e32 v25, -1, v18
	s_waitcnt lgkmcnt(0)
	v_fmac_f32_e32 v21, v23, v24
	s_delay_alu instid0(VALU_DEP_2) | instskip(SKIP_1) | instid1(SALU_CYCLE_1)
	v_cmp_lt_u32_e32 vcc_lo, 10, v25
	s_or_b32 s2, vcc_lo, s2
	s_and_not1_b32 exec_lo, exec_lo, s2
	s_cbranch_execnz .LBB15_71
; %bb.72:
	s_set_inst_prefetch_distance 0x2
	s_or_b32 exec_lo, exec_lo, s2
	v_mov_b32_e32 v14, 0
	ds_load_b32 v14, v14 offset:48
	s_waitcnt lgkmcnt(0)
	v_mul_f32_e32 v14, v21, v14
.LBB15_73:
	s_or_b32 exec_lo, exec_lo, s1
	s_delay_alu instid0(SALU_CYCLE_1)
	s_mov_b32 s1, exec_lo
	s_barrier
	buffer_gl0_inv
	ds_store_b32 v20, v15
	s_waitcnt lgkmcnt(0)
	s_barrier
	buffer_gl0_inv
	v_cmpx_gt_u32_e32 13, v0
	s_cbranch_execz .LBB15_77
; %bb.74:
	v_mov_b32_e32 v19, v1
	v_lshl_add_u32 v22, v0, 2, 64
	v_dual_mov_b32 v21, 0 :: v_dual_mov_b32 v18, v0
	s_mov_b32 s2, 0
	s_set_inst_prefetch_distance 0x1
	.p2align	6
.LBB15_75:                              ; =>This Inner Loop Header: Depth=1
	s_delay_alu instid0(VALU_DEP_1) | instskip(SKIP_3) | instid1(VALU_DEP_2)
	v_cmp_eq_u32_e32 vcc_lo, 1, v18
	ds_load_b32 v24, v22
	v_dual_cndmask_b32 v23, v2, v3 :: v_dual_add_nc_u32 v22, 4, v22
	v_cmp_eq_u32_e32 vcc_lo, 2, v18
	v_cndmask_b32_e32 v23, v23, v4, vcc_lo
	v_cmp_eq_u32_e32 vcc_lo, 3, v18
	s_delay_alu instid0(VALU_DEP_2) | instskip(SKIP_1) | instid1(VALU_DEP_2)
	v_cndmask_b32_e32 v23, v23, v5, vcc_lo
	v_cmp_eq_u32_e32 vcc_lo, 4, v18
	v_cndmask_b32_e32 v23, v23, v6, vcc_lo
	v_cmp_eq_u32_e32 vcc_lo, 5, v18
	s_delay_alu instid0(VALU_DEP_2) | instskip(SKIP_1) | instid1(VALU_DEP_2)
	v_cndmask_b32_e32 v23, v23, v7, vcc_lo
	;; [unrolled: 5-line block ×6, first 2 shown]
	v_cmp_eq_u32_e32 vcc_lo, 14, v18
	v_cndmask_b32_e32 v23, v23, v16, vcc_lo
	v_cmp_eq_u32_e32 vcc_lo, 15, v18
	v_add_co_u32 v18, s0, v18, 1
	s_delay_alu instid0(VALU_DEP_1) | instskip(NEXT) | instid1(VALU_DEP_4)
	v_add_co_ci_u32_e64 v19, s0, 0, v19, s0
	v_cndmask_b32_e32 v23, v23, v17, vcc_lo
	s_delay_alu instid0(VALU_DEP_3) | instskip(SKIP_1) | instid1(VALU_DEP_2)
	v_add_nc_u32_e32 v25, -1, v18
	s_waitcnt lgkmcnt(0)
	v_fmac_f32_e32 v21, v23, v24
	s_delay_alu instid0(VALU_DEP_2) | instskip(SKIP_1) | instid1(SALU_CYCLE_1)
	v_cmp_lt_u32_e32 vcc_lo, 11, v25
	s_or_b32 s2, vcc_lo, s2
	s_and_not1_b32 exec_lo, exec_lo, s2
	s_cbranch_execnz .LBB15_75
; %bb.76:
	s_set_inst_prefetch_distance 0x2
	s_or_b32 exec_lo, exec_lo, s2
	v_mov_b32_e32 v15, 0
	ds_load_b32 v15, v15 offset:52
	s_waitcnt lgkmcnt(0)
	v_mul_f32_e32 v15, v21, v15
.LBB15_77:
	s_or_b32 exec_lo, exec_lo, s1
	s_delay_alu instid0(SALU_CYCLE_1)
	s_mov_b32 s1, exec_lo
	s_barrier
	buffer_gl0_inv
	ds_store_b32 v20, v16
	s_waitcnt lgkmcnt(0)
	s_barrier
	buffer_gl0_inv
	v_cmpx_gt_u32_e32 14, v0
	s_cbranch_execz .LBB15_81
; %bb.78:
	v_mov_b32_e32 v19, v1
	v_lshl_add_u32 v22, v0, 2, 64
	v_dual_mov_b32 v21, 0 :: v_dual_mov_b32 v18, v0
	s_mov_b32 s2, 0
	s_set_inst_prefetch_distance 0x1
	.p2align	6
.LBB15_79:                              ; =>This Inner Loop Header: Depth=1
	s_delay_alu instid0(VALU_DEP_1) | instskip(SKIP_3) | instid1(VALU_DEP_2)
	v_cmp_eq_u32_e32 vcc_lo, 1, v18
	ds_load_b32 v24, v22
	v_dual_cndmask_b32 v23, v2, v3 :: v_dual_add_nc_u32 v22, 4, v22
	v_cmp_eq_u32_e32 vcc_lo, 2, v18
	v_cndmask_b32_e32 v23, v23, v4, vcc_lo
	v_cmp_eq_u32_e32 vcc_lo, 3, v18
	s_delay_alu instid0(VALU_DEP_2) | instskip(SKIP_1) | instid1(VALU_DEP_2)
	v_cndmask_b32_e32 v23, v23, v5, vcc_lo
	v_cmp_eq_u32_e32 vcc_lo, 4, v18
	v_cndmask_b32_e32 v23, v23, v6, vcc_lo
	v_cmp_eq_u32_e32 vcc_lo, 5, v18
	s_delay_alu instid0(VALU_DEP_2) | instskip(SKIP_1) | instid1(VALU_DEP_2)
	v_cndmask_b32_e32 v23, v23, v7, vcc_lo
	;; [unrolled: 5-line block ×6, first 2 shown]
	v_cmp_eq_u32_e32 vcc_lo, 14, v18
	v_cndmask_b32_e32 v23, v23, v16, vcc_lo
	v_cmp_eq_u32_e32 vcc_lo, 15, v18
	v_add_co_u32 v18, s0, v18, 1
	s_delay_alu instid0(VALU_DEP_1) | instskip(NEXT) | instid1(VALU_DEP_4)
	v_add_co_ci_u32_e64 v19, s0, 0, v19, s0
	v_cndmask_b32_e32 v23, v23, v17, vcc_lo
	s_delay_alu instid0(VALU_DEP_3) | instskip(SKIP_1) | instid1(VALU_DEP_2)
	v_add_nc_u32_e32 v25, -1, v18
	s_waitcnt lgkmcnt(0)
	v_fmac_f32_e32 v21, v23, v24
	s_delay_alu instid0(VALU_DEP_2) | instskip(SKIP_1) | instid1(SALU_CYCLE_1)
	v_cmp_lt_u32_e32 vcc_lo, 12, v25
	s_or_b32 s2, vcc_lo, s2
	s_and_not1_b32 exec_lo, exec_lo, s2
	s_cbranch_execnz .LBB15_79
; %bb.80:
	s_set_inst_prefetch_distance 0x2
	s_or_b32 exec_lo, exec_lo, s2
	v_mov_b32_e32 v16, 0
	ds_load_b32 v16, v16 offset:56
	s_waitcnt lgkmcnt(0)
	v_mul_f32_e32 v16, v21, v16
.LBB15_81:
	s_or_b32 exec_lo, exec_lo, s1
	s_delay_alu instid0(SALU_CYCLE_1)
	s_mov_b32 s1, exec_lo
	s_barrier
	buffer_gl0_inv
	ds_store_b32 v20, v17
	s_waitcnt lgkmcnt(0)
	s_barrier
	buffer_gl0_inv
	v_cmpx_ne_u32_e32 15, v0
	s_cbranch_execz .LBB15_85
; %bb.82:
	v_dual_mov_b32 v20, 0 :: v_dual_mov_b32 v19, v1
	v_lshl_add_u32 v21, v0, 2, 64
	v_mov_b32_e32 v18, v0
	s_mov_b32 s2, 0
	s_set_inst_prefetch_distance 0x1
	.p2align	6
.LBB15_83:                              ; =>This Inner Loop Header: Depth=1
	s_delay_alu instid0(VALU_DEP_1) | instskip(SKIP_3) | instid1(VALU_DEP_2)
	v_cmp_eq_u32_e32 vcc_lo, 1, v18
	ds_load_b32 v22, v21
	v_cndmask_b32_e32 v1, v2, v3, vcc_lo
	v_cmp_eq_u32_e32 vcc_lo, 2, v18
	v_cndmask_b32_e32 v1, v1, v4, vcc_lo
	v_cmp_eq_u32_e32 vcc_lo, 3, v18
	s_delay_alu instid0(VALU_DEP_2) | instskip(SKIP_1) | instid1(VALU_DEP_2)
	v_cndmask_b32_e32 v1, v1, v5, vcc_lo
	v_cmp_eq_u32_e32 vcc_lo, 4, v18
	v_cndmask_b32_e32 v1, v1, v6, vcc_lo
	v_cmp_eq_u32_e32 vcc_lo, 5, v18
	s_delay_alu instid0(VALU_DEP_2) | instskip(SKIP_1) | instid1(VALU_DEP_2)
	v_cndmask_b32_e32 v1, v1, v7, vcc_lo
	v_cmp_eq_u32_e32 vcc_lo, 6, v18
	v_cndmask_b32_e32 v1, v1, v8, vcc_lo
	v_cmp_eq_u32_e32 vcc_lo, 7, v18
	s_delay_alu instid0(VALU_DEP_2) | instskip(SKIP_1) | instid1(VALU_DEP_2)
	v_cndmask_b32_e32 v1, v1, v9, vcc_lo
	v_cmp_eq_u32_e32 vcc_lo, 8, v18
	v_cndmask_b32_e32 v1, v1, v10, vcc_lo
	v_cmp_eq_u32_e32 vcc_lo, 9, v18
	s_delay_alu instid0(VALU_DEP_2) | instskip(SKIP_1) | instid1(VALU_DEP_2)
	v_cndmask_b32_e32 v1, v1, v11, vcc_lo
	v_cmp_eq_u32_e32 vcc_lo, 10, v18
	v_cndmask_b32_e32 v1, v1, v12, vcc_lo
	v_cmp_eq_u32_e32 vcc_lo, 11, v18
	s_delay_alu instid0(VALU_DEP_2) | instskip(SKIP_1) | instid1(VALU_DEP_2)
	v_cndmask_b32_e32 v1, v1, v13, vcc_lo
	v_cmp_eq_u32_e32 vcc_lo, 12, v18
	v_cndmask_b32_e32 v1, v1, v14, vcc_lo
	v_cmp_eq_u32_e32 vcc_lo, 13, v18
	s_delay_alu instid0(VALU_DEP_2) | instskip(SKIP_1) | instid1(VALU_DEP_2)
	v_cndmask_b32_e32 v1, v1, v15, vcc_lo
	v_cmp_eq_u32_e32 vcc_lo, 14, v18
	v_cndmask_b32_e32 v1, v1, v16, vcc_lo
	v_cmp_eq_u32_e32 vcc_lo, 15, v18
	v_add_co_u32 v18, s0, v18, 1
	s_delay_alu instid0(VALU_DEP_1) | instskip(NEXT) | instid1(VALU_DEP_4)
	v_add_co_ci_u32_e64 v19, s0, 0, v19, s0
	v_cndmask_b32_e32 v1, v1, v17, vcc_lo
	s_delay_alu instid0(VALU_DEP_3) | instskip(SKIP_1) | instid1(VALU_DEP_2)
	v_add_nc_u32_e32 v23, -1, v18
	s_waitcnt lgkmcnt(0)
	v_dual_fmac_f32 v20, v1, v22 :: v_dual_add_nc_u32 v21, 4, v21
	s_delay_alu instid0(VALU_DEP_2) | instskip(SKIP_1) | instid1(SALU_CYCLE_1)
	v_cmp_lt_u32_e32 vcc_lo, 13, v23
	s_or_b32 s2, vcc_lo, s2
	s_and_not1_b32 exec_lo, exec_lo, s2
	s_cbranch_execnz .LBB15_83
; %bb.84:
	s_set_inst_prefetch_distance 0x2
	s_or_b32 exec_lo, exec_lo, s2
	v_mov_b32_e32 v1, 0
	ds_load_b32 v1, v1 offset:60
	s_waitcnt lgkmcnt(0)
	v_mul_f32_e32 v17, v20, v1
.LBB15_85:
	s_or_b32 exec_lo, exec_lo, s1
	s_barrier
	buffer_gl0_inv
	s_cbranch_execnz .LBB15_15
	s_branch .LBB15_16
.LBB15_86:
	v_lshl_add_u32 v1, v0, 2, 64
	s_mov_b32 s0, exec_lo
	v_cmpx_eq_u32_e32 15, v0
	s_cbranch_execz .LBB15_88
; %bb.87:
	s_mov_b32 s1, 0
	ds_store_b32 v1, v16
	v_mov_b32_e32 v16, s1
.LBB15_88:
	s_or_b32 exec_lo, exec_lo, s0
	v_mov_b32_e32 v32, 0
	s_waitcnt lgkmcnt(0)
	s_waitcnt_vscnt null, 0x0
	s_barrier
	buffer_gl0_inv
	s_mov_b32 s0, exec_lo
	ds_load_b32 v18, v32 offset:124
	s_waitcnt lgkmcnt(0)
	v_fma_f32 v18, v17, v18, 0
	s_delay_alu instid0(VALU_DEP_1)
	v_sub_f32_e32 v16, v16, v18
	v_cmpx_lt_u32_e32 13, v0
	s_cbranch_execz .LBB15_90
; %bb.89:
	s_mov_b32 s1, 0
	v_mov_b32_e32 v31, v17
	v_dual_mov_b32 v30, v16 :: v_dual_mov_b32 v29, v15
	v_dual_mov_b32 v28, v14 :: v_dual_mov_b32 v27, v13
	;; [unrolled: 1-line block ×8, first 2 shown]
	ds_store_b32 v1, v15
	v_mov_b32_e32 v2, v16
	v_dual_mov_b32 v3, v17 :: v_dual_mov_b32 v4, v18
	v_dual_mov_b32 v5, v19 :: v_dual_mov_b32 v6, v20
	;; [unrolled: 1-line block ×7, first 2 shown]
	v_mov_b32_e32 v17, v31
.LBB15_90:
	s_or_b32 exec_lo, exec_lo, s0
	s_waitcnt lgkmcnt(0)
	s_barrier
	buffer_gl0_inv
	ds_load_b64 v[18:19], v32 offset:120
	s_mov_b32 s0, exec_lo
	s_waitcnt lgkmcnt(0)
	v_fma_f32 v18, v16, v18, 0
	s_delay_alu instid0(VALU_DEP_1) | instskip(NEXT) | instid1(VALU_DEP_1)
	v_fmac_f32_e32 v18, v17, v19
	v_sub_f32_e32 v15, v15, v18
	v_cmpx_lt_u32_e32 12, v0
	s_cbranch_execz .LBB15_92
; %bb.91:
	s_mov_b32 s1, 0
	v_mov_b32_e32 v30, v17
	v_mov_b32_e32 v27, v14
	v_dual_mov_b32 v27, s1 :: v_dual_mov_b32 v26, v13
	v_dual_mov_b32 v29, v16 :: v_dual_mov_b32 v28, v15
	;; [unrolled: 1-line block ×6, first 2 shown]
	v_mov_b32_e32 v17, v4
	v_mov_b32_e32 v16, v3
	;; [unrolled: 1-line block ×3, first 2 shown]
	ds_store_b32 v1, v14
	v_mov_b32_e32 v2, v15
	v_dual_mov_b32 v3, v16 :: v_dual_mov_b32 v4, v17
	v_dual_mov_b32 v5, v18 :: v_dual_mov_b32 v6, v19
	;; [unrolled: 1-line block ×6, first 2 shown]
	v_mov_b32_e32 v15, v28
	v_mov_b32_e32 v16, v29
	;; [unrolled: 1-line block ×3, first 2 shown]
.LBB15_92:
	s_or_b32 exec_lo, exec_lo, s0
	v_mov_b32_e32 v30, 0
	s_waitcnt lgkmcnt(0)
	s_barrier
	buffer_gl0_inv
	s_mov_b32 s0, exec_lo
	ds_load_2addr_b32 v[18:19], v30 offset0:29 offset1:30
	ds_load_b32 v20, v30 offset:124
	s_waitcnt lgkmcnt(1)
	v_fma_f32 v18, v15, v18, 0
	s_delay_alu instid0(VALU_DEP_1) | instskip(SKIP_1) | instid1(VALU_DEP_1)
	v_fmac_f32_e32 v18, v16, v19
	s_waitcnt lgkmcnt(0)
	v_fmac_f32_e32 v18, v17, v20
	s_delay_alu instid0(VALU_DEP_1)
	v_sub_f32_e32 v14, v14, v18
	v_cmpx_lt_u32_e32 11, v0
	s_cbranch_execz .LBB15_94
; %bb.93:
	s_mov_b32 s1, 0
	v_mov_b32_e32 v29, v17
	v_dual_mov_b32 v26, v14 :: v_dual_mov_b32 v25, v13
	v_dual_mov_b32 v28, v16 :: v_dual_mov_b32 v27, v15
	;; [unrolled: 1-line block ×7, first 2 shown]
	v_mov_b32_e32 v15, v3
	v_mov_b32_e32 v14, v2
	ds_store_b32 v1, v13
	v_mov_b32_e32 v2, v14
	v_dual_mov_b32 v3, v15 :: v_dual_mov_b32 v4, v16
	v_dual_mov_b32 v5, v17 :: v_dual_mov_b32 v6, v18
	;; [unrolled: 1-line block ×6, first 2 shown]
	v_mov_b32_e32 v15, v27
	v_mov_b32_e32 v16, v28
	;; [unrolled: 1-line block ×3, first 2 shown]
.LBB15_94:
	s_or_b32 exec_lo, exec_lo, s0
	s_waitcnt lgkmcnt(0)
	s_barrier
	buffer_gl0_inv
	ds_load_b128 v[18:21], v30 offset:112
	s_mov_b32 s0, exec_lo
	s_waitcnt lgkmcnt(0)
	v_fma_f32 v18, v14, v18, 0
	s_delay_alu instid0(VALU_DEP_1) | instskip(NEXT) | instid1(VALU_DEP_1)
	v_fmac_f32_e32 v18, v15, v19
	v_fmac_f32_e32 v18, v16, v20
	s_delay_alu instid0(VALU_DEP_1) | instskip(NEXT) | instid1(VALU_DEP_1)
	v_fmac_f32_e32 v18, v17, v21
	v_sub_f32_e32 v13, v13, v18
	v_cmpx_lt_u32_e32 10, v0
	s_cbranch_execz .LBB15_96
; %bb.95:
	s_mov_b32 s1, 0
	v_mov_b32_e32 v28, v17
	v_mov_b32_e32 v23, v12
	v_dual_mov_b32 v23, s1 :: v_dual_mov_b32 v22, v11
	v_dual_mov_b32 v27, v16 :: v_dual_mov_b32 v26, v15
	;; [unrolled: 1-line block ×5, first 2 shown]
	v_mov_b32_e32 v17, v6
	v_mov_b32_e32 v16, v5
	;; [unrolled: 1-line block ×5, first 2 shown]
	ds_store_b32 v1, v12
	v_mov_b32_e32 v2, v13
	v_dual_mov_b32 v3, v14 :: v_dual_mov_b32 v4, v15
	v_dual_mov_b32 v5, v16 :: v_dual_mov_b32 v6, v17
	;; [unrolled: 1-line block ×5, first 2 shown]
	v_mov_b32_e32 v13, v24
	v_mov_b32_e32 v14, v25
	;; [unrolled: 1-line block ×5, first 2 shown]
.LBB15_96:
	s_or_b32 exec_lo, exec_lo, s0
	v_mov_b32_e32 v28, 0
	s_waitcnt lgkmcnt(0)
	s_barrier
	buffer_gl0_inv
	s_mov_b32 s0, exec_lo
	ds_load_2addr_b32 v[18:19], v28 offset0:27 offset1:28
	ds_load_2addr_b32 v[20:21], v28 offset0:29 offset1:30
	ds_load_b32 v22, v28 offset:124
	s_waitcnt lgkmcnt(2)
	v_fma_f32 v18, v13, v18, 0
	s_delay_alu instid0(VALU_DEP_1) | instskip(SKIP_1) | instid1(VALU_DEP_1)
	v_fmac_f32_e32 v18, v14, v19
	s_waitcnt lgkmcnt(1)
	v_fmac_f32_e32 v18, v15, v20
	s_delay_alu instid0(VALU_DEP_1) | instskip(SKIP_1) | instid1(VALU_DEP_1)
	v_fmac_f32_e32 v18, v16, v21
	s_waitcnt lgkmcnt(0)
	v_fmac_f32_e32 v18, v17, v22
	s_delay_alu instid0(VALU_DEP_1)
	v_sub_f32_e32 v12, v12, v18
	v_cmpx_lt_u32_e32 9, v0
	s_cbranch_execz .LBB15_98
; %bb.97:
	s_mov_b32 s1, 0
	v_mov_b32_e32 v27, v17
	v_dual_mov_b32 v22, v12 :: v_dual_mov_b32 v21, v11
	v_dual_mov_b32 v26, v16 :: v_dual_mov_b32 v25, v15
	;; [unrolled: 1-line block ×6, first 2 shown]
	v_mov_b32_e32 v15, v5
	v_mov_b32_e32 v14, v4
	;; [unrolled: 1-line block ×4, first 2 shown]
	ds_store_b32 v1, v11
	v_mov_b32_e32 v2, v12
	v_dual_mov_b32 v3, v13 :: v_dual_mov_b32 v4, v14
	v_dual_mov_b32 v5, v15 :: v_dual_mov_b32 v6, v16
	;; [unrolled: 1-line block ×5, first 2 shown]
	v_mov_b32_e32 v13, v23
	v_mov_b32_e32 v14, v24
	;; [unrolled: 1-line block ×5, first 2 shown]
.LBB15_98:
	s_or_b32 exec_lo, exec_lo, s0
	s_waitcnt lgkmcnt(0)
	s_barrier
	buffer_gl0_inv
	ds_load_2addr_b64 v[18:21], v28 offset0:13 offset1:14
	ds_load_b64 v[22:23], v28 offset:120
	s_mov_b32 s0, exec_lo
	s_waitcnt lgkmcnt(1)
	v_fma_f32 v18, v12, v18, 0
	s_delay_alu instid0(VALU_DEP_1) | instskip(NEXT) | instid1(VALU_DEP_1)
	v_fmac_f32_e32 v18, v13, v19
	v_fmac_f32_e32 v18, v14, v20
	s_delay_alu instid0(VALU_DEP_1) | instskip(SKIP_1) | instid1(VALU_DEP_1)
	v_fmac_f32_e32 v18, v15, v21
	s_waitcnt lgkmcnt(0)
	v_fmac_f32_e32 v18, v16, v22
	s_delay_alu instid0(VALU_DEP_1) | instskip(NEXT) | instid1(VALU_DEP_1)
	v_fmac_f32_e32 v18, v17, v23
	v_sub_f32_e32 v11, v11, v18
	v_cmpx_lt_u32_e32 8, v0
	s_cbranch_execz .LBB15_100
; %bb.99:
	s_mov_b32 s1, 0
	v_mov_b32_e32 v26, v17
	v_mov_b32_e32 v19, v10
	v_dual_mov_b32 v19, s1 :: v_dual_mov_b32 v18, v9
	v_dual_mov_b32 v25, v16 :: v_dual_mov_b32 v24, v15
	;; [unrolled: 1-line block ×4, first 2 shown]
	v_mov_b32_e32 v17, v8
	v_mov_b32_e32 v16, v7
	;; [unrolled: 1-line block ×7, first 2 shown]
	ds_store_b32 v1, v10
	v_mov_b32_e32 v2, v11
	v_dual_mov_b32 v3, v12 :: v_dual_mov_b32 v4, v13
	v_dual_mov_b32 v5, v14 :: v_dual_mov_b32 v6, v15
	;; [unrolled: 1-line block ×4, first 2 shown]
	v_mov_b32_e32 v11, v20
	v_mov_b32_e32 v12, v21
	;; [unrolled: 1-line block ×7, first 2 shown]
.LBB15_100:
	s_or_b32 exec_lo, exec_lo, s0
	v_mov_b32_e32 v26, 0
	s_waitcnt lgkmcnt(0)
	s_barrier
	buffer_gl0_inv
	s_mov_b32 s0, exec_lo
	ds_load_2addr_b32 v[18:19], v26 offset0:25 offset1:26
	ds_load_2addr_b32 v[20:21], v26 offset0:27 offset1:28
	;; [unrolled: 1-line block ×3, first 2 shown]
	ds_load_b32 v24, v26 offset:124
	s_waitcnt lgkmcnt(3)
	v_fma_f32 v18, v11, v18, 0
	s_delay_alu instid0(VALU_DEP_1) | instskip(SKIP_1) | instid1(VALU_DEP_1)
	v_fmac_f32_e32 v18, v12, v19
	s_waitcnt lgkmcnt(2)
	v_fmac_f32_e32 v18, v13, v20
	s_delay_alu instid0(VALU_DEP_1) | instskip(SKIP_1) | instid1(VALU_DEP_1)
	v_fmac_f32_e32 v18, v14, v21
	s_waitcnt lgkmcnt(1)
	v_fmac_f32_e32 v18, v15, v22
	;; [unrolled: 4-line block ×3, first 2 shown]
	s_delay_alu instid0(VALU_DEP_1)
	v_sub_f32_e32 v10, v10, v18
	v_cmpx_lt_u32_e32 7, v0
	s_cbranch_execz .LBB15_102
; %bb.101:
	v_mov_b32_e32 v25, v17
	s_mov_b32 s1, 0
	v_dual_mov_b32 v24, v16 :: v_dual_mov_b32 v23, v15
	v_dual_mov_b32 v22, v14 :: v_dual_mov_b32 v21, v13
	;; [unrolled: 1-line block ×4, first 2 shown]
	v_mov_b32_e32 v16, v8
	v_mov_b32_e32 v15, v7
	;; [unrolled: 1-line block ×6, first 2 shown]
	v_dual_mov_b32 v10, v2 :: v_dual_mov_b32 v17, s1
	ds_store_b32 v1, v9
	v_mov_b32_e32 v2, v10
	v_dual_mov_b32 v3, v11 :: v_dual_mov_b32 v4, v12
	v_dual_mov_b32 v5, v13 :: v_dual_mov_b32 v6, v14
	;; [unrolled: 1-line block ×4, first 2 shown]
	v_mov_b32_e32 v11, v19
	v_mov_b32_e32 v12, v20
	;; [unrolled: 1-line block ×7, first 2 shown]
.LBB15_102:
	s_or_b32 exec_lo, exec_lo, s0
	s_waitcnt lgkmcnt(0)
	s_barrier
	buffer_gl0_inv
	ds_load_b128 v[18:21], v26 offset:96
	ds_load_b128 v[22:25], v26 offset:112
	s_mov_b32 s0, exec_lo
	s_waitcnt lgkmcnt(1)
	v_fma_f32 v18, v10, v18, 0
	s_delay_alu instid0(VALU_DEP_1) | instskip(NEXT) | instid1(VALU_DEP_1)
	v_fmac_f32_e32 v18, v11, v19
	v_fmac_f32_e32 v18, v12, v20
	s_delay_alu instid0(VALU_DEP_1) | instskip(SKIP_1) | instid1(VALU_DEP_1)
	v_fmac_f32_e32 v18, v13, v21
	s_waitcnt lgkmcnt(0)
	v_fmac_f32_e32 v18, v14, v22
	s_delay_alu instid0(VALU_DEP_1) | instskip(NEXT) | instid1(VALU_DEP_1)
	v_fmac_f32_e32 v18, v15, v23
	v_fmac_f32_e32 v18, v16, v24
	s_delay_alu instid0(VALU_DEP_1) | instskip(NEXT) | instid1(VALU_DEP_1)
	v_fmac_f32_e32 v18, v17, v25
	v_sub_f32_e32 v9, v9, v18
	v_cmpx_lt_u32_e32 6, v0
	s_cbranch_execz .LBB15_104
; %bb.103:
	s_mov_b32 s1, 0
	v_mov_b32_e32 v24, v17
	v_dual_mov_b32 v23, v16 :: v_dual_mov_b32 v22, v15
	v_dual_mov_b32 v21, v14 :: v_dual_mov_b32 v20, v13
	;; [unrolled: 1-line block ×3, first 2 shown]
	v_mov_b32_e32 v17, v10
	v_mov_b32_e32 v16, v9
	;; [unrolled: 1-line block ×10, first 2 shown]
	ds_store_b32 v1, v8
	v_mov_b32_e32 v2, v9
	v_dual_mov_b32 v3, v10 :: v_dual_mov_b32 v4, v11
	v_dual_mov_b32 v5, v12 :: v_dual_mov_b32 v6, v13
	v_dual_mov_b32 v7, v14 :: v_dual_mov_b32 v8, v15
	v_mov_b32_e32 v9, v16
	v_mov_b32_e32 v10, v17
	;; [unrolled: 1-line block ×9, first 2 shown]
.LBB15_104:
	s_or_b32 exec_lo, exec_lo, s0
	v_mov_b32_e32 v24, 0
	s_waitcnt lgkmcnt(0)
	s_barrier
	buffer_gl0_inv
	s_mov_b32 s0, exec_lo
	ds_load_2addr_b32 v[18:19], v24 offset0:23 offset1:24
	ds_load_2addr_b32 v[20:21], v24 offset0:25 offset1:26
	;; [unrolled: 1-line block ×4, first 2 shown]
	s_waitcnt lgkmcnt(3)
	v_fma_f32 v18, v9, v18, 0
	s_delay_alu instid0(VALU_DEP_1) | instskip(SKIP_3) | instid1(VALU_DEP_1)
	v_fmac_f32_e32 v18, v10, v19
	ds_load_b32 v19, v24 offset:124
	s_waitcnt lgkmcnt(3)
	v_fmac_f32_e32 v18, v11, v20
	v_fmac_f32_e32 v18, v12, v21
	s_waitcnt lgkmcnt(2)
	s_delay_alu instid0(VALU_DEP_1) | instskip(NEXT) | instid1(VALU_DEP_1)
	v_fmac_f32_e32 v18, v13, v22
	v_fmac_f32_e32 v18, v14, v23
	s_waitcnt lgkmcnt(1)
	s_delay_alu instid0(VALU_DEP_1) | instskip(NEXT) | instid1(VALU_DEP_1)
	;; [unrolled: 4-line block ×3, first 2 shown]
	v_fmac_f32_e32 v18, v17, v19
	v_sub_f32_e32 v8, v8, v18
	v_cmpx_lt_u32_e32 5, v0
	s_cbranch_execz .LBB15_106
; %bb.105:
	v_mov_b32_e32 v23, v17
	s_mov_b32 s1, 0
	v_dual_mov_b32 v22, v16 :: v_dual_mov_b32 v21, v15
	v_dual_mov_b32 v20, v14 :: v_dual_mov_b32 v19, v13
	;; [unrolled: 1-line block ×3, first 2 shown]
	v_mov_b32_e32 v16, v10
	v_mov_b32_e32 v15, v9
	v_mov_b32_e32 v14, v8
	v_mov_b32_e32 v13, v7
	v_mov_b32_e32 v12, v6
	v_mov_b32_e32 v11, v5
	v_mov_b32_e32 v10, v4
	v_mov_b32_e32 v9, v3
	v_dual_mov_b32 v8, v2 :: v_dual_mov_b32 v13, s1
	ds_store_b32 v1, v7
	v_mov_b32_e32 v2, v8
	v_dual_mov_b32 v3, v9 :: v_dual_mov_b32 v4, v10
	v_dual_mov_b32 v5, v11 :: v_dual_mov_b32 v6, v12
	v_dual_mov_b32 v7, v13 :: v_dual_mov_b32 v8, v14
	v_mov_b32_e32 v9, v15
	v_mov_b32_e32 v10, v16
	;; [unrolled: 1-line block ×9, first 2 shown]
.LBB15_106:
	s_or_b32 exec_lo, exec_lo, s0
	s_waitcnt lgkmcnt(0)
	s_barrier
	buffer_gl0_inv
	ds_load_2addr_b64 v[18:21], v24 offset0:11 offset1:12
	ds_load_2addr_b64 v[25:28], v24 offset0:13 offset1:14
	s_mov_b32 s0, exec_lo
	s_waitcnt lgkmcnt(1)
	v_fma_f32 v22, v8, v18, 0
	s_delay_alu instid0(VALU_DEP_1) | instskip(SKIP_2) | instid1(VALU_DEP_1)
	v_fmac_f32_e32 v22, v9, v19
	ds_load_b64 v[18:19], v24 offset:120
	v_fmac_f32_e32 v22, v10, v20
	v_fmac_f32_e32 v22, v11, v21
	s_waitcnt lgkmcnt(1)
	s_delay_alu instid0(VALU_DEP_1) | instskip(NEXT) | instid1(VALU_DEP_1)
	v_fmac_f32_e32 v22, v12, v25
	v_fmac_f32_e32 v22, v13, v26
	s_delay_alu instid0(VALU_DEP_1) | instskip(NEXT) | instid1(VALU_DEP_1)
	v_fmac_f32_e32 v22, v14, v27
	v_fmac_f32_e32 v22, v15, v28
	s_waitcnt lgkmcnt(0)
	s_delay_alu instid0(VALU_DEP_1) | instskip(NEXT) | instid1(VALU_DEP_1)
	v_fmac_f32_e32 v22, v16, v18
	v_fmac_f32_e32 v22, v17, v19
	s_delay_alu instid0(VALU_DEP_1)
	v_sub_f32_e32 v7, v7, v22
	v_cmpx_lt_u32_e32 4, v0
	s_cbranch_execz .LBB15_108
; %bb.107:
	s_mov_b32 s1, 0
	v_mov_b32_e32 v22, v17
	v_dual_mov_b32 v21, v16 :: v_dual_mov_b32 v20, v15
	v_dual_mov_b32 v19, v14 :: v_dual_mov_b32 v18, v13
	v_mov_b32_e32 v17, v12
	v_mov_b32_e32 v16, v11
	;; [unrolled: 1-line block ×12, first 2 shown]
	ds_store_b32 v1, v6
	v_mov_b32_e32 v2, v7
	v_dual_mov_b32 v3, v8 :: v_dual_mov_b32 v4, v9
	v_dual_mov_b32 v5, v10 :: v_dual_mov_b32 v6, v11
	v_mov_b32_e32 v7, v12
	v_mov_b32_e32 v8, v13
	;; [unrolled: 1-line block ×11, first 2 shown]
.LBB15_108:
	s_or_b32 exec_lo, exec_lo, s0
	v_mov_b32_e32 v22, 0
	s_waitcnt lgkmcnt(0)
	s_barrier
	buffer_gl0_inv
	s_mov_b32 s0, exec_lo
	ds_load_2addr_b32 v[18:19], v22 offset0:21 offset1:22
	ds_load_2addr_b32 v[20:21], v22 offset0:23 offset1:24
	;; [unrolled: 1-line block ×4, first 2 shown]
	s_waitcnt lgkmcnt(3)
	v_fma_f32 v27, v7, v18, 0
	s_delay_alu instid0(VALU_DEP_1)
	v_fmac_f32_e32 v27, v8, v19
	ds_load_2addr_b32 v[18:19], v22 offset0:29 offset1:30
	s_waitcnt lgkmcnt(3)
	v_fmac_f32_e32 v27, v9, v20
	ds_load_b32 v20, v22 offset:124
	v_fmac_f32_e32 v27, v10, v21
	s_waitcnt lgkmcnt(3)
	s_delay_alu instid0(VALU_DEP_1) | instskip(NEXT) | instid1(VALU_DEP_1)
	v_fmac_f32_e32 v27, v11, v23
	v_fmac_f32_e32 v27, v12, v24
	s_waitcnt lgkmcnt(2)
	s_delay_alu instid0(VALU_DEP_1) | instskip(NEXT) | instid1(VALU_DEP_1)
	v_fmac_f32_e32 v27, v13, v25
	;; [unrolled: 4-line block ×4, first 2 shown]
	v_sub_f32_e32 v6, v6, v27
	v_cmpx_lt_u32_e32 3, v0
	s_cbranch_execz .LBB15_110
; %bb.109:
	v_mov_b32_e32 v21, v17
	s_mov_b32 s1, 0
	v_dual_mov_b32 v20, v16 :: v_dual_mov_b32 v19, v15
	v_dual_mov_b32 v18, v14 :: v_dual_mov_b32 v17, v13
	v_mov_b32_e32 v16, v12
	v_mov_b32_e32 v15, v11
	;; [unrolled: 1-line block ×10, first 2 shown]
	v_dual_mov_b32 v6, v2 :: v_dual_mov_b32 v9, s1
	ds_store_b32 v1, v5
	v_mov_b32_e32 v2, v6
	v_dual_mov_b32 v3, v7 :: v_dual_mov_b32 v4, v8
	v_dual_mov_b32 v5, v9 :: v_dual_mov_b32 v6, v10
	v_mov_b32_e32 v7, v11
	v_mov_b32_e32 v8, v12
	;; [unrolled: 1-line block ×11, first 2 shown]
.LBB15_110:
	s_or_b32 exec_lo, exec_lo, s0
	s_waitcnt lgkmcnt(0)
	s_barrier
	buffer_gl0_inv
	ds_load_b128 v[18:21], v22 offset:80
	ds_load_b128 v[23:26], v22 offset:96
	s_mov_b32 s0, exec_lo
	s_waitcnt lgkmcnt(1)
	v_fma_f32 v27, v6, v18, 0
	s_delay_alu instid0(VALU_DEP_1) | instskip(NEXT) | instid1(VALU_DEP_1)
	v_fmac_f32_e32 v27, v7, v19
	v_fmac_f32_e32 v27, v8, v20
	s_delay_alu instid0(VALU_DEP_1) | instskip(SKIP_3) | instid1(VALU_DEP_1)
	v_fmac_f32_e32 v27, v9, v21
	ds_load_b128 v[18:21], v22 offset:112
	s_waitcnt lgkmcnt(1)
	v_fmac_f32_e32 v27, v10, v23
	v_fmac_f32_e32 v27, v11, v24
	s_delay_alu instid0(VALU_DEP_1) | instskip(NEXT) | instid1(VALU_DEP_1)
	v_fmac_f32_e32 v27, v12, v25
	v_fmac_f32_e32 v27, v13, v26
	s_waitcnt lgkmcnt(0)
	s_delay_alu instid0(VALU_DEP_1) | instskip(NEXT) | instid1(VALU_DEP_1)
	v_fmac_f32_e32 v27, v14, v18
	v_fmac_f32_e32 v27, v15, v19
	s_delay_alu instid0(VALU_DEP_1) | instskip(NEXT) | instid1(VALU_DEP_1)
	v_fmac_f32_e32 v27, v16, v20
	v_fmac_f32_e32 v27, v17, v21
	s_delay_alu instid0(VALU_DEP_1)
	v_sub_f32_e32 v5, v5, v27
	v_cmpx_lt_u32_e32 2, v0
	s_cbranch_execz .LBB15_112
; %bb.111:
	s_mov_b32 s1, 0
	v_mov_b32_e32 v20, v17
	v_dual_mov_b32 v19, v16 :: v_dual_mov_b32 v18, v15
	v_mov_b32_e32 v17, v14
	v_mov_b32_e32 v16, v13
	;; [unrolled: 1-line block ×14, first 2 shown]
	ds_store_b32 v1, v4
	v_mov_b32_e32 v2, v5
	v_dual_mov_b32 v3, v6 :: v_dual_mov_b32 v4, v7
	v_mov_b32_e32 v5, v8
	v_mov_b32_e32 v6, v9
	;; [unrolled: 1-line block ×13, first 2 shown]
.LBB15_112:
	s_or_b32 exec_lo, exec_lo, s0
	v_mov_b32_e32 v20, 0
	s_waitcnt lgkmcnt(0)
	s_barrier
	buffer_gl0_inv
	s_mov_b32 s0, exec_lo
	ds_load_2addr_b32 v[18:19], v20 offset0:19 offset1:20
	ds_load_2addr_b32 v[21:22], v20 offset0:21 offset1:22
	;; [unrolled: 1-line block ×4, first 2 shown]
	s_waitcnt lgkmcnt(3)
	v_fma_f32 v27, v5, v18, 0
	s_delay_alu instid0(VALU_DEP_1) | instskip(SKIP_3) | instid1(VALU_DEP_1)
	v_fmac_f32_e32 v27, v6, v19
	ds_load_2addr_b32 v[18:19], v20 offset0:27 offset1:28
	s_waitcnt lgkmcnt(3)
	v_fmac_f32_e32 v27, v7, v21
	v_fmac_f32_e32 v27, v8, v22
	ds_load_2addr_b32 v[21:22], v20 offset0:29 offset1:30
	s_waitcnt lgkmcnt(3)
	v_fmac_f32_e32 v27, v9, v23
	ds_load_b32 v23, v20 offset:124
	v_fmac_f32_e32 v27, v10, v24
	s_waitcnt lgkmcnt(3)
	s_delay_alu instid0(VALU_DEP_1) | instskip(NEXT) | instid1(VALU_DEP_1)
	v_fmac_f32_e32 v27, v11, v25
	v_fmac_f32_e32 v27, v12, v26
	s_waitcnt lgkmcnt(2)
	s_delay_alu instid0(VALU_DEP_1) | instskip(NEXT) | instid1(VALU_DEP_1)
	v_fmac_f32_e32 v27, v13, v18
	v_fmac_f32_e32 v27, v14, v19
	s_waitcnt lgkmcnt(1)
	s_delay_alu instid0(VALU_DEP_1) | instskip(NEXT) | instid1(VALU_DEP_1)
	v_fmac_f32_e32 v27, v15, v21
	v_fmac_f32_e32 v27, v16, v22
	s_waitcnt lgkmcnt(0)
	s_delay_alu instid0(VALU_DEP_1) | instskip(NEXT) | instid1(VALU_DEP_1)
	v_fmac_f32_e32 v27, v17, v23
	v_sub_f32_e32 v4, v4, v27
	v_cmpx_lt_u32_e32 1, v0
	s_cbranch_execz .LBB15_114
; %bb.113:
	v_mov_b32_e32 v19, v17
	s_mov_b32 s1, 0
	v_dual_mov_b32 v18, v16 :: v_dual_mov_b32 v17, v15
	v_mov_b32_e32 v16, v14
	v_mov_b32_e32 v15, v13
	;; [unrolled: 1-line block ×12, first 2 shown]
	v_dual_mov_b32 v4, v2 :: v_dual_mov_b32 v5, s1
	ds_store_b32 v1, v3
	v_mov_b32_e32 v2, v4
	v_dual_mov_b32 v3, v5 :: v_dual_mov_b32 v4, v6
	v_mov_b32_e32 v5, v7
	v_mov_b32_e32 v6, v8
	v_mov_b32_e32 v7, v9
	v_mov_b32_e32 v8, v10
	v_mov_b32_e32 v9, v11
	v_mov_b32_e32 v10, v12
	v_mov_b32_e32 v11, v13
	v_mov_b32_e32 v12, v14
	v_mov_b32_e32 v13, v15
	v_mov_b32_e32 v14, v16
	v_mov_b32_e32 v15, v17
	v_mov_b32_e32 v16, v18
	v_mov_b32_e32 v17, v19
.LBB15_114:
	s_or_b32 exec_lo, exec_lo, s0
	s_waitcnt lgkmcnt(0)
	s_barrier
	buffer_gl0_inv
	ds_load_2addr_b64 v[21:24], v20 offset0:9 offset1:10
	ds_load_2addr_b64 v[25:28], v20 offset0:11 offset1:12
	s_mov_b32 s1, 0
	s_mov_b32 s0, exec_lo
	ds_load_b64 v[18:19], v20 offset:120
	s_waitcnt lgkmcnt(2)
	v_fma_f32 v29, v4, v21, 0
	s_delay_alu instid0(VALU_DEP_1) | instskip(NEXT) | instid1(VALU_DEP_1)
	v_fmac_f32_e32 v29, v5, v22
	v_fmac_f32_e32 v29, v6, v23
	s_delay_alu instid0(VALU_DEP_1) | instskip(SKIP_3) | instid1(VALU_DEP_1)
	v_fmac_f32_e32 v29, v7, v24
	ds_load_2addr_b64 v[21:24], v20 offset0:13 offset1:14
	s_waitcnt lgkmcnt(2)
	v_fmac_f32_e32 v29, v8, v25
	v_fmac_f32_e32 v29, v9, v26
	s_delay_alu instid0(VALU_DEP_1) | instskip(NEXT) | instid1(VALU_DEP_1)
	v_fmac_f32_e32 v29, v10, v27
	v_fmac_f32_e32 v29, v11, v28
	s_waitcnt lgkmcnt(0)
	s_delay_alu instid0(VALU_DEP_1) | instskip(NEXT) | instid1(VALU_DEP_1)
	v_fmac_f32_e32 v29, v12, v21
	v_fmac_f32_e32 v29, v13, v22
	s_delay_alu instid0(VALU_DEP_1) | instskip(NEXT) | instid1(VALU_DEP_1)
	v_fmac_f32_e32 v29, v14, v23
	v_fmac_f32_e32 v29, v15, v24
	;; [unrolled: 3-line block ×3, first 2 shown]
	s_delay_alu instid0(VALU_DEP_1)
	v_sub_f32_e32 v3, v3, v29
	v_cmpx_ne_u32_e32 0, v0
	s_cbranch_execz .LBB15_116
; %bb.115:
	v_mov_b32_e32 v18, v17
	v_mov_b32_e32 v17, v16
	v_mov_b32_e32 v16, v15
	v_mov_b32_e32 v15, v14
	v_mov_b32_e32 v14, v13
	v_mov_b32_e32 v13, v12
	v_mov_b32_e32 v12, v11
	v_mov_b32_e32 v11, v10
	v_mov_b32_e32 v10, v9
	v_mov_b32_e32 v9, v8
	v_mov_b32_e32 v8, v7
	v_mov_b32_e32 v7, v6
	v_mov_b32_e32 v6, v5
	v_mov_b32_e32 v5, v4
	v_mov_b32_e32 v4, v3
	v_mov_b32_e32 v3, v2
	v_mov_b32_e32 v3, s1
	ds_store_b32 v1, v2
	v_mov_b32_e32 v2, v3
	v_mov_b32_e32 v3, v4
	v_mov_b32_e32 v4, v5
	v_mov_b32_e32 v5, v6
	v_mov_b32_e32 v6, v7
	v_mov_b32_e32 v7, v8
	v_mov_b32_e32 v8, v9
	v_mov_b32_e32 v9, v10
	v_mov_b32_e32 v10, v11
	v_mov_b32_e32 v11, v12
	v_mov_b32_e32 v12, v13
	v_mov_b32_e32 v13, v14
	v_mov_b32_e32 v14, v15
	v_mov_b32_e32 v15, v16
	v_mov_b32_e32 v16, v17
	v_mov_b32_e32 v17, v18
.LBB15_116:
	s_or_b32 exec_lo, exec_lo, s0
	v_mov_b32_e32 v24, 0
	s_waitcnt lgkmcnt(0)
	s_barrier
	buffer_gl0_inv
	s_and_b32 vcc_lo, exec_lo, s16
	ds_load_2addr_b32 v[0:1], v24 offset0:17 offset1:18
	ds_load_2addr_b32 v[18:19], v24 offset0:19 offset1:20
	;; [unrolled: 1-line block ×4, first 2 shown]
	s_waitcnt lgkmcnt(3)
	v_fma_f32 v25, v3, v0, 0
	s_delay_alu instid0(VALU_DEP_1) | instskip(SKIP_3) | instid1(VALU_DEP_1)
	v_fmac_f32_e32 v25, v4, v1
	ds_load_2addr_b32 v[0:1], v24 offset0:25 offset1:26
	s_waitcnt lgkmcnt(3)
	v_fmac_f32_e32 v25, v5, v18
	v_fmac_f32_e32 v25, v6, v19
	ds_load_2addr_b32 v[18:19], v24 offset0:27 offset1:28
	s_waitcnt lgkmcnt(3)
	v_fmac_f32_e32 v25, v7, v20
	s_delay_alu instid0(VALU_DEP_1) | instskip(SKIP_1) | instid1(VALU_DEP_1)
	v_fmac_f32_e32 v25, v8, v21
	s_waitcnt lgkmcnt(2)
	v_fmac_f32_e32 v25, v9, v22
	ds_load_2addr_b32 v[20:21], v24 offset0:29 offset1:30
	ds_load_b32 v22, v24 offset:124
	v_fmac_f32_e32 v25, v10, v23
	s_waitcnt lgkmcnt(3)
	s_delay_alu instid0(VALU_DEP_1) | instskip(NEXT) | instid1(VALU_DEP_1)
	v_fmac_f32_e32 v25, v11, v0
	v_fmac_f32_e32 v25, v12, v1
	s_waitcnt lgkmcnt(2)
	s_delay_alu instid0(VALU_DEP_1) | instskip(NEXT) | instid1(VALU_DEP_1)
	v_fmac_f32_e32 v25, v13, v18
	;; [unrolled: 4-line block ×4, first 2 shown]
	v_sub_f32_e32 v2, v2, v25
	s_cbranch_vccz .LBB15_148
; %bb.117:
	v_dual_mov_b32 v0, s12 :: v_dual_mov_b32 v1, s13
	s_mov_b32 s10, exec_lo
	flat_load_b32 v0, v[0:1] offset:56
	s_waitcnt vmcnt(0) lgkmcnt(0)
	v_add_nc_u32_e32 v0, -1, v0
	s_delay_alu instid0(VALU_DEP_1)
	v_cmpx_ne_u32_e32 14, v0
	s_cbranch_execz .LBB15_119
; %bb.118:
	v_cmp_eq_u32_e32 vcc_lo, 1, v0
	v_cmp_eq_u32_e64 s0, 2, v0
	v_cmp_eq_u32_e64 s1, 3, v0
	;; [unrolled: 1-line block ×4, first 2 shown]
	v_dual_cndmask_b32 v1, v2, v3 :: v_dual_cndmask_b32 v18, v3, v16
	v_cmp_eq_u32_e64 s4, 6, v0
	v_cmp_eq_u32_e64 s5, 7, v0
	;; [unrolled: 1-line block ×3, first 2 shown]
	s_delay_alu instid0(VALU_DEP_4)
	v_cndmask_b32_e64 v1, v1, v4, s0
	v_cmp_eq_u32_e64 s7, 9, v0
	v_cmp_eq_u32_e64 s8, 10, v0
	;; [unrolled: 1-line block ×3, first 2 shown]
	v_cndmask_b32_e64 v19, v4, v16, s0
	v_cndmask_b32_e64 v1, v1, v5, s1
	v_cmp_eq_u32_e64 s0, 12, v0
	v_cmp_eq_u32_e32 vcc_lo, 13, v0
	v_cndmask_b32_e64 v20, v5, v16, s1
	v_cmp_eq_u32_e64 s1, 14, v0
	v_cndmask_b32_e64 v1, v1, v6, s2
	v_cndmask_b32_e64 v21, v6, v16, s2
	v_cmp_eq_u32_e64 s2, 15, v0
	v_cndmask_b32_e64 v22, v7, v16, s3
	v_cndmask_b32_e64 v23, v8, v16, s4
	;; [unrolled: 1-line block ×11, first 2 shown]
	v_cndmask_b32_e32 v30, v15, v16, vcc_lo
	v_cndmask_b32_e64 v1, v1, v9, s5
	s_delay_alu instid0(VALU_DEP_1) | instskip(NEXT) | instid1(VALU_DEP_1)
	v_cndmask_b32_e64 v1, v1, v10, s6
	v_cndmask_b32_e64 v1, v1, v11, s7
	s_delay_alu instid0(VALU_DEP_1) | instskip(NEXT) | instid1(VALU_DEP_1)
	v_cndmask_b32_e64 v1, v1, v12, s8
	;; [unrolled: 3-line block ×3, first 2 shown]
	v_cndmask_b32_e32 v1, v1, v15, vcc_lo
	v_cmp_eq_u32_e32 vcc_lo, 0, v0
	s_delay_alu instid0(VALU_DEP_2) | instskip(NEXT) | instid1(VALU_DEP_1)
	v_cndmask_b32_e64 v1, v1, v16, s1
	v_cndmask_b32_e64 v1, v1, v17, s2
	v_cndmask_b32_e32 v17, v2, v16, vcc_lo
	s_delay_alu instid0(VALU_DEP_2) | instskip(NEXT) | instid1(VALU_DEP_2)
	v_cndmask_b32_e64 v31, v1, v16, s1
	v_mov_b32_e32 v2, v17
	v_dual_mov_b32 v3, v18 :: v_dual_mov_b32 v4, v19
	v_dual_mov_b32 v5, v20 :: v_dual_mov_b32 v6, v21
	;; [unrolled: 1-line block ×7, first 2 shown]
	v_mov_b32_e32 v17, v32
.LBB15_119:
	s_or_b32 exec_lo, exec_lo, s10
	v_dual_mov_b32 v0, s12 :: v_dual_mov_b32 v1, s13
	s_mov_b32 s10, exec_lo
	flat_load_b32 v0, v[0:1] offset:52
	s_waitcnt vmcnt(0) lgkmcnt(0)
	v_add_nc_u32_e32 v0, -1, v0
	s_delay_alu instid0(VALU_DEP_1)
	v_cmpx_ne_u32_e32 13, v0
	s_cbranch_execz .LBB15_121
; %bb.120:
	v_cmp_eq_u32_e32 vcc_lo, 1, v0
	v_cmp_eq_u32_e64 s0, 2, v0
	v_cmp_eq_u32_e64 s1, 3, v0
	;; [unrolled: 1-line block ×10, first 2 shown]
	v_cndmask_b32_e64 v19, v4, v15, s0
	v_cndmask_b32_e32 v18, v3, v15, vcc_lo
	v_cndmask_b32_e64 v20, v5, v15, s1
	v_cndmask_b32_e64 v21, v6, v15, s2
	;; [unrolled: 1-line block ×9, first 2 shown]
	v_cndmask_b32_e32 v1, v2, v3, vcc_lo
	v_cmp_eq_u32_e32 vcc_lo, 13, v0
	s_delay_alu instid0(VALU_DEP_2) | instskip(SKIP_1) | instid1(VALU_DEP_2)
	v_cndmask_b32_e64 v1, v1, v4, s0
	v_cmp_eq_u32_e64 s0, 12, v0
	v_cndmask_b32_e64 v1, v1, v5, s1
	v_cmp_eq_u32_e64 s1, 14, v0
	s_delay_alu instid0(VALU_DEP_3) | instskip(NEXT) | instid1(VALU_DEP_3)
	v_cndmask_b32_e64 v29, v14, v15, s0
	v_cndmask_b32_e64 v1, v1, v6, s2
	v_cmp_eq_u32_e64 s2, 15, v0
	s_delay_alu instid0(VALU_DEP_4) | instskip(NEXT) | instid1(VALU_DEP_3)
	v_cndmask_b32_e64 v31, v16, v15, s1
	v_cndmask_b32_e64 v1, v1, v7, s3
	s_delay_alu instid0(VALU_DEP_3) | instskip(NEXT) | instid1(VALU_DEP_2)
	v_cndmask_b32_e64 v32, v17, v15, s2
	v_cndmask_b32_e64 v1, v1, v8, s4
	s_delay_alu instid0(VALU_DEP_1) | instskip(NEXT) | instid1(VALU_DEP_1)
	v_cndmask_b32_e64 v1, v1, v9, s5
	v_cndmask_b32_e64 v1, v1, v10, s6
	s_delay_alu instid0(VALU_DEP_1) | instskip(NEXT) | instid1(VALU_DEP_1)
	;; [unrolled: 3-line block ×4, first 2 shown]
	v_cndmask_b32_e32 v1, v1, v15, vcc_lo
	v_cndmask_b32_e64 v1, v1, v16, s1
	s_delay_alu instid0(VALU_DEP_1) | instskip(NEXT) | instid1(VALU_DEP_1)
	v_cndmask_b32_e64 v1, v1, v17, s2
	v_cndmask_b32_e32 v30, v1, v15, vcc_lo
	v_cmp_eq_u32_e32 vcc_lo, 0, v0
	v_cndmask_b32_e32 v17, v2, v15, vcc_lo
	s_delay_alu instid0(VALU_DEP_1)
	v_mov_b32_e32 v2, v17
	v_dual_mov_b32 v4, v19 :: v_dual_mov_b32 v3, v18
	v_dual_mov_b32 v6, v21 :: v_dual_mov_b32 v5, v20
	;; [unrolled: 1-line block ×7, first 2 shown]
	v_mov_b32_e32 v17, v32
.LBB15_121:
	s_or_b32 exec_lo, exec_lo, s10
	v_dual_mov_b32 v0, s12 :: v_dual_mov_b32 v1, s13
	s_mov_b32 s10, exec_lo
	flat_load_b32 v0, v[0:1] offset:48
	s_waitcnt vmcnt(0) lgkmcnt(0)
	v_add_nc_u32_e32 v0, -1, v0
	s_delay_alu instid0(VALU_DEP_1)
	v_cmpx_ne_u32_e32 12, v0
	s_cbranch_execz .LBB15_123
; %bb.122:
	v_cmp_eq_u32_e32 vcc_lo, 1, v0
	v_cmp_eq_u32_e64 s0, 2, v0
	v_cmp_eq_u32_e64 s1, 3, v0
	;; [unrolled: 1-line block ×4, first 2 shown]
	v_dual_cndmask_b32 v1, v2, v3 :: v_dual_cndmask_b32 v18, v3, v14
	v_cmp_eq_u32_e64 s4, 6, v0
	v_cmp_eq_u32_e64 s5, 7, v0
	v_cmp_eq_u32_e64 s6, 8, v0
	s_delay_alu instid0(VALU_DEP_4)
	v_cndmask_b32_e64 v1, v1, v4, s0
	v_cmp_eq_u32_e64 s7, 9, v0
	v_cmp_eq_u32_e64 s8, 10, v0
	;; [unrolled: 1-line block ×3, first 2 shown]
	v_cndmask_b32_e64 v19, v4, v14, s0
	v_cndmask_b32_e64 v1, v1, v5, s1
	v_cmp_eq_u32_e64 s0, 12, v0
	v_cmp_eq_u32_e32 vcc_lo, 13, v0
	v_cndmask_b32_e64 v20, v5, v14, s1
	v_cmp_eq_u32_e64 s1, 14, v0
	v_cndmask_b32_e64 v1, v1, v6, s2
	v_cndmask_b32_e64 v21, v6, v14, s2
	v_cmp_eq_u32_e64 s2, 15, v0
	v_cndmask_b32_e64 v22, v7, v14, s3
	v_cndmask_b32_e64 v23, v8, v14, s4
	v_cndmask_b32_e64 v1, v1, v7, s3
	v_cndmask_b32_e64 v24, v9, v14, s5
	v_cndmask_b32_e64 v32, v17, v14, s2
	v_cndmask_b32_e64 v25, v10, v14, s6
	v_cndmask_b32_e64 v26, v11, v14, s7
	v_cndmask_b32_e64 v1, v1, v8, s4
	v_cndmask_b32_e64 v27, v12, v14, s8
	v_cndmask_b32_e64 v28, v13, v14, s9
	v_cndmask_b32_e64 v31, v16, v14, s1
	v_cndmask_b32_e32 v30, v15, v14, vcc_lo
	v_cndmask_b32_e64 v1, v1, v9, s5
	s_delay_alu instid0(VALU_DEP_1) | instskip(NEXT) | instid1(VALU_DEP_1)
	v_cndmask_b32_e64 v1, v1, v10, s6
	v_cndmask_b32_e64 v1, v1, v11, s7
	s_delay_alu instid0(VALU_DEP_1) | instskip(NEXT) | instid1(VALU_DEP_1)
	v_cndmask_b32_e64 v1, v1, v12, s8
	;; [unrolled: 3-line block ×3, first 2 shown]
	v_cndmask_b32_e32 v1, v1, v15, vcc_lo
	v_cmp_eq_u32_e32 vcc_lo, 0, v0
	s_delay_alu instid0(VALU_DEP_2) | instskip(NEXT) | instid1(VALU_DEP_1)
	v_cndmask_b32_e64 v1, v1, v16, s1
	v_cndmask_b32_e64 v1, v1, v17, s2
	v_cndmask_b32_e32 v17, v2, v14, vcc_lo
	s_delay_alu instid0(VALU_DEP_2) | instskip(NEXT) | instid1(VALU_DEP_2)
	v_cndmask_b32_e64 v29, v1, v14, s0
	v_mov_b32_e32 v2, v17
	v_dual_mov_b32 v3, v18 :: v_dual_mov_b32 v4, v19
	v_dual_mov_b32 v5, v20 :: v_dual_mov_b32 v6, v21
	v_dual_mov_b32 v7, v22 :: v_dual_mov_b32 v8, v23
	v_dual_mov_b32 v9, v24 :: v_dual_mov_b32 v10, v25
	v_dual_mov_b32 v11, v26 :: v_dual_mov_b32 v12, v27
	v_dual_mov_b32 v13, v28 :: v_dual_mov_b32 v14, v29
	v_dual_mov_b32 v15, v30 :: v_dual_mov_b32 v16, v31
	v_mov_b32_e32 v17, v32
.LBB15_123:
	s_or_b32 exec_lo, exec_lo, s10
	v_dual_mov_b32 v0, s12 :: v_dual_mov_b32 v1, s13
	s_mov_b32 s10, exec_lo
	flat_load_b32 v0, v[0:1] offset:44
	s_waitcnt vmcnt(0) lgkmcnt(0)
	v_add_nc_u32_e32 v0, -1, v0
	s_delay_alu instid0(VALU_DEP_1)
	v_cmpx_ne_u32_e32 11, v0
	s_cbranch_execz .LBB15_125
; %bb.124:
	v_cmp_eq_u32_e32 vcc_lo, 1, v0
	v_cmp_eq_u32_e64 s0, 2, v0
	v_cmp_eq_u32_e64 s1, 3, v0
	v_cmp_eq_u32_e64 s2, 4, v0
	v_cmp_eq_u32_e64 s3, 5, v0
	v_dual_cndmask_b32 v1, v2, v3 :: v_dual_cndmask_b32 v18, v3, v13
	v_cmp_eq_u32_e64 s4, 6, v0
	v_cmp_eq_u32_e64 s5, 7, v0
	v_cmp_eq_u32_e64 s6, 8, v0
	s_delay_alu instid0(VALU_DEP_4)
	v_cndmask_b32_e64 v1, v1, v4, s0
	v_cmp_eq_u32_e64 s7, 9, v0
	v_cmp_eq_u32_e64 s8, 10, v0
	;; [unrolled: 1-line block ×3, first 2 shown]
	v_cndmask_b32_e64 v19, v4, v13, s0
	v_cndmask_b32_e64 v1, v1, v5, s1
	v_cmp_eq_u32_e64 s0, 12, v0
	v_cmp_eq_u32_e32 vcc_lo, 13, v0
	v_cndmask_b32_e64 v20, v5, v13, s1
	v_cmp_eq_u32_e64 s1, 14, v0
	v_cndmask_b32_e64 v1, v1, v6, s2
	v_cndmask_b32_e64 v21, v6, v13, s2
	v_cmp_eq_u32_e64 s2, 15, v0
	v_cndmask_b32_e64 v22, v7, v13, s3
	v_cndmask_b32_e64 v23, v8, v13, s4
	v_cndmask_b32_e64 v1, v1, v7, s3
	v_cndmask_b32_e64 v24, v9, v13, s5
	v_cndmask_b32_e64 v32, v17, v13, s2
	v_cndmask_b32_e64 v25, v10, v13, s6
	v_cndmask_b32_e64 v26, v11, v13, s7
	v_cndmask_b32_e64 v1, v1, v8, s4
	v_cndmask_b32_e64 v27, v12, v13, s8
	v_cndmask_b32_e64 v29, v14, v13, s0
	v_cndmask_b32_e64 v31, v16, v13, s1
	v_cndmask_b32_e32 v30, v15, v13, vcc_lo
	v_cndmask_b32_e64 v1, v1, v9, s5
	s_delay_alu instid0(VALU_DEP_1) | instskip(NEXT) | instid1(VALU_DEP_1)
	v_cndmask_b32_e64 v1, v1, v10, s6
	v_cndmask_b32_e64 v1, v1, v11, s7
	s_delay_alu instid0(VALU_DEP_1) | instskip(NEXT) | instid1(VALU_DEP_1)
	v_cndmask_b32_e64 v1, v1, v12, s8
	;; [unrolled: 3-line block ×3, first 2 shown]
	v_cndmask_b32_e32 v1, v1, v15, vcc_lo
	v_cmp_eq_u32_e32 vcc_lo, 0, v0
	s_delay_alu instid0(VALU_DEP_2) | instskip(NEXT) | instid1(VALU_DEP_1)
	v_cndmask_b32_e64 v1, v1, v16, s1
	v_cndmask_b32_e64 v1, v1, v17, s2
	v_cndmask_b32_e32 v17, v2, v13, vcc_lo
	s_delay_alu instid0(VALU_DEP_2) | instskip(NEXT) | instid1(VALU_DEP_2)
	v_cndmask_b32_e64 v28, v1, v13, s9
	v_mov_b32_e32 v2, v17
	v_dual_mov_b32 v3, v18 :: v_dual_mov_b32 v4, v19
	v_dual_mov_b32 v5, v20 :: v_dual_mov_b32 v6, v21
	;; [unrolled: 1-line block ×7, first 2 shown]
	v_mov_b32_e32 v17, v32
.LBB15_125:
	s_or_b32 exec_lo, exec_lo, s10
	v_dual_mov_b32 v0, s12 :: v_dual_mov_b32 v1, s13
	s_mov_b32 s10, exec_lo
	flat_load_b32 v0, v[0:1] offset:40
	s_waitcnt vmcnt(0) lgkmcnt(0)
	v_add_nc_u32_e32 v0, -1, v0
	s_delay_alu instid0(VALU_DEP_1)
	v_cmpx_ne_u32_e32 10, v0
	s_cbranch_execz .LBB15_127
; %bb.126:
	v_cmp_eq_u32_e32 vcc_lo, 1, v0
	v_cmp_eq_u32_e64 s0, 2, v0
	v_cmp_eq_u32_e64 s1, 3, v0
	;; [unrolled: 1-line block ×4, first 2 shown]
	v_dual_cndmask_b32 v1, v2, v3 :: v_dual_cndmask_b32 v18, v3, v12
	v_cmp_eq_u32_e64 s4, 6, v0
	v_cmp_eq_u32_e64 s5, 7, v0
	;; [unrolled: 1-line block ×3, first 2 shown]
	s_delay_alu instid0(VALU_DEP_4)
	v_cndmask_b32_e64 v1, v1, v4, s0
	v_cmp_eq_u32_e64 s7, 9, v0
	v_cmp_eq_u32_e64 s8, 10, v0
	;; [unrolled: 1-line block ×3, first 2 shown]
	v_cndmask_b32_e64 v19, v4, v12, s0
	v_cndmask_b32_e64 v1, v1, v5, s1
	v_cmp_eq_u32_e64 s0, 12, v0
	v_cmp_eq_u32_e32 vcc_lo, 13, v0
	v_cndmask_b32_e64 v20, v5, v12, s1
	v_cmp_eq_u32_e64 s1, 14, v0
	v_cndmask_b32_e64 v1, v1, v6, s2
	v_cndmask_b32_e64 v21, v6, v12, s2
	v_cmp_eq_u32_e64 s2, 15, v0
	v_cndmask_b32_e64 v22, v7, v12, s3
	v_cndmask_b32_e64 v23, v8, v12, s4
	;; [unrolled: 1-line block ×11, first 2 shown]
	v_cndmask_b32_e32 v30, v15, v12, vcc_lo
	v_cndmask_b32_e64 v1, v1, v9, s5
	s_delay_alu instid0(VALU_DEP_1) | instskip(NEXT) | instid1(VALU_DEP_1)
	v_cndmask_b32_e64 v1, v1, v10, s6
	v_cndmask_b32_e64 v1, v1, v11, s7
	s_delay_alu instid0(VALU_DEP_1) | instskip(NEXT) | instid1(VALU_DEP_1)
	v_cndmask_b32_e64 v1, v1, v12, s8
	;; [unrolled: 3-line block ×3, first 2 shown]
	v_cndmask_b32_e32 v1, v1, v15, vcc_lo
	v_cmp_eq_u32_e32 vcc_lo, 0, v0
	s_delay_alu instid0(VALU_DEP_2) | instskip(NEXT) | instid1(VALU_DEP_1)
	v_cndmask_b32_e64 v1, v1, v16, s1
	v_cndmask_b32_e64 v1, v1, v17, s2
	v_cndmask_b32_e32 v17, v2, v12, vcc_lo
	s_delay_alu instid0(VALU_DEP_2) | instskip(NEXT) | instid1(VALU_DEP_2)
	v_cndmask_b32_e64 v27, v1, v12, s8
	v_mov_b32_e32 v2, v17
	v_dual_mov_b32 v3, v18 :: v_dual_mov_b32 v4, v19
	v_dual_mov_b32 v5, v20 :: v_dual_mov_b32 v6, v21
	;; [unrolled: 1-line block ×7, first 2 shown]
	v_mov_b32_e32 v17, v32
.LBB15_127:
	s_or_b32 exec_lo, exec_lo, s10
	v_dual_mov_b32 v0, s12 :: v_dual_mov_b32 v1, s13
	s_mov_b32 s10, exec_lo
	flat_load_b32 v0, v[0:1] offset:36
	s_waitcnt vmcnt(0) lgkmcnt(0)
	v_add_nc_u32_e32 v0, -1, v0
	s_delay_alu instid0(VALU_DEP_1)
	v_cmpx_ne_u32_e32 9, v0
	s_cbranch_execz .LBB15_129
; %bb.128:
	v_cmp_eq_u32_e32 vcc_lo, 1, v0
	v_cmp_eq_u32_e64 s0, 2, v0
	v_cmp_eq_u32_e64 s1, 3, v0
	;; [unrolled: 1-line block ×9, first 2 shown]
	v_cndmask_b32_e64 v19, v4, v11, s0
	v_cndmask_b32_e32 v18, v3, v11, vcc_lo
	v_cndmask_b32_e64 v20, v5, v11, s1
	v_cndmask_b32_e64 v21, v6, v11, s2
	;; [unrolled: 1-line block ×8, first 2 shown]
	v_cndmask_b32_e32 v1, v2, v3, vcc_lo
	v_cmp_eq_u32_e64 s7, 9, v0
	v_cmp_eq_u32_e32 vcc_lo, 13, v0
	s_delay_alu instid0(VALU_DEP_3) | instskip(SKIP_2) | instid1(VALU_DEP_3)
	v_cndmask_b32_e64 v1, v1, v4, s0
	v_cmp_eq_u32_e64 s0, 12, v0
	v_cndmask_b32_e32 v30, v15, v11, vcc_lo
	v_cndmask_b32_e64 v1, v1, v5, s1
	v_cmp_eq_u32_e64 s1, 14, v0
	s_delay_alu instid0(VALU_DEP_4) | instskip(NEXT) | instid1(VALU_DEP_3)
	v_cndmask_b32_e64 v29, v14, v11, s0
	v_cndmask_b32_e64 v1, v1, v6, s2
	v_cmp_eq_u32_e64 s2, 15, v0
	s_delay_alu instid0(VALU_DEP_4) | instskip(NEXT) | instid1(VALU_DEP_3)
	v_cndmask_b32_e64 v31, v16, v11, s1
	v_cndmask_b32_e64 v1, v1, v7, s3
	s_delay_alu instid0(VALU_DEP_3) | instskip(NEXT) | instid1(VALU_DEP_2)
	v_cndmask_b32_e64 v32, v17, v11, s2
	v_cndmask_b32_e64 v1, v1, v8, s4
	s_delay_alu instid0(VALU_DEP_1) | instskip(NEXT) | instid1(VALU_DEP_1)
	v_cndmask_b32_e64 v1, v1, v9, s5
	v_cndmask_b32_e64 v1, v1, v10, s6
	s_delay_alu instid0(VALU_DEP_1) | instskip(NEXT) | instid1(VALU_DEP_1)
	;; [unrolled: 3-line block ×3, first 2 shown]
	v_cndmask_b32_e64 v1, v1, v13, s9
	v_cndmask_b32_e64 v1, v1, v14, s0
	s_delay_alu instid0(VALU_DEP_1) | instskip(SKIP_1) | instid1(VALU_DEP_2)
	v_cndmask_b32_e32 v1, v1, v15, vcc_lo
	v_cmp_eq_u32_e32 vcc_lo, 0, v0
	v_cndmask_b32_e64 v1, v1, v16, s1
	s_delay_alu instid0(VALU_DEP_1) | instskip(SKIP_1) | instid1(VALU_DEP_2)
	v_cndmask_b32_e64 v1, v1, v17, s2
	v_cndmask_b32_e32 v17, v2, v11, vcc_lo
	v_cndmask_b32_e64 v26, v1, v11, s7
	s_delay_alu instid0(VALU_DEP_2)
	v_mov_b32_e32 v2, v17
	v_dual_mov_b32 v4, v19 :: v_dual_mov_b32 v3, v18
	v_dual_mov_b32 v6, v21 :: v_dual_mov_b32 v5, v20
	;; [unrolled: 1-line block ×7, first 2 shown]
	v_mov_b32_e32 v17, v32
.LBB15_129:
	s_or_b32 exec_lo, exec_lo, s10
	v_dual_mov_b32 v0, s12 :: v_dual_mov_b32 v1, s13
	s_mov_b32 s10, exec_lo
	flat_load_b32 v0, v[0:1] offset:32
	s_waitcnt vmcnt(0) lgkmcnt(0)
	v_add_nc_u32_e32 v0, -1, v0
	s_delay_alu instid0(VALU_DEP_1)
	v_cmpx_ne_u32_e32 8, v0
	s_cbranch_execz .LBB15_131
; %bb.130:
	v_cmp_eq_u32_e32 vcc_lo, 1, v0
	v_cmp_eq_u32_e64 s0, 2, v0
	v_cmp_eq_u32_e64 s1, 3, v0
	;; [unrolled: 1-line block ×4, first 2 shown]
	v_dual_cndmask_b32 v1, v2, v3 :: v_dual_cndmask_b32 v18, v3, v10
	v_cmp_eq_u32_e64 s4, 6, v0
	v_cmp_eq_u32_e64 s5, 7, v0
	;; [unrolled: 1-line block ×3, first 2 shown]
	s_delay_alu instid0(VALU_DEP_4)
	v_cndmask_b32_e64 v1, v1, v4, s0
	v_cmp_eq_u32_e64 s7, 9, v0
	v_cmp_eq_u32_e64 s8, 10, v0
	;; [unrolled: 1-line block ×3, first 2 shown]
	v_cndmask_b32_e64 v19, v4, v10, s0
	v_cndmask_b32_e64 v1, v1, v5, s1
	v_cmp_eq_u32_e64 s0, 12, v0
	v_cmp_eq_u32_e32 vcc_lo, 13, v0
	v_cndmask_b32_e64 v20, v5, v10, s1
	v_cmp_eq_u32_e64 s1, 14, v0
	v_cndmask_b32_e64 v1, v1, v6, s2
	v_cndmask_b32_e64 v21, v6, v10, s2
	v_cmp_eq_u32_e64 s2, 15, v0
	v_cndmask_b32_e64 v22, v7, v10, s3
	v_cndmask_b32_e64 v23, v8, v10, s4
	;; [unrolled: 1-line block ×11, first 2 shown]
	v_cndmask_b32_e32 v30, v15, v10, vcc_lo
	v_cndmask_b32_e64 v1, v1, v9, s5
	s_delay_alu instid0(VALU_DEP_1) | instskip(NEXT) | instid1(VALU_DEP_1)
	v_cndmask_b32_e64 v1, v1, v10, s6
	v_cndmask_b32_e64 v1, v1, v11, s7
	s_delay_alu instid0(VALU_DEP_1) | instskip(NEXT) | instid1(VALU_DEP_1)
	v_cndmask_b32_e64 v1, v1, v12, s8
	;; [unrolled: 3-line block ×3, first 2 shown]
	v_cndmask_b32_e32 v1, v1, v15, vcc_lo
	v_cmp_eq_u32_e32 vcc_lo, 0, v0
	s_delay_alu instid0(VALU_DEP_2) | instskip(NEXT) | instid1(VALU_DEP_1)
	v_cndmask_b32_e64 v1, v1, v16, s1
	v_cndmask_b32_e64 v1, v1, v17, s2
	v_cndmask_b32_e32 v17, v2, v10, vcc_lo
	s_delay_alu instid0(VALU_DEP_2) | instskip(NEXT) | instid1(VALU_DEP_2)
	v_cndmask_b32_e64 v25, v1, v10, s6
	v_mov_b32_e32 v2, v17
	v_dual_mov_b32 v3, v18 :: v_dual_mov_b32 v4, v19
	v_dual_mov_b32 v5, v20 :: v_dual_mov_b32 v6, v21
	;; [unrolled: 1-line block ×7, first 2 shown]
	v_mov_b32_e32 v17, v32
.LBB15_131:
	s_or_b32 exec_lo, exec_lo, s10
	v_dual_mov_b32 v0, s12 :: v_dual_mov_b32 v1, s13
	s_mov_b32 s10, exec_lo
	flat_load_b32 v0, v[0:1] offset:28
	s_waitcnt vmcnt(0) lgkmcnt(0)
	v_add_nc_u32_e32 v0, -1, v0
	s_delay_alu instid0(VALU_DEP_1)
	v_cmpx_ne_u32_e32 7, v0
	s_cbranch_execz .LBB15_133
; %bb.132:
	v_cmp_eq_u32_e32 vcc_lo, 1, v0
	v_cmp_eq_u32_e64 s0, 2, v0
	v_cmp_eq_u32_e64 s1, 3, v0
	;; [unrolled: 1-line block ×4, first 2 shown]
	v_dual_cndmask_b32 v1, v2, v3 :: v_dual_cndmask_b32 v18, v3, v9
	v_cmp_eq_u32_e64 s4, 6, v0
	v_cmp_eq_u32_e64 s5, 7, v0
	;; [unrolled: 1-line block ×3, first 2 shown]
	s_delay_alu instid0(VALU_DEP_4)
	v_cndmask_b32_e64 v1, v1, v4, s0
	v_cmp_eq_u32_e64 s7, 9, v0
	v_cmp_eq_u32_e64 s8, 10, v0
	;; [unrolled: 1-line block ×3, first 2 shown]
	v_cndmask_b32_e64 v19, v4, v9, s0
	v_cndmask_b32_e64 v1, v1, v5, s1
	v_cmp_eq_u32_e64 s0, 12, v0
	v_cmp_eq_u32_e32 vcc_lo, 13, v0
	v_cndmask_b32_e64 v20, v5, v9, s1
	v_cmp_eq_u32_e64 s1, 14, v0
	v_cndmask_b32_e64 v1, v1, v6, s2
	v_cndmask_b32_e64 v21, v6, v9, s2
	v_cmp_eq_u32_e64 s2, 15, v0
	v_cndmask_b32_e64 v22, v7, v9, s3
	v_cndmask_b32_e64 v23, v8, v9, s4
	;; [unrolled: 1-line block ×11, first 2 shown]
	v_cndmask_b32_e32 v30, v15, v9, vcc_lo
	v_cndmask_b32_e64 v1, v1, v9, s5
	s_delay_alu instid0(VALU_DEP_1) | instskip(NEXT) | instid1(VALU_DEP_1)
	v_cndmask_b32_e64 v1, v1, v10, s6
	v_cndmask_b32_e64 v1, v1, v11, s7
	s_delay_alu instid0(VALU_DEP_1) | instskip(NEXT) | instid1(VALU_DEP_1)
	v_cndmask_b32_e64 v1, v1, v12, s8
	;; [unrolled: 3-line block ×3, first 2 shown]
	v_cndmask_b32_e32 v1, v1, v15, vcc_lo
	v_cmp_eq_u32_e32 vcc_lo, 0, v0
	s_delay_alu instid0(VALU_DEP_2) | instskip(NEXT) | instid1(VALU_DEP_1)
	v_cndmask_b32_e64 v1, v1, v16, s1
	v_cndmask_b32_e64 v1, v1, v17, s2
	v_cndmask_b32_e32 v17, v2, v9, vcc_lo
	s_delay_alu instid0(VALU_DEP_2) | instskip(NEXT) | instid1(VALU_DEP_2)
	v_cndmask_b32_e64 v24, v1, v9, s5
	v_mov_b32_e32 v2, v17
	v_dual_mov_b32 v3, v18 :: v_dual_mov_b32 v4, v19
	v_dual_mov_b32 v5, v20 :: v_dual_mov_b32 v6, v21
	;; [unrolled: 1-line block ×7, first 2 shown]
	v_mov_b32_e32 v17, v32
.LBB15_133:
	s_or_b32 exec_lo, exec_lo, s10
	v_dual_mov_b32 v0, s12 :: v_dual_mov_b32 v1, s13
	s_mov_b32 s10, exec_lo
	flat_load_b32 v0, v[0:1] offset:24
	s_waitcnt vmcnt(0) lgkmcnt(0)
	v_add_nc_u32_e32 v0, -1, v0
	s_delay_alu instid0(VALU_DEP_1)
	v_cmpx_ne_u32_e32 6, v0
	s_cbranch_execz .LBB15_135
; %bb.134:
	v_cmp_eq_u32_e32 vcc_lo, 1, v0
	v_cmp_eq_u32_e64 s0, 2, v0
	v_cmp_eq_u32_e64 s1, 3, v0
	v_cmp_eq_u32_e64 s2, 4, v0
	v_cmp_eq_u32_e64 s3, 5, v0
	v_dual_cndmask_b32 v1, v2, v3 :: v_dual_cndmask_b32 v18, v3, v8
	v_cmp_eq_u32_e64 s4, 6, v0
	v_cmp_eq_u32_e64 s5, 7, v0
	;; [unrolled: 1-line block ×3, first 2 shown]
	s_delay_alu instid0(VALU_DEP_4)
	v_cndmask_b32_e64 v1, v1, v4, s0
	v_cmp_eq_u32_e64 s7, 9, v0
	v_cmp_eq_u32_e64 s8, 10, v0
	;; [unrolled: 1-line block ×3, first 2 shown]
	v_cndmask_b32_e64 v19, v4, v8, s0
	v_cndmask_b32_e64 v1, v1, v5, s1
	v_cmp_eq_u32_e64 s0, 12, v0
	v_cmp_eq_u32_e32 vcc_lo, 13, v0
	v_cndmask_b32_e64 v20, v5, v8, s1
	v_cmp_eq_u32_e64 s1, 14, v0
	v_cndmask_b32_e64 v1, v1, v6, s2
	v_cndmask_b32_e64 v21, v6, v8, s2
	v_cmp_eq_u32_e64 s2, 15, v0
	v_cndmask_b32_e64 v22, v7, v8, s3
	v_cndmask_b32_e64 v24, v9, v8, s5
	;; [unrolled: 1-line block ×11, first 2 shown]
	v_cndmask_b32_e32 v30, v15, v8, vcc_lo
	v_cndmask_b32_e64 v1, v1, v9, s5
	s_delay_alu instid0(VALU_DEP_1) | instskip(NEXT) | instid1(VALU_DEP_1)
	v_cndmask_b32_e64 v1, v1, v10, s6
	v_cndmask_b32_e64 v1, v1, v11, s7
	s_delay_alu instid0(VALU_DEP_1) | instskip(NEXT) | instid1(VALU_DEP_1)
	v_cndmask_b32_e64 v1, v1, v12, s8
	;; [unrolled: 3-line block ×3, first 2 shown]
	v_cndmask_b32_e32 v1, v1, v15, vcc_lo
	v_cmp_eq_u32_e32 vcc_lo, 0, v0
	s_delay_alu instid0(VALU_DEP_2) | instskip(NEXT) | instid1(VALU_DEP_1)
	v_cndmask_b32_e64 v1, v1, v16, s1
	v_cndmask_b32_e64 v1, v1, v17, s2
	v_cndmask_b32_e32 v17, v2, v8, vcc_lo
	s_delay_alu instid0(VALU_DEP_2) | instskip(NEXT) | instid1(VALU_DEP_2)
	v_cndmask_b32_e64 v23, v1, v8, s4
	v_mov_b32_e32 v2, v17
	v_dual_mov_b32 v3, v18 :: v_dual_mov_b32 v4, v19
	v_dual_mov_b32 v5, v20 :: v_dual_mov_b32 v6, v21
	s_delay_alu instid0(VALU_DEP_4)
	v_dual_mov_b32 v7, v22 :: v_dual_mov_b32 v8, v23
	v_dual_mov_b32 v9, v24 :: v_dual_mov_b32 v10, v25
	;; [unrolled: 1-line block ×5, first 2 shown]
	v_mov_b32_e32 v17, v32
.LBB15_135:
	s_or_b32 exec_lo, exec_lo, s10
	v_dual_mov_b32 v0, s12 :: v_dual_mov_b32 v1, s13
	s_mov_b32 s10, exec_lo
	flat_load_b32 v0, v[0:1] offset:20
	s_waitcnt vmcnt(0) lgkmcnt(0)
	v_add_nc_u32_e32 v0, -1, v0
	s_delay_alu instid0(VALU_DEP_1)
	v_cmpx_ne_u32_e32 5, v0
	s_cbranch_execz .LBB15_137
; %bb.136:
	v_cmp_eq_u32_e32 vcc_lo, 1, v0
	v_cmp_eq_u32_e64 s0, 2, v0
	v_cmp_eq_u32_e64 s1, 3, v0
	;; [unrolled: 1-line block ×9, first 2 shown]
	v_cndmask_b32_e64 v19, v4, v7, s0
	v_cndmask_b32_e32 v18, v3, v7, vcc_lo
	v_cndmask_b32_e64 v20, v5, v7, s1
	v_cndmask_b32_e64 v21, v6, v7, s2
	;; [unrolled: 1-line block ×8, first 2 shown]
	v_cndmask_b32_e32 v1, v2, v3, vcc_lo
	v_cmp_eq_u32_e64 s3, 5, v0
	v_cmp_eq_u32_e32 vcc_lo, 13, v0
	s_delay_alu instid0(VALU_DEP_3) | instskip(SKIP_2) | instid1(VALU_DEP_3)
	v_cndmask_b32_e64 v1, v1, v4, s0
	v_cmp_eq_u32_e64 s0, 12, v0
	v_cndmask_b32_e32 v30, v15, v7, vcc_lo
	v_cndmask_b32_e64 v1, v1, v5, s1
	v_cmp_eq_u32_e64 s1, 14, v0
	s_delay_alu instid0(VALU_DEP_4) | instskip(NEXT) | instid1(VALU_DEP_3)
	v_cndmask_b32_e64 v29, v14, v7, s0
	v_cndmask_b32_e64 v1, v1, v6, s2
	v_cmp_eq_u32_e64 s2, 15, v0
	s_delay_alu instid0(VALU_DEP_4) | instskip(NEXT) | instid1(VALU_DEP_3)
	v_cndmask_b32_e64 v31, v16, v7, s1
	v_cndmask_b32_e64 v1, v1, v7, s3
	s_delay_alu instid0(VALU_DEP_3) | instskip(NEXT) | instid1(VALU_DEP_2)
	v_cndmask_b32_e64 v32, v17, v7, s2
	v_cndmask_b32_e64 v1, v1, v8, s4
	s_delay_alu instid0(VALU_DEP_1) | instskip(NEXT) | instid1(VALU_DEP_1)
	v_cndmask_b32_e64 v1, v1, v9, s5
	v_cndmask_b32_e64 v1, v1, v10, s6
	s_delay_alu instid0(VALU_DEP_1) | instskip(NEXT) | instid1(VALU_DEP_1)
	;; [unrolled: 3-line block ×3, first 2 shown]
	v_cndmask_b32_e64 v1, v1, v13, s9
	v_cndmask_b32_e64 v1, v1, v14, s0
	s_delay_alu instid0(VALU_DEP_1) | instskip(SKIP_1) | instid1(VALU_DEP_2)
	v_cndmask_b32_e32 v1, v1, v15, vcc_lo
	v_cmp_eq_u32_e32 vcc_lo, 0, v0
	v_cndmask_b32_e64 v1, v1, v16, s1
	s_delay_alu instid0(VALU_DEP_1) | instskip(SKIP_1) | instid1(VALU_DEP_2)
	v_cndmask_b32_e64 v1, v1, v17, s2
	v_cndmask_b32_e32 v17, v2, v7, vcc_lo
	v_cndmask_b32_e64 v22, v1, v7, s3
	s_delay_alu instid0(VALU_DEP_2) | instskip(SKIP_2) | instid1(VALU_DEP_4)
	v_mov_b32_e32 v2, v17
	v_dual_mov_b32 v4, v19 :: v_dual_mov_b32 v3, v18
	v_dual_mov_b32 v6, v21 :: v_dual_mov_b32 v5, v20
	;; [unrolled: 1-line block ×7, first 2 shown]
	v_mov_b32_e32 v17, v32
.LBB15_137:
	s_or_b32 exec_lo, exec_lo, s10
	v_dual_mov_b32 v0, s12 :: v_dual_mov_b32 v1, s13
	s_mov_b32 s10, exec_lo
	flat_load_b32 v0, v[0:1] offset:16
	s_waitcnt vmcnt(0) lgkmcnt(0)
	v_add_nc_u32_e32 v0, -1, v0
	s_delay_alu instid0(VALU_DEP_1)
	v_cmpx_ne_u32_e32 4, v0
	s_cbranch_execz .LBB15_139
; %bb.138:
	v_cmp_eq_u32_e32 vcc_lo, 1, v0
	v_cmp_eq_u32_e64 s0, 2, v0
	v_cmp_eq_u32_e64 s1, 3, v0
	;; [unrolled: 1-line block ×4, first 2 shown]
	v_dual_cndmask_b32 v1, v2, v3 :: v_dual_cndmask_b32 v18, v3, v6
	v_cmp_eq_u32_e64 s4, 6, v0
	v_cmp_eq_u32_e64 s5, 7, v0
	;; [unrolled: 1-line block ×3, first 2 shown]
	s_delay_alu instid0(VALU_DEP_4)
	v_cndmask_b32_e64 v1, v1, v4, s0
	v_cmp_eq_u32_e64 s7, 9, v0
	v_cmp_eq_u32_e64 s8, 10, v0
	;; [unrolled: 1-line block ×3, first 2 shown]
	v_cndmask_b32_e64 v19, v4, v6, s0
	v_cndmask_b32_e64 v1, v1, v5, s1
	v_cmp_eq_u32_e64 s0, 12, v0
	v_cmp_eq_u32_e32 vcc_lo, 13, v0
	v_cndmask_b32_e64 v20, v5, v6, s1
	v_cmp_eq_u32_e64 s1, 14, v0
	v_cndmask_b32_e64 v1, v1, v6, s2
	v_cndmask_b32_e64 v22, v7, v6, s3
	;; [unrolled: 1-line block ×6, first 2 shown]
	v_cmp_eq_u32_e64 s3, 15, v0
	v_cndmask_b32_e64 v26, v11, v6, s7
	v_cndmask_b32_e64 v27, v12, v6, s8
	;; [unrolled: 1-line block ×7, first 2 shown]
	v_cndmask_b32_e32 v30, v15, v6, vcc_lo
	v_cndmask_b32_e64 v1, v1, v9, s5
	s_delay_alu instid0(VALU_DEP_1) | instskip(NEXT) | instid1(VALU_DEP_1)
	v_cndmask_b32_e64 v1, v1, v10, s6
	v_cndmask_b32_e64 v1, v1, v11, s7
	s_delay_alu instid0(VALU_DEP_1) | instskip(NEXT) | instid1(VALU_DEP_1)
	v_cndmask_b32_e64 v1, v1, v12, s8
	;; [unrolled: 3-line block ×3, first 2 shown]
	v_cndmask_b32_e32 v1, v1, v15, vcc_lo
	v_cmp_eq_u32_e32 vcc_lo, 0, v0
	s_delay_alu instid0(VALU_DEP_2) | instskip(NEXT) | instid1(VALU_DEP_1)
	v_cndmask_b32_e64 v1, v1, v16, s1
	v_cndmask_b32_e64 v1, v1, v17, s3
	v_cndmask_b32_e32 v17, v2, v6, vcc_lo
	s_delay_alu instid0(VALU_DEP_2) | instskip(NEXT) | instid1(VALU_DEP_2)
	v_cndmask_b32_e64 v21, v1, v6, s2
	v_mov_b32_e32 v2, v17
	v_dual_mov_b32 v3, v18 :: v_dual_mov_b32 v4, v19
	s_delay_alu instid0(VALU_DEP_3)
	v_dual_mov_b32 v5, v20 :: v_dual_mov_b32 v6, v21
	v_dual_mov_b32 v7, v22 :: v_dual_mov_b32 v8, v23
	;; [unrolled: 1-line block ×6, first 2 shown]
	v_mov_b32_e32 v17, v32
.LBB15_139:
	s_or_b32 exec_lo, exec_lo, s10
	v_dual_mov_b32 v0, s12 :: v_dual_mov_b32 v1, s13
	s_mov_b32 s10, exec_lo
	flat_load_b32 v0, v[0:1] offset:12
	s_waitcnt vmcnt(0) lgkmcnt(0)
	v_add_nc_u32_e32 v0, -1, v0
	s_delay_alu instid0(VALU_DEP_1)
	v_cmpx_ne_u32_e32 3, v0
	s_cbranch_execz .LBB15_141
; %bb.140:
	v_cmp_eq_u32_e32 vcc_lo, 1, v0
	v_cmp_eq_u32_e64 s0, 2, v0
	v_cmp_eq_u32_e64 s1, 3, v0
	v_cmp_eq_u32_e64 s2, 4, v0
	v_cmp_eq_u32_e64 s3, 5, v0
	v_dual_cndmask_b32 v1, v2, v3 :: v_dual_cndmask_b32 v18, v3, v5
	v_cmp_eq_u32_e64 s4, 6, v0
	v_cmp_eq_u32_e64 s5, 7, v0
	;; [unrolled: 1-line block ×3, first 2 shown]
	s_delay_alu instid0(VALU_DEP_4)
	v_cndmask_b32_e64 v1, v1, v4, s0
	v_cmp_eq_u32_e64 s7, 9, v0
	v_cmp_eq_u32_e64 s8, 10, v0
	;; [unrolled: 1-line block ×3, first 2 shown]
	v_cndmask_b32_e64 v19, v4, v5, s0
	v_cndmask_b32_e64 v1, v1, v5, s1
	v_cmp_eq_u32_e64 s0, 12, v0
	v_cmp_eq_u32_e32 vcc_lo, 13, v0
	v_cndmask_b32_e64 v21, v6, v5, s2
	v_cndmask_b32_e64 v22, v7, v5, s3
	v_cndmask_b32_e64 v1, v1, v6, s2
	v_cmp_eq_u32_e64 s2, 14, v0
	v_cndmask_b32_e64 v23, v8, v5, s4
	v_cndmask_b32_e64 v24, v9, v5, s5
	;; [unrolled: 1-line block ×4, first 2 shown]
	v_cmp_eq_u32_e64 s3, 15, v0
	v_cndmask_b32_e64 v26, v11, v5, s7
	v_cndmask_b32_e64 v27, v12, v5, s8
	v_cndmask_b32_e64 v28, v13, v5, s9
	v_cndmask_b32_e64 v1, v1, v8, s4
	v_cndmask_b32_e64 v32, v17, v5, s3
	v_cndmask_b32_e64 v29, v14, v5, s0
	v_cndmask_b32_e64 v31, v16, v5, s2
	v_cndmask_b32_e32 v30, v15, v5, vcc_lo
	v_cndmask_b32_e64 v1, v1, v9, s5
	s_delay_alu instid0(VALU_DEP_1) | instskip(NEXT) | instid1(VALU_DEP_1)
	v_cndmask_b32_e64 v1, v1, v10, s6
	v_cndmask_b32_e64 v1, v1, v11, s7
	s_delay_alu instid0(VALU_DEP_1) | instskip(NEXT) | instid1(VALU_DEP_1)
	v_cndmask_b32_e64 v1, v1, v12, s8
	;; [unrolled: 3-line block ×3, first 2 shown]
	v_cndmask_b32_e32 v1, v1, v15, vcc_lo
	v_cmp_eq_u32_e32 vcc_lo, 0, v0
	s_delay_alu instid0(VALU_DEP_2) | instskip(NEXT) | instid1(VALU_DEP_1)
	v_cndmask_b32_e64 v1, v1, v16, s2
	v_cndmask_b32_e64 v1, v1, v17, s3
	v_cndmask_b32_e32 v17, v2, v5, vcc_lo
	s_delay_alu instid0(VALU_DEP_2) | instskip(NEXT) | instid1(VALU_DEP_2)
	v_cndmask_b32_e64 v20, v1, v5, s1
	v_mov_b32_e32 v2, v17
	v_dual_mov_b32 v3, v18 :: v_dual_mov_b32 v4, v19
	v_dual_mov_b32 v7, v22 :: v_dual_mov_b32 v8, v23
	s_delay_alu instid0(VALU_DEP_4)
	v_dual_mov_b32 v5, v20 :: v_dual_mov_b32 v6, v21
	v_dual_mov_b32 v9, v24 :: v_dual_mov_b32 v10, v25
	;; [unrolled: 1-line block ×5, first 2 shown]
	v_mov_b32_e32 v17, v32
.LBB15_141:
	s_or_b32 exec_lo, exec_lo, s10
	v_dual_mov_b32 v0, s12 :: v_dual_mov_b32 v1, s13
	s_mov_b32 s10, exec_lo
	flat_load_b32 v0, v[0:1] offset:8
	s_waitcnt vmcnt(0) lgkmcnt(0)
	v_add_nc_u32_e32 v0, -1, v0
	s_delay_alu instid0(VALU_DEP_1)
	v_cmpx_ne_u32_e32 2, v0
	s_cbranch_execz .LBB15_143
; %bb.142:
	v_cmp_eq_u32_e32 vcc_lo, 1, v0
	v_cmp_eq_u32_e64 s0, 2, v0
	v_cmp_eq_u32_e64 s1, 3, v0
	v_cmp_eq_u32_e64 s2, 4, v0
	v_cmp_eq_u32_e64 s3, 5, v0
	v_dual_cndmask_b32 v1, v2, v3 :: v_dual_cndmask_b32 v18, v3, v4
	v_cmp_eq_u32_e64 s4, 6, v0
	v_cmp_eq_u32_e64 s5, 7, v0
	;; [unrolled: 1-line block ×3, first 2 shown]
	s_delay_alu instid0(VALU_DEP_4)
	v_cndmask_b32_e64 v1, v1, v4, s0
	v_cmp_eq_u32_e64 s7, 9, v0
	v_cmp_eq_u32_e64 s8, 10, v0
	;; [unrolled: 1-line block ×3, first 2 shown]
	v_cmp_eq_u32_e32 vcc_lo, 12, v0
	v_cndmask_b32_e64 v1, v1, v5, s1
	v_cndmask_b32_e64 v20, v5, v4, s1
	;; [unrolled: 1-line block ×4, first 2 shown]
	v_cmp_eq_u32_e64 s1, 13, v0
	v_cndmask_b32_e64 v1, v1, v6, s2
	v_cmp_eq_u32_e64 s2, 14, v0
	v_cndmask_b32_e64 v23, v8, v4, s4
	v_cndmask_b32_e64 v24, v9, v4, s5
	;; [unrolled: 1-line block ×4, first 2 shown]
	v_cmp_eq_u32_e64 s3, 15, v0
	v_cndmask_b32_e64 v26, v11, v4, s7
	v_cndmask_b32_e64 v27, v12, v4, s8
	;; [unrolled: 1-line block ×4, first 2 shown]
	v_cndmask_b32_e32 v29, v14, v4, vcc_lo
	v_cndmask_b32_e64 v30, v15, v4, s1
	v_cndmask_b32_e64 v31, v16, v4, s2
	;; [unrolled: 1-line block ×4, first 2 shown]
	s_delay_alu instid0(VALU_DEP_1) | instskip(NEXT) | instid1(VALU_DEP_1)
	v_cndmask_b32_e64 v1, v1, v10, s6
	v_cndmask_b32_e64 v1, v1, v11, s7
	s_delay_alu instid0(VALU_DEP_1) | instskip(NEXT) | instid1(VALU_DEP_1)
	v_cndmask_b32_e64 v1, v1, v12, s8
	v_cndmask_b32_e64 v1, v1, v13, s9
	s_delay_alu instid0(VALU_DEP_1) | instskip(SKIP_1) | instid1(VALU_DEP_2)
	v_cndmask_b32_e32 v1, v1, v14, vcc_lo
	v_cmp_eq_u32_e32 vcc_lo, 0, v0
	v_cndmask_b32_e64 v1, v1, v15, s1
	s_delay_alu instid0(VALU_DEP_1) | instskip(NEXT) | instid1(VALU_DEP_1)
	v_cndmask_b32_e64 v1, v1, v16, s2
	v_cndmask_b32_e64 v1, v1, v17, s3
	v_cndmask_b32_e32 v17, v2, v4, vcc_lo
	s_delay_alu instid0(VALU_DEP_2) | instskip(NEXT) | instid1(VALU_DEP_2)
	v_cndmask_b32_e64 v19, v1, v4, s0
	v_mov_b32_e32 v2, v17
	v_dual_mov_b32 v3, v18 :: v_dual_mov_b32 v6, v21
	v_dual_mov_b32 v5, v20 :: v_dual_mov_b32 v8, v23
	s_delay_alu instid0(VALU_DEP_4)
	v_dual_mov_b32 v4, v19 :: v_dual_mov_b32 v7, v22
	v_dual_mov_b32 v10, v25 :: v_dual_mov_b32 v9, v24
	;; [unrolled: 1-line block ×5, first 2 shown]
	v_mov_b32_e32 v17, v32
.LBB15_143:
	s_or_b32 exec_lo, exec_lo, s10
	v_dual_mov_b32 v0, s12 :: v_dual_mov_b32 v1, s13
	s_mov_b32 s10, exec_lo
	flat_load_b32 v0, v[0:1] offset:4
	s_waitcnt vmcnt(0) lgkmcnt(0)
	v_add_nc_u32_e32 v0, -1, v0
	s_delay_alu instid0(VALU_DEP_1)
	v_cmpx_ne_u32_e32 1, v0
	s_cbranch_execz .LBB15_145
; %bb.144:
	v_cmp_eq_u32_e32 vcc_lo, 1, v0
	v_cmp_eq_u32_e64 s0, 2, v0
	v_cmp_eq_u32_e64 s1, 3, v0
	v_cmp_eq_u32_e64 s2, 4, v0
	v_cmp_eq_u32_e64 s3, 5, v0
	v_cmp_eq_u32_e64 s4, 6, v0
	v_cmp_eq_u32_e64 s5, 7, v0
	v_cmp_eq_u32_e64 s6, 8, v0
	v_cmp_eq_u32_e64 s7, 9, v0
	v_cmp_eq_u32_e64 s8, 10, v0
	v_cmp_eq_u32_e64 s9, 11, v0
	v_cndmask_b32_e64 v18, v4, v3, s0
	v_cndmask_b32_e64 v19, v5, v3, s1
	v_cndmask_b32_e64 v20, v6, v3, s2
	v_cndmask_b32_e64 v21, v7, v3, s3
	v_cndmask_b32_e64 v22, v8, v3, s4
	v_cndmask_b32_e64 v23, v9, v3, s5
	v_cndmask_b32_e64 v24, v10, v3, s6
	v_cndmask_b32_e64 v25, v11, v3, s7
	v_cndmask_b32_e64 v26, v12, v3, s8
	v_cndmask_b32_e64 v27, v13, v3, s9
	v_cndmask_b32_e32 v1, v2, v3, vcc_lo
	s_delay_alu instid0(VALU_DEP_1) | instskip(SKIP_1) | instid1(VALU_DEP_2)
	v_cndmask_b32_e64 v1, v1, v4, s0
	v_cmp_eq_u32_e64 s0, 12, v0
	v_cndmask_b32_e64 v1, v1, v5, s1
	v_cmp_eq_u32_e64 s1, 13, v0
	s_delay_alu instid0(VALU_DEP_3) | instskip(NEXT) | instid1(VALU_DEP_3)
	v_cndmask_b32_e64 v28, v14, v3, s0
	v_cndmask_b32_e64 v1, v1, v6, s2
	v_cmp_eq_u32_e64 s2, 14, v0
	s_delay_alu instid0(VALU_DEP_4) | instskip(NEXT) | instid1(VALU_DEP_3)
	v_cndmask_b32_e64 v29, v15, v3, s1
	v_cndmask_b32_e64 v1, v1, v7, s3
	v_cmp_eq_u32_e64 s3, 15, v0
	s_delay_alu instid0(VALU_DEP_4) | instskip(NEXT) | instid1(VALU_DEP_3)
	v_cndmask_b32_e64 v30, v16, v3, s2
	v_cndmask_b32_e64 v1, v1, v8, s4
	s_delay_alu instid0(VALU_DEP_3) | instskip(NEXT) | instid1(VALU_DEP_2)
	v_cndmask_b32_e64 v31, v17, v3, s3
	v_cndmask_b32_e64 v1, v1, v9, s5
	s_delay_alu instid0(VALU_DEP_1) | instskip(NEXT) | instid1(VALU_DEP_1)
	v_cndmask_b32_e64 v1, v1, v10, s6
	v_cndmask_b32_e64 v1, v1, v11, s7
	s_delay_alu instid0(VALU_DEP_1) | instskip(NEXT) | instid1(VALU_DEP_1)
	;; [unrolled: 3-line block ×4, first 2 shown]
	v_cndmask_b32_e64 v1, v1, v16, s2
	v_cndmask_b32_e64 v1, v1, v17, s3
	s_delay_alu instid0(VALU_DEP_1) | instskip(SKIP_2) | instid1(VALU_DEP_1)
	v_cndmask_b32_e32 v17, v1, v3, vcc_lo
	v_cmp_eq_u32_e32 vcc_lo, 0, v0
	v_cndmask_b32_e32 v16, v2, v3, vcc_lo
	v_mov_b32_e32 v2, v16
	s_delay_alu instid0(VALU_DEP_4)
	v_dual_mov_b32 v3, v17 :: v_dual_mov_b32 v4, v18
	v_dual_mov_b32 v5, v19 :: v_dual_mov_b32 v6, v20
	;; [unrolled: 1-line block ×7, first 2 shown]
	v_mov_b32_e32 v17, v31
.LBB15_145:
	s_or_b32 exec_lo, exec_lo, s10
	v_dual_mov_b32 v0, s12 :: v_dual_mov_b32 v1, s13
	s_mov_b32 s10, exec_lo
	flat_load_b32 v0, v[0:1]
	s_waitcnt vmcnt(0) lgkmcnt(0)
	v_add_nc_u32_e32 v0, -1, v0
	s_delay_alu instid0(VALU_DEP_1)
	v_cmpx_ne_u32_e32 0, v0
	s_cbranch_execz .LBB15_147
; %bb.146:
	v_cmp_eq_u32_e32 vcc_lo, 1, v0
	v_cmp_eq_u32_e64 s0, 2, v0
	v_cmp_eq_u32_e64 s1, 3, v0
	;; [unrolled: 1-line block ×10, first 2 shown]
	v_cndmask_b32_e64 v18, v4, v2, s0
	v_cndmask_b32_e64 v19, v5, v2, s1
	v_cndmask_b32_e64 v20, v6, v2, s2
	v_cndmask_b32_e64 v21, v7, v2, s3
	v_cndmask_b32_e64 v22, v8, v2, s4
	v_cndmask_b32_e64 v23, v9, v2, s5
	v_cndmask_b32_e64 v24, v10, v2, s6
	v_cndmask_b32_e64 v25, v11, v2, s7
	v_cndmask_b32_e64 v26, v12, v2, s8
	v_cndmask_b32_e64 v27, v13, v2, s9
	v_cndmask_b32_e32 v1, v2, v3, vcc_lo
	s_delay_alu instid0(VALU_DEP_1) | instskip(SKIP_1) | instid1(VALU_DEP_2)
	v_cndmask_b32_e64 v1, v1, v4, s0
	v_cmp_eq_u32_e64 s0, 12, v0
	v_cndmask_b32_e64 v1, v1, v5, s1
	v_cmp_eq_u32_e64 s1, 13, v0
	s_delay_alu instid0(VALU_DEP_3) | instskip(NEXT) | instid1(VALU_DEP_3)
	v_cndmask_b32_e64 v28, v14, v2, s0
	v_cndmask_b32_e64 v1, v1, v6, s2
	v_cmp_eq_u32_e64 s2, 14, v0
	s_delay_alu instid0(VALU_DEP_4) | instskip(NEXT) | instid1(VALU_DEP_3)
	v_cndmask_b32_e64 v29, v15, v2, s1
	v_cndmask_b32_e64 v1, v1, v7, s3
	v_cmp_eq_u32_e64 s3, 15, v0
	s_delay_alu instid0(VALU_DEP_4) | instskip(NEXT) | instid1(VALU_DEP_3)
	v_cndmask_b32_e64 v30, v16, v2, s2
	v_cndmask_b32_e64 v1, v1, v8, s4
	s_delay_alu instid0(VALU_DEP_3) | instskip(NEXT) | instid1(VALU_DEP_2)
	v_cndmask_b32_e64 v31, v17, v2, s3
	v_cndmask_b32_e64 v1, v1, v9, s5
	s_delay_alu instid0(VALU_DEP_1) | instskip(NEXT) | instid1(VALU_DEP_1)
	v_cndmask_b32_e64 v1, v1, v10, s6
	v_cndmask_b32_e64 v1, v1, v11, s7
	s_delay_alu instid0(VALU_DEP_1) | instskip(NEXT) | instid1(VALU_DEP_1)
	v_cndmask_b32_e64 v1, v1, v12, s8
	v_cndmask_b32_e64 v1, v1, v13, s9
	s_delay_alu instid0(VALU_DEP_1) | instskip(SKIP_1) | instid1(VALU_DEP_2)
	v_cndmask_b32_e64 v1, v1, v14, s0
	v_cmp_eq_u32_e64 s0, 0, v0
	v_cndmask_b32_e64 v1, v1, v15, s1
	s_delay_alu instid0(VALU_DEP_1) | instskip(NEXT) | instid1(VALU_DEP_1)
	v_cndmask_b32_e64 v1, v1, v16, s2
	v_cndmask_b32_e64 v1, v1, v17, s3
	v_cndmask_b32_e32 v17, v3, v2, vcc_lo
	s_delay_alu instid0(VALU_DEP_2) | instskip(NEXT) | instid1(VALU_DEP_1)
	v_cndmask_b32_e64 v16, v1, v2, s0
	v_mov_b32_e32 v2, v16
	s_delay_alu instid0(VALU_DEP_3)
	v_dual_mov_b32 v3, v17 :: v_dual_mov_b32 v4, v18
	v_dual_mov_b32 v5, v19 :: v_dual_mov_b32 v6, v20
	;; [unrolled: 1-line block ×7, first 2 shown]
	v_mov_b32_e32 v17, v31
.LBB15_147:
	s_or_b32 exec_lo, exec_lo, s10
.LBB15_148:
	s_clause 0xf
	global_store_b32 v[33:34], v2, off
	global_store_b32 v[35:36], v3, off
	;; [unrolled: 1-line block ×16, first 2 shown]
	s_nop 0
	s_sendmsg sendmsg(MSG_DEALLOC_VGPRS)
	s_endpgm
	.section	.rodata,"a",@progbits
	.p2align	6, 0x0
	.amdhsa_kernel _ZN9rocsolver6v33100L18getri_kernel_smallILi16EfPfEEvT1_iilPiilS4_bb
		.amdhsa_group_segment_fixed_size 132
		.amdhsa_private_segment_fixed_size 0
		.amdhsa_kernarg_size 60
		.amdhsa_user_sgpr_count 15
		.amdhsa_user_sgpr_dispatch_ptr 0
		.amdhsa_user_sgpr_queue_ptr 0
		.amdhsa_user_sgpr_kernarg_segment_ptr 1
		.amdhsa_user_sgpr_dispatch_id 0
		.amdhsa_user_sgpr_private_segment_size 0
		.amdhsa_wavefront_size32 1
		.amdhsa_uses_dynamic_stack 0
		.amdhsa_enable_private_segment 0
		.amdhsa_system_sgpr_workgroup_id_x 1
		.amdhsa_system_sgpr_workgroup_id_y 0
		.amdhsa_system_sgpr_workgroup_id_z 0
		.amdhsa_system_sgpr_workgroup_info 0
		.amdhsa_system_vgpr_workitem_id 0
		.amdhsa_next_free_vgpr 65
		.amdhsa_next_free_sgpr 18
		.amdhsa_reserve_vcc 1
		.amdhsa_float_round_mode_32 0
		.amdhsa_float_round_mode_16_64 0
		.amdhsa_float_denorm_mode_32 3
		.amdhsa_float_denorm_mode_16_64 3
		.amdhsa_dx10_clamp 1
		.amdhsa_ieee_mode 1
		.amdhsa_fp16_overflow 0
		.amdhsa_workgroup_processor_mode 1
		.amdhsa_memory_ordered 1
		.amdhsa_forward_progress 0
		.amdhsa_shared_vgpr_count 0
		.amdhsa_exception_fp_ieee_invalid_op 0
		.amdhsa_exception_fp_denorm_src 0
		.amdhsa_exception_fp_ieee_div_zero 0
		.amdhsa_exception_fp_ieee_overflow 0
		.amdhsa_exception_fp_ieee_underflow 0
		.amdhsa_exception_fp_ieee_inexact 0
		.amdhsa_exception_int_div_zero 0
	.end_amdhsa_kernel
	.section	.text._ZN9rocsolver6v33100L18getri_kernel_smallILi16EfPfEEvT1_iilPiilS4_bb,"axG",@progbits,_ZN9rocsolver6v33100L18getri_kernel_smallILi16EfPfEEvT1_iilPiilS4_bb,comdat
.Lfunc_end15:
	.size	_ZN9rocsolver6v33100L18getri_kernel_smallILi16EfPfEEvT1_iilPiilS4_bb, .Lfunc_end15-_ZN9rocsolver6v33100L18getri_kernel_smallILi16EfPfEEvT1_iilPiilS4_bb
                                        ; -- End function
	.section	.AMDGPU.csdata,"",@progbits
; Kernel info:
; codeLenInByte = 20160
; NumSgprs: 20
; NumVgprs: 65
; ScratchSize: 0
; MemoryBound: 0
; FloatMode: 240
; IeeeMode: 1
; LDSByteSize: 132 bytes/workgroup (compile time only)
; SGPRBlocks: 2
; VGPRBlocks: 8
; NumSGPRsForWavesPerEU: 20
; NumVGPRsForWavesPerEU: 65
; Occupancy: 16
; WaveLimiterHint : 0
; COMPUTE_PGM_RSRC2:SCRATCH_EN: 0
; COMPUTE_PGM_RSRC2:USER_SGPR: 15
; COMPUTE_PGM_RSRC2:TRAP_HANDLER: 0
; COMPUTE_PGM_RSRC2:TGID_X_EN: 1
; COMPUTE_PGM_RSRC2:TGID_Y_EN: 0
; COMPUTE_PGM_RSRC2:TGID_Z_EN: 0
; COMPUTE_PGM_RSRC2:TIDIG_COMP_CNT: 0
	.section	.text._ZN9rocsolver6v33100L18getri_kernel_smallILi17EfPfEEvT1_iilPiilS4_bb,"axG",@progbits,_ZN9rocsolver6v33100L18getri_kernel_smallILi17EfPfEEvT1_iilPiilS4_bb,comdat
	.globl	_ZN9rocsolver6v33100L18getri_kernel_smallILi17EfPfEEvT1_iilPiilS4_bb ; -- Begin function _ZN9rocsolver6v33100L18getri_kernel_smallILi17EfPfEEvT1_iilPiilS4_bb
	.p2align	8
	.type	_ZN9rocsolver6v33100L18getri_kernel_smallILi17EfPfEEvT1_iilPiilS4_bb,@function
_ZN9rocsolver6v33100L18getri_kernel_smallILi17EfPfEEvT1_iilPiilS4_bb: ; @_ZN9rocsolver6v33100L18getri_kernel_smallILi17EfPfEEvT1_iilPiilS4_bb
; %bb.0:
	s_mov_b32 s2, exec_lo
	v_cmpx_gt_u32_e32 17, v0
	s_cbranch_execz .LBB16_76
; %bb.1:
	s_clause 0x2
	s_load_b32 s17, s[0:1], 0x38
	s_load_b128 s[8:11], s[0:1], 0x10
	s_load_b128 s[4:7], s[0:1], 0x28
	s_mov_b32 s14, s15
                                        ; implicit-def: $sgpr12_sgpr13
	s_waitcnt lgkmcnt(0)
	s_bitcmp1_b32 s17, 8
	s_cselect_b32 s16, -1, 0
	s_bfe_u32 s2, s17, 0x10008
	s_ashr_i32 s15, s15, 31
	s_cmp_eq_u32 s2, 0
	s_cbranch_scc1 .LBB16_3
; %bb.2:
	s_load_b32 s2, s[0:1], 0x20
	s_mul_i32 s3, s14, s5
	s_mul_hi_u32 s5, s14, s4
	s_mul_i32 s12, s15, s4
	s_add_i32 s3, s5, s3
	s_mul_i32 s4, s14, s4
	s_add_i32 s5, s3, s12
	s_delay_alu instid0(SALU_CYCLE_1)
	s_lshl_b64 s[4:5], s[4:5], 2
	s_waitcnt lgkmcnt(0)
	s_ashr_i32 s3, s2, 31
	s_add_u32 s4, s10, s4
	s_addc_u32 s5, s11, s5
	s_lshl_b64 s[2:3], s[2:3], 2
	s_delay_alu instid0(SALU_CYCLE_1)
	s_add_u32 s12, s4, s2
	s_addc_u32 s13, s5, s3
.LBB16_3:
	s_load_b128 s[0:3], s[0:1], 0x0
	s_mul_i32 s4, s14, s9
	s_mul_hi_u32 s5, s14, s8
	s_mul_i32 s9, s15, s8
	s_add_i32 s5, s5, s4
	s_mul_i32 s4, s14, s8
	s_add_i32 s5, s5, s9
	v_lshlrev_b32_e32 v1, 2, v0
	s_lshl_b64 s[4:5], s[4:5], 2
	s_waitcnt lgkmcnt(0)
	v_add3_u32 v2, s3, s3, v0
	s_ashr_i32 s9, s2, 31
	s_mov_b32 s8, s2
	s_add_u32 s2, s0, s4
	s_addc_u32 s5, s1, s5
	v_add_nc_u32_e32 v8, s3, v2
	s_lshl_b64 s[0:1], s[8:9], 2
	v_ashrrev_i32_e32 v3, 31, v2
	s_add_u32 s0, s2, s0
	s_addc_u32 s1, s5, s1
	v_add_nc_u32_e32 v10, s3, v8
	v_add_co_u32 v4, s2, s0, v1
	s_mov_b32 s4, s3
	s_ashr_i32 s5, s3, 31
	s_delay_alu instid0(VALU_DEP_2) | instskip(SKIP_3) | instid1(VALU_DEP_4)
	v_add_nc_u32_e32 v14, s3, v10
	v_add_co_ci_u32_e64 v5, null, s1, 0, s2
	v_lshlrev_b64 v[2:3], 2, v[2:3]
	v_ashrrev_i32_e32 v9, 31, v8
	v_add_nc_u32_e32 v16, s3, v14
	s_lshl_b64 s[4:5], s[4:5], 2
	v_ashrrev_i32_e32 v11, 31, v10
	v_add_co_u32 v6, vcc_lo, v4, s4
	s_delay_alu instid0(VALU_DEP_3)
	v_add_nc_u32_e32 v18, s3, v16
	v_add_co_ci_u32_e32 v7, vcc_lo, s5, v5, vcc_lo
	v_lshlrev_b64 v[12:13], 2, v[8:9]
	v_add_co_u32 v8, vcc_lo, s0, v2
	v_add_co_ci_u32_e32 v9, vcc_lo, s1, v3, vcc_lo
	v_lshlrev_b64 v[2:3], 2, v[10:11]
	v_ashrrev_i32_e32 v15, 31, v14
	v_add_nc_u32_e32 v20, s3, v18
	v_add_co_u32 v10, vcc_lo, s0, v12
	v_ashrrev_i32_e32 v17, 31, v16
	v_add_co_ci_u32_e32 v11, vcc_lo, s1, v13, vcc_lo
	v_lshlrev_b64 v[14:15], 2, v[14:15]
	v_add_co_u32 v12, vcc_lo, s0, v2
	v_add_nc_u32_e32 v22, s3, v20
	v_add_co_ci_u32_e32 v13, vcc_lo, s1, v3, vcc_lo
	v_lshlrev_b64 v[2:3], 2, v[16:17]
	v_ashrrev_i32_e32 v19, 31, v18
	v_add_co_u32 v14, vcc_lo, s0, v14
	v_ashrrev_i32_e32 v21, 31, v20
	v_add_nc_u32_e32 v24, s3, v22
	v_add_co_ci_u32_e32 v15, vcc_lo, s1, v15, vcc_lo
	v_lshlrev_b64 v[18:19], 2, v[18:19]
	v_add_co_u32 v16, vcc_lo, s0, v2
	v_add_co_ci_u32_e32 v17, vcc_lo, s1, v3, vcc_lo
	v_lshlrev_b64 v[2:3], 2, v[20:21]
	v_add_nc_u32_e32 v26, s3, v24
	v_add_co_u32 v18, vcc_lo, s0, v18
	v_ashrrev_i32_e32 v23, 31, v22
	v_add_co_ci_u32_e32 v19, vcc_lo, s1, v19, vcc_lo
	s_delay_alu instid0(VALU_DEP_4)
	v_add_nc_u32_e32 v28, s3, v26
	v_add_co_u32 v20, vcc_lo, s0, v2
	v_add_co_ci_u32_e32 v21, vcc_lo, s1, v3, vcc_lo
	v_lshlrev_b64 v[2:3], 2, v[22:23]
	v_ashrrev_i32_e32 v25, 31, v24
	v_add_nc_u32_e32 v30, s3, v28
	v_ashrrev_i32_e32 v27, 31, v26
	v_ashrrev_i32_e32 v29, 31, v28
	global_load_b32 v38, v1, s[0:1]
	v_lshlrev_b64 v[24:25], 2, v[24:25]
	v_add_co_u32 v22, vcc_lo, s0, v2
	v_add_nc_u32_e32 v32, s3, v30
	v_add_co_ci_u32_e32 v23, vcc_lo, s1, v3, vcc_lo
	v_lshlrev_b64 v[2:3], 2, v[26:27]
	v_add_co_u32 v24, vcc_lo, s0, v24
	v_ashrrev_i32_e32 v31, 31, v30
	v_add_nc_u32_e32 v34, s3, v32
	v_add_co_ci_u32_e32 v25, vcc_lo, s1, v25, vcc_lo
	v_lshlrev_b64 v[28:29], 2, v[28:29]
	v_add_co_u32 v26, vcc_lo, s0, v2
	v_add_co_ci_u32_e32 v27, vcc_lo, s1, v3, vcc_lo
	v_lshlrev_b64 v[2:3], 2, v[30:31]
	v_ashrrev_i32_e32 v33, 31, v32
	v_add_nc_u32_e32 v36, s3, v34
	v_add_co_u32 v28, vcc_lo, s0, v28
	v_ashrrev_i32_e32 v35, 31, v34
	v_add_co_ci_u32_e32 v29, vcc_lo, s1, v29, vcc_lo
	v_lshlrev_b64 v[32:33], 2, v[32:33]
	v_add_co_u32 v30, vcc_lo, s0, v2
	v_ashrrev_i32_e32 v37, 31, v36
	v_add_co_ci_u32_e32 v31, vcc_lo, s1, v3, vcc_lo
	v_lshlrev_b64 v[2:3], 2, v[34:35]
	v_add_co_u32 v32, vcc_lo, s0, v32
	s_delay_alu instid0(VALU_DEP_4) | instskip(SKIP_1) | instid1(VALU_DEP_4)
	v_lshlrev_b64 v[36:37], 2, v[36:37]
	v_add_co_ci_u32_e32 v33, vcc_lo, s1, v33, vcc_lo
	v_add_co_u32 v34, vcc_lo, s0, v2
	v_add_co_ci_u32_e32 v35, vcc_lo, s1, v3, vcc_lo
	s_delay_alu instid0(VALU_DEP_4)
	v_add_co_u32 v36, vcc_lo, s0, v36
	s_clause 0x7
	global_load_b32 v39, v[6:7], off
	global_load_b32 v40, v[8:9], off
	;; [unrolled: 1-line block ×8, first 2 shown]
	v_add_co_ci_u32_e32 v37, vcc_lo, s1, v37, vcc_lo
	s_clause 0x7
	global_load_b32 v47, v[22:23], off
	global_load_b32 v48, v[24:25], off
	;; [unrolled: 1-line block ×8, first 2 shown]
	s_bitcmp0_b32 s17, 0
	s_mov_b32 s1, -1
	s_waitcnt vmcnt(13)
	scratch_store_b128 off, v[38:41], off
	s_waitcnt vmcnt(9)
	scratch_store_b128 off, v[42:45], off offset:16
	s_waitcnt vmcnt(5)
	scratch_store_b128 off, v[46:49], off offset:32
	;; [unrolled: 2-line block ×3, first 2 shown]
	s_waitcnt vmcnt(0)
	scratch_store_b32 off, v2, off offset:64
	s_cbranch_scc1 .LBB16_74
; %bb.4:
	v_cmp_eq_u32_e64 s0, 0, v0
	s_delay_alu instid0(VALU_DEP_1)
	s_and_saveexec_b32 s1, s0
	s_cbranch_execz .LBB16_6
; %bb.5:
	v_mov_b32_e32 v2, 0
	ds_store_b32 v2, v2 offset:68
.LBB16_6:
	s_or_b32 exec_lo, exec_lo, s1
	s_waitcnt lgkmcnt(0)
	s_waitcnt_vscnt null, 0x0
	s_barrier
	buffer_gl0_inv
	scratch_load_b32 v2, v1, off
	s_mov_b32 s2, exec_lo
	s_waitcnt vmcnt(0)
	v_cmpx_eq_f32_e32 0, v2
	s_cbranch_execz .LBB16_10
; %bb.7:
	v_mov_b32_e32 v2, 0
	s_mov_b32 s3, 0
	ds_load_b32 v3, v2 offset:68
	s_waitcnt lgkmcnt(0)
	v_readfirstlane_b32 s1, v3
	v_add_nc_u32_e32 v3, 1, v0
	s_delay_alu instid0(VALU_DEP_2) | instskip(NEXT) | instid1(VALU_DEP_1)
	s_cmp_eq_u32 s1, 0
	v_cmp_gt_i32_e32 vcc_lo, s1, v3
	s_cselect_b32 s4, -1, 0
	s_delay_alu instid0(SALU_CYCLE_1) | instskip(NEXT) | instid1(SALU_CYCLE_1)
	s_or_b32 s4, s4, vcc_lo
	s_and_b32 exec_lo, exec_lo, s4
	s_cbranch_execz .LBB16_10
; %bb.8:
	v_mov_b32_e32 v38, s1
.LBB16_9:                               ; =>This Inner Loop Header: Depth=1
	ds_cmpstore_rtn_b32 v38, v2, v3, v38 offset:68
	s_waitcnt lgkmcnt(0)
	v_cmp_ne_u32_e32 vcc_lo, 0, v38
	v_cmp_le_i32_e64 s1, v38, v3
	s_delay_alu instid0(VALU_DEP_1) | instskip(NEXT) | instid1(SALU_CYCLE_1)
	s_and_b32 s1, vcc_lo, s1
	s_and_b32 s1, exec_lo, s1
	s_delay_alu instid0(SALU_CYCLE_1) | instskip(NEXT) | instid1(SALU_CYCLE_1)
	s_or_b32 s3, s1, s3
	s_and_not1_b32 exec_lo, exec_lo, s3
	s_cbranch_execnz .LBB16_9
.LBB16_10:
	s_or_b32 exec_lo, exec_lo, s2
	v_mov_b32_e32 v2, 0
	s_barrier
	buffer_gl0_inv
	ds_load_b32 v3, v2 offset:68
	s_and_saveexec_b32 s1, s0
	s_cbranch_execz .LBB16_12
; %bb.11:
	s_lshl_b64 s[2:3], s[14:15], 2
	s_delay_alu instid0(SALU_CYCLE_1)
	s_add_u32 s2, s6, s2
	s_addc_u32 s3, s7, s3
	s_waitcnt lgkmcnt(0)
	global_store_b32 v2, v3, s[2:3]
.LBB16_12:
	s_or_b32 exec_lo, exec_lo, s1
	s_waitcnt lgkmcnt(0)
	v_cmp_ne_u32_e32 vcc_lo, 0, v3
	s_mov_b32 s1, 0
	s_cbranch_vccnz .LBB16_74
; %bb.13:
	v_add_nc_u32_e32 v2, 0, v1
	scratch_load_b32 v3, v2, off
	s_waitcnt vmcnt(0)
	v_div_scale_f32 v38, null, v3, v3, 1.0
	v_div_scale_f32 v41, vcc_lo, 1.0, v3, 1.0
	s_delay_alu instid0(VALU_DEP_2) | instskip(SKIP_2) | instid1(VALU_DEP_1)
	v_rcp_f32_e32 v39, v38
	s_waitcnt_depctr 0xfff
	v_fma_f32 v40, -v38, v39, 1.0
	v_fmac_f32_e32 v39, v40, v39
	s_delay_alu instid0(VALU_DEP_1) | instskip(NEXT) | instid1(VALU_DEP_1)
	v_mul_f32_e32 v40, v41, v39
	v_fma_f32 v42, -v38, v40, v41
	s_delay_alu instid0(VALU_DEP_1) | instskip(NEXT) | instid1(VALU_DEP_1)
	v_fmac_f32_e32 v40, v42, v39
	v_fma_f32 v38, -v38, v40, v41
	s_delay_alu instid0(VALU_DEP_1) | instskip(NEXT) | instid1(VALU_DEP_1)
	v_div_fmas_f32 v38, v38, v39, v40
	v_div_fixup_f32 v3, v38, v3, 1.0
	scratch_store_b32 v2, v3, off
	scratch_load_b32 v38, off, off offset:4
	v_xor_b32_e32 v39, 0x80000000, v3
	v_add_nc_u32_e32 v3, 0x50, v1
	s_waitcnt vmcnt(0)
	ds_store_2addr_b32 v1, v39, v38 offset1:20
	s_waitcnt lgkmcnt(0)
	s_waitcnt_vscnt null, 0x0
	s_barrier
	buffer_gl0_inv
	s_and_saveexec_b32 s1, s0
	s_cbranch_execz .LBB16_15
; %bb.14:
	scratch_load_b32 v38, v2, off
	ds_load_b32 v39, v3
	v_mov_b32_e32 v40, 0
	ds_load_b32 v40, v40 offset:4
	s_waitcnt vmcnt(0) lgkmcnt(1)
	v_fma_f32 v38, v38, v39, 0
	s_waitcnt lgkmcnt(0)
	s_delay_alu instid0(VALU_DEP_1)
	v_mul_f32_e32 v38, v38, v40
	scratch_store_b32 off, v38, off offset:4
.LBB16_15:
	s_or_b32 exec_lo, exec_lo, s1
	s_waitcnt_vscnt null, 0x0
	s_barrier
	buffer_gl0_inv
	scratch_load_b32 v38, off, off offset:8
	s_mov_b32 s1, exec_lo
	s_waitcnt vmcnt(0)
	ds_store_b32 v3, v38
	s_waitcnt lgkmcnt(0)
	s_barrier
	buffer_gl0_inv
	v_cmpx_gt_u32_e32 2, v0
	s_cbranch_execz .LBB16_17
; %bb.16:
	scratch_load_b32 v40, v2, off
	scratch_load_b32 v41, off, off offset:4
	ds_load_b32 v42, v3
	v_mov_b32_e32 v38, 0
	ds_load_2addr_b32 v[38:39], v38 offset0:2 offset1:21
	s_waitcnt vmcnt(1) lgkmcnt(1)
	v_fma_f32 v40, v40, v42, 0
	s_waitcnt vmcnt(0) lgkmcnt(0)
	s_delay_alu instid0(VALU_DEP_1) | instskip(NEXT) | instid1(VALU_DEP_1)
	v_fma_f32 v39, v41, v39, v40
	v_cndmask_b32_e64 v39, v40, v39, s0
	s_delay_alu instid0(VALU_DEP_1)
	v_mul_f32_e32 v38, v39, v38
	scratch_store_b32 off, v38, off offset:8
.LBB16_17:
	s_or_b32 exec_lo, exec_lo, s1
	s_waitcnt_vscnt null, 0x0
	s_barrier
	buffer_gl0_inv
	scratch_load_b32 v39, off, off offset:12
	v_add_nc_u32_e32 v38, -1, v0
	s_mov_b32 s0, exec_lo
	s_waitcnt vmcnt(0)
	ds_store_b32 v3, v39
	s_waitcnt lgkmcnt(0)
	s_barrier
	buffer_gl0_inv
	v_cmpx_gt_u32_e32 3, v0
	s_cbranch_execz .LBB16_21
; %bb.18:
	v_dual_mov_b32 v39, 0 :: v_dual_add_nc_u32 v40, -1, v0
	v_add_nc_u32_e32 v41, 0x50, v1
	v_add_nc_u32_e32 v42, 0, v1
	s_mov_b32 s1, 0
.LBB16_19:                              ; =>This Inner Loop Header: Depth=1
	scratch_load_b32 v43, v42, off
	ds_load_b32 v44, v41
	v_add_nc_u32_e32 v40, 1, v40
	v_add_nc_u32_e32 v41, 4, v41
	v_add_nc_u32_e32 v42, 4, v42
	s_delay_alu instid0(VALU_DEP_3)
	v_cmp_lt_u32_e32 vcc_lo, 1, v40
	s_or_b32 s1, vcc_lo, s1
	s_waitcnt vmcnt(0) lgkmcnt(0)
	v_fmac_f32_e32 v39, v43, v44
	s_and_not1_b32 exec_lo, exec_lo, s1
	s_cbranch_execnz .LBB16_19
; %bb.20:
	s_or_b32 exec_lo, exec_lo, s1
	v_mov_b32_e32 v40, 0
	ds_load_b32 v40, v40 offset:12
	s_waitcnt lgkmcnt(0)
	v_mul_f32_e32 v39, v39, v40
	scratch_store_b32 off, v39, off offset:12
.LBB16_21:
	s_or_b32 exec_lo, exec_lo, s0
	s_waitcnt_vscnt null, 0x0
	s_barrier
	buffer_gl0_inv
	scratch_load_b32 v39, off, off offset:16
	s_mov_b32 s0, exec_lo
	s_waitcnt vmcnt(0)
	ds_store_b32 v3, v39
	s_waitcnt lgkmcnt(0)
	s_barrier
	buffer_gl0_inv
	v_cmpx_gt_u32_e32 4, v0
	s_cbranch_execz .LBB16_25
; %bb.22:
	v_dual_mov_b32 v39, 0 :: v_dual_add_nc_u32 v40, -1, v0
	v_add_nc_u32_e32 v41, 0x50, v1
	v_add_nc_u32_e32 v42, 0, v1
	s_mov_b32 s1, 0
.LBB16_23:                              ; =>This Inner Loop Header: Depth=1
	scratch_load_b32 v43, v42, off
	ds_load_b32 v44, v41
	v_add_nc_u32_e32 v40, 1, v40
	v_add_nc_u32_e32 v41, 4, v41
	v_add_nc_u32_e32 v42, 4, v42
	s_delay_alu instid0(VALU_DEP_3)
	v_cmp_lt_u32_e32 vcc_lo, 2, v40
	s_or_b32 s1, vcc_lo, s1
	s_waitcnt vmcnt(0) lgkmcnt(0)
	v_fmac_f32_e32 v39, v43, v44
	s_and_not1_b32 exec_lo, exec_lo, s1
	s_cbranch_execnz .LBB16_23
; %bb.24:
	s_or_b32 exec_lo, exec_lo, s1
	v_mov_b32_e32 v40, 0
	ds_load_b32 v40, v40 offset:16
	s_waitcnt lgkmcnt(0)
	v_mul_f32_e32 v39, v39, v40
	scratch_store_b32 off, v39, off offset:16
.LBB16_25:
	s_or_b32 exec_lo, exec_lo, s0
	s_waitcnt_vscnt null, 0x0
	s_barrier
	buffer_gl0_inv
	scratch_load_b32 v39, off, off offset:20
	;; [unrolled: 39-line block ×12, first 2 shown]
	s_mov_b32 s0, exec_lo
	s_waitcnt vmcnt(0)
	ds_store_b32 v3, v39
	s_waitcnt lgkmcnt(0)
	s_barrier
	buffer_gl0_inv
	v_cmpx_gt_u32_e32 15, v0
	s_cbranch_execz .LBB16_69
; %bb.66:
	v_add_nc_u32_e32 v39, -1, v0
	v_add_nc_u32_e32 v40, 0x50, v1
	v_add_nc_u32_e32 v41, 0, v1
	v_mov_b32_e32 v1, 0
	s_mov_b32 s1, 0
.LBB16_67:                              ; =>This Inner Loop Header: Depth=1
	scratch_load_b32 v42, v41, off
	ds_load_b32 v43, v40
	v_add_nc_u32_e32 v39, 1, v39
	v_add_nc_u32_e32 v40, 4, v40
	;; [unrolled: 1-line block ×3, first 2 shown]
	s_delay_alu instid0(VALU_DEP_3)
	v_cmp_lt_u32_e32 vcc_lo, 13, v39
	s_or_b32 s1, vcc_lo, s1
	s_waitcnt vmcnt(0) lgkmcnt(0)
	v_fmac_f32_e32 v1, v42, v43
	s_and_not1_b32 exec_lo, exec_lo, s1
	s_cbranch_execnz .LBB16_67
; %bb.68:
	s_or_b32 exec_lo, exec_lo, s1
	v_mov_b32_e32 v39, 0
	ds_load_b32 v39, v39 offset:60
	s_waitcnt lgkmcnt(0)
	v_mul_f32_e32 v1, v1, v39
	scratch_store_b32 off, v1, off offset:60
.LBB16_69:
	s_or_b32 exec_lo, exec_lo, s0
	s_waitcnt_vscnt null, 0x0
	s_barrier
	buffer_gl0_inv
	scratch_load_b32 v1, off, off offset:64
	s_mov_b32 s0, exec_lo
	s_waitcnt vmcnt(0)
	ds_store_b32 v3, v1
	s_waitcnt lgkmcnt(0)
	s_barrier
	buffer_gl0_inv
	v_cmpx_ne_u32_e32 16, v0
	s_cbranch_execz .LBB16_73
; %bb.70:
	v_mov_b32_e32 v1, 0
	s_mov_b32 s1, 0
.LBB16_71:                              ; =>This Inner Loop Header: Depth=1
	scratch_load_b32 v39, v2, off
	ds_load_b32 v40, v3
	v_add_nc_u32_e32 v38, 1, v38
	v_add_nc_u32_e32 v3, 4, v3
	s_waitcnt vmcnt(0) lgkmcnt(0)
	v_dual_fmac_f32 v1, v39, v40 :: v_dual_add_nc_u32 v2, 4, v2
	s_delay_alu instid0(VALU_DEP_3) | instskip(SKIP_1) | instid1(SALU_CYCLE_1)
	v_cmp_lt_u32_e32 vcc_lo, 14, v38
	s_or_b32 s1, vcc_lo, s1
	s_and_not1_b32 exec_lo, exec_lo, s1
	s_cbranch_execnz .LBB16_71
; %bb.72:
	s_or_b32 exec_lo, exec_lo, s1
	v_mov_b32_e32 v2, 0
	ds_load_b32 v2, v2 offset:64
	s_waitcnt lgkmcnt(0)
	v_mul_f32_e32 v1, v1, v2
	scratch_store_b32 off, v1, off offset:64
.LBB16_73:
	s_or_b32 exec_lo, exec_lo, s0
	s_mov_b32 s1, -1
	s_waitcnt_vscnt null, 0x0
	s_barrier
	buffer_gl0_inv
.LBB16_74:
	s_and_b32 vcc_lo, exec_lo, s1
	s_cbranch_vccz .LBB16_76
; %bb.75:
	s_lshl_b64 s[0:1], s[14:15], 2
	v_mov_b32_e32 v1, 0
	s_add_u32 s0, s6, s0
	s_addc_u32 s1, s7, s1
	global_load_b32 v1, v1, s[0:1]
	s_waitcnt vmcnt(0)
	v_cmp_ne_u32_e32 vcc_lo, 0, v1
	s_cbranch_vccz .LBB16_77
.LBB16_76:
	s_endpgm
.LBB16_77:
	v_lshl_add_u32 v1, v0, 2, 0x50
	s_mov_b32 s0, exec_lo
	v_cmpx_eq_u32_e32 16, v0
	s_cbranch_execz .LBB16_79
; %bb.78:
	scratch_load_b32 v2, off, off offset:60
	v_mov_b32_e32 v3, 0
	scratch_store_b32 off, v3, off offset:60
	s_waitcnt vmcnt(0)
	ds_store_b32 v1, v2
.LBB16_79:
	s_or_b32 exec_lo, exec_lo, s0
	s_waitcnt lgkmcnt(0)
	s_waitcnt_vscnt null, 0x0
	s_barrier
	buffer_gl0_inv
	scratch_load_b64 v[38:39], off, off offset:60
	v_mov_b32_e32 v2, 0
	s_mov_b32 s0, exec_lo
	ds_load_b32 v3, v2 offset:144
	s_waitcnt vmcnt(0) lgkmcnt(0)
	v_fma_f32 v3, v39, v3, 0
	s_delay_alu instid0(VALU_DEP_1)
	v_sub_f32_e32 v3, v38, v3
	scratch_store_b32 off, v3, off offset:60
	v_cmpx_lt_u32_e32 14, v0
	s_cbranch_execz .LBB16_81
; %bb.80:
	scratch_load_b32 v3, off, off offset:56
	scratch_store_b32 off, v2, off offset:56
	s_waitcnt vmcnt(0)
	ds_store_b32 v1, v3
.LBB16_81:
	s_or_b32 exec_lo, exec_lo, s0
	s_waitcnt lgkmcnt(0)
	s_waitcnt_vscnt null, 0x0
	s_barrier
	buffer_gl0_inv
	scratch_load_b96 v[38:40], off, off offset:56
	ds_load_2addr_b32 v[2:3], v2 offset0:35 offset1:36
	s_mov_b32 s0, exec_lo
	s_waitcnt vmcnt(0) lgkmcnt(0)
	v_fma_f32 v2, v39, v2, 0
	s_delay_alu instid0(VALU_DEP_1) | instskip(NEXT) | instid1(VALU_DEP_1)
	v_fmac_f32_e32 v2, v40, v3
	v_sub_f32_e32 v2, v38, v2
	scratch_store_b32 off, v2, off offset:56
	v_cmpx_lt_u32_e32 13, v0
	s_cbranch_execz .LBB16_83
; %bb.82:
	scratch_load_b32 v2, off, off offset:52
	v_mov_b32_e32 v3, 0
	scratch_store_b32 off, v3, off offset:52
	s_waitcnt vmcnt(0)
	ds_store_b32 v1, v2
.LBB16_83:
	s_or_b32 exec_lo, exec_lo, s0
	s_waitcnt lgkmcnt(0)
	s_waitcnt_vscnt null, 0x0
	s_barrier
	buffer_gl0_inv
	scratch_load_b128 v[38:41], off, off offset:52
	v_mov_b32_e32 v2, 0
	ds_load_b64 v[42:43], v2 offset:136
	ds_load_b32 v3, v2 offset:144
	s_mov_b32 s0, exec_lo
	s_waitcnt vmcnt(0) lgkmcnt(1)
	v_fma_f32 v39, v39, v42, 0
	s_delay_alu instid0(VALU_DEP_1) | instskip(SKIP_1) | instid1(VALU_DEP_1)
	v_fmac_f32_e32 v39, v40, v43
	s_waitcnt lgkmcnt(0)
	v_fmac_f32_e32 v39, v41, v3
	s_delay_alu instid0(VALU_DEP_1)
	v_sub_f32_e32 v3, v38, v39
	scratch_store_b32 off, v3, off offset:52
	v_cmpx_lt_u32_e32 12, v0
	s_cbranch_execz .LBB16_85
; %bb.84:
	scratch_load_b32 v3, off, off offset:48
	scratch_store_b32 off, v2, off offset:48
	s_waitcnt vmcnt(0)
	ds_store_b32 v1, v3
.LBB16_85:
	s_or_b32 exec_lo, exec_lo, s0
	s_waitcnt lgkmcnt(0)
	s_waitcnt_vscnt null, 0x0
	s_barrier
	buffer_gl0_inv
	s_clause 0x1
	scratch_load_b128 v[38:41], off, off offset:48
	scratch_load_b32 v44, off, off offset:64
	ds_load_2addr_b32 v[42:43], v2 offset0:33 offset1:34
	ds_load_2addr_b32 v[2:3], v2 offset0:35 offset1:36
	s_mov_b32 s0, exec_lo
	s_waitcnt vmcnt(1) lgkmcnt(1)
	v_fma_f32 v39, v39, v42, 0
	s_delay_alu instid0(VALU_DEP_1) | instskip(SKIP_1) | instid1(VALU_DEP_1)
	v_fmac_f32_e32 v39, v40, v43
	s_waitcnt lgkmcnt(0)
	v_fmac_f32_e32 v39, v41, v2
	s_waitcnt vmcnt(0)
	s_delay_alu instid0(VALU_DEP_1) | instskip(NEXT) | instid1(VALU_DEP_1)
	v_fmac_f32_e32 v39, v44, v3
	v_sub_f32_e32 v2, v38, v39
	scratch_store_b32 off, v2, off offset:48
	v_cmpx_lt_u32_e32 11, v0
	s_cbranch_execz .LBB16_87
; %bb.86:
	scratch_load_b32 v2, off, off offset:44
	v_mov_b32_e32 v3, 0
	scratch_store_b32 off, v3, off offset:44
	s_waitcnt vmcnt(0)
	ds_store_b32 v1, v2
.LBB16_87:
	s_or_b32 exec_lo, exec_lo, s0
	s_waitcnt lgkmcnt(0)
	s_waitcnt_vscnt null, 0x0
	s_barrier
	buffer_gl0_inv
	s_clause 0x1
	scratch_load_b128 v[38:41], off, off offset:44
	scratch_load_b64 v[46:47], off, off offset:60
	v_mov_b32_e32 v2, 0
	ds_load_b128 v[42:45], v2 offset:128
	ds_load_b32 v3, v2 offset:144
	s_mov_b32 s0, exec_lo
	s_waitcnt vmcnt(1) lgkmcnt(1)
	v_fma_f32 v39, v39, v42, 0
	s_delay_alu instid0(VALU_DEP_1) | instskip(NEXT) | instid1(VALU_DEP_1)
	v_fmac_f32_e32 v39, v40, v43
	v_fmac_f32_e32 v39, v41, v44
	s_waitcnt vmcnt(0)
	s_delay_alu instid0(VALU_DEP_1) | instskip(SKIP_1) | instid1(VALU_DEP_1)
	v_fmac_f32_e32 v39, v46, v45
	s_waitcnt lgkmcnt(0)
	v_fmac_f32_e32 v39, v47, v3
	s_delay_alu instid0(VALU_DEP_1)
	v_sub_f32_e32 v3, v38, v39
	scratch_store_b32 off, v3, off offset:44
	v_cmpx_lt_u32_e32 10, v0
	s_cbranch_execz .LBB16_89
; %bb.88:
	scratch_load_b32 v3, off, off offset:40
	scratch_store_b32 off, v2, off offset:40
	s_waitcnt vmcnt(0)
	ds_store_b32 v1, v3
.LBB16_89:
	s_or_b32 exec_lo, exec_lo, s0
	s_waitcnt lgkmcnt(0)
	s_waitcnt_vscnt null, 0x0
	s_barrier
	buffer_gl0_inv
	s_clause 0x1
	scratch_load_b128 v[38:41], off, off offset:40
	scratch_load_b96 v[42:44], off, off offset:56
	ds_load_2addr_b32 v[45:46], v2 offset0:31 offset1:32
	ds_load_2addr_b32 v[47:48], v2 offset0:33 offset1:34
	;; [unrolled: 1-line block ×3, first 2 shown]
	s_mov_b32 s0, exec_lo
	s_waitcnt vmcnt(1) lgkmcnt(2)
	v_fma_f32 v39, v39, v45, 0
	s_delay_alu instid0(VALU_DEP_1) | instskip(SKIP_1) | instid1(VALU_DEP_1)
	v_fmac_f32_e32 v39, v40, v46
	s_waitcnt lgkmcnt(1)
	v_fmac_f32_e32 v39, v41, v47
	s_waitcnt vmcnt(0)
	s_delay_alu instid0(VALU_DEP_1) | instskip(SKIP_1) | instid1(VALU_DEP_1)
	v_fmac_f32_e32 v39, v42, v48
	s_waitcnt lgkmcnt(0)
	v_fmac_f32_e32 v39, v43, v2
	s_delay_alu instid0(VALU_DEP_1) | instskip(NEXT) | instid1(VALU_DEP_1)
	v_fmac_f32_e32 v39, v44, v3
	v_sub_f32_e32 v2, v38, v39
	scratch_store_b32 off, v2, off offset:40
	v_cmpx_lt_u32_e32 9, v0
	s_cbranch_execz .LBB16_91
; %bb.90:
	scratch_load_b32 v2, off, off offset:36
	v_mov_b32_e32 v3, 0
	scratch_store_b32 off, v3, off offset:36
	s_waitcnt vmcnt(0)
	ds_store_b32 v1, v2
.LBB16_91:
	s_or_b32 exec_lo, exec_lo, s0
	s_waitcnt lgkmcnt(0)
	s_waitcnt_vscnt null, 0x0
	s_barrier
	buffer_gl0_inv
	s_clause 0x1
	scratch_load_b128 v[38:41], off, off offset:36
	scratch_load_b128 v[42:45], off, off offset:52
	v_mov_b32_e32 v2, 0
	ds_load_2addr_b64 v[46:49], v2 offset0:15 offset1:16
	ds_load_b64 v[50:51], v2 offset:136
	s_mov_b32 s0, exec_lo
	s_waitcnt vmcnt(1) lgkmcnt(1)
	v_fma_f32 v3, v39, v46, 0
	s_delay_alu instid0(VALU_DEP_1) | instskip(SKIP_3) | instid1(VALU_DEP_1)
	v_fmac_f32_e32 v3, v40, v47
	ds_load_b32 v39, v2 offset:144
	v_fmac_f32_e32 v3, v41, v48
	s_waitcnt vmcnt(0)
	v_fmac_f32_e32 v3, v42, v49
	s_waitcnt lgkmcnt(1)
	s_delay_alu instid0(VALU_DEP_1) | instskip(NEXT) | instid1(VALU_DEP_1)
	v_fmac_f32_e32 v3, v43, v50
	v_fmac_f32_e32 v3, v44, v51
	s_waitcnt lgkmcnt(0)
	s_delay_alu instid0(VALU_DEP_1) | instskip(NEXT) | instid1(VALU_DEP_1)
	v_fmac_f32_e32 v3, v45, v39
	v_sub_f32_e32 v3, v38, v3
	scratch_store_b32 off, v3, off offset:36
	v_cmpx_lt_u32_e32 8, v0
	s_cbranch_execz .LBB16_93
; %bb.92:
	scratch_load_b32 v3, off, off offset:32
	scratch_store_b32 off, v2, off offset:32
	s_waitcnt vmcnt(0)
	ds_store_b32 v1, v3
.LBB16_93:
	s_or_b32 exec_lo, exec_lo, s0
	s_waitcnt lgkmcnt(0)
	s_waitcnt_vscnt null, 0x0
	s_barrier
	buffer_gl0_inv
	s_clause 0x2
	scratch_load_b128 v[38:41], off, off offset:32
	scratch_load_b128 v[42:45], off, off offset:48
	scratch_load_b32 v52, off, off offset:64
	ds_load_2addr_b32 v[46:47], v2 offset0:29 offset1:30
	ds_load_2addr_b32 v[48:49], v2 offset0:31 offset1:32
	;; [unrolled: 1-line block ×4, first 2 shown]
	s_mov_b32 s0, exec_lo
	s_waitcnt vmcnt(2) lgkmcnt(3)
	v_fma_f32 v39, v39, v46, 0
	s_delay_alu instid0(VALU_DEP_1) | instskip(SKIP_1) | instid1(VALU_DEP_1)
	v_fmac_f32_e32 v39, v40, v47
	s_waitcnt lgkmcnt(2)
	v_fmac_f32_e32 v39, v41, v48
	s_waitcnt vmcnt(1)
	s_delay_alu instid0(VALU_DEP_1) | instskip(SKIP_1) | instid1(VALU_DEP_1)
	v_fmac_f32_e32 v39, v42, v49
	s_waitcnt lgkmcnt(1)
	v_fmac_f32_e32 v39, v43, v50
	s_delay_alu instid0(VALU_DEP_1) | instskip(SKIP_1) | instid1(VALU_DEP_1)
	v_fmac_f32_e32 v39, v44, v51
	s_waitcnt lgkmcnt(0)
	v_fmac_f32_e32 v39, v45, v2
	s_waitcnt vmcnt(0)
	s_delay_alu instid0(VALU_DEP_1) | instskip(NEXT) | instid1(VALU_DEP_1)
	v_fmac_f32_e32 v39, v52, v3
	v_sub_f32_e32 v2, v38, v39
	scratch_store_b32 off, v2, off offset:32
	v_cmpx_lt_u32_e32 7, v0
	s_cbranch_execz .LBB16_95
; %bb.94:
	scratch_load_b32 v2, off, off offset:28
	v_mov_b32_e32 v3, 0
	scratch_store_b32 off, v3, off offset:28
	s_waitcnt vmcnt(0)
	ds_store_b32 v1, v2
.LBB16_95:
	s_or_b32 exec_lo, exec_lo, s0
	s_waitcnt lgkmcnt(0)
	s_waitcnt_vscnt null, 0x0
	s_barrier
	buffer_gl0_inv
	s_clause 0x2
	scratch_load_b128 v[38:41], off, off offset:28
	scratch_load_b128 v[42:45], off, off offset:44
	scratch_load_b64 v[54:55], off, off offset:60
	v_mov_b32_e32 v2, 0
	ds_load_b128 v[46:49], v2 offset:112
	ds_load_b128 v[50:53], v2 offset:128
	s_mov_b32 s0, exec_lo
	s_waitcnt vmcnt(2) lgkmcnt(1)
	v_fma_f32 v3, v39, v46, 0
	s_delay_alu instid0(VALU_DEP_1) | instskip(SKIP_3) | instid1(VALU_DEP_1)
	v_fmac_f32_e32 v3, v40, v47
	ds_load_b32 v39, v2 offset:144
	v_fmac_f32_e32 v3, v41, v48
	s_waitcnt vmcnt(1)
	v_fmac_f32_e32 v3, v42, v49
	s_waitcnt lgkmcnt(1)
	s_delay_alu instid0(VALU_DEP_1) | instskip(NEXT) | instid1(VALU_DEP_1)
	v_fmac_f32_e32 v3, v43, v50
	v_fmac_f32_e32 v3, v44, v51
	s_delay_alu instid0(VALU_DEP_1) | instskip(SKIP_1) | instid1(VALU_DEP_1)
	v_fmac_f32_e32 v3, v45, v52
	s_waitcnt vmcnt(0)
	v_fmac_f32_e32 v3, v54, v53
	s_waitcnt lgkmcnt(0)
	s_delay_alu instid0(VALU_DEP_1) | instskip(NEXT) | instid1(VALU_DEP_1)
	v_fmac_f32_e32 v3, v55, v39
	v_sub_f32_e32 v3, v38, v3
	scratch_store_b32 off, v3, off offset:28
	v_cmpx_lt_u32_e32 6, v0
	s_cbranch_execz .LBB16_97
; %bb.96:
	scratch_load_b32 v3, off, off offset:24
	scratch_store_b32 off, v2, off offset:24
	s_waitcnt vmcnt(0)
	ds_store_b32 v1, v3
.LBB16_97:
	s_or_b32 exec_lo, exec_lo, s0
	s_waitcnt lgkmcnt(0)
	s_waitcnt_vscnt null, 0x0
	s_barrier
	buffer_gl0_inv
	s_clause 0x2
	scratch_load_b128 v[38:41], off, off offset:24
	scratch_load_b128 v[42:45], off, off offset:40
	scratch_load_b96 v[46:48], off, off offset:56
	ds_load_2addr_b32 v[49:50], v2 offset0:27 offset1:28
	ds_load_2addr_b32 v[51:52], v2 offset0:29 offset1:30
	ds_load_2addr_b32 v[53:54], v2 offset0:31 offset1:32
	ds_load_2addr_b32 v[55:56], v2 offset0:33 offset1:34
	ds_load_2addr_b32 v[2:3], v2 offset0:35 offset1:36
	s_mov_b32 s0, exec_lo
	s_waitcnt vmcnt(2) lgkmcnt(4)
	v_fma_f32 v39, v39, v49, 0
	s_delay_alu instid0(VALU_DEP_1) | instskip(SKIP_1) | instid1(VALU_DEP_1)
	v_fmac_f32_e32 v39, v40, v50
	s_waitcnt lgkmcnt(3)
	v_fmac_f32_e32 v39, v41, v51
	s_waitcnt vmcnt(1)
	s_delay_alu instid0(VALU_DEP_1) | instskip(SKIP_1) | instid1(VALU_DEP_1)
	v_fmac_f32_e32 v39, v42, v52
	s_waitcnt lgkmcnt(2)
	v_fmac_f32_e32 v39, v43, v53
	s_delay_alu instid0(VALU_DEP_1) | instskip(SKIP_1) | instid1(VALU_DEP_1)
	v_fmac_f32_e32 v39, v44, v54
	s_waitcnt lgkmcnt(1)
	v_fmac_f32_e32 v39, v45, v55
	s_waitcnt vmcnt(0)
	s_delay_alu instid0(VALU_DEP_1) | instskip(SKIP_1) | instid1(VALU_DEP_1)
	v_fmac_f32_e32 v39, v46, v56
	s_waitcnt lgkmcnt(0)
	v_fmac_f32_e32 v39, v47, v2
	s_delay_alu instid0(VALU_DEP_1) | instskip(NEXT) | instid1(VALU_DEP_1)
	v_fmac_f32_e32 v39, v48, v3
	v_sub_f32_e32 v2, v38, v39
	scratch_store_b32 off, v2, off offset:24
	v_cmpx_lt_u32_e32 5, v0
	s_cbranch_execz .LBB16_99
; %bb.98:
	scratch_load_b32 v2, off, off offset:20
	v_mov_b32_e32 v3, 0
	scratch_store_b32 off, v3, off offset:20
	s_waitcnt vmcnt(0)
	ds_store_b32 v1, v2
.LBB16_99:
	s_or_b32 exec_lo, exec_lo, s0
	s_waitcnt lgkmcnt(0)
	s_waitcnt_vscnt null, 0x0
	s_barrier
	buffer_gl0_inv
	s_clause 0x2
	scratch_load_b128 v[38:41], off, off offset:20
	scratch_load_b128 v[42:45], off, off offset:36
	;; [unrolled: 1-line block ×3, first 2 shown]
	v_mov_b32_e32 v2, 0
	ds_load_2addr_b64 v[50:53], v2 offset0:13 offset1:14
	ds_load_2addr_b64 v[54:57], v2 offset0:15 offset1:16
	s_mov_b32 s0, exec_lo
	s_waitcnt vmcnt(2) lgkmcnt(1)
	v_fma_f32 v3, v39, v50, 0
	s_delay_alu instid0(VALU_DEP_1)
	v_fmac_f32_e32 v3, v40, v51
	ds_load_b64 v[39:40], v2 offset:136
	v_fmac_f32_e32 v3, v41, v52
	ds_load_b32 v41, v2 offset:144
	s_waitcnt vmcnt(1)
	v_fmac_f32_e32 v3, v42, v53
	s_waitcnt lgkmcnt(2)
	s_delay_alu instid0(VALU_DEP_1) | instskip(NEXT) | instid1(VALU_DEP_1)
	v_fmac_f32_e32 v3, v43, v54
	v_fmac_f32_e32 v3, v44, v55
	s_delay_alu instid0(VALU_DEP_1) | instskip(SKIP_1) | instid1(VALU_DEP_1)
	v_fmac_f32_e32 v3, v45, v56
	s_waitcnt vmcnt(0)
	v_fmac_f32_e32 v3, v46, v57
	s_waitcnt lgkmcnt(1)
	s_delay_alu instid0(VALU_DEP_1) | instskip(NEXT) | instid1(VALU_DEP_1)
	v_fmac_f32_e32 v3, v47, v39
	v_fmac_f32_e32 v3, v48, v40
	s_waitcnt lgkmcnt(0)
	s_delay_alu instid0(VALU_DEP_1) | instskip(NEXT) | instid1(VALU_DEP_1)
	v_fmac_f32_e32 v3, v49, v41
	v_sub_f32_e32 v3, v38, v3
	scratch_store_b32 off, v3, off offset:20
	v_cmpx_lt_u32_e32 4, v0
	s_cbranch_execz .LBB16_101
; %bb.100:
	scratch_load_b32 v3, off, off offset:16
	scratch_store_b32 off, v2, off offset:16
	s_waitcnt vmcnt(0)
	ds_store_b32 v1, v3
.LBB16_101:
	s_or_b32 exec_lo, exec_lo, s0
	s_waitcnt lgkmcnt(0)
	s_waitcnt_vscnt null, 0x0
	s_barrier
	buffer_gl0_inv
	s_clause 0x3
	scratch_load_b128 v[38:41], off, off offset:16
	scratch_load_b128 v[42:45], off, off offset:32
	;; [unrolled: 1-line block ×3, first 2 shown]
	scratch_load_b32 v58, off, off offset:64
	ds_load_2addr_b32 v[50:51], v2 offset0:25 offset1:26
	ds_load_2addr_b32 v[52:53], v2 offset0:27 offset1:28
	;; [unrolled: 1-line block ×4, first 2 shown]
	s_mov_b32 s0, exec_lo
	s_waitcnt vmcnt(3) lgkmcnt(3)
	v_fma_f32 v50, v39, v50, 0
	s_delay_alu instid0(VALU_DEP_1)
	v_fmac_f32_e32 v50, v40, v51
	ds_load_2addr_b32 v[39:40], v2 offset0:33 offset1:34
	ds_load_2addr_b32 v[2:3], v2 offset0:35 offset1:36
	s_waitcnt lgkmcnt(4)
	v_fmac_f32_e32 v50, v41, v52
	s_waitcnt vmcnt(2)
	s_delay_alu instid0(VALU_DEP_1) | instskip(SKIP_1) | instid1(VALU_DEP_1)
	v_fmac_f32_e32 v50, v42, v53
	s_waitcnt lgkmcnt(3)
	v_fmac_f32_e32 v50, v43, v54
	s_delay_alu instid0(VALU_DEP_1) | instskip(SKIP_1) | instid1(VALU_DEP_1)
	v_fmac_f32_e32 v50, v44, v55
	s_waitcnt lgkmcnt(2)
	v_fmac_f32_e32 v50, v45, v56
	s_waitcnt vmcnt(1)
	s_delay_alu instid0(VALU_DEP_1) | instskip(SKIP_1) | instid1(VALU_DEP_1)
	v_fmac_f32_e32 v50, v46, v57
	s_waitcnt lgkmcnt(1)
	v_fmac_f32_e32 v50, v47, v39
	s_delay_alu instid0(VALU_DEP_1) | instskip(SKIP_1) | instid1(VALU_DEP_1)
	v_fmac_f32_e32 v50, v48, v40
	s_waitcnt lgkmcnt(0)
	v_fmac_f32_e32 v50, v49, v2
	s_waitcnt vmcnt(0)
	s_delay_alu instid0(VALU_DEP_1) | instskip(NEXT) | instid1(VALU_DEP_1)
	v_fmac_f32_e32 v50, v58, v3
	v_sub_f32_e32 v2, v38, v50
	scratch_store_b32 off, v2, off offset:16
	v_cmpx_lt_u32_e32 3, v0
	s_cbranch_execz .LBB16_103
; %bb.102:
	scratch_load_b32 v2, off, off offset:12
	v_mov_b32_e32 v3, 0
	scratch_store_b32 off, v3, off offset:12
	s_waitcnt vmcnt(0)
	ds_store_b32 v1, v2
.LBB16_103:
	s_or_b32 exec_lo, exec_lo, s0
	s_waitcnt lgkmcnt(0)
	s_waitcnt_vscnt null, 0x0
	s_barrier
	buffer_gl0_inv
	s_clause 0x3
	scratch_load_b128 v[38:41], off, off offset:12
	scratch_load_b128 v[42:45], off, off offset:28
	;; [unrolled: 1-line block ×3, first 2 shown]
	scratch_load_b64 v[58:59], off, off offset:60
	v_mov_b32_e32 v2, 0
	ds_load_b128 v[50:53], v2 offset:96
	ds_load_b128 v[54:57], v2 offset:112
	s_mov_b32 s0, exec_lo
	s_waitcnt vmcnt(3) lgkmcnt(1)
	v_fma_f32 v3, v39, v50, 0
	s_delay_alu instid0(VALU_DEP_1) | instskip(NEXT) | instid1(VALU_DEP_1)
	v_fmac_f32_e32 v3, v40, v51
	v_fmac_f32_e32 v3, v41, v52
	s_waitcnt vmcnt(2)
	s_delay_alu instid0(VALU_DEP_1)
	v_fmac_f32_e32 v3, v42, v53
	ds_load_b128 v[39:42], v2 offset:128
	s_waitcnt lgkmcnt(1)
	v_fmac_f32_e32 v3, v43, v54
	ds_load_b32 v43, v2 offset:144
	v_fmac_f32_e32 v3, v44, v55
	s_delay_alu instid0(VALU_DEP_1) | instskip(SKIP_1) | instid1(VALU_DEP_1)
	v_fmac_f32_e32 v3, v45, v56
	s_waitcnt vmcnt(1)
	v_fmac_f32_e32 v3, v46, v57
	s_waitcnt lgkmcnt(1)
	s_delay_alu instid0(VALU_DEP_1) | instskip(NEXT) | instid1(VALU_DEP_1)
	v_fmac_f32_e32 v3, v47, v39
	v_fmac_f32_e32 v3, v48, v40
	s_delay_alu instid0(VALU_DEP_1) | instskip(SKIP_1) | instid1(VALU_DEP_1)
	v_fmac_f32_e32 v3, v49, v41
	s_waitcnt vmcnt(0)
	v_fmac_f32_e32 v3, v58, v42
	s_waitcnt lgkmcnt(0)
	s_delay_alu instid0(VALU_DEP_1) | instskip(NEXT) | instid1(VALU_DEP_1)
	v_fmac_f32_e32 v3, v59, v43
	v_sub_f32_e32 v3, v38, v3
	scratch_store_b32 off, v3, off offset:12
	v_cmpx_lt_u32_e32 2, v0
	s_cbranch_execz .LBB16_105
; %bb.104:
	scratch_load_b32 v3, off, off offset:8
	scratch_store_b32 off, v2, off offset:8
	s_waitcnt vmcnt(0)
	ds_store_b32 v1, v3
.LBB16_105:
	s_or_b32 exec_lo, exec_lo, s0
	s_waitcnt lgkmcnt(0)
	s_waitcnt_vscnt null, 0x0
	s_barrier
	buffer_gl0_inv
	s_clause 0x3
	scratch_load_b128 v[38:41], off, off offset:8
	scratch_load_b128 v[42:45], off, off offset:24
	scratch_load_b128 v[46:49], off, off offset:40
	scratch_load_b96 v[50:52], off, off offset:56
	ds_load_2addr_b32 v[53:54], v2 offset0:23 offset1:24
	ds_load_2addr_b32 v[55:56], v2 offset0:25 offset1:26
	;; [unrolled: 1-line block ×4, first 2 shown]
	s_mov_b32 s0, exec_lo
	s_waitcnt vmcnt(3) lgkmcnt(3)
	v_fma_f32 v53, v39, v53, 0
	s_delay_alu instid0(VALU_DEP_1) | instskip(SKIP_4) | instid1(VALU_DEP_1)
	v_fmac_f32_e32 v53, v40, v54
	ds_load_2addr_b32 v[39:40], v2 offset0:31 offset1:32
	s_waitcnt lgkmcnt(3)
	v_fmac_f32_e32 v53, v41, v55
	s_waitcnt vmcnt(2)
	v_fmac_f32_e32 v53, v42, v56
	ds_load_2addr_b32 v[41:42], v2 offset0:33 offset1:34
	ds_load_2addr_b32 v[2:3], v2 offset0:35 offset1:36
	s_waitcnt lgkmcnt(4)
	v_fmac_f32_e32 v53, v43, v57
	s_delay_alu instid0(VALU_DEP_1) | instskip(SKIP_1) | instid1(VALU_DEP_1)
	v_fmac_f32_e32 v53, v44, v58
	s_waitcnt lgkmcnt(3)
	v_fmac_f32_e32 v53, v45, v59
	s_waitcnt vmcnt(1)
	s_delay_alu instid0(VALU_DEP_1) | instskip(SKIP_1) | instid1(VALU_DEP_1)
	v_fmac_f32_e32 v53, v46, v60
	s_waitcnt lgkmcnt(2)
	v_fmac_f32_e32 v53, v47, v39
	s_delay_alu instid0(VALU_DEP_1) | instskip(SKIP_1) | instid1(VALU_DEP_1)
	v_fmac_f32_e32 v53, v48, v40
	s_waitcnt lgkmcnt(1)
	v_fmac_f32_e32 v53, v49, v41
	s_waitcnt vmcnt(0)
	s_delay_alu instid0(VALU_DEP_1) | instskip(SKIP_1) | instid1(VALU_DEP_1)
	v_fmac_f32_e32 v53, v50, v42
	s_waitcnt lgkmcnt(0)
	v_fmac_f32_e32 v53, v51, v2
	s_delay_alu instid0(VALU_DEP_1) | instskip(NEXT) | instid1(VALU_DEP_1)
	v_fmac_f32_e32 v53, v52, v3
	v_sub_f32_e32 v2, v38, v53
	scratch_store_b32 off, v2, off offset:8
	v_cmpx_lt_u32_e32 1, v0
	s_cbranch_execz .LBB16_107
; %bb.106:
	scratch_load_b32 v2, off, off offset:4
	v_mov_b32_e32 v3, 0
	scratch_store_b32 off, v3, off offset:4
	s_waitcnt vmcnt(0)
	ds_store_b32 v1, v2
.LBB16_107:
	s_or_b32 exec_lo, exec_lo, s0
	s_waitcnt lgkmcnt(0)
	s_waitcnt_vscnt null, 0x0
	s_barrier
	buffer_gl0_inv
	s_clause 0x3
	scratch_load_b128 v[39:42], off, off offset:4
	scratch_load_b128 v[43:46], off, off offset:20
	;; [unrolled: 1-line block ×4, first 2 shown]
	v_mov_b32_e32 v38, 0
	ds_load_2addr_b64 v[55:58], v38 offset0:11 offset1:12
	ds_load_2addr_b64 v[59:62], v38 offset0:13 offset1:14
	s_mov_b32 s0, exec_lo
	s_waitcnt vmcnt(3) lgkmcnt(1)
	v_fma_f32 v55, v40, v55, 0
	s_delay_alu instid0(VALU_DEP_1) | instskip(SKIP_3) | instid1(VALU_DEP_1)
	v_fmac_f32_e32 v55, v41, v56
	ds_load_b64 v[2:3], v38 offset:136
	v_fmac_f32_e32 v55, v42, v57
	s_waitcnt vmcnt(2)
	v_fmac_f32_e32 v55, v43, v58
	ds_load_2addr_b64 v[40:43], v38 offset0:15 offset1:16
	s_waitcnt lgkmcnt(2)
	v_fmac_f32_e32 v55, v44, v59
	s_delay_alu instid0(VALU_DEP_1) | instskip(NEXT) | instid1(VALU_DEP_1)
	v_fmac_f32_e32 v55, v45, v60
	v_fmac_f32_e32 v55, v46, v61
	s_waitcnt vmcnt(1)
	s_delay_alu instid0(VALU_DEP_1) | instskip(SKIP_1) | instid1(VALU_DEP_1)
	v_fmac_f32_e32 v55, v47, v62
	s_waitcnt lgkmcnt(0)
	v_fmac_f32_e32 v55, v48, v40
	ds_load_b32 v40, v38 offset:144
	v_fmac_f32_e32 v55, v49, v41
	s_delay_alu instid0(VALU_DEP_1) | instskip(SKIP_1) | instid1(VALU_DEP_1)
	v_fmac_f32_e32 v55, v50, v42
	s_waitcnt vmcnt(0)
	v_fmac_f32_e32 v55, v51, v43
	s_delay_alu instid0(VALU_DEP_1) | instskip(NEXT) | instid1(VALU_DEP_1)
	v_fmac_f32_e32 v55, v52, v2
	v_fmac_f32_e32 v55, v53, v3
	s_waitcnt lgkmcnt(0)
	s_delay_alu instid0(VALU_DEP_1) | instskip(NEXT) | instid1(VALU_DEP_1)
	v_fmac_f32_e32 v55, v54, v40
	v_sub_f32_e32 v2, v39, v55
	scratch_store_b32 off, v2, off offset:4
	v_cmpx_ne_u32_e32 0, v0
	s_cbranch_execz .LBB16_109
; %bb.108:
	scratch_load_b32 v0, off, off
	scratch_store_b32 off, v38, off
	s_waitcnt vmcnt(0)
	ds_store_b32 v1, v0
.LBB16_109:
	s_or_b32 exec_lo, exec_lo, s0
	s_waitcnt lgkmcnt(0)
	s_waitcnt_vscnt null, 0x0
	s_barrier
	buffer_gl0_inv
	s_clause 0x4
	scratch_load_b128 v[39:42], off, off
	scratch_load_b128 v[43:46], off, off offset:16
	scratch_load_b128 v[47:50], off, off offset:32
	;; [unrolled: 1-line block ×3, first 2 shown]
	scratch_load_b32 v59, off, off offset:64
	ds_load_2addr_b32 v[51:52], v38 offset0:21 offset1:22
	ds_load_2addr_b32 v[53:54], v38 offset0:23 offset1:24
	;; [unrolled: 1-line block ×4, first 2 shown]
	s_and_b32 vcc_lo, exec_lo, s16
	s_waitcnt vmcnt(4) lgkmcnt(3)
	v_fma_f32 v51, v40, v51, 0
	s_delay_alu instid0(VALU_DEP_1) | instskip(SKIP_4) | instid1(VALU_DEP_1)
	v_fmac_f32_e32 v51, v41, v52
	ds_load_2addr_b32 v[40:41], v38 offset0:29 offset1:30
	s_waitcnt lgkmcnt(3)
	v_fmac_f32_e32 v51, v42, v53
	s_waitcnt vmcnt(3)
	v_fmac_f32_e32 v51, v43, v54
	ds_load_2addr_b32 v[42:43], v38 offset0:31 offset1:32
	s_waitcnt lgkmcnt(3)
	v_fmac_f32_e32 v51, v44, v55
	s_delay_alu instid0(VALU_DEP_1) | instskip(SKIP_1) | instid1(VALU_DEP_1)
	v_fmac_f32_e32 v51, v45, v56
	s_waitcnt lgkmcnt(2)
	v_fmac_f32_e32 v51, v46, v57
	s_waitcnt vmcnt(2)
	s_delay_alu instid0(VALU_DEP_1) | instskip(SKIP_4) | instid1(VALU_DEP_1)
	v_fmac_f32_e32 v51, v47, v58
	ds_load_2addr_b32 v[44:45], v38 offset0:33 offset1:34
	ds_load_2addr_b32 v[46:47], v38 offset0:35 offset1:36
	s_waitcnt lgkmcnt(3)
	v_fmac_f32_e32 v51, v48, v40
	v_fmac_f32_e32 v51, v49, v41
	s_waitcnt lgkmcnt(2)
	s_delay_alu instid0(VALU_DEP_1) | instskip(SKIP_1) | instid1(VALU_DEP_1)
	v_fmac_f32_e32 v51, v50, v42
	s_waitcnt vmcnt(1)
	v_fmac_f32_e32 v51, v0, v43
	s_waitcnt lgkmcnt(1)
	s_delay_alu instid0(VALU_DEP_1) | instskip(NEXT) | instid1(VALU_DEP_1)
	v_fmac_f32_e32 v51, v1, v44
	v_fmac_f32_e32 v51, v2, v45
	s_waitcnt lgkmcnt(0)
	s_delay_alu instid0(VALU_DEP_1) | instskip(SKIP_1) | instid1(VALU_DEP_1)
	v_fmac_f32_e32 v51, v3, v46
	s_waitcnt vmcnt(0)
	v_fmac_f32_e32 v51, v59, v47
	s_delay_alu instid0(VALU_DEP_1)
	v_sub_f32_e32 v0, v39, v51
	scratch_store_b32 off, v0, off
	s_cbranch_vccz .LBB16_143
; %bb.110:
	v_dual_mov_b32 v0, s12 :: v_dual_mov_b32 v1, s13
	s_mov_b32 s0, exec_lo
	flat_load_b32 v0, v[0:1] offset:60
	s_waitcnt vmcnt(0) lgkmcnt(0)
	v_cmpx_ne_u32_e32 16, v0
	s_cbranch_execz .LBB16_112
; %bb.111:
	v_lshl_add_u32 v0, v0, 2, 0
	scratch_load_b32 v1, v0, off offset:-4
	s_waitcnt vmcnt(0)
	scratch_store_b32 off, v1, off offset:60
	scratch_store_b32 v0, v3, off offset:-4
.LBB16_112:
	s_or_b32 exec_lo, exec_lo, s0
	v_dual_mov_b32 v0, s12 :: v_dual_mov_b32 v1, s13
	s_mov_b32 s0, exec_lo
	flat_load_b32 v0, v[0:1] offset:56
	s_waitcnt vmcnt(0) lgkmcnt(0)
	v_cmpx_ne_u32_e32 15, v0
	s_cbranch_execz .LBB16_114
; %bb.113:
	v_lshl_add_u32 v0, v0, 2, 0
	scratch_load_b32 v1, v0, off offset:-4
	scratch_load_b32 v2, off, off offset:56
	s_waitcnt vmcnt(1)
	scratch_store_b32 off, v1, off offset:56
	s_waitcnt vmcnt(0)
	scratch_store_b32 v0, v2, off offset:-4
.LBB16_114:
	s_or_b32 exec_lo, exec_lo, s0
	v_dual_mov_b32 v0, s12 :: v_dual_mov_b32 v1, s13
	s_mov_b32 s0, exec_lo
	flat_load_b32 v0, v[0:1] offset:52
	s_waitcnt vmcnt(0) lgkmcnt(0)
	v_cmpx_ne_u32_e32 14, v0
	s_cbranch_execz .LBB16_116
; %bb.115:
	v_lshl_add_u32 v0, v0, 2, 0
	scratch_load_b32 v1, v0, off offset:-4
	scratch_load_b32 v2, off, off offset:52
	s_waitcnt vmcnt(1)
	scratch_store_b32 off, v1, off offset:52
	s_waitcnt vmcnt(0)
	scratch_store_b32 v0, v2, off offset:-4
.LBB16_116:
	;; [unrolled: 16-line block ×14, first 2 shown]
	s_or_b32 exec_lo, exec_lo, s0
	v_dual_mov_b32 v0, s12 :: v_dual_mov_b32 v1, s13
	s_mov_b32 s0, exec_lo
	flat_load_b32 v1, v[0:1]
	scratch_load_b32 v0, off, off
	s_waitcnt vmcnt(1) lgkmcnt(0)
	v_cmpx_ne_u32_e32 1, v1
	s_cbranch_execz .LBB16_142
; %bb.141:
	v_lshl_add_u32 v1, v1, 2, 0
	scratch_load_b32 v2, v1, off offset:-4
	s_waitcnt vmcnt(0)
	scratch_store_b32 off, v2, off
	scratch_store_b32 v1, v0, off offset:-4
	scratch_load_b32 v0, off, off
.LBB16_142:
	s_or_b32 exec_lo, exec_lo, s0
.LBB16_143:
	s_clause 0x3
	scratch_load_b128 v[38:41], off, off offset:4
	scratch_load_b128 v[42:45], off, off offset:20
	;; [unrolled: 1-line block ×4, first 2 shown]
	s_waitcnt vmcnt(4)
	global_store_b32 v[4:5], v0, off
	s_waitcnt vmcnt(3)
	s_clause 0x3
	global_store_b32 v[6:7], v38, off
	global_store_b32 v[8:9], v39, off
	global_store_b32 v[10:11], v40, off
	global_store_b32 v[12:13], v41, off
	s_waitcnt vmcnt(2)
	s_clause 0x3
	global_store_b32 v[14:15], v42, off
	global_store_b32 v[16:17], v43, off
	global_store_b32 v[18:19], v44, off
	;; [unrolled: 6-line block ×4, first 2 shown]
	global_store_b32 v[36:37], v53, off
	s_endpgm
	.section	.rodata,"a",@progbits
	.p2align	6, 0x0
	.amdhsa_kernel _ZN9rocsolver6v33100L18getri_kernel_smallILi17EfPfEEvT1_iilPiilS4_bb
		.amdhsa_group_segment_fixed_size 148
		.amdhsa_private_segment_fixed_size 80
		.amdhsa_kernarg_size 60
		.amdhsa_user_sgpr_count 15
		.amdhsa_user_sgpr_dispatch_ptr 0
		.amdhsa_user_sgpr_queue_ptr 0
		.amdhsa_user_sgpr_kernarg_segment_ptr 1
		.amdhsa_user_sgpr_dispatch_id 0
		.amdhsa_user_sgpr_private_segment_size 0
		.amdhsa_wavefront_size32 1
		.amdhsa_uses_dynamic_stack 0
		.amdhsa_enable_private_segment 1
		.amdhsa_system_sgpr_workgroup_id_x 1
		.amdhsa_system_sgpr_workgroup_id_y 0
		.amdhsa_system_sgpr_workgroup_id_z 0
		.amdhsa_system_sgpr_workgroup_info 0
		.amdhsa_system_vgpr_workitem_id 0
		.amdhsa_next_free_vgpr 63
		.amdhsa_next_free_sgpr 18
		.amdhsa_reserve_vcc 1
		.amdhsa_float_round_mode_32 0
		.amdhsa_float_round_mode_16_64 0
		.amdhsa_float_denorm_mode_32 3
		.amdhsa_float_denorm_mode_16_64 3
		.amdhsa_dx10_clamp 1
		.amdhsa_ieee_mode 1
		.amdhsa_fp16_overflow 0
		.amdhsa_workgroup_processor_mode 1
		.amdhsa_memory_ordered 1
		.amdhsa_forward_progress 0
		.amdhsa_shared_vgpr_count 0
		.amdhsa_exception_fp_ieee_invalid_op 0
		.amdhsa_exception_fp_denorm_src 0
		.amdhsa_exception_fp_ieee_div_zero 0
		.amdhsa_exception_fp_ieee_overflow 0
		.amdhsa_exception_fp_ieee_underflow 0
		.amdhsa_exception_fp_ieee_inexact 0
		.amdhsa_exception_int_div_zero 0
	.end_amdhsa_kernel
	.section	.text._ZN9rocsolver6v33100L18getri_kernel_smallILi17EfPfEEvT1_iilPiilS4_bb,"axG",@progbits,_ZN9rocsolver6v33100L18getri_kernel_smallILi17EfPfEEvT1_iilPiilS4_bb,comdat
.Lfunc_end16:
	.size	_ZN9rocsolver6v33100L18getri_kernel_smallILi17EfPfEEvT1_iilPiilS4_bb, .Lfunc_end16-_ZN9rocsolver6v33100L18getri_kernel_smallILi17EfPfEEvT1_iilPiilS4_bb
                                        ; -- End function
	.section	.AMDGPU.csdata,"",@progbits
; Kernel info:
; codeLenInByte = 9120
; NumSgprs: 20
; NumVgprs: 63
; ScratchSize: 80
; MemoryBound: 0
; FloatMode: 240
; IeeeMode: 1
; LDSByteSize: 148 bytes/workgroup (compile time only)
; SGPRBlocks: 2
; VGPRBlocks: 7
; NumSGPRsForWavesPerEU: 20
; NumVGPRsForWavesPerEU: 63
; Occupancy: 16
; WaveLimiterHint : 0
; COMPUTE_PGM_RSRC2:SCRATCH_EN: 1
; COMPUTE_PGM_RSRC2:USER_SGPR: 15
; COMPUTE_PGM_RSRC2:TRAP_HANDLER: 0
; COMPUTE_PGM_RSRC2:TGID_X_EN: 1
; COMPUTE_PGM_RSRC2:TGID_Y_EN: 0
; COMPUTE_PGM_RSRC2:TGID_Z_EN: 0
; COMPUTE_PGM_RSRC2:TIDIG_COMP_CNT: 0
	.section	.text._ZN9rocsolver6v33100L18getri_kernel_smallILi18EfPfEEvT1_iilPiilS4_bb,"axG",@progbits,_ZN9rocsolver6v33100L18getri_kernel_smallILi18EfPfEEvT1_iilPiilS4_bb,comdat
	.globl	_ZN9rocsolver6v33100L18getri_kernel_smallILi18EfPfEEvT1_iilPiilS4_bb ; -- Begin function _ZN9rocsolver6v33100L18getri_kernel_smallILi18EfPfEEvT1_iilPiilS4_bb
	.p2align	8
	.type	_ZN9rocsolver6v33100L18getri_kernel_smallILi18EfPfEEvT1_iilPiilS4_bb,@function
_ZN9rocsolver6v33100L18getri_kernel_smallILi18EfPfEEvT1_iilPiilS4_bb: ; @_ZN9rocsolver6v33100L18getri_kernel_smallILi18EfPfEEvT1_iilPiilS4_bb
; %bb.0:
	s_mov_b32 s2, exec_lo
	v_cmpx_gt_u32_e32 18, v0
	s_cbranch_execz .LBB17_80
; %bb.1:
	s_clause 0x2
	s_load_b32 s17, s[0:1], 0x38
	s_load_b128 s[8:11], s[0:1], 0x10
	s_load_b128 s[4:7], s[0:1], 0x28
	s_mov_b32 s14, s15
                                        ; implicit-def: $sgpr12_sgpr13
	s_waitcnt lgkmcnt(0)
	s_bitcmp1_b32 s17, 8
	s_cselect_b32 s16, -1, 0
	s_bfe_u32 s2, s17, 0x10008
	s_ashr_i32 s15, s15, 31
	s_cmp_eq_u32 s2, 0
	s_cbranch_scc1 .LBB17_3
; %bb.2:
	s_load_b32 s2, s[0:1], 0x20
	s_mul_i32 s3, s14, s5
	s_mul_hi_u32 s5, s14, s4
	s_mul_i32 s12, s15, s4
	s_add_i32 s3, s5, s3
	s_mul_i32 s4, s14, s4
	s_add_i32 s5, s3, s12
	s_delay_alu instid0(SALU_CYCLE_1)
	s_lshl_b64 s[4:5], s[4:5], 2
	s_waitcnt lgkmcnt(0)
	s_ashr_i32 s3, s2, 31
	s_add_u32 s4, s10, s4
	s_addc_u32 s5, s11, s5
	s_lshl_b64 s[2:3], s[2:3], 2
	s_delay_alu instid0(SALU_CYCLE_1)
	s_add_u32 s12, s4, s2
	s_addc_u32 s13, s5, s3
.LBB17_3:
	s_load_b128 s[0:3], s[0:1], 0x0
	s_mul_i32 s4, s14, s9
	s_mul_hi_u32 s5, s14, s8
	s_mul_i32 s9, s15, s8
	s_add_i32 s5, s5, s4
	s_mul_i32 s4, s14, s8
	s_add_i32 s5, s5, s9
	v_lshlrev_b32_e32 v37, 2, v0
	s_lshl_b64 s[4:5], s[4:5], 2
	s_waitcnt lgkmcnt(0)
	v_add3_u32 v3, s3, s3, v0
	s_ashr_i32 s9, s2, 31
	s_mov_b32 s8, s2
	s_add_u32 s2, s0, s4
	s_addc_u32 s5, s1, s5
	v_add_nc_u32_e32 v5, s3, v3
	s_lshl_b64 s[0:1], s[8:9], 2
	v_ashrrev_i32_e32 v4, 31, v3
	s_add_u32 s0, s2, s0
	s_addc_u32 s1, s5, s1
	v_add_nc_u32_e32 v9, s3, v5
	v_add_co_u32 v1, s2, s0, v37
	v_ashrrev_i32_e32 v6, 31, v5
	s_mov_b32 s4, s3
	s_ashr_i32 s5, s3, 31
	v_add_co_ci_u32_e64 v2, null, s1, 0, s2
	v_lshlrev_b64 v[7:8], 2, v[3:4]
	s_lshl_b64 s[4:5], s[4:5], 2
	v_add_nc_u32_e32 v13, s3, v9
	v_add_co_u32 v3, vcc_lo, v1, s4
	v_lshlrev_b64 v[11:12], 2, v[5:6]
	v_add_co_ci_u32_e32 v4, vcc_lo, s5, v2, vcc_lo
	v_add_co_u32 v5, vcc_lo, s0, v7
	v_ashrrev_i32_e32 v14, 31, v13
	v_add_nc_u32_e32 v15, s3, v13
	v_add_co_ci_u32_e32 v6, vcc_lo, s1, v8, vcc_lo
	v_ashrrev_i32_e32 v10, 31, v9
	v_add_co_u32 v7, vcc_lo, s0, v11
	v_add_co_ci_u32_e32 v8, vcc_lo, s1, v12, vcc_lo
	v_lshlrev_b64 v[11:12], 2, v[13:14]
	v_add_nc_u32_e32 v13, s3, v15
	v_lshlrev_b64 v[9:10], 2, v[9:10]
	v_ashrrev_i32_e32 v16, 31, v15
	global_load_b32 v38, v37, s[0:1]
	s_bitcmp0_b32 s17, 0
	v_add_nc_u32_e32 v17, s3, v13
	v_ashrrev_i32_e32 v14, 31, v13
	v_add_co_u32 v9, vcc_lo, s0, v9
	v_lshlrev_b64 v[15:16], 2, v[15:16]
	s_delay_alu instid0(VALU_DEP_4)
	v_ashrrev_i32_e32 v18, 31, v17
	v_add_co_ci_u32_e32 v10, vcc_lo, s1, v10, vcc_lo
	v_add_co_u32 v11, vcc_lo, s0, v11
	v_lshlrev_b64 v[19:20], 2, v[13:14]
	v_add_nc_u32_e32 v23, s3, v17
	v_add_co_ci_u32_e32 v12, vcc_lo, s1, v12, vcc_lo
	v_add_co_u32 v13, vcc_lo, s0, v15
	v_lshlrev_b64 v[21:22], 2, v[17:18]
	v_add_co_ci_u32_e32 v14, vcc_lo, s1, v16, vcc_lo
	v_add_co_u32 v15, vcc_lo, s0, v19
	v_ashrrev_i32_e32 v24, 31, v23
	v_add_nc_u32_e32 v19, s3, v23
	v_add_co_ci_u32_e32 v16, vcc_lo, s1, v20, vcc_lo
	v_add_co_u32 v17, vcc_lo, s0, v21
	v_add_co_ci_u32_e32 v18, vcc_lo, s1, v22, vcc_lo
	v_lshlrev_b64 v[21:22], 2, v[23:24]
	v_add_nc_u32_e32 v23, s3, v19
	v_ashrrev_i32_e32 v20, 31, v19
	s_clause 0x7
	global_load_b32 v39, v[3:4], off
	global_load_b32 v40, v[5:6], off
	;; [unrolled: 1-line block ×8, first 2 shown]
	v_add_nc_u32_e32 v27, s3, v23
	v_lshlrev_b64 v[25:26], 2, v[19:20]
	v_add_co_u32 v19, vcc_lo, s0, v21
	v_add_co_ci_u32_e32 v20, vcc_lo, s1, v22, vcc_lo
	s_delay_alu instid0(VALU_DEP_4)
	v_ashrrev_i32_e32 v28, 31, v27
	v_add_nc_u32_e32 v29, s3, v27
	v_add_co_u32 v21, vcc_lo, s0, v25
	v_ashrrev_i32_e32 v24, 31, v23
	v_add_co_ci_u32_e32 v22, vcc_lo, s1, v26, vcc_lo
	v_lshlrev_b64 v[25:26], 2, v[27:28]
	v_add_nc_u32_e32 v27, s3, v29
	s_delay_alu instid0(VALU_DEP_4) | instskip(SKIP_1) | instid1(VALU_DEP_3)
	v_lshlrev_b64 v[23:24], 2, v[23:24]
	v_ashrrev_i32_e32 v30, 31, v29
	v_add_nc_u32_e32 v31, s3, v27
	v_ashrrev_i32_e32 v28, 31, v27
	s_delay_alu instid0(VALU_DEP_4) | instskip(NEXT) | instid1(VALU_DEP_4)
	v_add_co_u32 v23, vcc_lo, s0, v23
	v_lshlrev_b64 v[29:30], 2, v[29:30]
	s_delay_alu instid0(VALU_DEP_4)
	v_add_nc_u32_e32 v35, s3, v31
	v_add_co_ci_u32_e32 v24, vcc_lo, s1, v24, vcc_lo
	v_add_co_u32 v25, vcc_lo, s0, v25
	v_lshlrev_b64 v[33:34], 2, v[27:28]
	v_ashrrev_i32_e32 v32, 31, v31
	v_add_nc_u32_e32 v47, s3, v35
	v_add_co_ci_u32_e32 v26, vcc_lo, s1, v26, vcc_lo
	v_add_co_u32 v27, vcc_lo, s0, v29
	v_ashrrev_i32_e32 v36, 31, v35
	v_add_co_ci_u32_e32 v28, vcc_lo, s1, v30, vcc_lo
	v_lshlrev_b64 v[31:32], 2, v[31:32]
	v_add_co_u32 v29, vcc_lo, s0, v33
	v_ashrrev_i32_e32 v48, 31, v47
	v_add_co_ci_u32_e32 v30, vcc_lo, s1, v34, vcc_lo
	v_lshlrev_b64 v[33:34], 2, v[35:36]
	v_add_co_u32 v31, vcc_lo, s0, v31
	s_delay_alu instid0(VALU_DEP_4) | instskip(SKIP_1) | instid1(VALU_DEP_4)
	v_lshlrev_b64 v[35:36], 2, v[47:48]
	v_add_co_ci_u32_e32 v32, vcc_lo, s1, v32, vcc_lo
	v_add_co_u32 v33, vcc_lo, s0, v33
	v_add_co_ci_u32_e32 v34, vcc_lo, s1, v34, vcc_lo
	s_delay_alu instid0(VALU_DEP_4)
	v_add_co_u32 v35, vcc_lo, s0, v35
	v_add_co_ci_u32_e32 v36, vcc_lo, s1, v36, vcc_lo
	s_clause 0x8
	global_load_b32 v47, v[19:20], off
	global_load_b32 v48, v[21:22], off
	;; [unrolled: 1-line block ×9, first 2 shown]
	s_mov_b32 s1, -1
	s_waitcnt vmcnt(14)
	scratch_store_b128 off, v[38:41], off
	s_waitcnt vmcnt(10)
	scratch_store_b128 off, v[42:45], off offset:16
	s_waitcnt vmcnt(6)
	scratch_store_b128 off, v[46:49], off offset:32
	;; [unrolled: 2-line block ×3, first 2 shown]
	s_waitcnt vmcnt(0)
	scratch_store_b64 off, v[54:55], off offset:64
	s_cbranch_scc1 .LBB17_78
; %bb.4:
	v_cmp_eq_u32_e64 s0, 0, v0
	s_delay_alu instid0(VALU_DEP_1)
	s_and_saveexec_b32 s1, s0
	s_cbranch_execz .LBB17_6
; %bb.5:
	v_mov_b32_e32 v38, 0
	ds_store_b32 v38, v38 offset:72
.LBB17_6:
	s_or_b32 exec_lo, exec_lo, s1
	s_waitcnt lgkmcnt(0)
	s_waitcnt_vscnt null, 0x0
	s_barrier
	buffer_gl0_inv
	scratch_load_b32 v38, v37, off
	s_mov_b32 s2, exec_lo
	s_waitcnt vmcnt(0)
	v_cmpx_eq_f32_e32 0, v38
	s_cbranch_execz .LBB17_10
; %bb.7:
	v_mov_b32_e32 v38, 0
	s_mov_b32 s3, 0
	ds_load_b32 v39, v38 offset:72
	s_waitcnt lgkmcnt(0)
	v_readfirstlane_b32 s1, v39
	v_add_nc_u32_e32 v39, 1, v0
	s_delay_alu instid0(VALU_DEP_2) | instskip(NEXT) | instid1(VALU_DEP_1)
	s_cmp_eq_u32 s1, 0
	v_cmp_gt_i32_e32 vcc_lo, s1, v39
	s_cselect_b32 s4, -1, 0
	s_delay_alu instid0(SALU_CYCLE_1) | instskip(NEXT) | instid1(SALU_CYCLE_1)
	s_or_b32 s4, s4, vcc_lo
	s_and_b32 exec_lo, exec_lo, s4
	s_cbranch_execz .LBB17_10
; %bb.8:
	v_mov_b32_e32 v40, s1
.LBB17_9:                               ; =>This Inner Loop Header: Depth=1
	ds_cmpstore_rtn_b32 v40, v38, v39, v40 offset:72
	s_waitcnt lgkmcnt(0)
	v_cmp_ne_u32_e32 vcc_lo, 0, v40
	v_cmp_le_i32_e64 s1, v40, v39
	s_delay_alu instid0(VALU_DEP_1) | instskip(NEXT) | instid1(SALU_CYCLE_1)
	s_and_b32 s1, vcc_lo, s1
	s_and_b32 s1, exec_lo, s1
	s_delay_alu instid0(SALU_CYCLE_1) | instskip(NEXT) | instid1(SALU_CYCLE_1)
	s_or_b32 s3, s1, s3
	s_and_not1_b32 exec_lo, exec_lo, s3
	s_cbranch_execnz .LBB17_9
.LBB17_10:
	s_or_b32 exec_lo, exec_lo, s2
	v_mov_b32_e32 v38, 0
	s_barrier
	buffer_gl0_inv
	ds_load_b32 v39, v38 offset:72
	s_and_saveexec_b32 s1, s0
	s_cbranch_execz .LBB17_12
; %bb.11:
	s_lshl_b64 s[2:3], s[14:15], 2
	s_delay_alu instid0(SALU_CYCLE_1)
	s_add_u32 s2, s6, s2
	s_addc_u32 s3, s7, s3
	s_waitcnt lgkmcnt(0)
	global_store_b32 v38, v39, s[2:3]
.LBB17_12:
	s_or_b32 exec_lo, exec_lo, s1
	s_waitcnt lgkmcnt(0)
	v_cmp_ne_u32_e32 vcc_lo, 0, v39
	s_mov_b32 s1, 0
	s_cbranch_vccnz .LBB17_78
; %bb.13:
	v_add_nc_u32_e32 v38, 0, v37
	scratch_load_b32 v39, v38, off
	s_waitcnt vmcnt(0)
	v_div_scale_f32 v40, null, v39, v39, 1.0
	v_div_scale_f32 v43, vcc_lo, 1.0, v39, 1.0
	s_delay_alu instid0(VALU_DEP_2) | instskip(SKIP_2) | instid1(VALU_DEP_1)
	v_rcp_f32_e32 v41, v40
	s_waitcnt_depctr 0xfff
	v_fma_f32 v42, -v40, v41, 1.0
	v_fmac_f32_e32 v41, v42, v41
	s_delay_alu instid0(VALU_DEP_1) | instskip(NEXT) | instid1(VALU_DEP_1)
	v_mul_f32_e32 v42, v43, v41
	v_fma_f32 v44, -v40, v42, v43
	s_delay_alu instid0(VALU_DEP_1) | instskip(NEXT) | instid1(VALU_DEP_1)
	v_fmac_f32_e32 v42, v44, v41
	v_fma_f32 v40, -v40, v42, v43
	s_delay_alu instid0(VALU_DEP_1) | instskip(NEXT) | instid1(VALU_DEP_1)
	v_div_fmas_f32 v40, v40, v41, v42
	v_div_fixup_f32 v39, v40, v39, 1.0
	scratch_store_b32 v38, v39, off
	scratch_load_b32 v40, off, off offset:4
	v_xor_b32_e32 v41, 0x80000000, v39
	v_add_nc_u32_e32 v39, 0x50, v37
	s_waitcnt vmcnt(0)
	ds_store_2addr_b32 v37, v41, v40 offset1:20
	s_waitcnt lgkmcnt(0)
	s_waitcnt_vscnt null, 0x0
	s_barrier
	buffer_gl0_inv
	s_and_saveexec_b32 s1, s0
	s_cbranch_execz .LBB17_15
; %bb.14:
	scratch_load_b32 v40, v38, off
	ds_load_b32 v41, v39
	v_mov_b32_e32 v42, 0
	ds_load_b32 v42, v42 offset:4
	s_waitcnt vmcnt(0) lgkmcnt(1)
	v_fma_f32 v40, v40, v41, 0
	s_waitcnt lgkmcnt(0)
	s_delay_alu instid0(VALU_DEP_1)
	v_mul_f32_e32 v40, v40, v42
	scratch_store_b32 off, v40, off offset:4
.LBB17_15:
	s_or_b32 exec_lo, exec_lo, s1
	s_waitcnt_vscnt null, 0x0
	s_barrier
	buffer_gl0_inv
	scratch_load_b32 v40, off, off offset:8
	s_mov_b32 s1, exec_lo
	s_waitcnt vmcnt(0)
	ds_store_b32 v39, v40
	s_waitcnt lgkmcnt(0)
	s_barrier
	buffer_gl0_inv
	v_cmpx_gt_u32_e32 2, v0
	s_cbranch_execz .LBB17_17
; %bb.16:
	scratch_load_b32 v42, v38, off
	scratch_load_b32 v43, off, off offset:4
	ds_load_b32 v44, v39
	v_mov_b32_e32 v40, 0
	ds_load_2addr_b32 v[40:41], v40 offset0:2 offset1:21
	s_waitcnt vmcnt(1) lgkmcnt(1)
	v_fma_f32 v42, v42, v44, 0
	s_waitcnt vmcnt(0) lgkmcnt(0)
	s_delay_alu instid0(VALU_DEP_1) | instskip(NEXT) | instid1(VALU_DEP_1)
	v_fma_f32 v41, v43, v41, v42
	v_cndmask_b32_e64 v41, v42, v41, s0
	s_delay_alu instid0(VALU_DEP_1)
	v_mul_f32_e32 v40, v41, v40
	scratch_store_b32 off, v40, off offset:8
.LBB17_17:
	s_or_b32 exec_lo, exec_lo, s1
	s_waitcnt_vscnt null, 0x0
	s_barrier
	buffer_gl0_inv
	scratch_load_b32 v41, off, off offset:12
	v_add_nc_u32_e32 v40, -1, v0
	s_mov_b32 s0, exec_lo
	s_waitcnt vmcnt(0)
	ds_store_b32 v39, v41
	s_waitcnt lgkmcnt(0)
	s_barrier
	buffer_gl0_inv
	v_cmpx_gt_u32_e32 3, v0
	s_cbranch_execz .LBB17_21
; %bb.18:
	v_dual_mov_b32 v41, 0 :: v_dual_add_nc_u32 v42, -1, v0
	v_add_nc_u32_e32 v43, 0x50, v37
	v_add_nc_u32_e32 v44, 0, v37
	s_mov_b32 s1, 0
.LBB17_19:                              ; =>This Inner Loop Header: Depth=1
	scratch_load_b32 v45, v44, off
	ds_load_b32 v46, v43
	v_add_nc_u32_e32 v42, 1, v42
	v_add_nc_u32_e32 v43, 4, v43
	v_add_nc_u32_e32 v44, 4, v44
	s_delay_alu instid0(VALU_DEP_3)
	v_cmp_lt_u32_e32 vcc_lo, 1, v42
	s_or_b32 s1, vcc_lo, s1
	s_waitcnt vmcnt(0) lgkmcnt(0)
	v_fmac_f32_e32 v41, v45, v46
	s_and_not1_b32 exec_lo, exec_lo, s1
	s_cbranch_execnz .LBB17_19
; %bb.20:
	s_or_b32 exec_lo, exec_lo, s1
	v_mov_b32_e32 v42, 0
	ds_load_b32 v42, v42 offset:12
	s_waitcnt lgkmcnt(0)
	v_mul_f32_e32 v41, v41, v42
	scratch_store_b32 off, v41, off offset:12
.LBB17_21:
	s_or_b32 exec_lo, exec_lo, s0
	s_waitcnt_vscnt null, 0x0
	s_barrier
	buffer_gl0_inv
	scratch_load_b32 v41, off, off offset:16
	s_mov_b32 s0, exec_lo
	s_waitcnt vmcnt(0)
	ds_store_b32 v39, v41
	s_waitcnt lgkmcnt(0)
	s_barrier
	buffer_gl0_inv
	v_cmpx_gt_u32_e32 4, v0
	s_cbranch_execz .LBB17_25
; %bb.22:
	v_dual_mov_b32 v41, 0 :: v_dual_add_nc_u32 v42, -1, v0
	v_add_nc_u32_e32 v43, 0x50, v37
	v_add_nc_u32_e32 v44, 0, v37
	s_mov_b32 s1, 0
.LBB17_23:                              ; =>This Inner Loop Header: Depth=1
	scratch_load_b32 v45, v44, off
	ds_load_b32 v46, v43
	v_add_nc_u32_e32 v42, 1, v42
	v_add_nc_u32_e32 v43, 4, v43
	v_add_nc_u32_e32 v44, 4, v44
	s_delay_alu instid0(VALU_DEP_3)
	v_cmp_lt_u32_e32 vcc_lo, 2, v42
	s_or_b32 s1, vcc_lo, s1
	s_waitcnt vmcnt(0) lgkmcnt(0)
	v_fmac_f32_e32 v41, v45, v46
	s_and_not1_b32 exec_lo, exec_lo, s1
	s_cbranch_execnz .LBB17_23
; %bb.24:
	s_or_b32 exec_lo, exec_lo, s1
	v_mov_b32_e32 v42, 0
	ds_load_b32 v42, v42 offset:16
	s_waitcnt lgkmcnt(0)
	v_mul_f32_e32 v41, v41, v42
	scratch_store_b32 off, v41, off offset:16
.LBB17_25:
	s_or_b32 exec_lo, exec_lo, s0
	s_waitcnt_vscnt null, 0x0
	s_barrier
	buffer_gl0_inv
	scratch_load_b32 v41, off, off offset:20
	;; [unrolled: 39-line block ×13, first 2 shown]
	s_mov_b32 s0, exec_lo
	s_waitcnt vmcnt(0)
	ds_store_b32 v39, v41
	s_waitcnt lgkmcnt(0)
	s_barrier
	buffer_gl0_inv
	v_cmpx_gt_u32_e32 16, v0
	s_cbranch_execz .LBB17_73
; %bb.70:
	v_add_nc_u32_e32 v41, -1, v0
	v_add_nc_u32_e32 v42, 0x50, v37
	v_add_nc_u32_e32 v43, 0, v37
	v_mov_b32_e32 v37, 0
	s_mov_b32 s1, 0
.LBB17_71:                              ; =>This Inner Loop Header: Depth=1
	scratch_load_b32 v44, v43, off
	ds_load_b32 v45, v42
	v_add_nc_u32_e32 v41, 1, v41
	v_add_nc_u32_e32 v42, 4, v42
	;; [unrolled: 1-line block ×3, first 2 shown]
	s_delay_alu instid0(VALU_DEP_3)
	v_cmp_lt_u32_e32 vcc_lo, 14, v41
	s_or_b32 s1, vcc_lo, s1
	s_waitcnt vmcnt(0) lgkmcnt(0)
	v_fmac_f32_e32 v37, v44, v45
	s_and_not1_b32 exec_lo, exec_lo, s1
	s_cbranch_execnz .LBB17_71
; %bb.72:
	s_or_b32 exec_lo, exec_lo, s1
	v_mov_b32_e32 v41, 0
	ds_load_b32 v41, v41 offset:64
	s_waitcnt lgkmcnt(0)
	v_mul_f32_e32 v37, v37, v41
	scratch_store_b32 off, v37, off offset:64
.LBB17_73:
	s_or_b32 exec_lo, exec_lo, s0
	s_waitcnt_vscnt null, 0x0
	s_barrier
	buffer_gl0_inv
	scratch_load_b32 v37, off, off offset:68
	s_mov_b32 s0, exec_lo
	s_waitcnt vmcnt(0)
	ds_store_b32 v39, v37
	s_waitcnt lgkmcnt(0)
	s_barrier
	buffer_gl0_inv
	v_cmpx_ne_u32_e32 17, v0
	s_cbranch_execz .LBB17_77
; %bb.74:
	v_mov_b32_e32 v37, 0
	s_mov_b32 s1, 0
.LBB17_75:                              ; =>This Inner Loop Header: Depth=1
	scratch_load_b32 v41, v38, off
	ds_load_b32 v42, v39
	v_add_nc_u32_e32 v40, 1, v40
	v_add_nc_u32_e32 v39, 4, v39
	;; [unrolled: 1-line block ×3, first 2 shown]
	s_waitcnt vmcnt(0) lgkmcnt(0)
	v_fmac_f32_e32 v37, v41, v42
	v_cmp_lt_u32_e32 vcc_lo, 15, v40
	s_or_b32 s1, vcc_lo, s1
	s_delay_alu instid0(SALU_CYCLE_1)
	s_and_not1_b32 exec_lo, exec_lo, s1
	s_cbranch_execnz .LBB17_75
; %bb.76:
	s_or_b32 exec_lo, exec_lo, s1
	v_mov_b32_e32 v38, 0
	ds_load_b32 v38, v38 offset:68
	s_waitcnt lgkmcnt(0)
	v_mul_f32_e32 v37, v37, v38
	scratch_store_b32 off, v37, off offset:68
.LBB17_77:
	s_or_b32 exec_lo, exec_lo, s0
	s_mov_b32 s1, -1
	s_waitcnt_vscnt null, 0x0
	s_barrier
	buffer_gl0_inv
.LBB17_78:
	s_and_b32 vcc_lo, exec_lo, s1
	s_cbranch_vccz .LBB17_80
; %bb.79:
	s_lshl_b64 s[0:1], s[14:15], 2
	v_mov_b32_e32 v37, 0
	s_add_u32 s0, s6, s0
	s_addc_u32 s1, s7, s1
	global_load_b32 v37, v37, s[0:1]
	s_waitcnt vmcnt(0)
	v_cmp_ne_u32_e32 vcc_lo, 0, v37
	s_cbranch_vccz .LBB17_81
.LBB17_80:
	s_endpgm
.LBB17_81:
	v_lshl_add_u32 v37, v0, 2, 0x50
	s_mov_b32 s0, exec_lo
	v_cmpx_eq_u32_e32 17, v0
	s_cbranch_execz .LBB17_83
; %bb.82:
	scratch_load_b32 v38, off, off offset:64
	v_mov_b32_e32 v39, 0
	scratch_store_b32 off, v39, off offset:64
	s_waitcnt vmcnt(0)
	ds_store_b32 v37, v38
.LBB17_83:
	s_or_b32 exec_lo, exec_lo, s0
	s_waitcnt lgkmcnt(0)
	s_waitcnt_vscnt null, 0x0
	s_barrier
	buffer_gl0_inv
	scratch_load_b64 v[39:40], off, off offset:64
	v_mov_b32_e32 v38, 0
	s_mov_b32 s0, exec_lo
	ds_load_b32 v41, v38 offset:148
	s_waitcnt vmcnt(0) lgkmcnt(0)
	v_fma_f32 v40, v40, v41, 0
	s_delay_alu instid0(VALU_DEP_1)
	v_sub_f32_e32 v39, v39, v40
	scratch_store_b32 off, v39, off offset:64
	v_cmpx_lt_u32_e32 15, v0
	s_cbranch_execz .LBB17_85
; %bb.84:
	scratch_load_b32 v39, off, off offset:60
	scratch_store_b32 off, v38, off offset:60
	s_waitcnt vmcnt(0)
	ds_store_b32 v37, v39
.LBB17_85:
	s_or_b32 exec_lo, exec_lo, s0
	s_waitcnt lgkmcnt(0)
	s_waitcnt_vscnt null, 0x0
	s_barrier
	buffer_gl0_inv
	scratch_load_b96 v[39:41], off, off offset:60
	ds_load_b64 v[42:43], v38 offset:144
	s_mov_b32 s0, exec_lo
	s_waitcnt vmcnt(0) lgkmcnt(0)
	v_fma_f32 v38, v40, v42, 0
	s_delay_alu instid0(VALU_DEP_1) | instskip(NEXT) | instid1(VALU_DEP_1)
	v_fmac_f32_e32 v38, v41, v43
	v_sub_f32_e32 v38, v39, v38
	scratch_store_b32 off, v38, off offset:60
	v_cmpx_lt_u32_e32 14, v0
	s_cbranch_execz .LBB17_87
; %bb.86:
	scratch_load_b32 v38, off, off offset:56
	v_mov_b32_e32 v39, 0
	scratch_store_b32 off, v39, off offset:56
	s_waitcnt vmcnt(0)
	ds_store_b32 v37, v38
.LBB17_87:
	s_or_b32 exec_lo, exec_lo, s0
	s_waitcnt lgkmcnt(0)
	s_waitcnt_vscnt null, 0x0
	s_barrier
	buffer_gl0_inv
	scratch_load_b128 v[39:42], off, off offset:56
	v_mov_b32_e32 v38, 0
	ds_load_2addr_b32 v[43:44], v38 offset0:35 offset1:36
	ds_load_b32 v45, v38 offset:148
	s_mov_b32 s0, exec_lo
	s_waitcnt vmcnt(0) lgkmcnt(1)
	v_fma_f32 v40, v40, v43, 0
	s_delay_alu instid0(VALU_DEP_1) | instskip(SKIP_1) | instid1(VALU_DEP_1)
	v_fmac_f32_e32 v40, v41, v44
	s_waitcnt lgkmcnt(0)
	v_fmac_f32_e32 v40, v42, v45
	s_delay_alu instid0(VALU_DEP_1)
	v_sub_f32_e32 v39, v39, v40
	scratch_store_b32 off, v39, off offset:56
	v_cmpx_lt_u32_e32 13, v0
	s_cbranch_execz .LBB17_89
; %bb.88:
	scratch_load_b32 v39, off, off offset:52
	scratch_store_b32 off, v38, off offset:52
	s_waitcnt vmcnt(0)
	ds_store_b32 v37, v39
.LBB17_89:
	s_or_b32 exec_lo, exec_lo, s0
	s_waitcnt lgkmcnt(0)
	s_waitcnt_vscnt null, 0x0
	s_barrier
	buffer_gl0_inv
	s_clause 0x1
	scratch_load_b128 v[39:42], off, off offset:52
	scratch_load_b32 v47, off, off offset:68
	ds_load_2addr_b64 v[43:46], v38 offset0:17 offset1:18
	s_mov_b32 s0, exec_lo
	s_waitcnt vmcnt(1) lgkmcnt(0)
	v_fma_f32 v38, v40, v43, 0
	s_delay_alu instid0(VALU_DEP_1) | instskip(NEXT) | instid1(VALU_DEP_1)
	v_fmac_f32_e32 v38, v41, v44
	v_fmac_f32_e32 v38, v42, v45
	s_waitcnt vmcnt(0)
	s_delay_alu instid0(VALU_DEP_1) | instskip(NEXT) | instid1(VALU_DEP_1)
	v_fmac_f32_e32 v38, v47, v46
	v_sub_f32_e32 v38, v39, v38
	scratch_store_b32 off, v38, off offset:52
	v_cmpx_lt_u32_e32 12, v0
	s_cbranch_execz .LBB17_91
; %bb.90:
	scratch_load_b32 v38, off, off offset:48
	v_mov_b32_e32 v39, 0
	scratch_store_b32 off, v39, off offset:48
	s_waitcnt vmcnt(0)
	ds_store_b32 v37, v38
.LBB17_91:
	s_or_b32 exec_lo, exec_lo, s0
	s_waitcnt lgkmcnt(0)
	s_waitcnt_vscnt null, 0x0
	s_barrier
	buffer_gl0_inv
	s_clause 0x1
	scratch_load_b128 v[39:42], off, off offset:48
	scratch_load_b64 v[43:44], off, off offset:64
	v_mov_b32_e32 v38, 0
	ds_load_2addr_b32 v[45:46], v38 offset0:33 offset1:34
	ds_load_2addr_b32 v[47:48], v38 offset0:35 offset1:36
	ds_load_b32 v49, v38 offset:148
	s_mov_b32 s0, exec_lo
	s_waitcnt vmcnt(1) lgkmcnt(2)
	v_fma_f32 v40, v40, v45, 0
	s_delay_alu instid0(VALU_DEP_1) | instskip(SKIP_1) | instid1(VALU_DEP_1)
	v_fmac_f32_e32 v40, v41, v46
	s_waitcnt lgkmcnt(1)
	v_fmac_f32_e32 v40, v42, v47
	s_waitcnt vmcnt(0)
	s_delay_alu instid0(VALU_DEP_1) | instskip(SKIP_1) | instid1(VALU_DEP_1)
	v_fmac_f32_e32 v40, v43, v48
	s_waitcnt lgkmcnt(0)
	v_fmac_f32_e32 v40, v44, v49
	s_delay_alu instid0(VALU_DEP_1)
	v_sub_f32_e32 v39, v39, v40
	scratch_store_b32 off, v39, off offset:48
	v_cmpx_lt_u32_e32 11, v0
	s_cbranch_execz .LBB17_93
; %bb.92:
	scratch_load_b32 v39, off, off offset:44
	scratch_store_b32 off, v38, off offset:44
	s_waitcnt vmcnt(0)
	ds_store_b32 v37, v39
.LBB17_93:
	s_or_b32 exec_lo, exec_lo, s0
	s_waitcnt lgkmcnt(0)
	s_waitcnt_vscnt null, 0x0
	s_barrier
	buffer_gl0_inv
	s_clause 0x1
	scratch_load_b128 v[39:42], off, off offset:44
	scratch_load_b96 v[47:49], off, off offset:60
	ds_load_b128 v[43:46], v38 offset:128
	ds_load_b64 v[50:51], v38 offset:144
	s_mov_b32 s0, exec_lo
	s_waitcnt vmcnt(1) lgkmcnt(1)
	v_fma_f32 v38, v40, v43, 0
	s_delay_alu instid0(VALU_DEP_1) | instskip(NEXT) | instid1(VALU_DEP_1)
	v_fmac_f32_e32 v38, v41, v44
	v_fmac_f32_e32 v38, v42, v45
	s_waitcnt vmcnt(0)
	s_delay_alu instid0(VALU_DEP_1) | instskip(SKIP_1) | instid1(VALU_DEP_1)
	v_fmac_f32_e32 v38, v47, v46
	s_waitcnt lgkmcnt(0)
	v_fmac_f32_e32 v38, v48, v50
	s_delay_alu instid0(VALU_DEP_1) | instskip(NEXT) | instid1(VALU_DEP_1)
	v_fmac_f32_e32 v38, v49, v51
	v_sub_f32_e32 v38, v39, v38
	scratch_store_b32 off, v38, off offset:44
	v_cmpx_lt_u32_e32 10, v0
	s_cbranch_execz .LBB17_95
; %bb.94:
	scratch_load_b32 v38, off, off offset:40
	v_mov_b32_e32 v39, 0
	scratch_store_b32 off, v39, off offset:40
	s_waitcnt vmcnt(0)
	ds_store_b32 v37, v38
.LBB17_95:
	s_or_b32 exec_lo, exec_lo, s0
	s_waitcnt lgkmcnt(0)
	s_waitcnt_vscnt null, 0x0
	s_barrier
	buffer_gl0_inv
	s_clause 0x1
	scratch_load_b128 v[39:42], off, off offset:40
	scratch_load_b128 v[43:46], off, off offset:56
	v_mov_b32_e32 v38, 0
	ds_load_2addr_b32 v[47:48], v38 offset0:31 offset1:32
	ds_load_2addr_b32 v[49:50], v38 offset0:33 offset1:34
	;; [unrolled: 1-line block ×3, first 2 shown]
	ds_load_b32 v53, v38 offset:148
	s_mov_b32 s0, exec_lo
	s_waitcnt vmcnt(1) lgkmcnt(3)
	v_fma_f32 v40, v40, v47, 0
	s_delay_alu instid0(VALU_DEP_1) | instskip(SKIP_1) | instid1(VALU_DEP_1)
	v_fmac_f32_e32 v40, v41, v48
	s_waitcnt lgkmcnt(2)
	v_fmac_f32_e32 v40, v42, v49
	s_waitcnt vmcnt(0)
	s_delay_alu instid0(VALU_DEP_1) | instskip(SKIP_1) | instid1(VALU_DEP_1)
	v_fmac_f32_e32 v40, v43, v50
	s_waitcnt lgkmcnt(1)
	v_fmac_f32_e32 v40, v44, v51
	s_delay_alu instid0(VALU_DEP_1) | instskip(SKIP_1) | instid1(VALU_DEP_1)
	v_fmac_f32_e32 v40, v45, v52
	s_waitcnt lgkmcnt(0)
	v_fmac_f32_e32 v40, v46, v53
	s_delay_alu instid0(VALU_DEP_1)
	v_sub_f32_e32 v39, v39, v40
	scratch_store_b32 off, v39, off offset:40
	v_cmpx_lt_u32_e32 9, v0
	s_cbranch_execz .LBB17_97
; %bb.96:
	scratch_load_b32 v39, off, off offset:36
	scratch_store_b32 off, v38, off offset:36
	s_waitcnt vmcnt(0)
	ds_store_b32 v37, v39
.LBB17_97:
	s_or_b32 exec_lo, exec_lo, s0
	s_waitcnt lgkmcnt(0)
	s_waitcnt_vscnt null, 0x0
	s_barrier
	buffer_gl0_inv
	s_clause 0x2
	scratch_load_b128 v[39:42], off, off offset:36
	scratch_load_b128 v[43:46], off, off offset:52
	scratch_load_b32 v55, off, off offset:68
	ds_load_2addr_b64 v[47:50], v38 offset0:15 offset1:16
	ds_load_2addr_b64 v[51:54], v38 offset0:17 offset1:18
	s_mov_b32 s0, exec_lo
	s_waitcnt vmcnt(2) lgkmcnt(1)
	v_fma_f32 v38, v40, v47, 0
	s_delay_alu instid0(VALU_DEP_1) | instskip(NEXT) | instid1(VALU_DEP_1)
	v_fmac_f32_e32 v38, v41, v48
	v_fmac_f32_e32 v38, v42, v49
	s_waitcnt vmcnt(1)
	s_delay_alu instid0(VALU_DEP_1) | instskip(SKIP_1) | instid1(VALU_DEP_1)
	v_fmac_f32_e32 v38, v43, v50
	s_waitcnt lgkmcnt(0)
	v_fmac_f32_e32 v38, v44, v51
	s_delay_alu instid0(VALU_DEP_1) | instskip(NEXT) | instid1(VALU_DEP_1)
	v_fmac_f32_e32 v38, v45, v52
	v_fmac_f32_e32 v38, v46, v53
	s_waitcnt vmcnt(0)
	s_delay_alu instid0(VALU_DEP_1) | instskip(NEXT) | instid1(VALU_DEP_1)
	v_fmac_f32_e32 v38, v55, v54
	v_sub_f32_e32 v38, v39, v38
	scratch_store_b32 off, v38, off offset:36
	v_cmpx_lt_u32_e32 8, v0
	s_cbranch_execz .LBB17_99
; %bb.98:
	scratch_load_b32 v38, off, off offset:32
	v_mov_b32_e32 v39, 0
	scratch_store_b32 off, v39, off offset:32
	s_waitcnt vmcnt(0)
	ds_store_b32 v37, v38
.LBB17_99:
	s_or_b32 exec_lo, exec_lo, s0
	s_waitcnt lgkmcnt(0)
	s_waitcnt_vscnt null, 0x0
	s_barrier
	buffer_gl0_inv
	s_clause 0x2
	scratch_load_b128 v[39:42], off, off offset:32
	scratch_load_b128 v[43:46], off, off offset:48
	scratch_load_b64 v[47:48], off, off offset:64
	v_mov_b32_e32 v38, 0
	ds_load_2addr_b32 v[49:50], v38 offset0:29 offset1:30
	ds_load_2addr_b32 v[51:52], v38 offset0:31 offset1:32
	;; [unrolled: 1-line block ×4, first 2 shown]
	s_mov_b32 s0, exec_lo
	s_waitcnt vmcnt(2) lgkmcnt(3)
	v_fma_f32 v40, v40, v49, 0
	s_delay_alu instid0(VALU_DEP_1) | instskip(SKIP_4) | instid1(VALU_DEP_1)
	v_fmac_f32_e32 v40, v41, v50
	ds_load_b32 v41, v38 offset:148
	s_waitcnt lgkmcnt(3)
	v_fmac_f32_e32 v40, v42, v51
	s_waitcnt vmcnt(1)
	v_fmac_f32_e32 v40, v43, v52
	s_waitcnt lgkmcnt(2)
	s_delay_alu instid0(VALU_DEP_1) | instskip(NEXT) | instid1(VALU_DEP_1)
	v_fmac_f32_e32 v40, v44, v53
	v_fmac_f32_e32 v40, v45, v54
	s_waitcnt lgkmcnt(1)
	s_delay_alu instid0(VALU_DEP_1) | instskip(SKIP_1) | instid1(VALU_DEP_1)
	v_fmac_f32_e32 v40, v46, v55
	s_waitcnt vmcnt(0)
	v_fmac_f32_e32 v40, v47, v56
	s_waitcnt lgkmcnt(0)
	s_delay_alu instid0(VALU_DEP_1) | instskip(NEXT) | instid1(VALU_DEP_1)
	v_fmac_f32_e32 v40, v48, v41
	v_sub_f32_e32 v39, v39, v40
	scratch_store_b32 off, v39, off offset:32
	v_cmpx_lt_u32_e32 7, v0
	s_cbranch_execz .LBB17_101
; %bb.100:
	scratch_load_b32 v39, off, off offset:28
	scratch_store_b32 off, v38, off offset:28
	s_waitcnt vmcnt(0)
	ds_store_b32 v37, v39
.LBB17_101:
	s_or_b32 exec_lo, exec_lo, s0
	s_waitcnt lgkmcnt(0)
	s_waitcnt_vscnt null, 0x0
	s_barrier
	buffer_gl0_inv
	s_clause 0x2
	scratch_load_b128 v[39:42], off, off offset:28
	scratch_load_b128 v[43:46], off, off offset:44
	scratch_load_b96 v[55:57], off, off offset:60
	ds_load_b128 v[47:50], v38 offset:112
	ds_load_b128 v[51:54], v38 offset:128
	s_mov_b32 s0, exec_lo
	s_waitcnt vmcnt(2) lgkmcnt(1)
	v_fma_f32 v47, v40, v47, 0
	s_delay_alu instid0(VALU_DEP_1) | instskip(SKIP_3) | instid1(VALU_DEP_1)
	v_fmac_f32_e32 v47, v41, v48
	ds_load_b64 v[40:41], v38 offset:144
	v_fmac_f32_e32 v47, v42, v49
	s_waitcnt vmcnt(1)
	v_fmac_f32_e32 v47, v43, v50
	s_waitcnt lgkmcnt(1)
	s_delay_alu instid0(VALU_DEP_1) | instskip(NEXT) | instid1(VALU_DEP_1)
	v_fmac_f32_e32 v47, v44, v51
	v_fmac_f32_e32 v47, v45, v52
	s_delay_alu instid0(VALU_DEP_1) | instskip(SKIP_1) | instid1(VALU_DEP_1)
	v_fmac_f32_e32 v47, v46, v53
	s_waitcnt vmcnt(0)
	v_fmac_f32_e32 v47, v55, v54
	s_waitcnt lgkmcnt(0)
	s_delay_alu instid0(VALU_DEP_1) | instskip(NEXT) | instid1(VALU_DEP_1)
	v_fmac_f32_e32 v47, v56, v40
	v_fmac_f32_e32 v47, v57, v41
	s_delay_alu instid0(VALU_DEP_1)
	v_sub_f32_e32 v38, v39, v47
	scratch_store_b32 off, v38, off offset:28
	v_cmpx_lt_u32_e32 6, v0
	s_cbranch_execz .LBB17_103
; %bb.102:
	scratch_load_b32 v38, off, off offset:24
	v_mov_b32_e32 v39, 0
	scratch_store_b32 off, v39, off offset:24
	s_waitcnt vmcnt(0)
	ds_store_b32 v37, v38
.LBB17_103:
	s_or_b32 exec_lo, exec_lo, s0
	s_waitcnt lgkmcnt(0)
	s_waitcnt_vscnt null, 0x0
	s_barrier
	buffer_gl0_inv
	s_clause 0x2
	scratch_load_b128 v[39:42], off, off offset:24
	scratch_load_b128 v[43:46], off, off offset:40
	;; [unrolled: 1-line block ×3, first 2 shown]
	v_mov_b32_e32 v38, 0
	ds_load_2addr_b32 v[51:52], v38 offset0:27 offset1:28
	ds_load_2addr_b32 v[53:54], v38 offset0:29 offset1:30
	;; [unrolled: 1-line block ×4, first 2 shown]
	s_mov_b32 s0, exec_lo
	s_waitcnt vmcnt(2) lgkmcnt(3)
	v_fma_f32 v51, v40, v51, 0
	s_delay_alu instid0(VALU_DEP_1)
	v_fmac_f32_e32 v51, v41, v52
	ds_load_2addr_b32 v[40:41], v38 offset0:35 offset1:36
	s_waitcnt lgkmcnt(3)
	v_fmac_f32_e32 v51, v42, v53
	ds_load_b32 v42, v38 offset:148
	s_waitcnt vmcnt(1)
	v_fmac_f32_e32 v51, v43, v54
	s_waitcnt lgkmcnt(3)
	s_delay_alu instid0(VALU_DEP_1) | instskip(NEXT) | instid1(VALU_DEP_1)
	v_fmac_f32_e32 v51, v44, v55
	v_fmac_f32_e32 v51, v45, v56
	s_waitcnt lgkmcnt(2)
	s_delay_alu instid0(VALU_DEP_1) | instskip(SKIP_1) | instid1(VALU_DEP_1)
	v_fmac_f32_e32 v51, v46, v57
	s_waitcnt vmcnt(0)
	v_fmac_f32_e32 v51, v47, v58
	s_waitcnt lgkmcnt(1)
	s_delay_alu instid0(VALU_DEP_1) | instskip(NEXT) | instid1(VALU_DEP_1)
	v_fmac_f32_e32 v51, v48, v40
	v_fmac_f32_e32 v51, v49, v41
	s_waitcnt lgkmcnt(0)
	s_delay_alu instid0(VALU_DEP_1) | instskip(NEXT) | instid1(VALU_DEP_1)
	v_fmac_f32_e32 v51, v50, v42
	v_sub_f32_e32 v39, v39, v51
	scratch_store_b32 off, v39, off offset:24
	v_cmpx_lt_u32_e32 5, v0
	s_cbranch_execz .LBB17_105
; %bb.104:
	scratch_load_b32 v39, off, off offset:20
	scratch_store_b32 off, v38, off offset:20
	s_waitcnt vmcnt(0)
	ds_store_b32 v37, v39
.LBB17_105:
	s_or_b32 exec_lo, exec_lo, s0
	s_waitcnt lgkmcnt(0)
	s_waitcnt_vscnt null, 0x0
	s_barrier
	buffer_gl0_inv
	s_clause 0x3
	scratch_load_b128 v[39:42], off, off offset:20
	scratch_load_b128 v[43:46], off, off offset:36
	;; [unrolled: 1-line block ×3, first 2 shown]
	scratch_load_b32 v59, off, off offset:68
	ds_load_2addr_b64 v[51:54], v38 offset0:13 offset1:14
	ds_load_2addr_b64 v[55:58], v38 offset0:15 offset1:16
	s_mov_b32 s0, exec_lo
	s_waitcnt vmcnt(3) lgkmcnt(1)
	v_fma_f32 v51, v40, v51, 0
	s_delay_alu instid0(VALU_DEP_1) | instskip(NEXT) | instid1(VALU_DEP_1)
	v_fmac_f32_e32 v51, v41, v52
	v_fmac_f32_e32 v51, v42, v53
	s_waitcnt vmcnt(2)
	s_delay_alu instid0(VALU_DEP_1) | instskip(SKIP_3) | instid1(VALU_DEP_1)
	v_fmac_f32_e32 v51, v43, v54
	ds_load_2addr_b64 v[40:43], v38 offset0:17 offset1:18
	s_waitcnt lgkmcnt(1)
	v_fmac_f32_e32 v51, v44, v55
	v_fmac_f32_e32 v51, v45, v56
	s_delay_alu instid0(VALU_DEP_1) | instskip(SKIP_1) | instid1(VALU_DEP_1)
	v_fmac_f32_e32 v51, v46, v57
	s_waitcnt vmcnt(1)
	v_fmac_f32_e32 v51, v47, v58
	s_waitcnt lgkmcnt(0)
	s_delay_alu instid0(VALU_DEP_1) | instskip(NEXT) | instid1(VALU_DEP_1)
	v_fmac_f32_e32 v51, v48, v40
	v_fmac_f32_e32 v51, v49, v41
	s_delay_alu instid0(VALU_DEP_1) | instskip(SKIP_1) | instid1(VALU_DEP_1)
	v_fmac_f32_e32 v51, v50, v42
	s_waitcnt vmcnt(0)
	v_fmac_f32_e32 v51, v59, v43
	s_delay_alu instid0(VALU_DEP_1)
	v_sub_f32_e32 v38, v39, v51
	scratch_store_b32 off, v38, off offset:20
	v_cmpx_lt_u32_e32 4, v0
	s_cbranch_execz .LBB17_107
; %bb.106:
	scratch_load_b32 v38, off, off offset:16
	v_mov_b32_e32 v39, 0
	scratch_store_b32 off, v39, off offset:16
	s_waitcnt vmcnt(0)
	ds_store_b32 v37, v38
.LBB17_107:
	s_or_b32 exec_lo, exec_lo, s0
	s_waitcnt lgkmcnt(0)
	s_waitcnt_vscnt null, 0x0
	s_barrier
	buffer_gl0_inv
	s_clause 0x3
	scratch_load_b128 v[39:42], off, off offset:16
	scratch_load_b128 v[43:46], off, off offset:32
	;; [unrolled: 1-line block ×3, first 2 shown]
	scratch_load_b64 v[51:52], off, off offset:64
	v_mov_b32_e32 v38, 0
	ds_load_2addr_b32 v[53:54], v38 offset0:25 offset1:26
	ds_load_2addr_b32 v[55:56], v38 offset0:27 offset1:28
	ds_load_2addr_b32 v[57:58], v38 offset0:29 offset1:30
	ds_load_2addr_b32 v[59:60], v38 offset0:31 offset1:32
	s_mov_b32 s0, exec_lo
	s_waitcnt vmcnt(3) lgkmcnt(3)
	v_fma_f32 v53, v40, v53, 0
	s_delay_alu instid0(VALU_DEP_1) | instskip(SKIP_4) | instid1(VALU_DEP_1)
	v_fmac_f32_e32 v53, v41, v54
	ds_load_2addr_b32 v[40:41], v38 offset0:33 offset1:34
	s_waitcnt lgkmcnt(3)
	v_fmac_f32_e32 v53, v42, v55
	s_waitcnt vmcnt(2)
	v_fmac_f32_e32 v53, v43, v56
	ds_load_2addr_b32 v[42:43], v38 offset0:35 offset1:36
	s_waitcnt lgkmcnt(3)
	v_fmac_f32_e32 v53, v44, v57
	ds_load_b32 v44, v38 offset:148
	v_fmac_f32_e32 v53, v45, v58
	s_waitcnt lgkmcnt(3)
	s_delay_alu instid0(VALU_DEP_1) | instskip(SKIP_1) | instid1(VALU_DEP_1)
	v_fmac_f32_e32 v53, v46, v59
	s_waitcnt vmcnt(1)
	v_fmac_f32_e32 v53, v47, v60
	s_waitcnt lgkmcnt(2)
	s_delay_alu instid0(VALU_DEP_1) | instskip(NEXT) | instid1(VALU_DEP_1)
	v_fmac_f32_e32 v53, v48, v40
	v_fmac_f32_e32 v53, v49, v41
	s_waitcnt lgkmcnt(1)
	s_delay_alu instid0(VALU_DEP_1) | instskip(SKIP_1) | instid1(VALU_DEP_1)
	v_fmac_f32_e32 v53, v50, v42
	s_waitcnt vmcnt(0)
	v_fmac_f32_e32 v53, v51, v43
	s_waitcnt lgkmcnt(0)
	s_delay_alu instid0(VALU_DEP_1) | instskip(NEXT) | instid1(VALU_DEP_1)
	v_fmac_f32_e32 v53, v52, v44
	v_sub_f32_e32 v39, v39, v53
	scratch_store_b32 off, v39, off offset:16
	v_cmpx_lt_u32_e32 3, v0
	s_cbranch_execz .LBB17_109
; %bb.108:
	scratch_load_b32 v39, off, off offset:12
	scratch_store_b32 off, v38, off offset:12
	s_waitcnt vmcnt(0)
	ds_store_b32 v37, v39
.LBB17_109:
	s_or_b32 exec_lo, exec_lo, s0
	s_waitcnt lgkmcnt(0)
	s_waitcnt_vscnt null, 0x0
	s_barrier
	buffer_gl0_inv
	s_clause 0x3
	scratch_load_b128 v[39:42], off, off offset:12
	scratch_load_b128 v[43:46], off, off offset:28
	;; [unrolled: 1-line block ×3, first 2 shown]
	scratch_load_b96 v[59:61], off, off offset:60
	ds_load_b128 v[51:54], v38 offset:96
	ds_load_b128 v[55:58], v38 offset:112
	s_mov_b32 s0, exec_lo
	s_waitcnt vmcnt(3) lgkmcnt(1)
	v_fma_f32 v51, v40, v51, 0
	s_delay_alu instid0(VALU_DEP_1) | instskip(NEXT) | instid1(VALU_DEP_1)
	v_fmac_f32_e32 v51, v41, v52
	v_fmac_f32_e32 v51, v42, v53
	s_waitcnt vmcnt(2)
	s_delay_alu instid0(VALU_DEP_1) | instskip(SKIP_3) | instid1(VALU_DEP_1)
	v_fmac_f32_e32 v51, v43, v54
	ds_load_b128 v[40:43], v38 offset:128
	s_waitcnt lgkmcnt(1)
	v_fmac_f32_e32 v51, v44, v55
	v_fmac_f32_e32 v51, v45, v56
	ds_load_b64 v[44:45], v38 offset:144
	v_fmac_f32_e32 v51, v46, v57
	s_waitcnt vmcnt(1)
	s_delay_alu instid0(VALU_DEP_1) | instskip(SKIP_1) | instid1(VALU_DEP_1)
	v_fmac_f32_e32 v51, v47, v58
	s_waitcnt lgkmcnt(1)
	v_fmac_f32_e32 v51, v48, v40
	s_delay_alu instid0(VALU_DEP_1) | instskip(NEXT) | instid1(VALU_DEP_1)
	v_fmac_f32_e32 v51, v49, v41
	v_fmac_f32_e32 v51, v50, v42
	s_waitcnt vmcnt(0)
	s_delay_alu instid0(VALU_DEP_1) | instskip(SKIP_1) | instid1(VALU_DEP_1)
	v_fmac_f32_e32 v51, v59, v43
	s_waitcnt lgkmcnt(0)
	v_fmac_f32_e32 v51, v60, v44
	s_delay_alu instid0(VALU_DEP_1) | instskip(NEXT) | instid1(VALU_DEP_1)
	v_fmac_f32_e32 v51, v61, v45
	v_sub_f32_e32 v38, v39, v51
	scratch_store_b32 off, v38, off offset:12
	v_cmpx_lt_u32_e32 2, v0
	s_cbranch_execz .LBB17_111
; %bb.110:
	scratch_load_b32 v38, off, off offset:8
	v_mov_b32_e32 v39, 0
	scratch_store_b32 off, v39, off offset:8
	s_waitcnt vmcnt(0)
	ds_store_b32 v37, v38
.LBB17_111:
	s_or_b32 exec_lo, exec_lo, s0
	s_waitcnt lgkmcnt(0)
	s_waitcnt_vscnt null, 0x0
	s_barrier
	buffer_gl0_inv
	s_clause 0x3
	scratch_load_b128 v[39:42], off, off offset:8
	scratch_load_b128 v[43:46], off, off offset:24
	;; [unrolled: 1-line block ×4, first 2 shown]
	v_mov_b32_e32 v38, 0
	ds_load_2addr_b32 v[55:56], v38 offset0:23 offset1:24
	ds_load_2addr_b32 v[57:58], v38 offset0:25 offset1:26
	ds_load_2addr_b32 v[59:60], v38 offset0:27 offset1:28
	ds_load_2addr_b32 v[61:62], v38 offset0:29 offset1:30
	s_mov_b32 s0, exec_lo
	s_waitcnt vmcnt(3) lgkmcnt(3)
	v_fma_f32 v55, v40, v55, 0
	s_delay_alu instid0(VALU_DEP_1) | instskip(SKIP_4) | instid1(VALU_DEP_1)
	v_fmac_f32_e32 v55, v41, v56
	ds_load_2addr_b32 v[40:41], v38 offset0:31 offset1:32
	s_waitcnt lgkmcnt(3)
	v_fmac_f32_e32 v55, v42, v57
	s_waitcnt vmcnt(2)
	v_fmac_f32_e32 v55, v43, v58
	ds_load_2addr_b32 v[42:43], v38 offset0:33 offset1:34
	s_waitcnt lgkmcnt(3)
	v_fmac_f32_e32 v55, v44, v59
	s_delay_alu instid0(VALU_DEP_1) | instskip(SKIP_1) | instid1(VALU_DEP_1)
	v_fmac_f32_e32 v55, v45, v60
	s_waitcnt lgkmcnt(2)
	v_fmac_f32_e32 v55, v46, v61
	ds_load_2addr_b32 v[44:45], v38 offset0:35 offset1:36
	ds_load_b32 v46, v38 offset:148
	s_waitcnt vmcnt(1)
	v_fmac_f32_e32 v55, v47, v62
	s_waitcnt lgkmcnt(3)
	s_delay_alu instid0(VALU_DEP_1) | instskip(NEXT) | instid1(VALU_DEP_1)
	v_fmac_f32_e32 v55, v48, v40
	v_fmac_f32_e32 v55, v49, v41
	s_waitcnt lgkmcnt(2)
	s_delay_alu instid0(VALU_DEP_1) | instskip(SKIP_1) | instid1(VALU_DEP_1)
	v_fmac_f32_e32 v55, v50, v42
	s_waitcnt vmcnt(0)
	v_fmac_f32_e32 v55, v51, v43
	s_waitcnt lgkmcnt(1)
	s_delay_alu instid0(VALU_DEP_1) | instskip(NEXT) | instid1(VALU_DEP_1)
	v_fmac_f32_e32 v55, v52, v44
	v_fmac_f32_e32 v55, v53, v45
	s_waitcnt lgkmcnt(0)
	s_delay_alu instid0(VALU_DEP_1) | instskip(NEXT) | instid1(VALU_DEP_1)
	v_fmac_f32_e32 v55, v54, v46
	v_sub_f32_e32 v39, v39, v55
	scratch_store_b32 off, v39, off offset:8
	v_cmpx_lt_u32_e32 1, v0
	s_cbranch_execz .LBB17_113
; %bb.112:
	scratch_load_b32 v39, off, off offset:4
	scratch_store_b32 off, v38, off offset:4
	s_waitcnt vmcnt(0)
	ds_store_b32 v37, v39
.LBB17_113:
	s_or_b32 exec_lo, exec_lo, s0
	s_waitcnt lgkmcnt(0)
	s_waitcnt_vscnt null, 0x0
	s_barrier
	buffer_gl0_inv
	s_clause 0x4
	scratch_load_b128 v[39:42], off, off offset:4
	scratch_load_b128 v[43:46], off, off offset:20
	;; [unrolled: 1-line block ×4, first 2 shown]
	scratch_load_b32 v63, off, off offset:68
	ds_load_2addr_b64 v[55:58], v38 offset0:11 offset1:12
	ds_load_2addr_b64 v[59:62], v38 offset0:13 offset1:14
	s_mov_b32 s0, exec_lo
	s_waitcnt vmcnt(4) lgkmcnt(1)
	v_fma_f32 v55, v40, v55, 0
	s_delay_alu instid0(VALU_DEP_1) | instskip(NEXT) | instid1(VALU_DEP_1)
	v_fmac_f32_e32 v55, v41, v56
	v_fmac_f32_e32 v55, v42, v57
	s_waitcnt vmcnt(3)
	s_delay_alu instid0(VALU_DEP_1) | instskip(SKIP_3) | instid1(VALU_DEP_1)
	v_fmac_f32_e32 v55, v43, v58
	ds_load_2addr_b64 v[40:43], v38 offset0:15 offset1:16
	s_waitcnt lgkmcnt(1)
	v_fmac_f32_e32 v55, v44, v59
	v_fmac_f32_e32 v55, v45, v60
	s_delay_alu instid0(VALU_DEP_1) | instskip(SKIP_1) | instid1(VALU_DEP_1)
	v_fmac_f32_e32 v55, v46, v61
	s_waitcnt vmcnt(2)
	v_fmac_f32_e32 v55, v47, v62
	ds_load_2addr_b64 v[44:47], v38 offset0:17 offset1:18
	s_waitcnt lgkmcnt(1)
	v_fmac_f32_e32 v55, v48, v40
	s_delay_alu instid0(VALU_DEP_1) | instskip(NEXT) | instid1(VALU_DEP_1)
	v_fmac_f32_e32 v55, v49, v41
	v_fmac_f32_e32 v55, v50, v42
	s_waitcnt vmcnt(1)
	s_delay_alu instid0(VALU_DEP_1) | instskip(SKIP_1) | instid1(VALU_DEP_1)
	v_fmac_f32_e32 v55, v51, v43
	s_waitcnt lgkmcnt(0)
	v_fmac_f32_e32 v55, v52, v44
	s_delay_alu instid0(VALU_DEP_1) | instskip(NEXT) | instid1(VALU_DEP_1)
	v_fmac_f32_e32 v55, v53, v45
	v_fmac_f32_e32 v55, v54, v46
	s_waitcnt vmcnt(0)
	s_delay_alu instid0(VALU_DEP_1) | instskip(NEXT) | instid1(VALU_DEP_1)
	v_fmac_f32_e32 v55, v63, v47
	v_sub_f32_e32 v38, v39, v55
	scratch_store_b32 off, v38, off offset:4
	v_cmpx_ne_u32_e32 0, v0
	s_cbranch_execz .LBB17_115
; %bb.114:
	scratch_load_b32 v0, off, off
	v_mov_b32_e32 v38, 0
	scratch_store_b32 off, v38, off
	s_waitcnt vmcnt(0)
	ds_store_b32 v37, v0
.LBB17_115:
	s_or_b32 exec_lo, exec_lo, s0
	s_waitcnt lgkmcnt(0)
	s_waitcnt_vscnt null, 0x0
	s_barrier
	buffer_gl0_inv
	s_clause 0x4
	scratch_load_b128 v[39:42], off, off
	scratch_load_b128 v[43:46], off, off offset:16
	scratch_load_b128 v[47:50], off, off offset:32
	;; [unrolled: 1-line block ×3, first 2 shown]
	scratch_load_b64 v[37:38], off, off offset:64
	v_mov_b32_e32 v0, 0
	ds_load_2addr_b32 v[55:56], v0 offset0:21 offset1:22
	ds_load_2addr_b32 v[57:58], v0 offset0:23 offset1:24
	;; [unrolled: 1-line block ×4, first 2 shown]
	s_and_b32 vcc_lo, exec_lo, s16
	s_waitcnt vmcnt(4) lgkmcnt(3)
	v_fma_f32 v55, v40, v55, 0
	s_delay_alu instid0(VALU_DEP_1) | instskip(SKIP_4) | instid1(VALU_DEP_1)
	v_fmac_f32_e32 v55, v41, v56
	ds_load_2addr_b32 v[40:41], v0 offset0:29 offset1:30
	s_waitcnt lgkmcnt(3)
	v_fmac_f32_e32 v55, v42, v57
	s_waitcnt vmcnt(3)
	v_fmac_f32_e32 v55, v43, v58
	ds_load_2addr_b32 v[42:43], v0 offset0:31 offset1:32
	s_waitcnt lgkmcnt(3)
	v_fmac_f32_e32 v55, v44, v59
	s_delay_alu instid0(VALU_DEP_1) | instskip(SKIP_1) | instid1(VALU_DEP_1)
	v_fmac_f32_e32 v55, v45, v60
	s_waitcnt lgkmcnt(2)
	v_fmac_f32_e32 v55, v46, v61
	s_waitcnt vmcnt(2)
	s_delay_alu instid0(VALU_DEP_1)
	v_fmac_f32_e32 v55, v47, v62
	ds_load_2addr_b32 v[44:45], v0 offset0:33 offset1:34
	ds_load_2addr_b32 v[46:47], v0 offset0:35 offset1:36
	ds_load_b32 v0, v0 offset:148
	s_waitcnt lgkmcnt(4)
	v_fmac_f32_e32 v55, v48, v40
	s_delay_alu instid0(VALU_DEP_1) | instskip(SKIP_1) | instid1(VALU_DEP_1)
	v_fmac_f32_e32 v55, v49, v41
	s_waitcnt lgkmcnt(3)
	v_fmac_f32_e32 v55, v50, v42
	s_waitcnt vmcnt(1)
	s_delay_alu instid0(VALU_DEP_1) | instskip(SKIP_1) | instid1(VALU_DEP_1)
	v_fmac_f32_e32 v55, v51, v43
	s_waitcnt lgkmcnt(2)
	v_fmac_f32_e32 v55, v52, v44
	s_delay_alu instid0(VALU_DEP_1) | instskip(SKIP_1) | instid1(VALU_DEP_1)
	v_fmac_f32_e32 v55, v53, v45
	s_waitcnt lgkmcnt(1)
	v_fmac_f32_e32 v55, v54, v46
	s_waitcnt vmcnt(0)
	s_delay_alu instid0(VALU_DEP_1) | instskip(SKIP_1) | instid1(VALU_DEP_1)
	v_fmac_f32_e32 v55, v37, v47
	s_waitcnt lgkmcnt(0)
	v_fmac_f32_e32 v55, v38, v0
	s_delay_alu instid0(VALU_DEP_1)
	v_sub_f32_e32 v0, v39, v55
	scratch_store_b32 off, v0, off
	s_cbranch_vccz .LBB17_151
; %bb.116:
	v_dual_mov_b32 v39, s13 :: v_dual_mov_b32 v38, s12
	s_mov_b32 s0, exec_lo
	flat_load_b32 v0, v[38:39] offset:64
	s_waitcnt vmcnt(0) lgkmcnt(0)
	v_cmpx_ne_u32_e32 17, v0
	s_cbranch_execz .LBB17_118
; %bb.117:
	v_lshl_add_u32 v0, v0, 2, 0
	scratch_load_b32 v38, v0, off offset:-4
	s_waitcnt vmcnt(0)
	scratch_store_b32 off, v38, off offset:64
	scratch_store_b32 v0, v37, off offset:-4
.LBB17_118:
	s_or_b32 exec_lo, exec_lo, s0
	v_dual_mov_b32 v38, s13 :: v_dual_mov_b32 v37, s12
	s_mov_b32 s0, exec_lo
	flat_load_b32 v0, v[37:38] offset:60
	s_waitcnt vmcnt(0) lgkmcnt(0)
	v_cmpx_ne_u32_e32 16, v0
	s_cbranch_execz .LBB17_120
; %bb.119:
	v_lshl_add_u32 v0, v0, 2, 0
	scratch_load_b32 v37, v0, off offset:-4
	scratch_load_b32 v38, off, off offset:60
	s_waitcnt vmcnt(1)
	scratch_store_b32 off, v37, off offset:60
	s_waitcnt vmcnt(0)
	scratch_store_b32 v0, v38, off offset:-4
.LBB17_120:
	s_or_b32 exec_lo, exec_lo, s0
	v_dual_mov_b32 v38, s13 :: v_dual_mov_b32 v37, s12
	s_mov_b32 s0, exec_lo
	flat_load_b32 v0, v[37:38] offset:56
	s_waitcnt vmcnt(0) lgkmcnt(0)
	v_cmpx_ne_u32_e32 15, v0
	s_cbranch_execz .LBB17_122
; %bb.121:
	v_lshl_add_u32 v0, v0, 2, 0
	scratch_load_b32 v37, v0, off offset:-4
	scratch_load_b32 v38, off, off offset:56
	s_waitcnt vmcnt(1)
	scratch_store_b32 off, v37, off offset:56
	s_waitcnt vmcnt(0)
	scratch_store_b32 v0, v38, off offset:-4
.LBB17_122:
	s_or_b32 exec_lo, exec_lo, s0
	v_dual_mov_b32 v38, s13 :: v_dual_mov_b32 v37, s12
	s_mov_b32 s0, exec_lo
	flat_load_b32 v0, v[37:38] offset:52
	s_waitcnt vmcnt(0) lgkmcnt(0)
	v_cmpx_ne_u32_e32 14, v0
	s_cbranch_execz .LBB17_124
; %bb.123:
	v_lshl_add_u32 v0, v0, 2, 0
	scratch_load_b32 v37, v0, off offset:-4
	scratch_load_b32 v38, off, off offset:52
	s_waitcnt vmcnt(1)
	scratch_store_b32 off, v37, off offset:52
	s_waitcnt vmcnt(0)
	scratch_store_b32 v0, v38, off offset:-4
.LBB17_124:
	s_or_b32 exec_lo, exec_lo, s0
	v_dual_mov_b32 v38, s13 :: v_dual_mov_b32 v37, s12
	s_mov_b32 s0, exec_lo
	flat_load_b32 v0, v[37:38] offset:48
	s_waitcnt vmcnt(0) lgkmcnt(0)
	v_cmpx_ne_u32_e32 13, v0
	s_cbranch_execz .LBB17_126
; %bb.125:
	v_lshl_add_u32 v0, v0, 2, 0
	scratch_load_b32 v37, v0, off offset:-4
	scratch_load_b32 v38, off, off offset:48
	s_waitcnt vmcnt(1)
	scratch_store_b32 off, v37, off offset:48
	s_waitcnt vmcnt(0)
	scratch_store_b32 v0, v38, off offset:-4
.LBB17_126:
	s_or_b32 exec_lo, exec_lo, s0
	v_dual_mov_b32 v38, s13 :: v_dual_mov_b32 v37, s12
	s_mov_b32 s0, exec_lo
	flat_load_b32 v0, v[37:38] offset:44
	s_waitcnt vmcnt(0) lgkmcnt(0)
	v_cmpx_ne_u32_e32 12, v0
	s_cbranch_execz .LBB17_128
; %bb.127:
	v_lshl_add_u32 v0, v0, 2, 0
	scratch_load_b32 v37, v0, off offset:-4
	scratch_load_b32 v38, off, off offset:44
	s_waitcnt vmcnt(1)
	scratch_store_b32 off, v37, off offset:44
	s_waitcnt vmcnt(0)
	scratch_store_b32 v0, v38, off offset:-4
.LBB17_128:
	s_or_b32 exec_lo, exec_lo, s0
	v_dual_mov_b32 v38, s13 :: v_dual_mov_b32 v37, s12
	s_mov_b32 s0, exec_lo
	flat_load_b32 v0, v[37:38] offset:40
	s_waitcnt vmcnt(0) lgkmcnt(0)
	v_cmpx_ne_u32_e32 11, v0
	s_cbranch_execz .LBB17_130
; %bb.129:
	v_lshl_add_u32 v0, v0, 2, 0
	scratch_load_b32 v37, v0, off offset:-4
	scratch_load_b32 v38, off, off offset:40
	s_waitcnt vmcnt(1)
	scratch_store_b32 off, v37, off offset:40
	s_waitcnt vmcnt(0)
	scratch_store_b32 v0, v38, off offset:-4
.LBB17_130:
	s_or_b32 exec_lo, exec_lo, s0
	v_dual_mov_b32 v38, s13 :: v_dual_mov_b32 v37, s12
	s_mov_b32 s0, exec_lo
	flat_load_b32 v0, v[37:38] offset:36
	s_waitcnt vmcnt(0) lgkmcnt(0)
	v_cmpx_ne_u32_e32 10, v0
	s_cbranch_execz .LBB17_132
; %bb.131:
	v_lshl_add_u32 v0, v0, 2, 0
	scratch_load_b32 v37, v0, off offset:-4
	scratch_load_b32 v38, off, off offset:36
	s_waitcnt vmcnt(1)
	scratch_store_b32 off, v37, off offset:36
	s_waitcnt vmcnt(0)
	scratch_store_b32 v0, v38, off offset:-4
.LBB17_132:
	s_or_b32 exec_lo, exec_lo, s0
	v_dual_mov_b32 v38, s13 :: v_dual_mov_b32 v37, s12
	s_mov_b32 s0, exec_lo
	flat_load_b32 v0, v[37:38] offset:32
	s_waitcnt vmcnt(0) lgkmcnt(0)
	v_cmpx_ne_u32_e32 9, v0
	s_cbranch_execz .LBB17_134
; %bb.133:
	v_lshl_add_u32 v0, v0, 2, 0
	scratch_load_b32 v37, v0, off offset:-4
	scratch_load_b32 v38, off, off offset:32
	s_waitcnt vmcnt(1)
	scratch_store_b32 off, v37, off offset:32
	s_waitcnt vmcnt(0)
	scratch_store_b32 v0, v38, off offset:-4
.LBB17_134:
	s_or_b32 exec_lo, exec_lo, s0
	v_dual_mov_b32 v38, s13 :: v_dual_mov_b32 v37, s12
	s_mov_b32 s0, exec_lo
	flat_load_b32 v0, v[37:38] offset:28
	s_waitcnt vmcnt(0) lgkmcnt(0)
	v_cmpx_ne_u32_e32 8, v0
	s_cbranch_execz .LBB17_136
; %bb.135:
	v_lshl_add_u32 v0, v0, 2, 0
	scratch_load_b32 v37, v0, off offset:-4
	scratch_load_b32 v38, off, off offset:28
	s_waitcnt vmcnt(1)
	scratch_store_b32 off, v37, off offset:28
	s_waitcnt vmcnt(0)
	scratch_store_b32 v0, v38, off offset:-4
.LBB17_136:
	s_or_b32 exec_lo, exec_lo, s0
	v_dual_mov_b32 v38, s13 :: v_dual_mov_b32 v37, s12
	s_mov_b32 s0, exec_lo
	flat_load_b32 v0, v[37:38] offset:24
	s_waitcnt vmcnt(0) lgkmcnt(0)
	v_cmpx_ne_u32_e32 7, v0
	s_cbranch_execz .LBB17_138
; %bb.137:
	v_lshl_add_u32 v0, v0, 2, 0
	scratch_load_b32 v37, v0, off offset:-4
	scratch_load_b32 v38, off, off offset:24
	s_waitcnt vmcnt(1)
	scratch_store_b32 off, v37, off offset:24
	s_waitcnt vmcnt(0)
	scratch_store_b32 v0, v38, off offset:-4
.LBB17_138:
	s_or_b32 exec_lo, exec_lo, s0
	v_dual_mov_b32 v38, s13 :: v_dual_mov_b32 v37, s12
	s_mov_b32 s0, exec_lo
	flat_load_b32 v0, v[37:38] offset:20
	s_waitcnt vmcnt(0) lgkmcnt(0)
	v_cmpx_ne_u32_e32 6, v0
	s_cbranch_execz .LBB17_140
; %bb.139:
	v_lshl_add_u32 v0, v0, 2, 0
	scratch_load_b32 v37, v0, off offset:-4
	scratch_load_b32 v38, off, off offset:20
	s_waitcnt vmcnt(1)
	scratch_store_b32 off, v37, off offset:20
	s_waitcnt vmcnt(0)
	scratch_store_b32 v0, v38, off offset:-4
.LBB17_140:
	s_or_b32 exec_lo, exec_lo, s0
	v_dual_mov_b32 v38, s13 :: v_dual_mov_b32 v37, s12
	s_mov_b32 s0, exec_lo
	flat_load_b32 v0, v[37:38] offset:16
	s_waitcnt vmcnt(0) lgkmcnt(0)
	v_cmpx_ne_u32_e32 5, v0
	s_cbranch_execz .LBB17_142
; %bb.141:
	v_lshl_add_u32 v0, v0, 2, 0
	scratch_load_b32 v37, v0, off offset:-4
	scratch_load_b32 v38, off, off offset:16
	s_waitcnt vmcnt(1)
	scratch_store_b32 off, v37, off offset:16
	s_waitcnt vmcnt(0)
	scratch_store_b32 v0, v38, off offset:-4
.LBB17_142:
	s_or_b32 exec_lo, exec_lo, s0
	v_dual_mov_b32 v38, s13 :: v_dual_mov_b32 v37, s12
	s_mov_b32 s0, exec_lo
	flat_load_b32 v0, v[37:38] offset:12
	s_waitcnt vmcnt(0) lgkmcnt(0)
	v_cmpx_ne_u32_e32 4, v0
	s_cbranch_execz .LBB17_144
; %bb.143:
	v_lshl_add_u32 v0, v0, 2, 0
	scratch_load_b32 v37, v0, off offset:-4
	scratch_load_b32 v38, off, off offset:12
	s_waitcnt vmcnt(1)
	scratch_store_b32 off, v37, off offset:12
	s_waitcnt vmcnt(0)
	scratch_store_b32 v0, v38, off offset:-4
.LBB17_144:
	s_or_b32 exec_lo, exec_lo, s0
	v_dual_mov_b32 v38, s13 :: v_dual_mov_b32 v37, s12
	s_mov_b32 s0, exec_lo
	flat_load_b32 v0, v[37:38] offset:8
	s_waitcnt vmcnt(0) lgkmcnt(0)
	v_cmpx_ne_u32_e32 3, v0
	s_cbranch_execz .LBB17_146
; %bb.145:
	v_lshl_add_u32 v0, v0, 2, 0
	scratch_load_b32 v37, v0, off offset:-4
	scratch_load_b32 v38, off, off offset:8
	s_waitcnt vmcnt(1)
	scratch_store_b32 off, v37, off offset:8
	s_waitcnt vmcnt(0)
	scratch_store_b32 v0, v38, off offset:-4
.LBB17_146:
	s_or_b32 exec_lo, exec_lo, s0
	v_dual_mov_b32 v38, s13 :: v_dual_mov_b32 v37, s12
	s_mov_b32 s0, exec_lo
	flat_load_b32 v0, v[37:38] offset:4
	s_waitcnt vmcnt(0) lgkmcnt(0)
	v_cmpx_ne_u32_e32 2, v0
	s_cbranch_execz .LBB17_148
; %bb.147:
	v_lshl_add_u32 v0, v0, 2, 0
	scratch_load_b32 v37, v0, off offset:-4
	scratch_load_b32 v38, off, off offset:4
	s_waitcnt vmcnt(1)
	scratch_store_b32 off, v37, off offset:4
	s_waitcnt vmcnt(0)
	scratch_store_b32 v0, v38, off offset:-4
.LBB17_148:
	s_or_b32 exec_lo, exec_lo, s0
	v_dual_mov_b32 v38, s13 :: v_dual_mov_b32 v37, s12
	s_mov_b32 s0, exec_lo
	flat_load_b32 v37, v[37:38]
	scratch_load_b32 v0, off, off
	s_waitcnt vmcnt(1) lgkmcnt(0)
	v_cmpx_ne_u32_e32 1, v37
	s_cbranch_execz .LBB17_150
; %bb.149:
	v_lshl_add_u32 v37, v37, 2, 0
	scratch_load_b32 v38, v37, off offset:-4
	s_waitcnt vmcnt(0)
	scratch_store_b32 off, v38, off
	scratch_store_b32 v37, v0, off offset:-4
	scratch_load_b32 v0, off, off
.LBB17_150:
	s_or_b32 exec_lo, exec_lo, s0
.LBB17_151:
	s_clause 0x4
	scratch_load_b128 v[37:40], off, off offset:4
	scratch_load_b128 v[41:44], off, off offset:20
	;; [unrolled: 1-line block ×4, first 2 shown]
	scratch_load_b32 v53, off, off offset:68
	s_waitcnt vmcnt(5)
	global_store_b32 v[1:2], v0, off
	s_waitcnt vmcnt(4)
	s_clause 0x3
	global_store_b32 v[3:4], v37, off
	global_store_b32 v[5:6], v38, off
	global_store_b32 v[7:8], v39, off
	global_store_b32 v[9:10], v40, off
	s_waitcnt vmcnt(3)
	s_clause 0x3
	global_store_b32 v[11:12], v41, off
	global_store_b32 v[13:14], v42, off
	global_store_b32 v[15:16], v43, off
	;; [unrolled: 6-line block ×4, first 2 shown]
	global_store_b32 v[33:34], v52, off
	s_waitcnt vmcnt(0)
	global_store_b32 v[35:36], v53, off
	s_endpgm
	.section	.rodata,"a",@progbits
	.p2align	6, 0x0
	.amdhsa_kernel _ZN9rocsolver6v33100L18getri_kernel_smallILi18EfPfEEvT1_iilPiilS4_bb
		.amdhsa_group_segment_fixed_size 152
		.amdhsa_private_segment_fixed_size 80
		.amdhsa_kernarg_size 60
		.amdhsa_user_sgpr_count 15
		.amdhsa_user_sgpr_dispatch_ptr 0
		.amdhsa_user_sgpr_queue_ptr 0
		.amdhsa_user_sgpr_kernarg_segment_ptr 1
		.amdhsa_user_sgpr_dispatch_id 0
		.amdhsa_user_sgpr_private_segment_size 0
		.amdhsa_wavefront_size32 1
		.amdhsa_uses_dynamic_stack 0
		.amdhsa_enable_private_segment 1
		.amdhsa_system_sgpr_workgroup_id_x 1
		.amdhsa_system_sgpr_workgroup_id_y 0
		.amdhsa_system_sgpr_workgroup_id_z 0
		.amdhsa_system_sgpr_workgroup_info 0
		.amdhsa_system_vgpr_workitem_id 0
		.amdhsa_next_free_vgpr 64
		.amdhsa_next_free_sgpr 18
		.amdhsa_reserve_vcc 1
		.amdhsa_float_round_mode_32 0
		.amdhsa_float_round_mode_16_64 0
		.amdhsa_float_denorm_mode_32 3
		.amdhsa_float_denorm_mode_16_64 3
		.amdhsa_dx10_clamp 1
		.amdhsa_ieee_mode 1
		.amdhsa_fp16_overflow 0
		.amdhsa_workgroup_processor_mode 1
		.amdhsa_memory_ordered 1
		.amdhsa_forward_progress 0
		.amdhsa_shared_vgpr_count 0
		.amdhsa_exception_fp_ieee_invalid_op 0
		.amdhsa_exception_fp_denorm_src 0
		.amdhsa_exception_fp_ieee_div_zero 0
		.amdhsa_exception_fp_ieee_overflow 0
		.amdhsa_exception_fp_ieee_underflow 0
		.amdhsa_exception_fp_ieee_inexact 0
		.amdhsa_exception_int_div_zero 0
	.end_amdhsa_kernel
	.section	.text._ZN9rocsolver6v33100L18getri_kernel_smallILi18EfPfEEvT1_iilPiilS4_bb,"axG",@progbits,_ZN9rocsolver6v33100L18getri_kernel_smallILi18EfPfEEvT1_iilPiilS4_bb,comdat
.Lfunc_end17:
	.size	_ZN9rocsolver6v33100L18getri_kernel_smallILi18EfPfEEvT1_iilPiilS4_bb, .Lfunc_end17-_ZN9rocsolver6v33100L18getri_kernel_smallILi18EfPfEEvT1_iilPiilS4_bb
                                        ; -- End function
	.section	.AMDGPU.csdata,"",@progbits
; Kernel info:
; codeLenInByte = 9760
; NumSgprs: 20
; NumVgprs: 64
; ScratchSize: 80
; MemoryBound: 0
; FloatMode: 240
; IeeeMode: 1
; LDSByteSize: 152 bytes/workgroup (compile time only)
; SGPRBlocks: 2
; VGPRBlocks: 7
; NumSGPRsForWavesPerEU: 20
; NumVGPRsForWavesPerEU: 64
; Occupancy: 16
; WaveLimiterHint : 0
; COMPUTE_PGM_RSRC2:SCRATCH_EN: 1
; COMPUTE_PGM_RSRC2:USER_SGPR: 15
; COMPUTE_PGM_RSRC2:TRAP_HANDLER: 0
; COMPUTE_PGM_RSRC2:TGID_X_EN: 1
; COMPUTE_PGM_RSRC2:TGID_Y_EN: 0
; COMPUTE_PGM_RSRC2:TGID_Z_EN: 0
; COMPUTE_PGM_RSRC2:TIDIG_COMP_CNT: 0
	.section	.text._ZN9rocsolver6v33100L18getri_kernel_smallILi19EfPfEEvT1_iilPiilS4_bb,"axG",@progbits,_ZN9rocsolver6v33100L18getri_kernel_smallILi19EfPfEEvT1_iilPiilS4_bb,comdat
	.globl	_ZN9rocsolver6v33100L18getri_kernel_smallILi19EfPfEEvT1_iilPiilS4_bb ; -- Begin function _ZN9rocsolver6v33100L18getri_kernel_smallILi19EfPfEEvT1_iilPiilS4_bb
	.p2align	8
	.type	_ZN9rocsolver6v33100L18getri_kernel_smallILi19EfPfEEvT1_iilPiilS4_bb,@function
_ZN9rocsolver6v33100L18getri_kernel_smallILi19EfPfEEvT1_iilPiilS4_bb: ; @_ZN9rocsolver6v33100L18getri_kernel_smallILi19EfPfEEvT1_iilPiilS4_bb
; %bb.0:
	s_mov_b32 s2, exec_lo
	v_cmpx_gt_u32_e32 19, v0
	s_cbranch_execz .LBB18_84
; %bb.1:
	s_clause 0x2
	s_load_b32 s17, s[0:1], 0x38
	s_load_b128 s[8:11], s[0:1], 0x10
	s_load_b128 s[4:7], s[0:1], 0x28
	s_mov_b32 s14, s15
                                        ; implicit-def: $sgpr12_sgpr13
	s_waitcnt lgkmcnt(0)
	s_bitcmp1_b32 s17, 8
	s_cselect_b32 s16, -1, 0
	s_bfe_u32 s2, s17, 0x10008
	s_ashr_i32 s15, s15, 31
	s_cmp_eq_u32 s2, 0
	s_cbranch_scc1 .LBB18_3
; %bb.2:
	s_load_b32 s2, s[0:1], 0x20
	s_mul_i32 s3, s14, s5
	s_mul_hi_u32 s5, s14, s4
	s_mul_i32 s12, s15, s4
	s_add_i32 s3, s5, s3
	s_mul_i32 s4, s14, s4
	s_add_i32 s5, s3, s12
	s_delay_alu instid0(SALU_CYCLE_1)
	s_lshl_b64 s[4:5], s[4:5], 2
	s_waitcnt lgkmcnt(0)
	s_ashr_i32 s3, s2, 31
	s_add_u32 s4, s10, s4
	s_addc_u32 s5, s11, s5
	s_lshl_b64 s[2:3], s[2:3], 2
	s_delay_alu instid0(SALU_CYCLE_1)
	s_add_u32 s12, s4, s2
	s_addc_u32 s13, s5, s3
.LBB18_3:
	s_load_b128 s[0:3], s[0:1], 0x0
	s_mul_i32 s4, s14, s9
	s_mul_hi_u32 s5, s14, s8
	s_mul_i32 s9, s15, s8
	s_add_i32 s5, s5, s4
	s_mul_i32 s4, s14, s8
	s_add_i32 s5, s5, s9
	v_lshlrev_b32_e32 v1, 2, v0
	s_lshl_b64 s[4:5], s[4:5], 2
	s_waitcnt lgkmcnt(0)
	v_add3_u32 v5, s3, s3, v0
	s_ashr_i32 s9, s2, 31
	s_mov_b32 s8, s2
	s_add_u32 s2, s0, s4
	s_addc_u32 s5, s1, s5
	v_add_nc_u32_e32 v7, s3, v5
	s_lshl_b64 s[0:1], s[8:9], 2
	v_ashrrev_i32_e32 v6, 31, v5
	s_add_u32 s0, s2, s0
	s_addc_u32 s1, s5, s1
	v_add_nc_u32_e32 v11, s3, v7
	v_add_co_u32 v3, s2, s0, v1
	v_ashrrev_i32_e32 v8, 31, v7
	s_mov_b32 s4, s3
	s_ashr_i32 s5, s3, 31
	v_add_co_ci_u32_e64 v4, null, s1, 0, s2
	v_lshlrev_b64 v[9:10], 2, v[5:6]
	s_lshl_b64 s[4:5], s[4:5], 2
	v_add_nc_u32_e32 v15, s3, v11
	v_add_co_u32 v5, vcc_lo, v3, s4
	v_lshlrev_b64 v[13:14], 2, v[7:8]
	v_add_co_ci_u32_e32 v6, vcc_lo, s5, v4, vcc_lo
	v_add_co_u32 v7, vcc_lo, s0, v9
	v_ashrrev_i32_e32 v16, 31, v15
	v_add_nc_u32_e32 v17, s3, v15
	v_add_co_ci_u32_e32 v8, vcc_lo, s1, v10, vcc_lo
	v_ashrrev_i32_e32 v12, 31, v11
	v_add_co_u32 v9, vcc_lo, s0, v13
	v_add_co_ci_u32_e32 v10, vcc_lo, s1, v14, vcc_lo
	v_lshlrev_b64 v[13:14], 2, v[15:16]
	v_add_nc_u32_e32 v15, s3, v17
	v_lshlrev_b64 v[11:12], 2, v[11:12]
	v_ashrrev_i32_e32 v18, 31, v17
	global_load_b32 v41, v1, s[0:1]
	s_bitcmp0_b32 s17, 0
	v_add_nc_u32_e32 v19, s3, v15
	v_ashrrev_i32_e32 v16, 31, v15
	v_add_co_u32 v11, vcc_lo, s0, v11
	v_lshlrev_b64 v[17:18], 2, v[17:18]
	s_delay_alu instid0(VALU_DEP_4)
	v_ashrrev_i32_e32 v20, 31, v19
	v_add_co_ci_u32_e32 v12, vcc_lo, s1, v12, vcc_lo
	v_add_co_u32 v13, vcc_lo, s0, v13
	v_lshlrev_b64 v[21:22], 2, v[15:16]
	v_add_nc_u32_e32 v25, s3, v19
	v_add_co_ci_u32_e32 v14, vcc_lo, s1, v14, vcc_lo
	v_add_co_u32 v15, vcc_lo, s0, v17
	v_lshlrev_b64 v[23:24], 2, v[19:20]
	v_add_co_ci_u32_e32 v16, vcc_lo, s1, v18, vcc_lo
	v_add_co_u32 v17, vcc_lo, s0, v21
	v_ashrrev_i32_e32 v26, 31, v25
	v_add_nc_u32_e32 v21, s3, v25
	v_add_co_ci_u32_e32 v18, vcc_lo, s1, v22, vcc_lo
	v_add_co_u32 v19, vcc_lo, s0, v23
	v_add_co_ci_u32_e32 v20, vcc_lo, s1, v24, vcc_lo
	v_lshlrev_b64 v[23:24], 2, v[25:26]
	v_add_nc_u32_e32 v25, s3, v21
	v_ashrrev_i32_e32 v22, 31, v21
	s_clause 0x7
	global_load_b32 v42, v[5:6], off
	global_load_b32 v43, v[7:8], off
	;; [unrolled: 1-line block ×8, first 2 shown]
	v_add_nc_u32_e32 v29, s3, v25
	v_lshlrev_b64 v[27:28], 2, v[21:22]
	v_add_co_u32 v21, vcc_lo, s0, v23
	v_add_co_ci_u32_e32 v22, vcc_lo, s1, v24, vcc_lo
	s_delay_alu instid0(VALU_DEP_4)
	v_ashrrev_i32_e32 v30, 31, v29
	v_add_nc_u32_e32 v31, s3, v29
	v_ashrrev_i32_e32 v26, 31, v25
	v_add_co_u32 v23, vcc_lo, s0, v27
	v_add_co_ci_u32_e32 v24, vcc_lo, s1, v28, vcc_lo
	v_lshlrev_b64 v[27:28], 2, v[29:30]
	v_add_nc_u32_e32 v29, s3, v31
	v_lshlrev_b64 v[25:26], 2, v[25:26]
	v_ashrrev_i32_e32 v32, 31, v31
	s_delay_alu instid0(VALU_DEP_3) | instskip(SKIP_1) | instid1(VALU_DEP_4)
	v_add_nc_u32_e32 v33, s3, v29
	v_ashrrev_i32_e32 v30, 31, v29
	v_add_co_u32 v25, vcc_lo, s0, v25
	s_delay_alu instid0(VALU_DEP_4) | instskip(NEXT) | instid1(VALU_DEP_4)
	v_lshlrev_b64 v[31:32], 2, v[31:32]
	v_add_nc_u32_e32 v37, s3, v33
	v_add_co_ci_u32_e32 v26, vcc_lo, s1, v26, vcc_lo
	v_add_co_u32 v27, vcc_lo, s0, v27
	v_lshlrev_b64 v[35:36], 2, v[29:30]
	v_add_co_ci_u32_e32 v28, vcc_lo, s1, v28, vcc_lo
	v_add_co_u32 v29, vcc_lo, s0, v31
	v_ashrrev_i32_e32 v38, 31, v37
	v_add_nc_u32_e32 v39, s3, v37
	v_ashrrev_i32_e32 v34, 31, v33
	v_add_co_ci_u32_e32 v30, vcc_lo, s1, v32, vcc_lo
	v_add_co_u32 v31, vcc_lo, s0, v35
	v_add_co_ci_u32_e32 v32, vcc_lo, s1, v36, vcc_lo
	v_lshlrev_b64 v[35:36], 2, v[37:38]
	v_add_nc_u32_e32 v37, s3, v39
	v_lshlrev_b64 v[33:34], 2, v[33:34]
	v_ashrrev_i32_e32 v40, 31, v39
	s_delay_alu instid0(VALU_DEP_3) | instskip(NEXT) | instid1(VALU_DEP_3)
	v_ashrrev_i32_e32 v38, 31, v37
	v_add_co_u32 v33, vcc_lo, s0, v33
	s_delay_alu instid0(VALU_DEP_3)
	v_lshlrev_b64 v[39:40], 2, v[39:40]
	v_add_co_ci_u32_e32 v34, vcc_lo, s1, v34, vcc_lo
	v_add_co_u32 v35, vcc_lo, s0, v35
	v_lshlrev_b64 v[50:51], 2, v[37:38]
	v_add_co_ci_u32_e32 v36, vcc_lo, s1, v36, vcc_lo
	v_add_co_u32 v37, vcc_lo, s0, v39
	v_add_co_ci_u32_e32 v38, vcc_lo, s1, v40, vcc_lo
	s_delay_alu instid0(VALU_DEP_4)
	v_add_co_u32 v39, vcc_lo, s0, v50
	v_add_co_ci_u32_e32 v40, vcc_lo, s1, v51, vcc_lo
	s_clause 0x9
	global_load_b32 v50, v[21:22], off
	global_load_b32 v51, v[23:24], off
	;; [unrolled: 1-line block ×10, first 2 shown]
	s_mov_b32 s1, -1
	s_waitcnt vmcnt(15)
	scratch_store_b128 off, v[41:44], off
	s_waitcnt vmcnt(11)
	scratch_store_b128 off, v[45:48], off offset:16
	s_waitcnt vmcnt(7)
	scratch_store_b128 off, v[49:52], off offset:32
	;; [unrolled: 2-line block ×3, first 2 shown]
	s_waitcnt vmcnt(0)
	scratch_store_b96 off, v[57:59], off offset:64
	s_cbranch_scc1 .LBB18_82
; %bb.4:
	v_cmp_eq_u32_e64 s0, 0, v0
	s_delay_alu instid0(VALU_DEP_1)
	s_and_saveexec_b32 s1, s0
	s_cbranch_execz .LBB18_6
; %bb.5:
	v_mov_b32_e32 v2, 0
	ds_store_b32 v2, v2 offset:76
.LBB18_6:
	s_or_b32 exec_lo, exec_lo, s1
	s_waitcnt lgkmcnt(0)
	s_waitcnt_vscnt null, 0x0
	s_barrier
	buffer_gl0_inv
	scratch_load_b32 v2, v1, off
	s_mov_b32 s2, exec_lo
	s_waitcnt vmcnt(0)
	v_cmpx_eq_f32_e32 0, v2
	s_cbranch_execz .LBB18_10
; %bb.7:
	v_mov_b32_e32 v2, 0
	s_mov_b32 s3, 0
	ds_load_b32 v41, v2 offset:76
	s_waitcnt lgkmcnt(0)
	v_readfirstlane_b32 s1, v41
	v_add_nc_u32_e32 v41, 1, v0
	s_delay_alu instid0(VALU_DEP_2) | instskip(NEXT) | instid1(VALU_DEP_1)
	s_cmp_eq_u32 s1, 0
	v_cmp_gt_i32_e32 vcc_lo, s1, v41
	s_cselect_b32 s4, -1, 0
	s_delay_alu instid0(SALU_CYCLE_1) | instskip(NEXT) | instid1(SALU_CYCLE_1)
	s_or_b32 s4, s4, vcc_lo
	s_and_b32 exec_lo, exec_lo, s4
	s_cbranch_execz .LBB18_10
; %bb.8:
	v_mov_b32_e32 v42, s1
.LBB18_9:                               ; =>This Inner Loop Header: Depth=1
	ds_cmpstore_rtn_b32 v42, v2, v41, v42 offset:76
	s_waitcnt lgkmcnt(0)
	v_cmp_ne_u32_e32 vcc_lo, 0, v42
	v_cmp_le_i32_e64 s1, v42, v41
	s_delay_alu instid0(VALU_DEP_1) | instskip(NEXT) | instid1(SALU_CYCLE_1)
	s_and_b32 s1, vcc_lo, s1
	s_and_b32 s1, exec_lo, s1
	s_delay_alu instid0(SALU_CYCLE_1) | instskip(NEXT) | instid1(SALU_CYCLE_1)
	s_or_b32 s3, s1, s3
	s_and_not1_b32 exec_lo, exec_lo, s3
	s_cbranch_execnz .LBB18_9
.LBB18_10:
	s_or_b32 exec_lo, exec_lo, s2
	v_mov_b32_e32 v2, 0
	s_barrier
	buffer_gl0_inv
	ds_load_b32 v41, v2 offset:76
	s_and_saveexec_b32 s1, s0
	s_cbranch_execz .LBB18_12
; %bb.11:
	s_lshl_b64 s[2:3], s[14:15], 2
	s_delay_alu instid0(SALU_CYCLE_1)
	s_add_u32 s2, s6, s2
	s_addc_u32 s3, s7, s3
	s_waitcnt lgkmcnt(0)
	global_store_b32 v2, v41, s[2:3]
.LBB18_12:
	s_or_b32 exec_lo, exec_lo, s1
	s_waitcnt lgkmcnt(0)
	v_cmp_ne_u32_e32 vcc_lo, 0, v41
	s_mov_b32 s1, 0
	s_cbranch_vccnz .LBB18_82
; %bb.13:
	v_add_nc_u32_e32 v2, 0, v1
	scratch_load_b32 v41, v2, off
	s_waitcnt vmcnt(0)
	v_div_scale_f32 v42, null, v41, v41, 1.0
	v_div_scale_f32 v45, vcc_lo, 1.0, v41, 1.0
	s_delay_alu instid0(VALU_DEP_2) | instskip(SKIP_2) | instid1(VALU_DEP_1)
	v_rcp_f32_e32 v43, v42
	s_waitcnt_depctr 0xfff
	v_fma_f32 v44, -v42, v43, 1.0
	v_fmac_f32_e32 v43, v44, v43
	s_delay_alu instid0(VALU_DEP_1) | instskip(NEXT) | instid1(VALU_DEP_1)
	v_mul_f32_e32 v44, v45, v43
	v_fma_f32 v46, -v42, v44, v45
	s_delay_alu instid0(VALU_DEP_1) | instskip(NEXT) | instid1(VALU_DEP_1)
	v_fmac_f32_e32 v44, v46, v43
	v_fma_f32 v42, -v42, v44, v45
	s_delay_alu instid0(VALU_DEP_1) | instskip(NEXT) | instid1(VALU_DEP_1)
	v_div_fmas_f32 v42, v42, v43, v44
	v_div_fixup_f32 v41, v42, v41, 1.0
	scratch_store_b32 v2, v41, off
	scratch_load_b32 v42, off, off offset:4
	v_xor_b32_e32 v43, 0x80000000, v41
	v_add_nc_u32_e32 v41, 0x50, v1
	s_waitcnt vmcnt(0)
	ds_store_2addr_b32 v1, v43, v42 offset1:20
	s_waitcnt lgkmcnt(0)
	s_waitcnt_vscnt null, 0x0
	s_barrier
	buffer_gl0_inv
	s_and_saveexec_b32 s1, s0
	s_cbranch_execz .LBB18_15
; %bb.14:
	scratch_load_b32 v42, v2, off
	ds_load_b32 v43, v41
	v_mov_b32_e32 v44, 0
	ds_load_b32 v44, v44 offset:4
	s_waitcnt vmcnt(0) lgkmcnt(1)
	v_fma_f32 v42, v42, v43, 0
	s_waitcnt lgkmcnt(0)
	s_delay_alu instid0(VALU_DEP_1)
	v_mul_f32_e32 v42, v42, v44
	scratch_store_b32 off, v42, off offset:4
.LBB18_15:
	s_or_b32 exec_lo, exec_lo, s1
	s_waitcnt_vscnt null, 0x0
	s_barrier
	buffer_gl0_inv
	scratch_load_b32 v42, off, off offset:8
	s_mov_b32 s1, exec_lo
	s_waitcnt vmcnt(0)
	ds_store_b32 v41, v42
	s_waitcnt lgkmcnt(0)
	s_barrier
	buffer_gl0_inv
	v_cmpx_gt_u32_e32 2, v0
	s_cbranch_execz .LBB18_17
; %bb.16:
	scratch_load_b32 v44, v2, off
	scratch_load_b32 v45, off, off offset:4
	ds_load_b32 v46, v41
	v_mov_b32_e32 v42, 0
	ds_load_2addr_b32 v[42:43], v42 offset0:2 offset1:21
	s_waitcnt vmcnt(1) lgkmcnt(1)
	v_fma_f32 v44, v44, v46, 0
	s_waitcnt vmcnt(0) lgkmcnt(0)
	s_delay_alu instid0(VALU_DEP_1) | instskip(NEXT) | instid1(VALU_DEP_1)
	v_fma_f32 v43, v45, v43, v44
	v_cndmask_b32_e64 v43, v44, v43, s0
	s_delay_alu instid0(VALU_DEP_1)
	v_mul_f32_e32 v42, v43, v42
	scratch_store_b32 off, v42, off offset:8
.LBB18_17:
	s_or_b32 exec_lo, exec_lo, s1
	s_waitcnt_vscnt null, 0x0
	s_barrier
	buffer_gl0_inv
	scratch_load_b32 v43, off, off offset:12
	v_add_nc_u32_e32 v42, -1, v0
	s_mov_b32 s0, exec_lo
	s_waitcnt vmcnt(0)
	ds_store_b32 v41, v43
	s_waitcnt lgkmcnt(0)
	s_barrier
	buffer_gl0_inv
	v_cmpx_gt_u32_e32 3, v0
	s_cbranch_execz .LBB18_21
; %bb.18:
	v_dual_mov_b32 v43, 0 :: v_dual_add_nc_u32 v44, -1, v0
	v_add_nc_u32_e32 v45, 0x50, v1
	v_add_nc_u32_e32 v46, 0, v1
	s_mov_b32 s1, 0
.LBB18_19:                              ; =>This Inner Loop Header: Depth=1
	scratch_load_b32 v47, v46, off
	ds_load_b32 v48, v45
	v_add_nc_u32_e32 v44, 1, v44
	v_add_nc_u32_e32 v45, 4, v45
	v_add_nc_u32_e32 v46, 4, v46
	s_delay_alu instid0(VALU_DEP_3)
	v_cmp_lt_u32_e32 vcc_lo, 1, v44
	s_or_b32 s1, vcc_lo, s1
	s_waitcnt vmcnt(0) lgkmcnt(0)
	v_fmac_f32_e32 v43, v47, v48
	s_and_not1_b32 exec_lo, exec_lo, s1
	s_cbranch_execnz .LBB18_19
; %bb.20:
	s_or_b32 exec_lo, exec_lo, s1
	v_mov_b32_e32 v44, 0
	ds_load_b32 v44, v44 offset:12
	s_waitcnt lgkmcnt(0)
	v_mul_f32_e32 v43, v43, v44
	scratch_store_b32 off, v43, off offset:12
.LBB18_21:
	s_or_b32 exec_lo, exec_lo, s0
	s_waitcnt_vscnt null, 0x0
	s_barrier
	buffer_gl0_inv
	scratch_load_b32 v43, off, off offset:16
	s_mov_b32 s0, exec_lo
	s_waitcnt vmcnt(0)
	ds_store_b32 v41, v43
	s_waitcnt lgkmcnt(0)
	s_barrier
	buffer_gl0_inv
	v_cmpx_gt_u32_e32 4, v0
	s_cbranch_execz .LBB18_25
; %bb.22:
	v_dual_mov_b32 v43, 0 :: v_dual_add_nc_u32 v44, -1, v0
	v_add_nc_u32_e32 v45, 0x50, v1
	v_add_nc_u32_e32 v46, 0, v1
	s_mov_b32 s1, 0
.LBB18_23:                              ; =>This Inner Loop Header: Depth=1
	scratch_load_b32 v47, v46, off
	ds_load_b32 v48, v45
	v_add_nc_u32_e32 v44, 1, v44
	v_add_nc_u32_e32 v45, 4, v45
	v_add_nc_u32_e32 v46, 4, v46
	s_delay_alu instid0(VALU_DEP_3)
	v_cmp_lt_u32_e32 vcc_lo, 2, v44
	s_or_b32 s1, vcc_lo, s1
	s_waitcnt vmcnt(0) lgkmcnt(0)
	v_fmac_f32_e32 v43, v47, v48
	s_and_not1_b32 exec_lo, exec_lo, s1
	s_cbranch_execnz .LBB18_23
; %bb.24:
	s_or_b32 exec_lo, exec_lo, s1
	v_mov_b32_e32 v44, 0
	ds_load_b32 v44, v44 offset:16
	s_waitcnt lgkmcnt(0)
	v_mul_f32_e32 v43, v43, v44
	scratch_store_b32 off, v43, off offset:16
.LBB18_25:
	s_or_b32 exec_lo, exec_lo, s0
	s_waitcnt_vscnt null, 0x0
	s_barrier
	buffer_gl0_inv
	scratch_load_b32 v43, off, off offset:20
	;; [unrolled: 39-line block ×14, first 2 shown]
	s_mov_b32 s0, exec_lo
	s_waitcnt vmcnt(0)
	ds_store_b32 v41, v43
	s_waitcnt lgkmcnt(0)
	s_barrier
	buffer_gl0_inv
	v_cmpx_gt_u32_e32 17, v0
	s_cbranch_execz .LBB18_77
; %bb.74:
	v_add_nc_u32_e32 v43, -1, v0
	v_add_nc_u32_e32 v44, 0x50, v1
	v_add_nc_u32_e32 v45, 0, v1
	v_mov_b32_e32 v1, 0
	s_mov_b32 s1, 0
.LBB18_75:                              ; =>This Inner Loop Header: Depth=1
	scratch_load_b32 v46, v45, off
	ds_load_b32 v47, v44
	v_add_nc_u32_e32 v43, 1, v43
	v_add_nc_u32_e32 v44, 4, v44
	;; [unrolled: 1-line block ×3, first 2 shown]
	s_delay_alu instid0(VALU_DEP_3)
	v_cmp_lt_u32_e32 vcc_lo, 15, v43
	s_or_b32 s1, vcc_lo, s1
	s_waitcnt vmcnt(0) lgkmcnt(0)
	v_fmac_f32_e32 v1, v46, v47
	s_and_not1_b32 exec_lo, exec_lo, s1
	s_cbranch_execnz .LBB18_75
; %bb.76:
	s_or_b32 exec_lo, exec_lo, s1
	v_mov_b32_e32 v43, 0
	ds_load_b32 v43, v43 offset:68
	s_waitcnt lgkmcnt(0)
	v_mul_f32_e32 v1, v1, v43
	scratch_store_b32 off, v1, off offset:68
.LBB18_77:
	s_or_b32 exec_lo, exec_lo, s0
	s_waitcnt_vscnt null, 0x0
	s_barrier
	buffer_gl0_inv
	scratch_load_b32 v1, off, off offset:72
	s_mov_b32 s0, exec_lo
	s_waitcnt vmcnt(0)
	ds_store_b32 v41, v1
	s_waitcnt lgkmcnt(0)
	s_barrier
	buffer_gl0_inv
	v_cmpx_ne_u32_e32 18, v0
	s_cbranch_execz .LBB18_81
; %bb.78:
	v_mov_b32_e32 v1, 0
	s_mov_b32 s1, 0
.LBB18_79:                              ; =>This Inner Loop Header: Depth=1
	scratch_load_b32 v43, v2, off
	ds_load_b32 v44, v41
	v_add_nc_u32_e32 v42, 1, v42
	v_add_nc_u32_e32 v41, 4, v41
	s_waitcnt vmcnt(0) lgkmcnt(0)
	v_dual_fmac_f32 v1, v43, v44 :: v_dual_add_nc_u32 v2, 4, v2
	s_delay_alu instid0(VALU_DEP_3) | instskip(SKIP_1) | instid1(SALU_CYCLE_1)
	v_cmp_lt_u32_e32 vcc_lo, 16, v42
	s_or_b32 s1, vcc_lo, s1
	s_and_not1_b32 exec_lo, exec_lo, s1
	s_cbranch_execnz .LBB18_79
; %bb.80:
	s_or_b32 exec_lo, exec_lo, s1
	v_mov_b32_e32 v2, 0
	ds_load_b32 v2, v2 offset:72
	s_waitcnt lgkmcnt(0)
	v_mul_f32_e32 v1, v1, v2
	scratch_store_b32 off, v1, off offset:72
.LBB18_81:
	s_or_b32 exec_lo, exec_lo, s0
	s_mov_b32 s1, -1
	s_waitcnt_vscnt null, 0x0
	s_barrier
	buffer_gl0_inv
.LBB18_82:
	s_and_b32 vcc_lo, exec_lo, s1
	s_cbranch_vccz .LBB18_84
; %bb.83:
	s_lshl_b64 s[0:1], s[14:15], 2
	v_mov_b32_e32 v1, 0
	s_add_u32 s0, s6, s0
	s_addc_u32 s1, s7, s1
	global_load_b32 v1, v1, s[0:1]
	s_waitcnt vmcnt(0)
	v_cmp_ne_u32_e32 vcc_lo, 0, v1
	s_cbranch_vccz .LBB18_85
.LBB18_84:
	s_endpgm
.LBB18_85:
	v_lshl_add_u32 v1, v0, 2, 0x50
	s_mov_b32 s0, exec_lo
	v_cmpx_eq_u32_e32 18, v0
	s_cbranch_execz .LBB18_87
; %bb.86:
	scratch_load_b32 v2, off, off offset:68
	v_mov_b32_e32 v41, 0
	scratch_store_b32 off, v41, off offset:68
	s_waitcnt vmcnt(0)
	ds_store_b32 v1, v2
.LBB18_87:
	s_or_b32 exec_lo, exec_lo, s0
	s_waitcnt lgkmcnt(0)
	s_waitcnt_vscnt null, 0x0
	s_barrier
	buffer_gl0_inv
	scratch_load_b64 v[41:42], off, off offset:68
	v_mov_b32_e32 v2, 0
	s_mov_b32 s0, exec_lo
	ds_load_b32 v43, v2 offset:152
	s_waitcnt vmcnt(0) lgkmcnt(0)
	v_fma_f32 v42, v42, v43, 0
	s_delay_alu instid0(VALU_DEP_1)
	v_sub_f32_e32 v41, v41, v42
	scratch_store_b32 off, v41, off offset:68
	v_cmpx_lt_u32_e32 16, v0
	s_cbranch_execz .LBB18_89
; %bb.88:
	scratch_load_b32 v41, off, off offset:64
	scratch_store_b32 off, v2, off offset:64
	s_waitcnt vmcnt(0)
	ds_store_b32 v1, v41
.LBB18_89:
	s_or_b32 exec_lo, exec_lo, s0
	s_waitcnt lgkmcnt(0)
	s_waitcnt_vscnt null, 0x0
	s_barrier
	buffer_gl0_inv
	scratch_load_b96 v[41:43], off, off offset:64
	ds_load_2addr_b32 v[44:45], v2 offset0:37 offset1:38
	s_mov_b32 s0, exec_lo
	s_waitcnt vmcnt(0) lgkmcnt(0)
	v_fma_f32 v2, v42, v44, 0
	s_delay_alu instid0(VALU_DEP_1) | instskip(NEXT) | instid1(VALU_DEP_1)
	v_fmac_f32_e32 v2, v43, v45
	v_sub_f32_e32 v2, v41, v2
	scratch_store_b32 off, v2, off offset:64
	v_cmpx_lt_u32_e32 15, v0
	s_cbranch_execz .LBB18_91
; %bb.90:
	scratch_load_b32 v2, off, off offset:60
	v_mov_b32_e32 v41, 0
	scratch_store_b32 off, v41, off offset:60
	s_waitcnt vmcnt(0)
	ds_store_b32 v1, v2
.LBB18_91:
	s_or_b32 exec_lo, exec_lo, s0
	s_waitcnt lgkmcnt(0)
	s_waitcnt_vscnt null, 0x0
	s_barrier
	buffer_gl0_inv
	scratch_load_b128 v[41:44], off, off offset:60
	v_mov_b32_e32 v2, 0
	s_mov_b32 s0, exec_lo
	ds_load_b96 v[45:47], v2 offset:144
	s_waitcnt vmcnt(0) lgkmcnt(0)
	v_fma_f32 v42, v42, v45, 0
	s_delay_alu instid0(VALU_DEP_1) | instskip(NEXT) | instid1(VALU_DEP_1)
	v_fmac_f32_e32 v42, v43, v46
	v_fmac_f32_e32 v42, v44, v47
	s_delay_alu instid0(VALU_DEP_1)
	v_sub_f32_e32 v41, v41, v42
	scratch_store_b32 off, v41, off offset:60
	v_cmpx_lt_u32_e32 14, v0
	s_cbranch_execz .LBB18_93
; %bb.92:
	scratch_load_b32 v41, off, off offset:56
	scratch_store_b32 off, v2, off offset:56
	s_waitcnt vmcnt(0)
	ds_store_b32 v1, v41
.LBB18_93:
	s_or_b32 exec_lo, exec_lo, s0
	s_waitcnt lgkmcnt(0)
	s_waitcnt_vscnt null, 0x0
	s_barrier
	buffer_gl0_inv
	s_clause 0x1
	scratch_load_b128 v[41:44], off, off offset:56
	scratch_load_b32 v49, off, off offset:72
	ds_load_2addr_b32 v[45:46], v2 offset0:35 offset1:36
	ds_load_2addr_b32 v[47:48], v2 offset0:37 offset1:38
	s_mov_b32 s0, exec_lo
	s_waitcnt vmcnt(1) lgkmcnt(1)
	v_fma_f32 v2, v42, v45, 0
	s_delay_alu instid0(VALU_DEP_1) | instskip(SKIP_1) | instid1(VALU_DEP_1)
	v_fmac_f32_e32 v2, v43, v46
	s_waitcnt lgkmcnt(0)
	v_fmac_f32_e32 v2, v44, v47
	s_waitcnt vmcnt(0)
	s_delay_alu instid0(VALU_DEP_1) | instskip(NEXT) | instid1(VALU_DEP_1)
	v_fmac_f32_e32 v2, v49, v48
	v_sub_f32_e32 v2, v41, v2
	scratch_store_b32 off, v2, off offset:56
	v_cmpx_lt_u32_e32 13, v0
	s_cbranch_execz .LBB18_95
; %bb.94:
	scratch_load_b32 v2, off, off offset:52
	v_mov_b32_e32 v41, 0
	scratch_store_b32 off, v41, off offset:52
	s_waitcnt vmcnt(0)
	ds_store_b32 v1, v2
.LBB18_95:
	s_or_b32 exec_lo, exec_lo, s0
	s_waitcnt lgkmcnt(0)
	s_waitcnt_vscnt null, 0x0
	s_barrier
	buffer_gl0_inv
	s_clause 0x1
	scratch_load_b128 v[41:44], off, off offset:52
	scratch_load_b64 v[49:50], off, off offset:68
	v_mov_b32_e32 v2, 0
	ds_load_2addr_b64 v[45:48], v2 offset0:17 offset1:18
	ds_load_b32 v51, v2 offset:152
	s_mov_b32 s0, exec_lo
	s_waitcnt vmcnt(1) lgkmcnt(1)
	v_fma_f32 v42, v42, v45, 0
	s_delay_alu instid0(VALU_DEP_1) | instskip(NEXT) | instid1(VALU_DEP_1)
	v_fmac_f32_e32 v42, v43, v46
	v_fmac_f32_e32 v42, v44, v47
	s_waitcnt vmcnt(0)
	s_delay_alu instid0(VALU_DEP_1) | instskip(SKIP_1) | instid1(VALU_DEP_1)
	v_fmac_f32_e32 v42, v49, v48
	s_waitcnt lgkmcnt(0)
	v_fmac_f32_e32 v42, v50, v51
	s_delay_alu instid0(VALU_DEP_1)
	v_sub_f32_e32 v41, v41, v42
	scratch_store_b32 off, v41, off offset:52
	v_cmpx_lt_u32_e32 12, v0
	s_cbranch_execz .LBB18_97
; %bb.96:
	scratch_load_b32 v41, off, off offset:48
	scratch_store_b32 off, v2, off offset:48
	s_waitcnt vmcnt(0)
	ds_store_b32 v1, v41
.LBB18_97:
	s_or_b32 exec_lo, exec_lo, s0
	s_waitcnt lgkmcnt(0)
	s_waitcnt_vscnt null, 0x0
	s_barrier
	buffer_gl0_inv
	s_clause 0x1
	scratch_load_b128 v[41:44], off, off offset:48
	scratch_load_b96 v[45:47], off, off offset:64
	ds_load_2addr_b32 v[48:49], v2 offset0:33 offset1:34
	ds_load_2addr_b32 v[50:51], v2 offset0:35 offset1:36
	;; [unrolled: 1-line block ×3, first 2 shown]
	s_mov_b32 s0, exec_lo
	s_waitcnt vmcnt(1) lgkmcnt(2)
	v_fma_f32 v2, v42, v48, 0
	s_delay_alu instid0(VALU_DEP_1) | instskip(SKIP_1) | instid1(VALU_DEP_1)
	v_fmac_f32_e32 v2, v43, v49
	s_waitcnt lgkmcnt(1)
	v_fmac_f32_e32 v2, v44, v50
	s_waitcnt vmcnt(0)
	s_delay_alu instid0(VALU_DEP_1) | instskip(SKIP_1) | instid1(VALU_DEP_1)
	v_fmac_f32_e32 v2, v45, v51
	s_waitcnt lgkmcnt(0)
	v_fmac_f32_e32 v2, v46, v52
	s_delay_alu instid0(VALU_DEP_1) | instskip(NEXT) | instid1(VALU_DEP_1)
	v_fmac_f32_e32 v2, v47, v53
	v_sub_f32_e32 v2, v41, v2
	scratch_store_b32 off, v2, off offset:48
	v_cmpx_lt_u32_e32 11, v0
	s_cbranch_execz .LBB18_99
; %bb.98:
	scratch_load_b32 v2, off, off offset:44
	v_mov_b32_e32 v41, 0
	scratch_store_b32 off, v41, off offset:44
	s_waitcnt vmcnt(0)
	ds_store_b32 v1, v2
.LBB18_99:
	s_or_b32 exec_lo, exec_lo, s0
	s_waitcnt lgkmcnt(0)
	s_waitcnt_vscnt null, 0x0
	s_barrier
	buffer_gl0_inv
	s_clause 0x1
	scratch_load_b128 v[41:44], off, off offset:44
	scratch_load_b128 v[45:48], off, off offset:60
	v_mov_b32_e32 v2, 0
	ds_load_b128 v[49:52], v2 offset:128
	ds_load_b96 v[53:55], v2 offset:144
	s_mov_b32 s0, exec_lo
	s_waitcnt vmcnt(1) lgkmcnt(1)
	v_fma_f32 v42, v42, v49, 0
	s_delay_alu instid0(VALU_DEP_1) | instskip(NEXT) | instid1(VALU_DEP_1)
	v_fmac_f32_e32 v42, v43, v50
	v_fmac_f32_e32 v42, v44, v51
	s_waitcnt vmcnt(0)
	s_delay_alu instid0(VALU_DEP_1) | instskip(SKIP_1) | instid1(VALU_DEP_1)
	v_fmac_f32_e32 v42, v45, v52
	s_waitcnt lgkmcnt(0)
	v_fmac_f32_e32 v42, v46, v53
	s_delay_alu instid0(VALU_DEP_1) | instskip(NEXT) | instid1(VALU_DEP_1)
	v_fmac_f32_e32 v42, v47, v54
	v_fmac_f32_e32 v42, v48, v55
	s_delay_alu instid0(VALU_DEP_1)
	v_sub_f32_e32 v41, v41, v42
	scratch_store_b32 off, v41, off offset:44
	v_cmpx_lt_u32_e32 10, v0
	s_cbranch_execz .LBB18_101
; %bb.100:
	scratch_load_b32 v41, off, off offset:40
	scratch_store_b32 off, v2, off offset:40
	s_waitcnt vmcnt(0)
	ds_store_b32 v1, v41
.LBB18_101:
	s_or_b32 exec_lo, exec_lo, s0
	s_waitcnt lgkmcnt(0)
	s_waitcnt_vscnt null, 0x0
	s_barrier
	buffer_gl0_inv
	s_clause 0x2
	scratch_load_b128 v[41:44], off, off offset:40
	scratch_load_b128 v[45:48], off, off offset:56
	scratch_load_b32 v57, off, off offset:72
	ds_load_2addr_b32 v[49:50], v2 offset0:31 offset1:32
	ds_load_2addr_b32 v[51:52], v2 offset0:33 offset1:34
	;; [unrolled: 1-line block ×4, first 2 shown]
	s_mov_b32 s0, exec_lo
	s_waitcnt vmcnt(2) lgkmcnt(3)
	v_fma_f32 v2, v42, v49, 0
	s_delay_alu instid0(VALU_DEP_1) | instskip(SKIP_1) | instid1(VALU_DEP_1)
	v_fmac_f32_e32 v2, v43, v50
	s_waitcnt lgkmcnt(2)
	v_fmac_f32_e32 v2, v44, v51
	s_waitcnt vmcnt(1)
	s_delay_alu instid0(VALU_DEP_1) | instskip(SKIP_1) | instid1(VALU_DEP_1)
	v_fmac_f32_e32 v2, v45, v52
	s_waitcnt lgkmcnt(1)
	v_fmac_f32_e32 v2, v46, v53
	s_delay_alu instid0(VALU_DEP_1) | instskip(SKIP_1) | instid1(VALU_DEP_1)
	v_fmac_f32_e32 v2, v47, v54
	s_waitcnt lgkmcnt(0)
	v_fmac_f32_e32 v2, v48, v55
	s_waitcnt vmcnt(0)
	s_delay_alu instid0(VALU_DEP_1) | instskip(NEXT) | instid1(VALU_DEP_1)
	v_fmac_f32_e32 v2, v57, v56
	v_sub_f32_e32 v2, v41, v2
	scratch_store_b32 off, v2, off offset:40
	v_cmpx_lt_u32_e32 9, v0
	s_cbranch_execz .LBB18_103
; %bb.102:
	scratch_load_b32 v2, off, off offset:36
	v_mov_b32_e32 v41, 0
	scratch_store_b32 off, v41, off offset:36
	s_waitcnt vmcnt(0)
	ds_store_b32 v1, v2
.LBB18_103:
	s_or_b32 exec_lo, exec_lo, s0
	s_waitcnt lgkmcnt(0)
	s_waitcnt_vscnt null, 0x0
	s_barrier
	buffer_gl0_inv
	s_clause 0x2
	scratch_load_b128 v[41:44], off, off offset:36
	scratch_load_b128 v[45:48], off, off offset:52
	scratch_load_b64 v[57:58], off, off offset:68
	v_mov_b32_e32 v2, 0
	ds_load_2addr_b64 v[49:52], v2 offset0:15 offset1:16
	ds_load_2addr_b64 v[53:56], v2 offset0:17 offset1:18
	s_mov_b32 s0, exec_lo
	s_waitcnt vmcnt(2) lgkmcnt(1)
	v_fma_f32 v42, v42, v49, 0
	s_delay_alu instid0(VALU_DEP_1) | instskip(SKIP_3) | instid1(VALU_DEP_1)
	v_fmac_f32_e32 v42, v43, v50
	ds_load_b32 v43, v2 offset:152
	v_fmac_f32_e32 v42, v44, v51
	s_waitcnt vmcnt(1)
	v_fmac_f32_e32 v42, v45, v52
	s_waitcnt lgkmcnt(1)
	s_delay_alu instid0(VALU_DEP_1) | instskip(NEXT) | instid1(VALU_DEP_1)
	v_fmac_f32_e32 v42, v46, v53
	v_fmac_f32_e32 v42, v47, v54
	s_delay_alu instid0(VALU_DEP_1) | instskip(SKIP_1) | instid1(VALU_DEP_1)
	v_fmac_f32_e32 v42, v48, v55
	s_waitcnt vmcnt(0)
	v_fmac_f32_e32 v42, v57, v56
	s_waitcnt lgkmcnt(0)
	s_delay_alu instid0(VALU_DEP_1) | instskip(NEXT) | instid1(VALU_DEP_1)
	v_fmac_f32_e32 v42, v58, v43
	v_sub_f32_e32 v41, v41, v42
	scratch_store_b32 off, v41, off offset:36
	v_cmpx_lt_u32_e32 8, v0
	s_cbranch_execz .LBB18_105
; %bb.104:
	scratch_load_b32 v41, off, off offset:32
	scratch_store_b32 off, v2, off offset:32
	s_waitcnt vmcnt(0)
	ds_store_b32 v1, v41
.LBB18_105:
	s_or_b32 exec_lo, exec_lo, s0
	s_waitcnt lgkmcnt(0)
	s_waitcnt_vscnt null, 0x0
	s_barrier
	buffer_gl0_inv
	s_clause 0x2
	scratch_load_b128 v[41:44], off, off offset:32
	scratch_load_b128 v[45:48], off, off offset:48
	scratch_load_b96 v[49:51], off, off offset:64
	ds_load_2addr_b32 v[52:53], v2 offset0:29 offset1:30
	ds_load_2addr_b32 v[54:55], v2 offset0:31 offset1:32
	;; [unrolled: 1-line block ×4, first 2 shown]
	s_mov_b32 s0, exec_lo
	s_waitcnt vmcnt(2) lgkmcnt(3)
	v_fma_f32 v52, v42, v52, 0
	s_delay_alu instid0(VALU_DEP_1) | instskip(SKIP_4) | instid1(VALU_DEP_1)
	v_fmac_f32_e32 v52, v43, v53
	ds_load_2addr_b32 v[42:43], v2 offset0:37 offset1:38
	s_waitcnt lgkmcnt(3)
	v_fmac_f32_e32 v52, v44, v54
	s_waitcnt vmcnt(1)
	v_fmac_f32_e32 v52, v45, v55
	s_waitcnt lgkmcnt(2)
	s_delay_alu instid0(VALU_DEP_1) | instskip(NEXT) | instid1(VALU_DEP_1)
	v_fmac_f32_e32 v52, v46, v56
	v_fmac_f32_e32 v52, v47, v57
	s_waitcnt lgkmcnt(1)
	s_delay_alu instid0(VALU_DEP_1) | instskip(SKIP_1) | instid1(VALU_DEP_1)
	v_fmac_f32_e32 v52, v48, v58
	s_waitcnt vmcnt(0)
	v_fmac_f32_e32 v52, v49, v59
	s_waitcnt lgkmcnt(0)
	s_delay_alu instid0(VALU_DEP_1) | instskip(NEXT) | instid1(VALU_DEP_1)
	v_fmac_f32_e32 v52, v50, v42
	v_fmac_f32_e32 v52, v51, v43
	s_delay_alu instid0(VALU_DEP_1)
	v_sub_f32_e32 v2, v41, v52
	scratch_store_b32 off, v2, off offset:32
	v_cmpx_lt_u32_e32 7, v0
	s_cbranch_execz .LBB18_107
; %bb.106:
	scratch_load_b32 v2, off, off offset:28
	v_mov_b32_e32 v41, 0
	scratch_store_b32 off, v41, off offset:28
	s_waitcnt vmcnt(0)
	ds_store_b32 v1, v2
.LBB18_107:
	s_or_b32 exec_lo, exec_lo, s0
	s_waitcnt lgkmcnt(0)
	s_waitcnt_vscnt null, 0x0
	s_barrier
	buffer_gl0_inv
	s_clause 0x2
	scratch_load_b128 v[41:44], off, off offset:28
	scratch_load_b128 v[45:48], off, off offset:44
	;; [unrolled: 1-line block ×3, first 2 shown]
	v_mov_b32_e32 v2, 0
	ds_load_b128 v[53:56], v2 offset:112
	ds_load_b128 v[57:60], v2 offset:128
	s_mov_b32 s0, exec_lo
	s_waitcnt vmcnt(2) lgkmcnt(1)
	v_fma_f32 v53, v42, v53, 0
	s_delay_alu instid0(VALU_DEP_1) | instskip(NEXT) | instid1(VALU_DEP_1)
	v_fmac_f32_e32 v53, v43, v54
	v_fmac_f32_e32 v53, v44, v55
	ds_load_b96 v[42:44], v2 offset:144
	s_waitcnt vmcnt(1)
	v_fmac_f32_e32 v53, v45, v56
	s_waitcnt lgkmcnt(1)
	s_delay_alu instid0(VALU_DEP_1) | instskip(NEXT) | instid1(VALU_DEP_1)
	v_fmac_f32_e32 v53, v46, v57
	v_fmac_f32_e32 v53, v47, v58
	s_delay_alu instid0(VALU_DEP_1) | instskip(SKIP_1) | instid1(VALU_DEP_1)
	v_fmac_f32_e32 v53, v48, v59
	s_waitcnt vmcnt(0)
	v_fmac_f32_e32 v53, v49, v60
	s_waitcnt lgkmcnt(0)
	s_delay_alu instid0(VALU_DEP_1) | instskip(NEXT) | instid1(VALU_DEP_1)
	v_fmac_f32_e32 v53, v50, v42
	v_fmac_f32_e32 v53, v51, v43
	s_delay_alu instid0(VALU_DEP_1) | instskip(NEXT) | instid1(VALU_DEP_1)
	v_fmac_f32_e32 v53, v52, v44
	v_sub_f32_e32 v41, v41, v53
	scratch_store_b32 off, v41, off offset:28
	v_cmpx_lt_u32_e32 6, v0
	s_cbranch_execz .LBB18_109
; %bb.108:
	scratch_load_b32 v41, off, off offset:24
	scratch_store_b32 off, v2, off offset:24
	s_waitcnt vmcnt(0)
	ds_store_b32 v1, v41
.LBB18_109:
	s_or_b32 exec_lo, exec_lo, s0
	s_waitcnt lgkmcnt(0)
	s_waitcnt_vscnt null, 0x0
	s_barrier
	buffer_gl0_inv
	s_clause 0x3
	scratch_load_b128 v[41:44], off, off offset:24
	scratch_load_b128 v[45:48], off, off offset:40
	;; [unrolled: 1-line block ×3, first 2 shown]
	scratch_load_b32 v61, off, off offset:72
	ds_load_2addr_b32 v[53:54], v2 offset0:27 offset1:28
	ds_load_2addr_b32 v[55:56], v2 offset0:29 offset1:30
	;; [unrolled: 1-line block ×4, first 2 shown]
	s_mov_b32 s0, exec_lo
	s_waitcnt vmcnt(3) lgkmcnt(3)
	v_fma_f32 v53, v42, v53, 0
	s_delay_alu instid0(VALU_DEP_1) | instskip(SKIP_4) | instid1(VALU_DEP_1)
	v_fmac_f32_e32 v53, v43, v54
	ds_load_2addr_b32 v[42:43], v2 offset0:35 offset1:36
	s_waitcnt lgkmcnt(3)
	v_fmac_f32_e32 v53, v44, v55
	s_waitcnt vmcnt(2)
	v_fmac_f32_e32 v53, v45, v56
	ds_load_2addr_b32 v[44:45], v2 offset0:37 offset1:38
	s_waitcnt lgkmcnt(3)
	v_fmac_f32_e32 v53, v46, v57
	s_delay_alu instid0(VALU_DEP_1) | instskip(SKIP_1) | instid1(VALU_DEP_1)
	v_fmac_f32_e32 v53, v47, v58
	s_waitcnt lgkmcnt(2)
	v_fmac_f32_e32 v53, v48, v59
	s_waitcnt vmcnt(1)
	s_delay_alu instid0(VALU_DEP_1) | instskip(SKIP_1) | instid1(VALU_DEP_1)
	v_fmac_f32_e32 v53, v49, v60
	s_waitcnt lgkmcnt(1)
	v_fmac_f32_e32 v53, v50, v42
	s_delay_alu instid0(VALU_DEP_1) | instskip(SKIP_1) | instid1(VALU_DEP_1)
	v_fmac_f32_e32 v53, v51, v43
	s_waitcnt lgkmcnt(0)
	v_fmac_f32_e32 v53, v52, v44
	s_waitcnt vmcnt(0)
	s_delay_alu instid0(VALU_DEP_1) | instskip(NEXT) | instid1(VALU_DEP_1)
	v_fmac_f32_e32 v53, v61, v45
	v_sub_f32_e32 v2, v41, v53
	scratch_store_b32 off, v2, off offset:24
	v_cmpx_lt_u32_e32 5, v0
	s_cbranch_execz .LBB18_111
; %bb.110:
	scratch_load_b32 v2, off, off offset:20
	v_mov_b32_e32 v41, 0
	scratch_store_b32 off, v41, off offset:20
	s_waitcnt vmcnt(0)
	ds_store_b32 v1, v2
.LBB18_111:
	s_or_b32 exec_lo, exec_lo, s0
	s_waitcnt lgkmcnt(0)
	s_waitcnt_vscnt null, 0x0
	s_barrier
	buffer_gl0_inv
	s_clause 0x3
	scratch_load_b128 v[41:44], off, off offset:20
	scratch_load_b128 v[45:48], off, off offset:36
	;; [unrolled: 1-line block ×3, first 2 shown]
	scratch_load_b64 v[61:62], off, off offset:68
	v_mov_b32_e32 v2, 0
	ds_load_2addr_b64 v[53:56], v2 offset0:13 offset1:14
	ds_load_2addr_b64 v[57:60], v2 offset0:15 offset1:16
	s_mov_b32 s0, exec_lo
	s_waitcnt vmcnt(3) lgkmcnt(1)
	v_fma_f32 v53, v42, v53, 0
	s_delay_alu instid0(VALU_DEP_1) | instskip(NEXT) | instid1(VALU_DEP_1)
	v_fmac_f32_e32 v53, v43, v54
	v_fmac_f32_e32 v53, v44, v55
	s_waitcnt vmcnt(2)
	s_delay_alu instid0(VALU_DEP_1)
	v_fmac_f32_e32 v53, v45, v56
	ds_load_2addr_b64 v[42:45], v2 offset0:17 offset1:18
	s_waitcnt lgkmcnt(1)
	v_fmac_f32_e32 v53, v46, v57
	ds_load_b32 v46, v2 offset:152
	v_fmac_f32_e32 v53, v47, v58
	s_delay_alu instid0(VALU_DEP_1) | instskip(SKIP_1) | instid1(VALU_DEP_1)
	v_fmac_f32_e32 v53, v48, v59
	s_waitcnt vmcnt(1)
	v_fmac_f32_e32 v53, v49, v60
	s_waitcnt lgkmcnt(1)
	s_delay_alu instid0(VALU_DEP_1) | instskip(NEXT) | instid1(VALU_DEP_1)
	v_fmac_f32_e32 v53, v50, v42
	v_fmac_f32_e32 v53, v51, v43
	s_delay_alu instid0(VALU_DEP_1) | instskip(SKIP_1) | instid1(VALU_DEP_1)
	v_fmac_f32_e32 v53, v52, v44
	s_waitcnt vmcnt(0)
	v_fmac_f32_e32 v53, v61, v45
	s_waitcnt lgkmcnt(0)
	s_delay_alu instid0(VALU_DEP_1) | instskip(NEXT) | instid1(VALU_DEP_1)
	v_fmac_f32_e32 v53, v62, v46
	v_sub_f32_e32 v41, v41, v53
	scratch_store_b32 off, v41, off offset:20
	v_cmpx_lt_u32_e32 4, v0
	s_cbranch_execz .LBB18_113
; %bb.112:
	scratch_load_b32 v41, off, off offset:16
	scratch_store_b32 off, v2, off offset:16
	s_waitcnt vmcnt(0)
	ds_store_b32 v1, v41
.LBB18_113:
	s_or_b32 exec_lo, exec_lo, s0
	s_waitcnt lgkmcnt(0)
	s_waitcnt_vscnt null, 0x0
	s_barrier
	buffer_gl0_inv
	s_clause 0x3
	scratch_load_b128 v[41:44], off, off offset:16
	scratch_load_b128 v[45:48], off, off offset:32
	;; [unrolled: 1-line block ×3, first 2 shown]
	scratch_load_b96 v[53:55], off, off offset:64
	ds_load_2addr_b32 v[56:57], v2 offset0:25 offset1:26
	ds_load_2addr_b32 v[58:59], v2 offset0:27 offset1:28
	;; [unrolled: 1-line block ×4, first 2 shown]
	s_mov_b32 s0, exec_lo
	s_waitcnt vmcnt(3) lgkmcnt(3)
	v_fma_f32 v56, v42, v56, 0
	s_delay_alu instid0(VALU_DEP_1) | instskip(SKIP_4) | instid1(VALU_DEP_1)
	v_fmac_f32_e32 v56, v43, v57
	ds_load_2addr_b32 v[42:43], v2 offset0:33 offset1:34
	s_waitcnt lgkmcnt(3)
	v_fmac_f32_e32 v56, v44, v58
	s_waitcnt vmcnt(2)
	v_fmac_f32_e32 v56, v45, v59
	ds_load_2addr_b32 v[44:45], v2 offset0:35 offset1:36
	s_waitcnt lgkmcnt(3)
	v_fmac_f32_e32 v56, v46, v60
	s_delay_alu instid0(VALU_DEP_1) | instskip(SKIP_4) | instid1(VALU_DEP_1)
	v_fmac_f32_e32 v56, v47, v61
	ds_load_2addr_b32 v[46:47], v2 offset0:37 offset1:38
	s_waitcnt lgkmcnt(3)
	v_fmac_f32_e32 v56, v48, v62
	s_waitcnt vmcnt(1)
	v_fmac_f32_e32 v56, v49, v63
	s_waitcnt lgkmcnt(2)
	s_delay_alu instid0(VALU_DEP_1) | instskip(NEXT) | instid1(VALU_DEP_1)
	v_fmac_f32_e32 v56, v50, v42
	v_fmac_f32_e32 v56, v51, v43
	s_waitcnt lgkmcnt(1)
	s_delay_alu instid0(VALU_DEP_1) | instskip(SKIP_1) | instid1(VALU_DEP_1)
	v_fmac_f32_e32 v56, v52, v44
	s_waitcnt vmcnt(0)
	v_fmac_f32_e32 v56, v53, v45
	s_waitcnt lgkmcnt(0)
	s_delay_alu instid0(VALU_DEP_1) | instskip(NEXT) | instid1(VALU_DEP_1)
	v_fmac_f32_e32 v56, v54, v46
	v_fmac_f32_e32 v56, v55, v47
	s_delay_alu instid0(VALU_DEP_1)
	v_sub_f32_e32 v2, v41, v56
	scratch_store_b32 off, v2, off offset:16
	v_cmpx_lt_u32_e32 3, v0
	s_cbranch_execz .LBB18_115
; %bb.114:
	scratch_load_b32 v2, off, off offset:12
	v_mov_b32_e32 v41, 0
	scratch_store_b32 off, v41, off offset:12
	s_waitcnt vmcnt(0)
	ds_store_b32 v1, v2
.LBB18_115:
	s_or_b32 exec_lo, exec_lo, s0
	s_waitcnt lgkmcnt(0)
	s_waitcnt_vscnt null, 0x0
	s_barrier
	buffer_gl0_inv
	s_clause 0x3
	scratch_load_b128 v[41:44], off, off offset:12
	scratch_load_b128 v[45:48], off, off offset:28
	;; [unrolled: 1-line block ×4, first 2 shown]
	v_mov_b32_e32 v2, 0
	ds_load_b128 v[57:60], v2 offset:96
	ds_load_b128 v[61:64], v2 offset:112
	s_mov_b32 s0, exec_lo
	s_waitcnt vmcnt(3) lgkmcnt(1)
	v_fma_f32 v57, v42, v57, 0
	s_delay_alu instid0(VALU_DEP_1) | instskip(NEXT) | instid1(VALU_DEP_1)
	v_fmac_f32_e32 v57, v43, v58
	v_fmac_f32_e32 v57, v44, v59
	s_waitcnt vmcnt(2)
	s_delay_alu instid0(VALU_DEP_1) | instskip(SKIP_3) | instid1(VALU_DEP_1)
	v_fmac_f32_e32 v57, v45, v60
	ds_load_b128 v[42:45], v2 offset:128
	s_waitcnt lgkmcnt(1)
	v_fmac_f32_e32 v57, v46, v61
	v_fmac_f32_e32 v57, v47, v62
	s_delay_alu instid0(VALU_DEP_1) | instskip(SKIP_4) | instid1(VALU_DEP_1)
	v_fmac_f32_e32 v57, v48, v63
	ds_load_b96 v[46:48], v2 offset:144
	s_waitcnt vmcnt(1)
	v_fmac_f32_e32 v57, v49, v64
	s_waitcnt lgkmcnt(1)
	v_fmac_f32_e32 v57, v50, v42
	s_delay_alu instid0(VALU_DEP_1) | instskip(NEXT) | instid1(VALU_DEP_1)
	v_fmac_f32_e32 v57, v51, v43
	v_fmac_f32_e32 v57, v52, v44
	s_waitcnt vmcnt(0)
	s_delay_alu instid0(VALU_DEP_1) | instskip(SKIP_1) | instid1(VALU_DEP_1)
	v_fmac_f32_e32 v57, v53, v45
	s_waitcnt lgkmcnt(0)
	v_fmac_f32_e32 v57, v54, v46
	s_delay_alu instid0(VALU_DEP_1) | instskip(NEXT) | instid1(VALU_DEP_1)
	v_fmac_f32_e32 v57, v55, v47
	v_fmac_f32_e32 v57, v56, v48
	s_delay_alu instid0(VALU_DEP_1)
	v_sub_f32_e32 v41, v41, v57
	scratch_store_b32 off, v41, off offset:12
	v_cmpx_lt_u32_e32 2, v0
	s_cbranch_execz .LBB18_117
; %bb.116:
	scratch_load_b32 v41, off, off offset:8
	scratch_store_b32 off, v2, off offset:8
	s_waitcnt vmcnt(0)
	ds_store_b32 v1, v41
.LBB18_117:
	s_or_b32 exec_lo, exec_lo, s0
	s_waitcnt lgkmcnt(0)
	s_waitcnt_vscnt null, 0x0
	s_barrier
	buffer_gl0_inv
	s_clause 0x4
	scratch_load_b128 v[41:44], off, off offset:8
	scratch_load_b128 v[45:48], off, off offset:24
	scratch_load_b128 v[49:52], off, off offset:40
	scratch_load_b128 v[53:56], off, off offset:56
	scratch_load_b32 v65, off, off offset:72
	ds_load_2addr_b32 v[57:58], v2 offset0:23 offset1:24
	ds_load_2addr_b32 v[59:60], v2 offset0:25 offset1:26
	;; [unrolled: 1-line block ×4, first 2 shown]
	s_mov_b32 s0, exec_lo
	s_waitcnt vmcnt(4) lgkmcnt(3)
	v_fma_f32 v57, v42, v57, 0
	s_delay_alu instid0(VALU_DEP_1) | instskip(SKIP_4) | instid1(VALU_DEP_1)
	v_fmac_f32_e32 v57, v43, v58
	ds_load_2addr_b32 v[42:43], v2 offset0:31 offset1:32
	s_waitcnt lgkmcnt(3)
	v_fmac_f32_e32 v57, v44, v59
	s_waitcnt vmcnt(3)
	v_fmac_f32_e32 v57, v45, v60
	ds_load_2addr_b32 v[44:45], v2 offset0:33 offset1:34
	s_waitcnt lgkmcnt(3)
	v_fmac_f32_e32 v57, v46, v61
	s_delay_alu instid0(VALU_DEP_1) | instskip(SKIP_1) | instid1(VALU_DEP_1)
	v_fmac_f32_e32 v57, v47, v62
	s_waitcnt lgkmcnt(2)
	v_fmac_f32_e32 v57, v48, v63
	s_waitcnt vmcnt(2)
	s_delay_alu instid0(VALU_DEP_1) | instskip(SKIP_4) | instid1(VALU_DEP_1)
	v_fmac_f32_e32 v57, v49, v64
	ds_load_2addr_b32 v[46:47], v2 offset0:35 offset1:36
	ds_load_2addr_b32 v[48:49], v2 offset0:37 offset1:38
	s_waitcnt lgkmcnt(3)
	v_fmac_f32_e32 v57, v50, v42
	v_fmac_f32_e32 v57, v51, v43
	s_waitcnt lgkmcnt(2)
	s_delay_alu instid0(VALU_DEP_1) | instskip(SKIP_1) | instid1(VALU_DEP_1)
	v_fmac_f32_e32 v57, v52, v44
	s_waitcnt vmcnt(1)
	v_fmac_f32_e32 v57, v53, v45
	s_waitcnt lgkmcnt(1)
	s_delay_alu instid0(VALU_DEP_1) | instskip(NEXT) | instid1(VALU_DEP_1)
	v_fmac_f32_e32 v57, v54, v46
	v_fmac_f32_e32 v57, v55, v47
	s_waitcnt lgkmcnt(0)
	s_delay_alu instid0(VALU_DEP_1) | instskip(SKIP_1) | instid1(VALU_DEP_1)
	v_fmac_f32_e32 v57, v56, v48
	s_waitcnt vmcnt(0)
	v_fmac_f32_e32 v57, v65, v49
	s_delay_alu instid0(VALU_DEP_1)
	v_sub_f32_e32 v2, v41, v57
	scratch_store_b32 off, v2, off offset:8
	v_cmpx_lt_u32_e32 1, v0
	s_cbranch_execz .LBB18_119
; %bb.118:
	scratch_load_b32 v2, off, off offset:4
	v_mov_b32_e32 v41, 0
	scratch_store_b32 off, v41, off offset:4
	s_waitcnt vmcnt(0)
	ds_store_b32 v1, v2
.LBB18_119:
	s_or_b32 exec_lo, exec_lo, s0
	s_waitcnt lgkmcnt(0)
	s_waitcnt_vscnt null, 0x0
	s_barrier
	buffer_gl0_inv
	s_clause 0x4
	scratch_load_b128 v[42:45], off, off offset:4
	scratch_load_b128 v[46:49], off, off offset:20
	scratch_load_b128 v[50:53], off, off offset:36
	scratch_load_b128 v[54:57], off, off offset:52
	scratch_load_b64 v[66:67], off, off offset:68
	v_mov_b32_e32 v41, 0
	ds_load_2addr_b64 v[58:61], v41 offset0:11 offset1:12
	ds_load_2addr_b64 v[62:65], v41 offset0:13 offset1:14
	s_mov_b32 s0, exec_lo
	s_waitcnt vmcnt(4) lgkmcnt(1)
	v_fma_f32 v2, v43, v58, 0
	s_delay_alu instid0(VALU_DEP_1) | instskip(NEXT) | instid1(VALU_DEP_1)
	v_fmac_f32_e32 v2, v44, v59
	v_fmac_f32_e32 v2, v45, v60
	s_waitcnt vmcnt(3)
	s_delay_alu instid0(VALU_DEP_1) | instskip(SKIP_3) | instid1(VALU_DEP_1)
	v_fmac_f32_e32 v2, v46, v61
	ds_load_2addr_b64 v[43:46], v41 offset0:15 offset1:16
	s_waitcnt lgkmcnt(1)
	v_fmac_f32_e32 v2, v47, v62
	v_fmac_f32_e32 v2, v48, v63
	s_delay_alu instid0(VALU_DEP_1) | instskip(SKIP_1) | instid1(VALU_DEP_1)
	v_fmac_f32_e32 v2, v49, v64
	s_waitcnt vmcnt(2)
	v_fmac_f32_e32 v2, v50, v65
	ds_load_2addr_b64 v[47:50], v41 offset0:17 offset1:18
	s_waitcnt lgkmcnt(1)
	v_fmac_f32_e32 v2, v51, v43
	ds_load_b32 v43, v41 offset:152
	v_fmac_f32_e32 v2, v52, v44
	s_delay_alu instid0(VALU_DEP_1) | instskip(SKIP_1) | instid1(VALU_DEP_1)
	v_fmac_f32_e32 v2, v53, v45
	s_waitcnt vmcnt(1)
	v_fmac_f32_e32 v2, v54, v46
	s_waitcnt lgkmcnt(1)
	s_delay_alu instid0(VALU_DEP_1) | instskip(NEXT) | instid1(VALU_DEP_1)
	v_fmac_f32_e32 v2, v55, v47
	v_fmac_f32_e32 v2, v56, v48
	s_delay_alu instid0(VALU_DEP_1) | instskip(SKIP_1) | instid1(VALU_DEP_1)
	v_fmac_f32_e32 v2, v57, v49
	s_waitcnt vmcnt(0)
	v_fmac_f32_e32 v2, v66, v50
	s_waitcnt lgkmcnt(0)
	s_delay_alu instid0(VALU_DEP_1) | instskip(NEXT) | instid1(VALU_DEP_1)
	v_fmac_f32_e32 v2, v67, v43
	v_sub_f32_e32 v2, v42, v2
	scratch_store_b32 off, v2, off offset:4
	v_cmpx_ne_u32_e32 0, v0
	s_cbranch_execz .LBB18_121
; %bb.120:
	scratch_load_b32 v0, off, off
	scratch_store_b32 off, v41, off
	s_waitcnt vmcnt(0)
	ds_store_b32 v1, v0
.LBB18_121:
	s_or_b32 exec_lo, exec_lo, s0
	s_waitcnt lgkmcnt(0)
	s_waitcnt_vscnt null, 0x0
	s_barrier
	buffer_gl0_inv
	s_clause 0x4
	scratch_load_b128 v[42:45], off, off
	scratch_load_b128 v[46:49], off, off offset:16
	scratch_load_b128 v[50:53], off, off offset:32
	;; [unrolled: 1-line block ×3, first 2 shown]
	scratch_load_b96 v[0:2], off, off offset:64
	ds_load_2addr_b32 v[58:59], v41 offset0:21 offset1:22
	ds_load_2addr_b32 v[60:61], v41 offset0:23 offset1:24
	;; [unrolled: 1-line block ×4, first 2 shown]
	s_and_b32 vcc_lo, exec_lo, s16
	s_waitcnt vmcnt(4) lgkmcnt(3)
	v_fma_f32 v58, v43, v58, 0
	s_delay_alu instid0(VALU_DEP_1) | instskip(SKIP_4) | instid1(VALU_DEP_1)
	v_fmac_f32_e32 v58, v44, v59
	ds_load_2addr_b32 v[43:44], v41 offset0:29 offset1:30
	s_waitcnt lgkmcnt(3)
	v_fmac_f32_e32 v58, v45, v60
	s_waitcnt vmcnt(3)
	v_fmac_f32_e32 v58, v46, v61
	ds_load_2addr_b32 v[45:46], v41 offset0:31 offset1:32
	s_waitcnt lgkmcnt(3)
	v_fmac_f32_e32 v58, v47, v62
	s_delay_alu instid0(VALU_DEP_1) | instskip(SKIP_1) | instid1(VALU_DEP_1)
	v_fmac_f32_e32 v58, v48, v63
	s_waitcnt lgkmcnt(2)
	v_fmac_f32_e32 v58, v49, v64
	s_waitcnt vmcnt(2)
	s_delay_alu instid0(VALU_DEP_1) | instskip(SKIP_4) | instid1(VALU_DEP_1)
	v_fmac_f32_e32 v58, v50, v65
	ds_load_2addr_b32 v[47:48], v41 offset0:33 offset1:34
	ds_load_2addr_b32 v[49:50], v41 offset0:35 offset1:36
	s_waitcnt lgkmcnt(3)
	v_fmac_f32_e32 v58, v51, v43
	v_fmac_f32_e32 v58, v52, v44
	ds_load_2addr_b32 v[43:44], v41 offset0:37 offset1:38
	s_waitcnt lgkmcnt(3)
	v_fmac_f32_e32 v58, v53, v45
	s_waitcnt vmcnt(1)
	s_delay_alu instid0(VALU_DEP_1) | instskip(SKIP_1) | instid1(VALU_DEP_1)
	v_fmac_f32_e32 v58, v54, v46
	s_waitcnt lgkmcnt(2)
	v_fmac_f32_e32 v58, v55, v47
	s_delay_alu instid0(VALU_DEP_1) | instskip(SKIP_1) | instid1(VALU_DEP_1)
	v_fmac_f32_e32 v58, v56, v48
	s_waitcnt lgkmcnt(1)
	v_fmac_f32_e32 v58, v57, v49
	s_waitcnt vmcnt(0)
	s_delay_alu instid0(VALU_DEP_1) | instskip(SKIP_1) | instid1(VALU_DEP_1)
	v_fmac_f32_e32 v58, v0, v50
	s_waitcnt lgkmcnt(0)
	v_fmac_f32_e32 v58, v1, v43
	s_delay_alu instid0(VALU_DEP_1) | instskip(NEXT) | instid1(VALU_DEP_1)
	v_fmac_f32_e32 v58, v2, v44
	v_sub_f32_e32 v0, v42, v58
	scratch_store_b32 off, v0, off
	s_cbranch_vccz .LBB18_159
; %bb.122:
	v_dual_mov_b32 v42, s13 :: v_dual_mov_b32 v41, s12
	s_mov_b32 s0, exec_lo
	flat_load_b32 v0, v[41:42] offset:68
	s_waitcnt vmcnt(0) lgkmcnt(0)
	v_cmpx_ne_u32_e32 18, v0
	s_cbranch_execz .LBB18_124
; %bb.123:
	v_lshl_add_u32 v0, v0, 2, 0
	scratch_load_b32 v2, v0, off offset:-4
	s_waitcnt vmcnt(0)
	scratch_store_b32 off, v2, off offset:68
	scratch_store_b32 v0, v1, off offset:-4
.LBB18_124:
	s_or_b32 exec_lo, exec_lo, s0
	v_dual_mov_b32 v0, s12 :: v_dual_mov_b32 v1, s13
	s_mov_b32 s0, exec_lo
	flat_load_b32 v0, v[0:1] offset:64
	s_waitcnt vmcnt(0) lgkmcnt(0)
	v_cmpx_ne_u32_e32 17, v0
	s_cbranch_execz .LBB18_126
; %bb.125:
	v_lshl_add_u32 v0, v0, 2, 0
	scratch_load_b32 v1, v0, off offset:-4
	scratch_load_b32 v2, off, off offset:64
	s_waitcnt vmcnt(1)
	scratch_store_b32 off, v1, off offset:64
	s_waitcnt vmcnt(0)
	scratch_store_b32 v0, v2, off offset:-4
.LBB18_126:
	s_or_b32 exec_lo, exec_lo, s0
	v_dual_mov_b32 v0, s12 :: v_dual_mov_b32 v1, s13
	s_mov_b32 s0, exec_lo
	flat_load_b32 v0, v[0:1] offset:60
	s_waitcnt vmcnt(0) lgkmcnt(0)
	v_cmpx_ne_u32_e32 16, v0
	s_cbranch_execz .LBB18_128
; %bb.127:
	v_lshl_add_u32 v0, v0, 2, 0
	scratch_load_b32 v1, v0, off offset:-4
	scratch_load_b32 v2, off, off offset:60
	s_waitcnt vmcnt(1)
	scratch_store_b32 off, v1, off offset:60
	s_waitcnt vmcnt(0)
	scratch_store_b32 v0, v2, off offset:-4
.LBB18_128:
	;; [unrolled: 16-line block ×16, first 2 shown]
	s_or_b32 exec_lo, exec_lo, s0
	v_dual_mov_b32 v0, s12 :: v_dual_mov_b32 v1, s13
	s_mov_b32 s0, exec_lo
	flat_load_b32 v1, v[0:1]
	scratch_load_b32 v0, off, off
	s_waitcnt vmcnt(1) lgkmcnt(0)
	v_cmpx_ne_u32_e32 1, v1
	s_cbranch_execz .LBB18_158
; %bb.157:
	v_lshl_add_u32 v1, v1, 2, 0
	scratch_load_b32 v2, v1, off offset:-4
	s_waitcnt vmcnt(0)
	scratch_store_b32 off, v2, off
	scratch_store_b32 v1, v0, off offset:-4
	scratch_load_b32 v0, off, off
.LBB18_158:
	s_or_b32 exec_lo, exec_lo, s0
.LBB18_159:
	s_clause 0x4
	scratch_load_b128 v[41:44], off, off offset:4
	scratch_load_b128 v[45:48], off, off offset:20
	;; [unrolled: 1-line block ×4, first 2 shown]
	scratch_load_b64 v[1:2], off, off offset:68
	s_waitcnt vmcnt(5)
	global_store_b32 v[3:4], v0, off
	s_waitcnt vmcnt(4)
	s_clause 0x3
	global_store_b32 v[5:6], v41, off
	global_store_b32 v[7:8], v42, off
	global_store_b32 v[9:10], v43, off
	global_store_b32 v[11:12], v44, off
	s_waitcnt vmcnt(3)
	s_clause 0x3
	global_store_b32 v[13:14], v45, off
	global_store_b32 v[15:16], v46, off
	global_store_b32 v[17:18], v47, off
	;; [unrolled: 6-line block ×4, first 2 shown]
	global_store_b32 v[35:36], v56, off
	s_waitcnt vmcnt(0)
	s_clause 0x1
	global_store_b32 v[37:38], v1, off
	global_store_b32 v[39:40], v2, off
	s_endpgm
	.section	.rodata,"a",@progbits
	.p2align	6, 0x0
	.amdhsa_kernel _ZN9rocsolver6v33100L18getri_kernel_smallILi19EfPfEEvT1_iilPiilS4_bb
		.amdhsa_group_segment_fixed_size 156
		.amdhsa_private_segment_fixed_size 80
		.amdhsa_kernarg_size 60
		.amdhsa_user_sgpr_count 15
		.amdhsa_user_sgpr_dispatch_ptr 0
		.amdhsa_user_sgpr_queue_ptr 0
		.amdhsa_user_sgpr_kernarg_segment_ptr 1
		.amdhsa_user_sgpr_dispatch_id 0
		.amdhsa_user_sgpr_private_segment_size 0
		.amdhsa_wavefront_size32 1
		.amdhsa_uses_dynamic_stack 0
		.amdhsa_enable_private_segment 1
		.amdhsa_system_sgpr_workgroup_id_x 1
		.amdhsa_system_sgpr_workgroup_id_y 0
		.amdhsa_system_sgpr_workgroup_id_z 0
		.amdhsa_system_sgpr_workgroup_info 0
		.amdhsa_system_vgpr_workitem_id 0
		.amdhsa_next_free_vgpr 68
		.amdhsa_next_free_sgpr 18
		.amdhsa_reserve_vcc 1
		.amdhsa_float_round_mode_32 0
		.amdhsa_float_round_mode_16_64 0
		.amdhsa_float_denorm_mode_32 3
		.amdhsa_float_denorm_mode_16_64 3
		.amdhsa_dx10_clamp 1
		.amdhsa_ieee_mode 1
		.amdhsa_fp16_overflow 0
		.amdhsa_workgroup_processor_mode 1
		.amdhsa_memory_ordered 1
		.amdhsa_forward_progress 0
		.amdhsa_shared_vgpr_count 0
		.amdhsa_exception_fp_ieee_invalid_op 0
		.amdhsa_exception_fp_denorm_src 0
		.amdhsa_exception_fp_ieee_div_zero 0
		.amdhsa_exception_fp_ieee_overflow 0
		.amdhsa_exception_fp_ieee_underflow 0
		.amdhsa_exception_fp_ieee_inexact 0
		.amdhsa_exception_int_div_zero 0
	.end_amdhsa_kernel
	.section	.text._ZN9rocsolver6v33100L18getri_kernel_smallILi19EfPfEEvT1_iilPiilS4_bb,"axG",@progbits,_ZN9rocsolver6v33100L18getri_kernel_smallILi19EfPfEEvT1_iilPiilS4_bb,comdat
.Lfunc_end18:
	.size	_ZN9rocsolver6v33100L18getri_kernel_smallILi19EfPfEEvT1_iilPiilS4_bb, .Lfunc_end18-_ZN9rocsolver6v33100L18getri_kernel_smallILi19EfPfEEvT1_iilPiilS4_bb
                                        ; -- End function
	.section	.AMDGPU.csdata,"",@progbits
; Kernel info:
; codeLenInByte = 10372
; NumSgprs: 20
; NumVgprs: 68
; ScratchSize: 80
; MemoryBound: 0
; FloatMode: 240
; IeeeMode: 1
; LDSByteSize: 156 bytes/workgroup (compile time only)
; SGPRBlocks: 2
; VGPRBlocks: 8
; NumSGPRsForWavesPerEU: 20
; NumVGPRsForWavesPerEU: 68
; Occupancy: 16
; WaveLimiterHint : 0
; COMPUTE_PGM_RSRC2:SCRATCH_EN: 1
; COMPUTE_PGM_RSRC2:USER_SGPR: 15
; COMPUTE_PGM_RSRC2:TRAP_HANDLER: 0
; COMPUTE_PGM_RSRC2:TGID_X_EN: 1
; COMPUTE_PGM_RSRC2:TGID_Y_EN: 0
; COMPUTE_PGM_RSRC2:TGID_Z_EN: 0
; COMPUTE_PGM_RSRC2:TIDIG_COMP_CNT: 0
	.section	.text._ZN9rocsolver6v33100L18getri_kernel_smallILi20EfPfEEvT1_iilPiilS4_bb,"axG",@progbits,_ZN9rocsolver6v33100L18getri_kernel_smallILi20EfPfEEvT1_iilPiilS4_bb,comdat
	.globl	_ZN9rocsolver6v33100L18getri_kernel_smallILi20EfPfEEvT1_iilPiilS4_bb ; -- Begin function _ZN9rocsolver6v33100L18getri_kernel_smallILi20EfPfEEvT1_iilPiilS4_bb
	.p2align	8
	.type	_ZN9rocsolver6v33100L18getri_kernel_smallILi20EfPfEEvT1_iilPiilS4_bb,@function
_ZN9rocsolver6v33100L18getri_kernel_smallILi20EfPfEEvT1_iilPiilS4_bb: ; @_ZN9rocsolver6v33100L18getri_kernel_smallILi20EfPfEEvT1_iilPiilS4_bb
; %bb.0:
	s_mov_b32 s2, exec_lo
	v_cmpx_gt_u32_e32 20, v0
	s_cbranch_execz .LBB19_88
; %bb.1:
	s_clause 0x2
	s_load_b32 s17, s[0:1], 0x38
	s_load_b128 s[8:11], s[0:1], 0x10
	s_load_b128 s[4:7], s[0:1], 0x28
	s_mov_b32 s14, s15
                                        ; implicit-def: $sgpr12_sgpr13
	s_waitcnt lgkmcnt(0)
	s_bitcmp1_b32 s17, 8
	s_cselect_b32 s16, -1, 0
	s_bfe_u32 s2, s17, 0x10008
	s_ashr_i32 s15, s15, 31
	s_cmp_eq_u32 s2, 0
	s_cbranch_scc1 .LBB19_3
; %bb.2:
	s_load_b32 s2, s[0:1], 0x20
	s_mul_i32 s3, s14, s5
	s_mul_hi_u32 s5, s14, s4
	s_mul_i32 s12, s15, s4
	s_add_i32 s3, s5, s3
	s_mul_i32 s4, s14, s4
	s_add_i32 s5, s3, s12
	s_delay_alu instid0(SALU_CYCLE_1)
	s_lshl_b64 s[4:5], s[4:5], 2
	s_waitcnt lgkmcnt(0)
	s_ashr_i32 s3, s2, 31
	s_add_u32 s4, s10, s4
	s_addc_u32 s5, s11, s5
	s_lshl_b64 s[2:3], s[2:3], 2
	s_delay_alu instid0(SALU_CYCLE_1)
	s_add_u32 s12, s4, s2
	s_addc_u32 s13, s5, s3
.LBB19_3:
	s_load_b128 s[0:3], s[0:1], 0x0
	s_mul_i32 s4, s14, s9
	s_mul_hi_u32 s5, s14, s8
	s_mul_i32 s9, s15, s8
	s_add_i32 s5, s5, s4
	s_mul_i32 s4, s14, s8
	s_add_i32 s5, s5, s9
	v_lshlrev_b32_e32 v1, 2, v0
	s_lshl_b64 s[4:5], s[4:5], 2
	s_waitcnt lgkmcnt(0)
	v_add3_u32 v2, s3, s3, v0
	s_ashr_i32 s9, s2, 31
	s_mov_b32 s8, s2
	s_add_u32 s2, s0, s4
	s_addc_u32 s5, s1, s5
	v_add_nc_u32_e32 v8, s3, v2
	s_lshl_b64 s[0:1], s[8:9], 2
	v_ashrrev_i32_e32 v3, 31, v2
	s_add_u32 s0, s2, s0
	s_addc_u32 s1, s5, s1
	v_add_nc_u32_e32 v10, s3, v8
	v_add_co_u32 v4, s2, s0, v1
	s_mov_b32 s4, s3
	s_ashr_i32 s5, s3, 31
	s_delay_alu instid0(VALU_DEP_2) | instskip(SKIP_3) | instid1(VALU_DEP_4)
	v_add_nc_u32_e32 v14, s3, v10
	v_add_co_ci_u32_e64 v5, null, s1, 0, s2
	v_lshlrev_b64 v[2:3], 2, v[2:3]
	v_ashrrev_i32_e32 v9, 31, v8
	v_add_nc_u32_e32 v16, s3, v14
	s_lshl_b64 s[4:5], s[4:5], 2
	v_ashrrev_i32_e32 v11, 31, v10
	v_add_co_u32 v6, vcc_lo, v4, s4
	s_delay_alu instid0(VALU_DEP_3) | instskip(SKIP_3) | instid1(VALU_DEP_4)
	v_add_nc_u32_e32 v18, s3, v16
	v_add_co_ci_u32_e32 v7, vcc_lo, s5, v5, vcc_lo
	v_lshlrev_b64 v[12:13], 2, v[8:9]
	v_add_co_u32 v8, vcc_lo, s0, v2
	v_add_nc_u32_e32 v20, s3, v18
	v_add_co_ci_u32_e32 v9, vcc_lo, s1, v3, vcc_lo
	v_lshlrev_b64 v[2:3], 2, v[10:11]
	v_ashrrev_i32_e32 v15, 31, v14
	v_add_co_u32 v10, vcc_lo, s0, v12
	v_ashrrev_i32_e32 v17, 31, v16
	v_add_nc_u32_e32 v22, s3, v20
	v_add_co_ci_u32_e32 v11, vcc_lo, s1, v13, vcc_lo
	v_lshlrev_b64 v[14:15], 2, v[14:15]
	v_add_co_u32 v12, vcc_lo, s0, v2
	v_add_co_ci_u32_e32 v13, vcc_lo, s1, v3, vcc_lo
	v_lshlrev_b64 v[2:3], 2, v[16:17]
	v_ashrrev_i32_e32 v19, 31, v18
	v_add_nc_u32_e32 v24, s3, v22
	v_add_co_u32 v14, vcc_lo, s0, v14
	v_ashrrev_i32_e32 v21, 31, v20
	v_add_co_ci_u32_e32 v15, vcc_lo, s1, v15, vcc_lo
	v_lshlrev_b64 v[18:19], 2, v[18:19]
	v_add_co_u32 v16, vcc_lo, s0, v2
	v_add_nc_u32_e32 v26, s3, v24
	v_add_co_ci_u32_e32 v17, vcc_lo, s1, v3, vcc_lo
	v_lshlrev_b64 v[2:3], 2, v[20:21]
	v_add_co_u32 v18, vcc_lo, s0, v18
	v_ashrrev_i32_e32 v23, 31, v22
	v_add_nc_u32_e32 v28, s3, v26
	v_add_co_ci_u32_e32 v19, vcc_lo, s1, v19, vcc_lo
	v_add_co_u32 v20, vcc_lo, s0, v2
	v_add_co_ci_u32_e32 v21, vcc_lo, s1, v3, vcc_lo
	v_lshlrev_b64 v[2:3], 2, v[22:23]
	v_ashrrev_i32_e32 v25, 31, v24
	v_add_nc_u32_e32 v30, s3, v28
	v_ashrrev_i32_e32 v27, 31, v26
	v_ashrrev_i32_e32 v29, 31, v28
	global_load_b32 v44, v1, s[0:1]
	v_lshlrev_b64 v[24:25], 2, v[24:25]
	v_add_nc_u32_e32 v32, s3, v30
	v_add_co_u32 v22, vcc_lo, s0, v2
	v_add_co_ci_u32_e32 v23, vcc_lo, s1, v3, vcc_lo
	v_lshlrev_b64 v[2:3], 2, v[26:27]
	s_delay_alu instid0(VALU_DEP_4)
	v_add_nc_u32_e32 v34, s3, v32
	v_add_co_u32 v24, vcc_lo, s0, v24
	v_ashrrev_i32_e32 v31, 31, v30
	v_add_co_ci_u32_e32 v25, vcc_lo, s1, v25, vcc_lo
	v_lshlrev_b64 v[28:29], 2, v[28:29]
	v_add_co_u32 v26, vcc_lo, s0, v2
	v_add_nc_u32_e32 v36, s3, v34
	v_add_co_ci_u32_e32 v27, vcc_lo, s1, v3, vcc_lo
	v_lshlrev_b64 v[2:3], 2, v[30:31]
	v_ashrrev_i32_e32 v33, 31, v32
	v_add_co_u32 v28, vcc_lo, s0, v28
	v_ashrrev_i32_e32 v35, 31, v34
	v_add_nc_u32_e32 v38, s3, v36
	v_add_co_ci_u32_e32 v29, vcc_lo, s1, v29, vcc_lo
	v_lshlrev_b64 v[32:33], 2, v[32:33]
	v_add_co_u32 v30, vcc_lo, s0, v2
	v_add_co_ci_u32_e32 v31, vcc_lo, s1, v3, vcc_lo
	v_lshlrev_b64 v[2:3], 2, v[34:35]
	v_ashrrev_i32_e32 v37, 31, v36
	v_add_nc_u32_e32 v40, s3, v38
	v_add_co_u32 v32, vcc_lo, s0, v32
	v_ashrrev_i32_e32 v39, 31, v38
	v_add_co_ci_u32_e32 v33, vcc_lo, s1, v33, vcc_lo
	v_lshlrev_b64 v[36:37], 2, v[36:37]
	v_add_co_u32 v34, vcc_lo, s0, v2
	v_add_nc_u32_e32 v42, s3, v40
	v_add_co_ci_u32_e32 v35, vcc_lo, s1, v3, vcc_lo
	v_lshlrev_b64 v[2:3], 2, v[38:39]
	v_ashrrev_i32_e32 v41, 31, v40
	v_add_co_u32 v36, vcc_lo, s0, v36
	v_ashrrev_i32_e32 v43, 31, v42
	v_add_co_ci_u32_e32 v37, vcc_lo, s1, v37, vcc_lo
	s_delay_alu instid0(VALU_DEP_4) | instskip(SKIP_3) | instid1(VALU_DEP_4)
	v_lshlrev_b64 v[40:41], 2, v[40:41]
	v_add_co_u32 v38, vcc_lo, s0, v2
	v_add_co_ci_u32_e32 v39, vcc_lo, s1, v3, vcc_lo
	v_lshlrev_b64 v[2:3], 2, v[42:43]
	v_add_co_u32 v40, vcc_lo, s0, v40
	v_add_co_ci_u32_e32 v41, vcc_lo, s1, v41, vcc_lo
	s_clause 0x7
	global_load_b32 v45, v[6:7], off
	global_load_b32 v46, v[8:9], off
	;; [unrolled: 1-line block ×8, first 2 shown]
	v_add_co_u32 v42, vcc_lo, s0, v2
	v_add_co_ci_u32_e32 v43, vcc_lo, s1, v3, vcc_lo
	s_clause 0xa
	global_load_b32 v53, v[22:23], off
	global_load_b32 v54, v[24:25], off
	global_load_b32 v55, v[26:27], off
	global_load_b32 v56, v[28:29], off
	global_load_b32 v57, v[30:31], off
	global_load_b32 v58, v[32:33], off
	global_load_b32 v59, v[34:35], off
	global_load_b32 v60, v[36:37], off
	global_load_b32 v61, v[38:39], off
	global_load_b32 v62, v[40:41], off
	global_load_b32 v63, v[42:43], off
	s_bitcmp0_b32 s17, 0
	s_mov_b32 s1, -1
	s_waitcnt vmcnt(16)
	scratch_store_b128 off, v[44:47], off
	s_waitcnt vmcnt(12)
	scratch_store_b128 off, v[48:51], off offset:16
	s_waitcnt vmcnt(8)
	scratch_store_b128 off, v[52:55], off offset:32
	;; [unrolled: 2-line block ×4, first 2 shown]
	s_cbranch_scc1 .LBB19_86
; %bb.4:
	v_cmp_eq_u32_e64 s0, 0, v0
	s_delay_alu instid0(VALU_DEP_1)
	s_and_saveexec_b32 s1, s0
	s_cbranch_execz .LBB19_6
; %bb.5:
	v_mov_b32_e32 v2, 0
	ds_store_b32 v2, v2 offset:160
.LBB19_6:
	s_or_b32 exec_lo, exec_lo, s1
	s_waitcnt lgkmcnt(0)
	s_waitcnt_vscnt null, 0x0
	s_barrier
	buffer_gl0_inv
	scratch_load_b32 v2, v1, off
	s_mov_b32 s2, exec_lo
	s_waitcnt vmcnt(0)
	v_cmpx_eq_f32_e32 0, v2
	s_cbranch_execz .LBB19_10
; %bb.7:
	v_mov_b32_e32 v2, 0
	s_mov_b32 s3, 0
	ds_load_b32 v3, v2 offset:160
	s_waitcnt lgkmcnt(0)
	v_readfirstlane_b32 s1, v3
	v_add_nc_u32_e32 v3, 1, v0
	s_delay_alu instid0(VALU_DEP_2) | instskip(NEXT) | instid1(VALU_DEP_1)
	s_cmp_eq_u32 s1, 0
	v_cmp_gt_i32_e32 vcc_lo, s1, v3
	s_cselect_b32 s4, -1, 0
	s_delay_alu instid0(SALU_CYCLE_1) | instskip(NEXT) | instid1(SALU_CYCLE_1)
	s_or_b32 s4, s4, vcc_lo
	s_and_b32 exec_lo, exec_lo, s4
	s_cbranch_execz .LBB19_10
; %bb.8:
	v_mov_b32_e32 v44, s1
.LBB19_9:                               ; =>This Inner Loop Header: Depth=1
	ds_cmpstore_rtn_b32 v44, v2, v3, v44 offset:160
	s_waitcnt lgkmcnt(0)
	v_cmp_ne_u32_e32 vcc_lo, 0, v44
	v_cmp_le_i32_e64 s1, v44, v3
	s_delay_alu instid0(VALU_DEP_1) | instskip(NEXT) | instid1(SALU_CYCLE_1)
	s_and_b32 s1, vcc_lo, s1
	s_and_b32 s1, exec_lo, s1
	s_delay_alu instid0(SALU_CYCLE_1) | instskip(NEXT) | instid1(SALU_CYCLE_1)
	s_or_b32 s3, s1, s3
	s_and_not1_b32 exec_lo, exec_lo, s3
	s_cbranch_execnz .LBB19_9
.LBB19_10:
	s_or_b32 exec_lo, exec_lo, s2
	v_mov_b32_e32 v2, 0
	s_barrier
	buffer_gl0_inv
	ds_load_b32 v3, v2 offset:160
	s_and_saveexec_b32 s1, s0
	s_cbranch_execz .LBB19_12
; %bb.11:
	s_lshl_b64 s[2:3], s[14:15], 2
	s_delay_alu instid0(SALU_CYCLE_1)
	s_add_u32 s2, s6, s2
	s_addc_u32 s3, s7, s3
	s_waitcnt lgkmcnt(0)
	global_store_b32 v2, v3, s[2:3]
.LBB19_12:
	s_or_b32 exec_lo, exec_lo, s1
	s_waitcnt lgkmcnt(0)
	v_cmp_ne_u32_e32 vcc_lo, 0, v3
	s_mov_b32 s1, 0
	s_cbranch_vccnz .LBB19_86
; %bb.13:
	v_add_nc_u32_e32 v2, 0, v1
	scratch_load_b32 v3, v2, off
	s_waitcnt vmcnt(0)
	v_div_scale_f32 v44, null, v3, v3, 1.0
	v_div_scale_f32 v47, vcc_lo, 1.0, v3, 1.0
	s_delay_alu instid0(VALU_DEP_2) | instskip(SKIP_2) | instid1(VALU_DEP_1)
	v_rcp_f32_e32 v45, v44
	s_waitcnt_depctr 0xfff
	v_fma_f32 v46, -v44, v45, 1.0
	v_fmac_f32_e32 v45, v46, v45
	s_delay_alu instid0(VALU_DEP_1) | instskip(NEXT) | instid1(VALU_DEP_1)
	v_mul_f32_e32 v46, v47, v45
	v_fma_f32 v48, -v44, v46, v47
	s_delay_alu instid0(VALU_DEP_1) | instskip(NEXT) | instid1(VALU_DEP_1)
	v_fmac_f32_e32 v46, v48, v45
	v_fma_f32 v44, -v44, v46, v47
	s_delay_alu instid0(VALU_DEP_1) | instskip(NEXT) | instid1(VALU_DEP_1)
	v_div_fmas_f32 v44, v44, v45, v46
	v_div_fixup_f32 v3, v44, v3, 1.0
	scratch_store_b32 v2, v3, off
	scratch_load_b32 v44, off, off offset:4
	v_xor_b32_e32 v45, 0x80000000, v3
	v_add_nc_u32_e32 v3, 0x50, v1
	s_waitcnt vmcnt(0)
	ds_store_2addr_b32 v1, v45, v44 offset1:20
	s_waitcnt lgkmcnt(0)
	s_waitcnt_vscnt null, 0x0
	s_barrier
	buffer_gl0_inv
	s_and_saveexec_b32 s1, s0
	s_cbranch_execz .LBB19_15
; %bb.14:
	scratch_load_b32 v44, v2, off
	ds_load_b32 v45, v3
	v_mov_b32_e32 v46, 0
	ds_load_b32 v46, v46 offset:4
	s_waitcnt vmcnt(0) lgkmcnt(1)
	v_fma_f32 v44, v44, v45, 0
	s_waitcnt lgkmcnt(0)
	s_delay_alu instid0(VALU_DEP_1)
	v_mul_f32_e32 v44, v44, v46
	scratch_store_b32 off, v44, off offset:4
.LBB19_15:
	s_or_b32 exec_lo, exec_lo, s1
	s_waitcnt_vscnt null, 0x0
	s_barrier
	buffer_gl0_inv
	scratch_load_b32 v44, off, off offset:8
	s_mov_b32 s1, exec_lo
	s_waitcnt vmcnt(0)
	ds_store_b32 v3, v44
	s_waitcnt lgkmcnt(0)
	s_barrier
	buffer_gl0_inv
	v_cmpx_gt_u32_e32 2, v0
	s_cbranch_execz .LBB19_17
; %bb.16:
	scratch_load_b32 v46, v2, off
	scratch_load_b32 v47, off, off offset:4
	ds_load_b32 v48, v3
	v_mov_b32_e32 v44, 0
	ds_load_2addr_b32 v[44:45], v44 offset0:2 offset1:21
	s_waitcnt vmcnt(1) lgkmcnt(1)
	v_fma_f32 v46, v46, v48, 0
	s_waitcnt vmcnt(0) lgkmcnt(0)
	s_delay_alu instid0(VALU_DEP_1) | instskip(NEXT) | instid1(VALU_DEP_1)
	v_fma_f32 v45, v47, v45, v46
	v_cndmask_b32_e64 v45, v46, v45, s0
	s_delay_alu instid0(VALU_DEP_1)
	v_mul_f32_e32 v44, v45, v44
	scratch_store_b32 off, v44, off offset:8
.LBB19_17:
	s_or_b32 exec_lo, exec_lo, s1
	s_waitcnt_vscnt null, 0x0
	s_barrier
	buffer_gl0_inv
	scratch_load_b32 v45, off, off offset:12
	v_add_nc_u32_e32 v44, -1, v0
	s_mov_b32 s0, exec_lo
	s_waitcnt vmcnt(0)
	ds_store_b32 v3, v45
	s_waitcnt lgkmcnt(0)
	s_barrier
	buffer_gl0_inv
	v_cmpx_gt_u32_e32 3, v0
	s_cbranch_execz .LBB19_21
; %bb.18:
	v_dual_mov_b32 v45, 0 :: v_dual_add_nc_u32 v46, -1, v0
	v_add_nc_u32_e32 v47, 0x50, v1
	v_add_nc_u32_e32 v48, 0, v1
	s_mov_b32 s1, 0
.LBB19_19:                              ; =>This Inner Loop Header: Depth=1
	scratch_load_b32 v49, v48, off
	ds_load_b32 v50, v47
	v_add_nc_u32_e32 v46, 1, v46
	v_add_nc_u32_e32 v47, 4, v47
	v_add_nc_u32_e32 v48, 4, v48
	s_delay_alu instid0(VALU_DEP_3)
	v_cmp_lt_u32_e32 vcc_lo, 1, v46
	s_or_b32 s1, vcc_lo, s1
	s_waitcnt vmcnt(0) lgkmcnt(0)
	v_fmac_f32_e32 v45, v49, v50
	s_and_not1_b32 exec_lo, exec_lo, s1
	s_cbranch_execnz .LBB19_19
; %bb.20:
	s_or_b32 exec_lo, exec_lo, s1
	v_mov_b32_e32 v46, 0
	ds_load_b32 v46, v46 offset:12
	s_waitcnt lgkmcnt(0)
	v_mul_f32_e32 v45, v45, v46
	scratch_store_b32 off, v45, off offset:12
.LBB19_21:
	s_or_b32 exec_lo, exec_lo, s0
	s_waitcnt_vscnt null, 0x0
	s_barrier
	buffer_gl0_inv
	scratch_load_b32 v45, off, off offset:16
	s_mov_b32 s0, exec_lo
	s_waitcnt vmcnt(0)
	ds_store_b32 v3, v45
	s_waitcnt lgkmcnt(0)
	s_barrier
	buffer_gl0_inv
	v_cmpx_gt_u32_e32 4, v0
	s_cbranch_execz .LBB19_25
; %bb.22:
	v_dual_mov_b32 v45, 0 :: v_dual_add_nc_u32 v46, -1, v0
	v_add_nc_u32_e32 v47, 0x50, v1
	v_add_nc_u32_e32 v48, 0, v1
	s_mov_b32 s1, 0
.LBB19_23:                              ; =>This Inner Loop Header: Depth=1
	scratch_load_b32 v49, v48, off
	ds_load_b32 v50, v47
	v_add_nc_u32_e32 v46, 1, v46
	v_add_nc_u32_e32 v47, 4, v47
	v_add_nc_u32_e32 v48, 4, v48
	s_delay_alu instid0(VALU_DEP_3)
	v_cmp_lt_u32_e32 vcc_lo, 2, v46
	s_or_b32 s1, vcc_lo, s1
	s_waitcnt vmcnt(0) lgkmcnt(0)
	v_fmac_f32_e32 v45, v49, v50
	s_and_not1_b32 exec_lo, exec_lo, s1
	s_cbranch_execnz .LBB19_23
; %bb.24:
	s_or_b32 exec_lo, exec_lo, s1
	v_mov_b32_e32 v46, 0
	ds_load_b32 v46, v46 offset:16
	s_waitcnt lgkmcnt(0)
	v_mul_f32_e32 v45, v45, v46
	scratch_store_b32 off, v45, off offset:16
.LBB19_25:
	s_or_b32 exec_lo, exec_lo, s0
	s_waitcnt_vscnt null, 0x0
	s_barrier
	buffer_gl0_inv
	scratch_load_b32 v45, off, off offset:20
	;; [unrolled: 39-line block ×15, first 2 shown]
	s_mov_b32 s0, exec_lo
	s_waitcnt vmcnt(0)
	ds_store_b32 v3, v45
	s_waitcnt lgkmcnt(0)
	s_barrier
	buffer_gl0_inv
	v_cmpx_gt_u32_e32 18, v0
	s_cbranch_execz .LBB19_81
; %bb.78:
	v_add_nc_u32_e32 v45, -1, v0
	v_add_nc_u32_e32 v46, 0x50, v1
	v_add_nc_u32_e32 v47, 0, v1
	v_mov_b32_e32 v1, 0
	s_mov_b32 s1, 0
.LBB19_79:                              ; =>This Inner Loop Header: Depth=1
	scratch_load_b32 v48, v47, off
	ds_load_b32 v49, v46
	v_add_nc_u32_e32 v45, 1, v45
	v_add_nc_u32_e32 v46, 4, v46
	;; [unrolled: 1-line block ×3, first 2 shown]
	s_delay_alu instid0(VALU_DEP_3)
	v_cmp_lt_u32_e32 vcc_lo, 16, v45
	s_or_b32 s1, vcc_lo, s1
	s_waitcnt vmcnt(0) lgkmcnt(0)
	v_fmac_f32_e32 v1, v48, v49
	s_and_not1_b32 exec_lo, exec_lo, s1
	s_cbranch_execnz .LBB19_79
; %bb.80:
	s_or_b32 exec_lo, exec_lo, s1
	v_mov_b32_e32 v45, 0
	ds_load_b32 v45, v45 offset:72
	s_waitcnt lgkmcnt(0)
	v_mul_f32_e32 v1, v1, v45
	scratch_store_b32 off, v1, off offset:72
.LBB19_81:
	s_or_b32 exec_lo, exec_lo, s0
	s_waitcnt_vscnt null, 0x0
	s_barrier
	buffer_gl0_inv
	scratch_load_b32 v1, off, off offset:76
	s_mov_b32 s0, exec_lo
	s_waitcnt vmcnt(0)
	ds_store_b32 v3, v1
	s_waitcnt lgkmcnt(0)
	s_barrier
	buffer_gl0_inv
	v_cmpx_ne_u32_e32 19, v0
	s_cbranch_execz .LBB19_85
; %bb.82:
	v_mov_b32_e32 v1, 0
	s_mov_b32 s1, 0
.LBB19_83:                              ; =>This Inner Loop Header: Depth=1
	scratch_load_b32 v45, v2, off
	ds_load_b32 v46, v3
	v_add_nc_u32_e32 v44, 1, v44
	v_add_nc_u32_e32 v3, 4, v3
	v_add_nc_u32_e32 v2, 4, v2
	s_waitcnt vmcnt(0) lgkmcnt(0)
	v_fmac_f32_e32 v1, v45, v46
	v_cmp_lt_u32_e32 vcc_lo, 17, v44
	s_or_b32 s1, vcc_lo, s1
	s_delay_alu instid0(SALU_CYCLE_1)
	s_and_not1_b32 exec_lo, exec_lo, s1
	s_cbranch_execnz .LBB19_83
; %bb.84:
	s_or_b32 exec_lo, exec_lo, s1
	v_mov_b32_e32 v2, 0
	ds_load_b32 v2, v2 offset:76
	s_waitcnt lgkmcnt(0)
	v_mul_f32_e32 v1, v1, v2
	scratch_store_b32 off, v1, off offset:76
.LBB19_85:
	s_or_b32 exec_lo, exec_lo, s0
	s_mov_b32 s1, -1
	s_waitcnt_vscnt null, 0x0
	s_barrier
	buffer_gl0_inv
.LBB19_86:
	s_and_b32 vcc_lo, exec_lo, s1
	s_cbranch_vccz .LBB19_88
; %bb.87:
	s_lshl_b64 s[0:1], s[14:15], 2
	v_mov_b32_e32 v1, 0
	s_add_u32 s0, s6, s0
	s_addc_u32 s1, s7, s1
	global_load_b32 v1, v1, s[0:1]
	s_waitcnt vmcnt(0)
	v_cmp_ne_u32_e32 vcc_lo, 0, v1
	s_cbranch_vccz .LBB19_89
.LBB19_88:
	s_endpgm
.LBB19_89:
	v_lshl_add_u32 v1, v0, 2, 0x50
	s_mov_b32 s0, exec_lo
	v_cmpx_eq_u32_e32 19, v0
	s_cbranch_execz .LBB19_91
; %bb.90:
	scratch_load_b32 v2, off, off offset:72
	v_mov_b32_e32 v3, 0
	scratch_store_b32 off, v3, off offset:72
	s_waitcnt vmcnt(0)
	ds_store_b32 v1, v2
.LBB19_91:
	s_or_b32 exec_lo, exec_lo, s0
	s_waitcnt lgkmcnt(0)
	s_waitcnt_vscnt null, 0x0
	s_barrier
	buffer_gl0_inv
	scratch_load_b64 v[44:45], off, off offset:72
	v_mov_b32_e32 v2, 0
	s_mov_b32 s0, exec_lo
	ds_load_b32 v3, v2 offset:156
	s_waitcnt vmcnt(0) lgkmcnt(0)
	v_fma_f32 v3, v45, v3, 0
	s_delay_alu instid0(VALU_DEP_1)
	v_sub_f32_e32 v3, v44, v3
	scratch_store_b32 off, v3, off offset:72
	v_cmpx_lt_u32_e32 17, v0
	s_cbranch_execz .LBB19_93
; %bb.92:
	scratch_load_b32 v3, off, off offset:68
	scratch_store_b32 off, v2, off offset:68
	s_waitcnt vmcnt(0)
	ds_store_b32 v1, v3
.LBB19_93:
	s_or_b32 exec_lo, exec_lo, s0
	s_waitcnt lgkmcnt(0)
	s_waitcnt_vscnt null, 0x0
	s_barrier
	buffer_gl0_inv
	scratch_load_b96 v[44:46], off, off offset:68
	ds_load_b64 v[2:3], v2 offset:152
	s_mov_b32 s0, exec_lo
	s_waitcnt vmcnt(0) lgkmcnt(0)
	v_fma_f32 v2, v45, v2, 0
	s_delay_alu instid0(VALU_DEP_1) | instskip(NEXT) | instid1(VALU_DEP_1)
	v_fmac_f32_e32 v2, v46, v3
	v_sub_f32_e32 v2, v44, v2
	scratch_store_b32 off, v2, off offset:68
	v_cmpx_lt_u32_e32 16, v0
	s_cbranch_execz .LBB19_95
; %bb.94:
	scratch_load_b32 v2, off, off offset:64
	v_mov_b32_e32 v3, 0
	scratch_store_b32 off, v3, off offset:64
	s_waitcnt vmcnt(0)
	ds_store_b32 v1, v2
.LBB19_95:
	s_or_b32 exec_lo, exec_lo, s0
	s_waitcnt lgkmcnt(0)
	s_waitcnt_vscnt null, 0x0
	s_barrier
	buffer_gl0_inv
	scratch_load_b128 v[44:47], off, off offset:64
	v_mov_b32_e32 v2, 0
	ds_load_2addr_b32 v[48:49], v2 offset0:37 offset1:38
	ds_load_b32 v3, v2 offset:156
	s_mov_b32 s0, exec_lo
	s_waitcnt vmcnt(0) lgkmcnt(1)
	v_fma_f32 v45, v45, v48, 0
	s_delay_alu instid0(VALU_DEP_1) | instskip(SKIP_1) | instid1(VALU_DEP_1)
	v_fmac_f32_e32 v45, v46, v49
	s_waitcnt lgkmcnt(0)
	v_fmac_f32_e32 v45, v47, v3
	s_delay_alu instid0(VALU_DEP_1)
	v_sub_f32_e32 v3, v44, v45
	scratch_store_b32 off, v3, off offset:64
	v_cmpx_lt_u32_e32 15, v0
	s_cbranch_execz .LBB19_97
; %bb.96:
	scratch_load_b32 v3, off, off offset:60
	scratch_store_b32 off, v2, off offset:60
	s_waitcnt vmcnt(0)
	ds_store_b32 v1, v3
.LBB19_97:
	s_or_b32 exec_lo, exec_lo, s0
	s_waitcnt lgkmcnt(0)
	s_waitcnt_vscnt null, 0x0
	s_barrier
	buffer_gl0_inv
	s_clause 0x1
	scratch_load_b128 v[44:47], off, off offset:60
	scratch_load_b32 v3, off, off offset:76
	ds_load_b128 v[48:51], v2 offset:144
	s_mov_b32 s0, exec_lo
	s_waitcnt vmcnt(1) lgkmcnt(0)
	v_fma_f32 v2, v45, v48, 0
	s_delay_alu instid0(VALU_DEP_1) | instskip(NEXT) | instid1(VALU_DEP_1)
	v_fmac_f32_e32 v2, v46, v49
	v_fmac_f32_e32 v2, v47, v50
	s_waitcnt vmcnt(0)
	s_delay_alu instid0(VALU_DEP_1) | instskip(NEXT) | instid1(VALU_DEP_1)
	v_fmac_f32_e32 v2, v3, v51
	v_sub_f32_e32 v2, v44, v2
	scratch_store_b32 off, v2, off offset:60
	v_cmpx_lt_u32_e32 14, v0
	s_cbranch_execz .LBB19_99
; %bb.98:
	scratch_load_b32 v2, off, off offset:56
	v_mov_b32_e32 v3, 0
	scratch_store_b32 off, v3, off offset:56
	s_waitcnt vmcnt(0)
	ds_store_b32 v1, v2
.LBB19_99:
	s_or_b32 exec_lo, exec_lo, s0
	s_waitcnt lgkmcnt(0)
	s_waitcnt_vscnt null, 0x0
	s_barrier
	buffer_gl0_inv
	s_clause 0x1
	scratch_load_b128 v[44:47], off, off offset:56
	scratch_load_b64 v[48:49], off, off offset:72
	v_mov_b32_e32 v2, 0
	ds_load_2addr_b32 v[50:51], v2 offset0:35 offset1:36
	ds_load_2addr_b32 v[52:53], v2 offset0:37 offset1:38
	ds_load_b32 v3, v2 offset:156
	s_mov_b32 s0, exec_lo
	s_waitcnt vmcnt(1) lgkmcnt(2)
	v_fma_f32 v45, v45, v50, 0
	s_delay_alu instid0(VALU_DEP_1) | instskip(SKIP_1) | instid1(VALU_DEP_1)
	v_fmac_f32_e32 v45, v46, v51
	s_waitcnt lgkmcnt(1)
	v_fmac_f32_e32 v45, v47, v52
	s_waitcnt vmcnt(0)
	s_delay_alu instid0(VALU_DEP_1) | instskip(SKIP_1) | instid1(VALU_DEP_1)
	v_fmac_f32_e32 v45, v48, v53
	s_waitcnt lgkmcnt(0)
	v_fmac_f32_e32 v45, v49, v3
	s_delay_alu instid0(VALU_DEP_1)
	v_sub_f32_e32 v3, v44, v45
	scratch_store_b32 off, v3, off offset:56
	v_cmpx_lt_u32_e32 13, v0
	s_cbranch_execz .LBB19_101
; %bb.100:
	scratch_load_b32 v3, off, off offset:52
	scratch_store_b32 off, v2, off offset:52
	s_waitcnt vmcnt(0)
	ds_store_b32 v1, v3
.LBB19_101:
	s_or_b32 exec_lo, exec_lo, s0
	s_waitcnt lgkmcnt(0)
	s_waitcnt_vscnt null, 0x0
	s_barrier
	buffer_gl0_inv
	s_clause 0x1
	scratch_load_b128 v[44:47], off, off offset:52
	scratch_load_b96 v[52:54], off, off offset:68
	ds_load_2addr_b64 v[48:51], v2 offset0:17 offset1:18
	ds_load_b64 v[2:3], v2 offset:152
	s_mov_b32 s0, exec_lo
	s_waitcnt vmcnt(1) lgkmcnt(1)
	v_fma_f32 v45, v45, v48, 0
	s_delay_alu instid0(VALU_DEP_1) | instskip(NEXT) | instid1(VALU_DEP_1)
	v_fmac_f32_e32 v45, v46, v49
	v_fmac_f32_e32 v45, v47, v50
	s_waitcnt vmcnt(0)
	s_delay_alu instid0(VALU_DEP_1) | instskip(SKIP_1) | instid1(VALU_DEP_1)
	v_fmac_f32_e32 v45, v52, v51
	s_waitcnt lgkmcnt(0)
	v_fmac_f32_e32 v45, v53, v2
	s_delay_alu instid0(VALU_DEP_1) | instskip(NEXT) | instid1(VALU_DEP_1)
	v_fmac_f32_e32 v45, v54, v3
	v_sub_f32_e32 v2, v44, v45
	scratch_store_b32 off, v2, off offset:52
	v_cmpx_lt_u32_e32 12, v0
	s_cbranch_execz .LBB19_103
; %bb.102:
	scratch_load_b32 v2, off, off offset:48
	v_mov_b32_e32 v3, 0
	scratch_store_b32 off, v3, off offset:48
	s_waitcnt vmcnt(0)
	ds_store_b32 v1, v2
.LBB19_103:
	s_or_b32 exec_lo, exec_lo, s0
	s_waitcnt lgkmcnt(0)
	s_waitcnt_vscnt null, 0x0
	s_barrier
	buffer_gl0_inv
	s_clause 0x1
	scratch_load_b128 v[44:47], off, off offset:48
	scratch_load_b128 v[48:51], off, off offset:64
	v_mov_b32_e32 v2, 0
	ds_load_2addr_b32 v[52:53], v2 offset0:33 offset1:34
	ds_load_2addr_b32 v[54:55], v2 offset0:35 offset1:36
	;; [unrolled: 1-line block ×3, first 2 shown]
	ds_load_b32 v3, v2 offset:156
	s_mov_b32 s0, exec_lo
	s_waitcnt vmcnt(1) lgkmcnt(3)
	v_fma_f32 v45, v45, v52, 0
	s_delay_alu instid0(VALU_DEP_1) | instskip(SKIP_1) | instid1(VALU_DEP_1)
	v_fmac_f32_e32 v45, v46, v53
	s_waitcnt lgkmcnt(2)
	v_fmac_f32_e32 v45, v47, v54
	s_waitcnt vmcnt(0)
	s_delay_alu instid0(VALU_DEP_1) | instskip(SKIP_1) | instid1(VALU_DEP_1)
	v_fmac_f32_e32 v45, v48, v55
	s_waitcnt lgkmcnt(1)
	v_fmac_f32_e32 v45, v49, v56
	s_delay_alu instid0(VALU_DEP_1) | instskip(SKIP_1) | instid1(VALU_DEP_1)
	v_fmac_f32_e32 v45, v50, v57
	s_waitcnt lgkmcnt(0)
	v_fmac_f32_e32 v45, v51, v3
	s_delay_alu instid0(VALU_DEP_1)
	v_sub_f32_e32 v3, v44, v45
	scratch_store_b32 off, v3, off offset:48
	v_cmpx_lt_u32_e32 11, v0
	s_cbranch_execz .LBB19_105
; %bb.104:
	scratch_load_b32 v3, off, off offset:44
	scratch_store_b32 off, v2, off offset:44
	s_waitcnt vmcnt(0)
	ds_store_b32 v1, v3
.LBB19_105:
	s_or_b32 exec_lo, exec_lo, s0
	s_waitcnt lgkmcnt(0)
	s_waitcnt_vscnt null, 0x0
	s_barrier
	buffer_gl0_inv
	s_clause 0x2
	scratch_load_b128 v[44:47], off, off offset:44
	scratch_load_b128 v[48:51], off, off offset:60
	scratch_load_b32 v3, off, off offset:76
	ds_load_b128 v[52:55], v2 offset:128
	ds_load_b128 v[56:59], v2 offset:144
	s_mov_b32 s0, exec_lo
	s_waitcnt vmcnt(2) lgkmcnt(1)
	v_fma_f32 v2, v45, v52, 0
	s_delay_alu instid0(VALU_DEP_1) | instskip(NEXT) | instid1(VALU_DEP_1)
	v_fmac_f32_e32 v2, v46, v53
	v_fmac_f32_e32 v2, v47, v54
	s_waitcnt vmcnt(1)
	s_delay_alu instid0(VALU_DEP_1) | instskip(SKIP_1) | instid1(VALU_DEP_1)
	v_fmac_f32_e32 v2, v48, v55
	s_waitcnt lgkmcnt(0)
	v_fmac_f32_e32 v2, v49, v56
	s_delay_alu instid0(VALU_DEP_1) | instskip(NEXT) | instid1(VALU_DEP_1)
	v_fmac_f32_e32 v2, v50, v57
	v_fmac_f32_e32 v2, v51, v58
	s_waitcnt vmcnt(0)
	s_delay_alu instid0(VALU_DEP_1) | instskip(NEXT) | instid1(VALU_DEP_1)
	v_fmac_f32_e32 v2, v3, v59
	v_sub_f32_e32 v2, v44, v2
	scratch_store_b32 off, v2, off offset:44
	v_cmpx_lt_u32_e32 10, v0
	s_cbranch_execz .LBB19_107
; %bb.106:
	scratch_load_b32 v2, off, off offset:40
	v_mov_b32_e32 v3, 0
	scratch_store_b32 off, v3, off offset:40
	s_waitcnt vmcnt(0)
	ds_store_b32 v1, v2
.LBB19_107:
	s_or_b32 exec_lo, exec_lo, s0
	s_waitcnt lgkmcnt(0)
	s_waitcnt_vscnt null, 0x0
	s_barrier
	buffer_gl0_inv
	s_clause 0x2
	scratch_load_b128 v[44:47], off, off offset:40
	scratch_load_b128 v[48:51], off, off offset:56
	scratch_load_b64 v[52:53], off, off offset:72
	v_mov_b32_e32 v2, 0
	ds_load_2addr_b32 v[54:55], v2 offset0:31 offset1:32
	ds_load_2addr_b32 v[56:57], v2 offset0:33 offset1:34
	;; [unrolled: 1-line block ×4, first 2 shown]
	s_mov_b32 s0, exec_lo
	s_waitcnt vmcnt(2) lgkmcnt(3)
	v_fma_f32 v3, v45, v54, 0
	s_delay_alu instid0(VALU_DEP_1) | instskip(SKIP_4) | instid1(VALU_DEP_1)
	v_fmac_f32_e32 v3, v46, v55
	ds_load_b32 v45, v2 offset:156
	s_waitcnt lgkmcnt(3)
	v_fmac_f32_e32 v3, v47, v56
	s_waitcnt vmcnt(1)
	v_fmac_f32_e32 v3, v48, v57
	s_waitcnt lgkmcnt(2)
	s_delay_alu instid0(VALU_DEP_1) | instskip(NEXT) | instid1(VALU_DEP_1)
	v_fmac_f32_e32 v3, v49, v58
	v_fmac_f32_e32 v3, v50, v59
	s_waitcnt lgkmcnt(1)
	s_delay_alu instid0(VALU_DEP_1) | instskip(SKIP_1) | instid1(VALU_DEP_1)
	v_fmac_f32_e32 v3, v51, v60
	s_waitcnt vmcnt(0)
	v_fmac_f32_e32 v3, v52, v61
	s_waitcnt lgkmcnt(0)
	s_delay_alu instid0(VALU_DEP_1) | instskip(NEXT) | instid1(VALU_DEP_1)
	v_fmac_f32_e32 v3, v53, v45
	v_sub_f32_e32 v3, v44, v3
	scratch_store_b32 off, v3, off offset:40
	v_cmpx_lt_u32_e32 9, v0
	s_cbranch_execz .LBB19_109
; %bb.108:
	scratch_load_b32 v3, off, off offset:36
	scratch_store_b32 off, v2, off offset:36
	s_waitcnt vmcnt(0)
	ds_store_b32 v1, v3
.LBB19_109:
	s_or_b32 exec_lo, exec_lo, s0
	s_waitcnt lgkmcnt(0)
	s_waitcnt_vscnt null, 0x0
	s_barrier
	buffer_gl0_inv
	s_clause 0x2
	scratch_load_b128 v[44:47], off, off offset:36
	scratch_load_b128 v[48:51], off, off offset:52
	scratch_load_b96 v[60:62], off, off offset:68
	ds_load_2addr_b64 v[52:55], v2 offset0:15 offset1:16
	ds_load_2addr_b64 v[56:59], v2 offset0:17 offset1:18
	ds_load_b64 v[2:3], v2 offset:152
	s_mov_b32 s0, exec_lo
	s_waitcnt vmcnt(2) lgkmcnt(2)
	v_fma_f32 v45, v45, v52, 0
	s_delay_alu instid0(VALU_DEP_1) | instskip(NEXT) | instid1(VALU_DEP_1)
	v_fmac_f32_e32 v45, v46, v53
	v_fmac_f32_e32 v45, v47, v54
	s_waitcnt vmcnt(1)
	s_delay_alu instid0(VALU_DEP_1) | instskip(SKIP_1) | instid1(VALU_DEP_1)
	v_fmac_f32_e32 v45, v48, v55
	s_waitcnt lgkmcnt(1)
	v_fmac_f32_e32 v45, v49, v56
	s_delay_alu instid0(VALU_DEP_1) | instskip(NEXT) | instid1(VALU_DEP_1)
	v_fmac_f32_e32 v45, v50, v57
	v_fmac_f32_e32 v45, v51, v58
	s_waitcnt vmcnt(0)
	s_delay_alu instid0(VALU_DEP_1) | instskip(SKIP_1) | instid1(VALU_DEP_1)
	v_fmac_f32_e32 v45, v60, v59
	s_waitcnt lgkmcnt(0)
	v_fmac_f32_e32 v45, v61, v2
	s_delay_alu instid0(VALU_DEP_1) | instskip(NEXT) | instid1(VALU_DEP_1)
	v_fmac_f32_e32 v45, v62, v3
	v_sub_f32_e32 v2, v44, v45
	scratch_store_b32 off, v2, off offset:36
	v_cmpx_lt_u32_e32 8, v0
	s_cbranch_execz .LBB19_111
; %bb.110:
	scratch_load_b32 v2, off, off offset:32
	v_mov_b32_e32 v3, 0
	scratch_store_b32 off, v3, off offset:32
	s_waitcnt vmcnt(0)
	ds_store_b32 v1, v2
.LBB19_111:
	s_or_b32 exec_lo, exec_lo, s0
	s_waitcnt lgkmcnt(0)
	s_waitcnt_vscnt null, 0x0
	s_barrier
	buffer_gl0_inv
	s_clause 0x2
	scratch_load_b128 v[44:47], off, off offset:32
	scratch_load_b128 v[48:51], off, off offset:48
	;; [unrolled: 1-line block ×3, first 2 shown]
	v_mov_b32_e32 v2, 0
	ds_load_2addr_b32 v[56:57], v2 offset0:29 offset1:30
	ds_load_2addr_b32 v[58:59], v2 offset0:31 offset1:32
	;; [unrolled: 1-line block ×4, first 2 shown]
	s_mov_b32 s0, exec_lo
	s_waitcnt vmcnt(2) lgkmcnt(3)
	v_fma_f32 v3, v45, v56, 0
	s_delay_alu instid0(VALU_DEP_1)
	v_fmac_f32_e32 v3, v46, v57
	ds_load_2addr_b32 v[45:46], v2 offset0:37 offset1:38
	s_waitcnt lgkmcnt(3)
	v_fmac_f32_e32 v3, v47, v58
	ds_load_b32 v47, v2 offset:156
	s_waitcnt vmcnt(1)
	v_fmac_f32_e32 v3, v48, v59
	s_waitcnt lgkmcnt(3)
	s_delay_alu instid0(VALU_DEP_1) | instskip(NEXT) | instid1(VALU_DEP_1)
	v_fmac_f32_e32 v3, v49, v60
	v_fmac_f32_e32 v3, v50, v61
	s_waitcnt lgkmcnt(2)
	s_delay_alu instid0(VALU_DEP_1) | instskip(SKIP_1) | instid1(VALU_DEP_1)
	v_fmac_f32_e32 v3, v51, v62
	s_waitcnt vmcnt(0)
	v_fmac_f32_e32 v3, v52, v63
	s_waitcnt lgkmcnt(1)
	s_delay_alu instid0(VALU_DEP_1) | instskip(NEXT) | instid1(VALU_DEP_1)
	v_fmac_f32_e32 v3, v53, v45
	v_fmac_f32_e32 v3, v54, v46
	s_waitcnt lgkmcnt(0)
	s_delay_alu instid0(VALU_DEP_1) | instskip(NEXT) | instid1(VALU_DEP_1)
	v_fmac_f32_e32 v3, v55, v47
	v_sub_f32_e32 v3, v44, v3
	scratch_store_b32 off, v3, off offset:32
	v_cmpx_lt_u32_e32 7, v0
	s_cbranch_execz .LBB19_113
; %bb.112:
	scratch_load_b32 v3, off, off offset:28
	scratch_store_b32 off, v2, off offset:28
	s_waitcnt vmcnt(0)
	ds_store_b32 v1, v3
.LBB19_113:
	s_or_b32 exec_lo, exec_lo, s0
	s_waitcnt lgkmcnt(0)
	s_waitcnt_vscnt null, 0x0
	s_barrier
	buffer_gl0_inv
	s_clause 0x3
	scratch_load_b128 v[44:47], off, off offset:28
	scratch_load_b128 v[48:51], off, off offset:44
	;; [unrolled: 1-line block ×3, first 2 shown]
	scratch_load_b32 v3, off, off offset:76
	ds_load_b128 v[56:59], v2 offset:112
	ds_load_b128 v[60:63], v2 offset:128
	s_mov_b32 s0, exec_lo
	s_waitcnt vmcnt(3) lgkmcnt(1)
	v_fma_f32 v56, v45, v56, 0
	s_delay_alu instid0(VALU_DEP_1) | instskip(NEXT) | instid1(VALU_DEP_1)
	v_fmac_f32_e32 v56, v46, v57
	v_fmac_f32_e32 v56, v47, v58
	s_waitcnt vmcnt(2)
	s_delay_alu instid0(VALU_DEP_1) | instskip(SKIP_3) | instid1(VALU_DEP_1)
	v_fmac_f32_e32 v56, v48, v59
	ds_load_b128 v[45:48], v2 offset:144
	s_waitcnt lgkmcnt(1)
	v_fmac_f32_e32 v56, v49, v60
	v_fmac_f32_e32 v56, v50, v61
	s_delay_alu instid0(VALU_DEP_1) | instskip(SKIP_1) | instid1(VALU_DEP_1)
	v_fmac_f32_e32 v56, v51, v62
	s_waitcnt vmcnt(1)
	v_fmac_f32_e32 v56, v52, v63
	s_waitcnt lgkmcnt(0)
	s_delay_alu instid0(VALU_DEP_1) | instskip(NEXT) | instid1(VALU_DEP_1)
	v_fmac_f32_e32 v56, v53, v45
	v_fmac_f32_e32 v56, v54, v46
	s_delay_alu instid0(VALU_DEP_1) | instskip(SKIP_1) | instid1(VALU_DEP_1)
	v_fmac_f32_e32 v56, v55, v47
	s_waitcnt vmcnt(0)
	v_fmac_f32_e32 v56, v3, v48
	s_delay_alu instid0(VALU_DEP_1)
	v_sub_f32_e32 v2, v44, v56
	scratch_store_b32 off, v2, off offset:28
	v_cmpx_lt_u32_e32 6, v0
	s_cbranch_execz .LBB19_115
; %bb.114:
	scratch_load_b32 v2, off, off offset:24
	v_mov_b32_e32 v3, 0
	scratch_store_b32 off, v3, off offset:24
	s_waitcnt vmcnt(0)
	ds_store_b32 v1, v2
.LBB19_115:
	s_or_b32 exec_lo, exec_lo, s0
	s_waitcnt lgkmcnt(0)
	s_waitcnt_vscnt null, 0x0
	s_barrier
	buffer_gl0_inv
	s_clause 0x3
	scratch_load_b128 v[44:47], off, off offset:24
	scratch_load_b128 v[48:51], off, off offset:40
	;; [unrolled: 1-line block ×3, first 2 shown]
	scratch_load_b64 v[56:57], off, off offset:72
	v_mov_b32_e32 v2, 0
	ds_load_2addr_b32 v[58:59], v2 offset0:27 offset1:28
	ds_load_2addr_b32 v[60:61], v2 offset0:29 offset1:30
	;; [unrolled: 1-line block ×4, first 2 shown]
	s_mov_b32 s0, exec_lo
	s_waitcnt vmcnt(3) lgkmcnt(3)
	v_fma_f32 v3, v45, v58, 0
	s_delay_alu instid0(VALU_DEP_1) | instskip(SKIP_4) | instid1(VALU_DEP_1)
	v_fmac_f32_e32 v3, v46, v59
	ds_load_2addr_b32 v[45:46], v2 offset0:35 offset1:36
	s_waitcnt lgkmcnt(3)
	v_fmac_f32_e32 v3, v47, v60
	s_waitcnt vmcnt(2)
	v_fmac_f32_e32 v3, v48, v61
	ds_load_2addr_b32 v[47:48], v2 offset0:37 offset1:38
	s_waitcnt lgkmcnt(3)
	v_fmac_f32_e32 v3, v49, v62
	ds_load_b32 v49, v2 offset:156
	v_fmac_f32_e32 v3, v50, v63
	s_waitcnt lgkmcnt(3)
	s_delay_alu instid0(VALU_DEP_1) | instskip(SKIP_1) | instid1(VALU_DEP_1)
	v_fmac_f32_e32 v3, v51, v64
	s_waitcnt vmcnt(1)
	v_fmac_f32_e32 v3, v52, v65
	s_waitcnt lgkmcnt(2)
	s_delay_alu instid0(VALU_DEP_1) | instskip(NEXT) | instid1(VALU_DEP_1)
	v_fmac_f32_e32 v3, v53, v45
	v_fmac_f32_e32 v3, v54, v46
	s_waitcnt lgkmcnt(1)
	s_delay_alu instid0(VALU_DEP_1) | instskip(SKIP_1) | instid1(VALU_DEP_1)
	v_fmac_f32_e32 v3, v55, v47
	s_waitcnt vmcnt(0)
	v_fmac_f32_e32 v3, v56, v48
	s_waitcnt lgkmcnt(0)
	s_delay_alu instid0(VALU_DEP_1) | instskip(NEXT) | instid1(VALU_DEP_1)
	v_fmac_f32_e32 v3, v57, v49
	v_sub_f32_e32 v3, v44, v3
	scratch_store_b32 off, v3, off offset:24
	v_cmpx_lt_u32_e32 5, v0
	s_cbranch_execz .LBB19_117
; %bb.116:
	scratch_load_b32 v3, off, off offset:20
	scratch_store_b32 off, v2, off offset:20
	s_waitcnt vmcnt(0)
	ds_store_b32 v1, v3
.LBB19_117:
	s_or_b32 exec_lo, exec_lo, s0
	s_waitcnt lgkmcnt(0)
	s_waitcnt_vscnt null, 0x0
	s_barrier
	buffer_gl0_inv
	s_clause 0x3
	scratch_load_b128 v[44:47], off, off offset:20
	scratch_load_b128 v[48:51], off, off offset:36
	;; [unrolled: 1-line block ×3, first 2 shown]
	scratch_load_b96 v[64:66], off, off offset:68
	ds_load_2addr_b64 v[56:59], v2 offset0:13 offset1:14
	ds_load_2addr_b64 v[60:63], v2 offset0:15 offset1:16
	s_mov_b32 s0, exec_lo
	s_waitcnt vmcnt(3) lgkmcnt(1)
	v_fma_f32 v56, v45, v56, 0
	s_delay_alu instid0(VALU_DEP_1) | instskip(NEXT) | instid1(VALU_DEP_1)
	v_fmac_f32_e32 v56, v46, v57
	v_fmac_f32_e32 v56, v47, v58
	s_waitcnt vmcnt(2)
	s_delay_alu instid0(VALU_DEP_1) | instskip(SKIP_4) | instid1(VALU_DEP_1)
	v_fmac_f32_e32 v56, v48, v59
	ds_load_2addr_b64 v[45:48], v2 offset0:17 offset1:18
	ds_load_b64 v[2:3], v2 offset:152
	s_waitcnt lgkmcnt(2)
	v_fmac_f32_e32 v56, v49, v60
	v_fmac_f32_e32 v56, v50, v61
	s_delay_alu instid0(VALU_DEP_1) | instskip(SKIP_1) | instid1(VALU_DEP_1)
	v_fmac_f32_e32 v56, v51, v62
	s_waitcnt vmcnt(1)
	v_fmac_f32_e32 v56, v52, v63
	s_waitcnt lgkmcnt(1)
	s_delay_alu instid0(VALU_DEP_1) | instskip(NEXT) | instid1(VALU_DEP_1)
	v_fmac_f32_e32 v56, v53, v45
	v_fmac_f32_e32 v56, v54, v46
	s_delay_alu instid0(VALU_DEP_1) | instskip(SKIP_1) | instid1(VALU_DEP_1)
	v_fmac_f32_e32 v56, v55, v47
	s_waitcnt vmcnt(0)
	v_fmac_f32_e32 v56, v64, v48
	s_waitcnt lgkmcnt(0)
	s_delay_alu instid0(VALU_DEP_1) | instskip(NEXT) | instid1(VALU_DEP_1)
	v_fmac_f32_e32 v56, v65, v2
	v_fmac_f32_e32 v56, v66, v3
	s_delay_alu instid0(VALU_DEP_1)
	v_sub_f32_e32 v2, v44, v56
	scratch_store_b32 off, v2, off offset:20
	v_cmpx_lt_u32_e32 4, v0
	s_cbranch_execz .LBB19_119
; %bb.118:
	scratch_load_b32 v2, off, off offset:16
	v_mov_b32_e32 v3, 0
	scratch_store_b32 off, v3, off offset:16
	s_waitcnt vmcnt(0)
	ds_store_b32 v1, v2
.LBB19_119:
	s_or_b32 exec_lo, exec_lo, s0
	s_waitcnt lgkmcnt(0)
	s_waitcnt_vscnt null, 0x0
	s_barrier
	buffer_gl0_inv
	s_clause 0x3
	scratch_load_b128 v[44:47], off, off offset:16
	scratch_load_b128 v[48:51], off, off offset:32
	;; [unrolled: 1-line block ×4, first 2 shown]
	v_mov_b32_e32 v2, 0
	ds_load_2addr_b32 v[60:61], v2 offset0:25 offset1:26
	ds_load_2addr_b32 v[62:63], v2 offset0:27 offset1:28
	;; [unrolled: 1-line block ×4, first 2 shown]
	s_mov_b32 s0, exec_lo
	s_waitcnt vmcnt(3) lgkmcnt(3)
	v_fma_f32 v3, v45, v60, 0
	s_delay_alu instid0(VALU_DEP_1) | instskip(SKIP_4) | instid1(VALU_DEP_1)
	v_fmac_f32_e32 v3, v46, v61
	ds_load_2addr_b32 v[45:46], v2 offset0:33 offset1:34
	s_waitcnt lgkmcnt(3)
	v_fmac_f32_e32 v3, v47, v62
	s_waitcnt vmcnt(2)
	v_fmac_f32_e32 v3, v48, v63
	ds_load_2addr_b32 v[47:48], v2 offset0:35 offset1:36
	s_waitcnt lgkmcnt(3)
	v_fmac_f32_e32 v3, v49, v64
	s_delay_alu instid0(VALU_DEP_1) | instskip(SKIP_1) | instid1(VALU_DEP_1)
	v_fmac_f32_e32 v3, v50, v65
	s_waitcnt lgkmcnt(2)
	v_fmac_f32_e32 v3, v51, v66
	ds_load_2addr_b32 v[49:50], v2 offset0:37 offset1:38
	ds_load_b32 v51, v2 offset:156
	s_waitcnt vmcnt(1)
	v_fmac_f32_e32 v3, v52, v67
	s_waitcnt lgkmcnt(3)
	s_delay_alu instid0(VALU_DEP_1) | instskip(NEXT) | instid1(VALU_DEP_1)
	v_fmac_f32_e32 v3, v53, v45
	v_fmac_f32_e32 v3, v54, v46
	s_waitcnt lgkmcnt(2)
	s_delay_alu instid0(VALU_DEP_1) | instskip(SKIP_1) | instid1(VALU_DEP_1)
	v_fmac_f32_e32 v3, v55, v47
	s_waitcnt vmcnt(0)
	v_fmac_f32_e32 v3, v56, v48
	s_waitcnt lgkmcnt(1)
	s_delay_alu instid0(VALU_DEP_1) | instskip(NEXT) | instid1(VALU_DEP_1)
	v_fmac_f32_e32 v3, v57, v49
	v_fmac_f32_e32 v3, v58, v50
	s_waitcnt lgkmcnt(0)
	s_delay_alu instid0(VALU_DEP_1) | instskip(NEXT) | instid1(VALU_DEP_1)
	v_fmac_f32_e32 v3, v59, v51
	v_sub_f32_e32 v3, v44, v3
	scratch_store_b32 off, v3, off offset:16
	v_cmpx_lt_u32_e32 3, v0
	s_cbranch_execz .LBB19_121
; %bb.120:
	scratch_load_b32 v3, off, off offset:12
	scratch_store_b32 off, v2, off offset:12
	s_waitcnt vmcnt(0)
	ds_store_b32 v1, v3
.LBB19_121:
	s_or_b32 exec_lo, exec_lo, s0
	s_waitcnt lgkmcnt(0)
	s_waitcnt_vscnt null, 0x0
	s_barrier
	buffer_gl0_inv
	s_clause 0x4
	scratch_load_b128 v[44:47], off, off offset:12
	scratch_load_b128 v[48:51], off, off offset:28
	;; [unrolled: 1-line block ×4, first 2 shown]
	scratch_load_b32 v3, off, off offset:76
	ds_load_b128 v[60:63], v2 offset:96
	ds_load_b128 v[64:67], v2 offset:112
	s_mov_b32 s0, exec_lo
	s_waitcnt vmcnt(4) lgkmcnt(1)
	v_fma_f32 v60, v45, v60, 0
	s_delay_alu instid0(VALU_DEP_1) | instskip(NEXT) | instid1(VALU_DEP_1)
	v_fmac_f32_e32 v60, v46, v61
	v_fmac_f32_e32 v60, v47, v62
	s_waitcnt vmcnt(3)
	s_delay_alu instid0(VALU_DEP_1) | instskip(SKIP_3) | instid1(VALU_DEP_1)
	v_fmac_f32_e32 v60, v48, v63
	ds_load_b128 v[45:48], v2 offset:128
	s_waitcnt lgkmcnt(1)
	v_fmac_f32_e32 v60, v49, v64
	v_fmac_f32_e32 v60, v50, v65
	s_delay_alu instid0(VALU_DEP_1) | instskip(SKIP_1) | instid1(VALU_DEP_1)
	v_fmac_f32_e32 v60, v51, v66
	s_waitcnt vmcnt(2)
	v_fmac_f32_e32 v60, v52, v67
	ds_load_b128 v[49:52], v2 offset:144
	s_waitcnt lgkmcnt(1)
	v_fmac_f32_e32 v60, v53, v45
	s_delay_alu instid0(VALU_DEP_1) | instskip(NEXT) | instid1(VALU_DEP_1)
	v_fmac_f32_e32 v60, v54, v46
	v_fmac_f32_e32 v60, v55, v47
	s_waitcnt vmcnt(1)
	s_delay_alu instid0(VALU_DEP_1) | instskip(SKIP_1) | instid1(VALU_DEP_1)
	v_fmac_f32_e32 v60, v56, v48
	s_waitcnt lgkmcnt(0)
	v_fmac_f32_e32 v60, v57, v49
	s_delay_alu instid0(VALU_DEP_1) | instskip(NEXT) | instid1(VALU_DEP_1)
	v_fmac_f32_e32 v60, v58, v50
	v_fmac_f32_e32 v60, v59, v51
	s_waitcnt vmcnt(0)
	s_delay_alu instid0(VALU_DEP_1) | instskip(NEXT) | instid1(VALU_DEP_1)
	v_fmac_f32_e32 v60, v3, v52
	v_sub_f32_e32 v2, v44, v60
	scratch_store_b32 off, v2, off offset:12
	v_cmpx_lt_u32_e32 2, v0
	s_cbranch_execz .LBB19_123
; %bb.122:
	scratch_load_b32 v2, off, off offset:8
	v_mov_b32_e32 v3, 0
	scratch_store_b32 off, v3, off offset:8
	s_waitcnt vmcnt(0)
	ds_store_b32 v1, v2
.LBB19_123:
	s_or_b32 exec_lo, exec_lo, s0
	s_waitcnt lgkmcnt(0)
	s_waitcnt_vscnt null, 0x0
	s_barrier
	buffer_gl0_inv
	s_clause 0x4
	scratch_load_b128 v[44:47], off, off offset:8
	scratch_load_b128 v[48:51], off, off offset:24
	;; [unrolled: 1-line block ×4, first 2 shown]
	scratch_load_b64 v[60:61], off, off offset:72
	v_mov_b32_e32 v2, 0
	ds_load_2addr_b32 v[62:63], v2 offset0:23 offset1:24
	ds_load_2addr_b32 v[64:65], v2 offset0:25 offset1:26
	;; [unrolled: 1-line block ×4, first 2 shown]
	s_mov_b32 s0, exec_lo
	s_waitcnt vmcnt(4) lgkmcnt(3)
	v_fma_f32 v3, v45, v62, 0
	s_delay_alu instid0(VALU_DEP_1) | instskip(SKIP_4) | instid1(VALU_DEP_1)
	v_fmac_f32_e32 v3, v46, v63
	ds_load_2addr_b32 v[45:46], v2 offset0:31 offset1:32
	s_waitcnt lgkmcnt(3)
	v_fmac_f32_e32 v3, v47, v64
	s_waitcnt vmcnt(3)
	v_fmac_f32_e32 v3, v48, v65
	ds_load_2addr_b32 v[47:48], v2 offset0:33 offset1:34
	s_waitcnt lgkmcnt(3)
	v_fmac_f32_e32 v3, v49, v66
	s_delay_alu instid0(VALU_DEP_1) | instskip(SKIP_1) | instid1(VALU_DEP_1)
	v_fmac_f32_e32 v3, v50, v67
	s_waitcnt lgkmcnt(2)
	v_fmac_f32_e32 v3, v51, v68
	s_waitcnt vmcnt(2)
	s_delay_alu instid0(VALU_DEP_1)
	v_fmac_f32_e32 v3, v52, v69
	ds_load_2addr_b32 v[49:50], v2 offset0:35 offset1:36
	ds_load_2addr_b32 v[51:52], v2 offset0:37 offset1:38
	s_waitcnt lgkmcnt(3)
	v_fmac_f32_e32 v3, v53, v45
	ds_load_b32 v45, v2 offset:156
	v_fmac_f32_e32 v3, v54, v46
	s_waitcnt lgkmcnt(3)
	s_delay_alu instid0(VALU_DEP_1) | instskip(SKIP_1) | instid1(VALU_DEP_1)
	v_fmac_f32_e32 v3, v55, v47
	s_waitcnt vmcnt(1)
	v_fmac_f32_e32 v3, v56, v48
	s_waitcnt lgkmcnt(2)
	s_delay_alu instid0(VALU_DEP_1) | instskip(NEXT) | instid1(VALU_DEP_1)
	v_fmac_f32_e32 v3, v57, v49
	v_fmac_f32_e32 v3, v58, v50
	s_waitcnt lgkmcnt(1)
	s_delay_alu instid0(VALU_DEP_1) | instskip(SKIP_1) | instid1(VALU_DEP_1)
	v_fmac_f32_e32 v3, v59, v51
	s_waitcnt vmcnt(0)
	v_fmac_f32_e32 v3, v60, v52
	s_waitcnt lgkmcnt(0)
	s_delay_alu instid0(VALU_DEP_1) | instskip(NEXT) | instid1(VALU_DEP_1)
	v_fmac_f32_e32 v3, v61, v45
	v_sub_f32_e32 v3, v44, v3
	scratch_store_b32 off, v3, off offset:8
	v_cmpx_lt_u32_e32 1, v0
	s_cbranch_execz .LBB19_125
; %bb.124:
	scratch_load_b32 v3, off, off offset:4
	scratch_store_b32 off, v2, off offset:4
	s_waitcnt vmcnt(0)
	ds_store_b32 v1, v3
.LBB19_125:
	s_or_b32 exec_lo, exec_lo, s0
	s_waitcnt lgkmcnt(0)
	s_waitcnt_vscnt null, 0x0
	s_barrier
	buffer_gl0_inv
	s_clause 0x4
	scratch_load_b128 v[44:47], off, off offset:4
	scratch_load_b128 v[48:51], off, off offset:20
	;; [unrolled: 1-line block ×4, first 2 shown]
	scratch_load_b96 v[68:70], off, off offset:68
	ds_load_2addr_b64 v[60:63], v2 offset0:11 offset1:12
	ds_load_2addr_b64 v[64:67], v2 offset0:13 offset1:14
	s_mov_b32 s0, exec_lo
	s_waitcnt vmcnt(4) lgkmcnt(1)
	v_fma_f32 v60, v45, v60, 0
	s_delay_alu instid0(VALU_DEP_1) | instskip(NEXT) | instid1(VALU_DEP_1)
	v_fmac_f32_e32 v60, v46, v61
	v_fmac_f32_e32 v60, v47, v62
	s_waitcnt vmcnt(3)
	s_delay_alu instid0(VALU_DEP_1) | instskip(SKIP_3) | instid1(VALU_DEP_1)
	v_fmac_f32_e32 v60, v48, v63
	ds_load_2addr_b64 v[45:48], v2 offset0:15 offset1:16
	s_waitcnt lgkmcnt(1)
	v_fmac_f32_e32 v60, v49, v64
	v_fmac_f32_e32 v60, v50, v65
	s_delay_alu instid0(VALU_DEP_1) | instskip(SKIP_1) | instid1(VALU_DEP_1)
	v_fmac_f32_e32 v60, v51, v66
	s_waitcnt vmcnt(2)
	v_fmac_f32_e32 v60, v52, v67
	ds_load_2addr_b64 v[49:52], v2 offset0:17 offset1:18
	ds_load_b64 v[2:3], v2 offset:152
	s_waitcnt lgkmcnt(2)
	v_fmac_f32_e32 v60, v53, v45
	s_delay_alu instid0(VALU_DEP_1) | instskip(NEXT) | instid1(VALU_DEP_1)
	v_fmac_f32_e32 v60, v54, v46
	v_fmac_f32_e32 v60, v55, v47
	s_waitcnt vmcnt(1)
	s_delay_alu instid0(VALU_DEP_1) | instskip(SKIP_1) | instid1(VALU_DEP_1)
	v_fmac_f32_e32 v60, v56, v48
	s_waitcnt lgkmcnt(1)
	v_fmac_f32_e32 v60, v57, v49
	s_delay_alu instid0(VALU_DEP_1) | instskip(NEXT) | instid1(VALU_DEP_1)
	v_fmac_f32_e32 v60, v58, v50
	v_fmac_f32_e32 v60, v59, v51
	s_waitcnt vmcnt(0)
	s_delay_alu instid0(VALU_DEP_1) | instskip(SKIP_1) | instid1(VALU_DEP_1)
	v_fmac_f32_e32 v60, v68, v52
	s_waitcnt lgkmcnt(0)
	v_fmac_f32_e32 v60, v69, v2
	s_delay_alu instid0(VALU_DEP_1) | instskip(NEXT) | instid1(VALU_DEP_1)
	v_fmac_f32_e32 v60, v70, v3
	v_sub_f32_e32 v2, v44, v60
	scratch_store_b32 off, v2, off offset:4
	v_cmpx_ne_u32_e32 0, v0
	s_cbranch_execz .LBB19_127
; %bb.126:
	scratch_load_b32 v0, off, off
	v_mov_b32_e32 v2, 0
	scratch_store_b32 off, v2, off
	s_waitcnt vmcnt(0)
	ds_store_b32 v1, v0
.LBB19_127:
	s_or_b32 exec_lo, exec_lo, s0
	s_waitcnt lgkmcnt(0)
	s_waitcnt_vscnt null, 0x0
	s_barrier
	buffer_gl0_inv
	s_clause 0x4
	scratch_load_b128 v[44:47], off, off
	scratch_load_b128 v[48:51], off, off offset:16
	scratch_load_b128 v[52:55], off, off offset:32
	;; [unrolled: 1-line block ×4, first 2 shown]
	v_mov_b32_e32 v68, 0
	ds_load_2addr_b32 v[60:61], v68 offset0:21 offset1:22
	ds_load_2addr_b32 v[62:63], v68 offset0:23 offset1:24
	;; [unrolled: 1-line block ×4, first 2 shown]
	s_and_b32 vcc_lo, exec_lo, s16
	s_waitcnt vmcnt(4) lgkmcnt(3)
	v_fma_f32 v60, v45, v60, 0
	s_delay_alu instid0(VALU_DEP_1) | instskip(SKIP_4) | instid1(VALU_DEP_1)
	v_fmac_f32_e32 v60, v46, v61
	ds_load_2addr_b32 v[45:46], v68 offset0:29 offset1:30
	s_waitcnt lgkmcnt(3)
	v_fmac_f32_e32 v60, v47, v62
	s_waitcnt vmcnt(3)
	v_fmac_f32_e32 v60, v48, v63
	ds_load_2addr_b32 v[47:48], v68 offset0:31 offset1:32
	s_waitcnt lgkmcnt(3)
	v_fmac_f32_e32 v60, v49, v64
	s_delay_alu instid0(VALU_DEP_1) | instskip(SKIP_1) | instid1(VALU_DEP_1)
	v_fmac_f32_e32 v60, v50, v65
	s_waitcnt lgkmcnt(2)
	v_fmac_f32_e32 v60, v51, v66
	s_waitcnt vmcnt(2)
	s_delay_alu instid0(VALU_DEP_1) | instskip(SKIP_4) | instid1(VALU_DEP_1)
	v_fmac_f32_e32 v60, v52, v67
	ds_load_2addr_b32 v[49:50], v68 offset0:33 offset1:34
	ds_load_2addr_b32 v[51:52], v68 offset0:35 offset1:36
	s_waitcnt lgkmcnt(3)
	v_fmac_f32_e32 v60, v53, v45
	v_fmac_f32_e32 v60, v54, v46
	ds_load_2addr_b32 v[45:46], v68 offset0:37 offset1:38
	s_waitcnt lgkmcnt(3)
	v_fmac_f32_e32 v60, v55, v47
	ds_load_b32 v47, v68 offset:156
	s_waitcnt vmcnt(1)
	v_fmac_f32_e32 v60, v56, v48
	s_waitcnt lgkmcnt(3)
	s_delay_alu instid0(VALU_DEP_1) | instskip(NEXT) | instid1(VALU_DEP_1)
	v_fmac_f32_e32 v60, v57, v49
	v_fmac_f32_e32 v60, v58, v50
	s_waitcnt lgkmcnt(2)
	s_delay_alu instid0(VALU_DEP_1) | instskip(SKIP_1) | instid1(VALU_DEP_1)
	v_fmac_f32_e32 v60, v59, v51
	s_waitcnt vmcnt(0)
	v_fmac_f32_e32 v60, v0, v52
	s_waitcnt lgkmcnt(1)
	s_delay_alu instid0(VALU_DEP_1) | instskip(NEXT) | instid1(VALU_DEP_1)
	v_fmac_f32_e32 v60, v1, v45
	v_fmac_f32_e32 v60, v2, v46
	s_waitcnt lgkmcnt(0)
	s_delay_alu instid0(VALU_DEP_1) | instskip(NEXT) | instid1(VALU_DEP_1)
	v_fmac_f32_e32 v60, v3, v47
	v_sub_f32_e32 v0, v44, v60
	scratch_store_b32 off, v0, off
	s_cbranch_vccz .LBB19_167
; %bb.128:
	v_dual_mov_b32 v0, s12 :: v_dual_mov_b32 v1, s13
	s_mov_b32 s0, exec_lo
	flat_load_b32 v0, v[0:1] offset:72
	s_waitcnt vmcnt(0) lgkmcnt(0)
	v_cmpx_ne_u32_e32 19, v0
	s_cbranch_execz .LBB19_130
; %bb.129:
	v_lshl_add_u32 v0, v0, 2, 0
	scratch_load_b32 v1, v0, off offset:-4
	s_waitcnt vmcnt(0)
	scratch_store_b32 off, v1, off offset:72
	scratch_store_b32 v0, v2, off offset:-4
.LBB19_130:
	s_or_b32 exec_lo, exec_lo, s0
	v_dual_mov_b32 v0, s12 :: v_dual_mov_b32 v1, s13
	s_mov_b32 s0, exec_lo
	flat_load_b32 v0, v[0:1] offset:68
	s_waitcnt vmcnt(0) lgkmcnt(0)
	v_cmpx_ne_u32_e32 18, v0
	s_cbranch_execz .LBB19_132
; %bb.131:
	v_lshl_add_u32 v0, v0, 2, 0
	scratch_load_b32 v1, v0, off offset:-4
	scratch_load_b32 v2, off, off offset:68
	s_waitcnt vmcnt(1)
	scratch_store_b32 off, v1, off offset:68
	s_waitcnt vmcnt(0)
	scratch_store_b32 v0, v2, off offset:-4
.LBB19_132:
	s_or_b32 exec_lo, exec_lo, s0
	v_dual_mov_b32 v0, s12 :: v_dual_mov_b32 v1, s13
	s_mov_b32 s0, exec_lo
	flat_load_b32 v0, v[0:1] offset:64
	s_waitcnt vmcnt(0) lgkmcnt(0)
	v_cmpx_ne_u32_e32 17, v0
	s_cbranch_execz .LBB19_134
; %bb.133:
	v_lshl_add_u32 v0, v0, 2, 0
	scratch_load_b32 v1, v0, off offset:-4
	scratch_load_b32 v2, off, off offset:64
	s_waitcnt vmcnt(1)
	scratch_store_b32 off, v1, off offset:64
	s_waitcnt vmcnt(0)
	scratch_store_b32 v0, v2, off offset:-4
.LBB19_134:
	;; [unrolled: 16-line block ×17, first 2 shown]
	s_or_b32 exec_lo, exec_lo, s0
	v_dual_mov_b32 v0, s12 :: v_dual_mov_b32 v1, s13
	s_mov_b32 s0, exec_lo
	flat_load_b32 v1, v[0:1]
	scratch_load_b32 v0, off, off
	s_waitcnt vmcnt(1) lgkmcnt(0)
	v_cmpx_ne_u32_e32 1, v1
	s_cbranch_execz .LBB19_166
; %bb.165:
	v_lshl_add_u32 v1, v1, 2, 0
	scratch_load_b32 v2, v1, off offset:-4
	s_waitcnt vmcnt(0)
	scratch_store_b32 off, v2, off
	scratch_store_b32 v1, v0, off offset:-4
	scratch_load_b32 v0, off, off
.LBB19_166:
	s_or_b32 exec_lo, exec_lo, s0
.LBB19_167:
	s_clause 0x4
	scratch_load_b128 v[44:47], off, off offset:4
	scratch_load_b128 v[48:51], off, off offset:20
	scratch_load_b128 v[52:55], off, off offset:36
	scratch_load_b128 v[56:59], off, off offset:52
	scratch_load_b96 v[1:3], off, off offset:68
	s_waitcnt vmcnt(5)
	global_store_b32 v[4:5], v0, off
	s_waitcnt vmcnt(4)
	s_clause 0x3
	global_store_b32 v[6:7], v44, off
	global_store_b32 v[8:9], v45, off
	global_store_b32 v[10:11], v46, off
	global_store_b32 v[12:13], v47, off
	s_waitcnt vmcnt(3)
	s_clause 0x3
	global_store_b32 v[14:15], v48, off
	global_store_b32 v[16:17], v49, off
	global_store_b32 v[18:19], v50, off
	;; [unrolled: 6-line block ×5, first 2 shown]
	s_endpgm
	.section	.rodata,"a",@progbits
	.p2align	6, 0x0
	.amdhsa_kernel _ZN9rocsolver6v33100L18getri_kernel_smallILi20EfPfEEvT1_iilPiilS4_bb
		.amdhsa_group_segment_fixed_size 164
		.amdhsa_private_segment_fixed_size 96
		.amdhsa_kernarg_size 60
		.amdhsa_user_sgpr_count 15
		.amdhsa_user_sgpr_dispatch_ptr 0
		.amdhsa_user_sgpr_queue_ptr 0
		.amdhsa_user_sgpr_kernarg_segment_ptr 1
		.amdhsa_user_sgpr_dispatch_id 0
		.amdhsa_user_sgpr_private_segment_size 0
		.amdhsa_wavefront_size32 1
		.amdhsa_uses_dynamic_stack 0
		.amdhsa_enable_private_segment 1
		.amdhsa_system_sgpr_workgroup_id_x 1
		.amdhsa_system_sgpr_workgroup_id_y 0
		.amdhsa_system_sgpr_workgroup_id_z 0
		.amdhsa_system_sgpr_workgroup_info 0
		.amdhsa_system_vgpr_workitem_id 0
		.amdhsa_next_free_vgpr 71
		.amdhsa_next_free_sgpr 18
		.amdhsa_reserve_vcc 1
		.amdhsa_float_round_mode_32 0
		.amdhsa_float_round_mode_16_64 0
		.amdhsa_float_denorm_mode_32 3
		.amdhsa_float_denorm_mode_16_64 3
		.amdhsa_dx10_clamp 1
		.amdhsa_ieee_mode 1
		.amdhsa_fp16_overflow 0
		.amdhsa_workgroup_processor_mode 1
		.amdhsa_memory_ordered 1
		.amdhsa_forward_progress 0
		.amdhsa_shared_vgpr_count 0
		.amdhsa_exception_fp_ieee_invalid_op 0
		.amdhsa_exception_fp_denorm_src 0
		.amdhsa_exception_fp_ieee_div_zero 0
		.amdhsa_exception_fp_ieee_overflow 0
		.amdhsa_exception_fp_ieee_underflow 0
		.amdhsa_exception_fp_ieee_inexact 0
		.amdhsa_exception_int_div_zero 0
	.end_amdhsa_kernel
	.section	.text._ZN9rocsolver6v33100L18getri_kernel_smallILi20EfPfEEvT1_iilPiilS4_bb,"axG",@progbits,_ZN9rocsolver6v33100L18getri_kernel_smallILi20EfPfEEvT1_iilPiilS4_bb,comdat
.Lfunc_end19:
	.size	_ZN9rocsolver6v33100L18getri_kernel_smallILi20EfPfEEvT1_iilPiilS4_bb, .Lfunc_end19-_ZN9rocsolver6v33100L18getri_kernel_smallILi20EfPfEEvT1_iilPiilS4_bb
                                        ; -- End function
	.section	.AMDGPU.csdata,"",@progbits
; Kernel info:
; codeLenInByte = 11044
; NumSgprs: 20
; NumVgprs: 71
; ScratchSize: 96
; MemoryBound: 0
; FloatMode: 240
; IeeeMode: 1
; LDSByteSize: 164 bytes/workgroup (compile time only)
; SGPRBlocks: 2
; VGPRBlocks: 8
; NumSGPRsForWavesPerEU: 20
; NumVGPRsForWavesPerEU: 71
; Occupancy: 16
; WaveLimiterHint : 0
; COMPUTE_PGM_RSRC2:SCRATCH_EN: 1
; COMPUTE_PGM_RSRC2:USER_SGPR: 15
; COMPUTE_PGM_RSRC2:TRAP_HANDLER: 0
; COMPUTE_PGM_RSRC2:TGID_X_EN: 1
; COMPUTE_PGM_RSRC2:TGID_Y_EN: 0
; COMPUTE_PGM_RSRC2:TGID_Z_EN: 0
; COMPUTE_PGM_RSRC2:TIDIG_COMP_CNT: 0
	.section	.text._ZN9rocsolver6v33100L18getri_kernel_smallILi21EfPfEEvT1_iilPiilS4_bb,"axG",@progbits,_ZN9rocsolver6v33100L18getri_kernel_smallILi21EfPfEEvT1_iilPiilS4_bb,comdat
	.globl	_ZN9rocsolver6v33100L18getri_kernel_smallILi21EfPfEEvT1_iilPiilS4_bb ; -- Begin function _ZN9rocsolver6v33100L18getri_kernel_smallILi21EfPfEEvT1_iilPiilS4_bb
	.p2align	8
	.type	_ZN9rocsolver6v33100L18getri_kernel_smallILi21EfPfEEvT1_iilPiilS4_bb,@function
_ZN9rocsolver6v33100L18getri_kernel_smallILi21EfPfEEvT1_iilPiilS4_bb: ; @_ZN9rocsolver6v33100L18getri_kernel_smallILi21EfPfEEvT1_iilPiilS4_bb
; %bb.0:
	s_mov_b32 s2, exec_lo
	v_cmpx_gt_u32_e32 21, v0
	s_cbranch_execz .LBB20_92
; %bb.1:
	s_clause 0x2
	s_load_b32 s17, s[0:1], 0x38
	s_load_b128 s[8:11], s[0:1], 0x10
	s_load_b128 s[4:7], s[0:1], 0x28
	s_mov_b32 s14, s15
                                        ; implicit-def: $sgpr12_sgpr13
	s_waitcnt lgkmcnt(0)
	s_bitcmp1_b32 s17, 8
	s_cselect_b32 s16, -1, 0
	s_bfe_u32 s2, s17, 0x10008
	s_ashr_i32 s15, s15, 31
	s_cmp_eq_u32 s2, 0
	s_cbranch_scc1 .LBB20_3
; %bb.2:
	s_load_b32 s2, s[0:1], 0x20
	s_mul_i32 s3, s14, s5
	s_mul_hi_u32 s5, s14, s4
	s_mul_i32 s12, s15, s4
	s_add_i32 s3, s5, s3
	s_mul_i32 s4, s14, s4
	s_add_i32 s5, s3, s12
	s_delay_alu instid0(SALU_CYCLE_1)
	s_lshl_b64 s[4:5], s[4:5], 2
	s_waitcnt lgkmcnt(0)
	s_ashr_i32 s3, s2, 31
	s_add_u32 s4, s10, s4
	s_addc_u32 s5, s11, s5
	s_lshl_b64 s[2:3], s[2:3], 2
	s_delay_alu instid0(SALU_CYCLE_1)
	s_add_u32 s12, s4, s2
	s_addc_u32 s13, s5, s3
.LBB20_3:
	s_load_b128 s[0:3], s[0:1], 0x0
	s_mul_i32 s4, s14, s9
	s_mul_hi_u32 s5, s14, s8
	s_mul_i32 s9, s15, s8
	s_add_i32 s5, s5, s4
	s_mul_i32 s4, s14, s8
	s_add_i32 s5, s5, s9
	v_lshlrev_b32_e32 v1, 2, v0
	s_lshl_b64 s[4:5], s[4:5], 2
	s_waitcnt lgkmcnt(0)
	v_add3_u32 v2, s3, s3, v0
	s_ashr_i32 s9, s2, 31
	s_mov_b32 s8, s2
	s_add_u32 s2, s0, s4
	s_addc_u32 s5, s1, s5
	v_add_nc_u32_e32 v8, s3, v2
	s_lshl_b64 s[0:1], s[8:9], 2
	v_ashrrev_i32_e32 v3, 31, v2
	s_add_u32 s0, s2, s0
	s_addc_u32 s1, s5, s1
	v_add_nc_u32_e32 v10, s3, v8
	v_add_co_u32 v4, s2, s0, v1
	s_mov_b32 s4, s3
	s_ashr_i32 s5, s3, 31
	s_delay_alu instid0(VALU_DEP_2) | instskip(SKIP_3) | instid1(VALU_DEP_4)
	v_add_nc_u32_e32 v14, s3, v10
	v_add_co_ci_u32_e64 v5, null, s1, 0, s2
	v_lshlrev_b64 v[2:3], 2, v[2:3]
	v_ashrrev_i32_e32 v9, 31, v8
	v_add_nc_u32_e32 v16, s3, v14
	s_lshl_b64 s[4:5], s[4:5], 2
	v_ashrrev_i32_e32 v11, 31, v10
	v_add_co_u32 v6, vcc_lo, v4, s4
	s_delay_alu instid0(VALU_DEP_3) | instskip(SKIP_3) | instid1(VALU_DEP_4)
	v_add_nc_u32_e32 v18, s3, v16
	v_add_co_ci_u32_e32 v7, vcc_lo, s5, v5, vcc_lo
	v_lshlrev_b64 v[12:13], 2, v[8:9]
	v_add_co_u32 v8, vcc_lo, s0, v2
	v_add_nc_u32_e32 v20, s3, v18
	v_add_co_ci_u32_e32 v9, vcc_lo, s1, v3, vcc_lo
	v_lshlrev_b64 v[2:3], 2, v[10:11]
	v_ashrrev_i32_e32 v15, 31, v14
	s_delay_alu instid0(VALU_DEP_4)
	v_add_nc_u32_e32 v22, s3, v20
	v_add_co_u32 v10, vcc_lo, s0, v12
	v_ashrrev_i32_e32 v17, 31, v16
	v_add_co_ci_u32_e32 v11, vcc_lo, s1, v13, vcc_lo
	v_lshlrev_b64 v[14:15], 2, v[14:15]
	v_add_co_u32 v12, vcc_lo, s0, v2
	v_add_nc_u32_e32 v24, s3, v22
	v_add_co_ci_u32_e32 v13, vcc_lo, s1, v3, vcc_lo
	v_lshlrev_b64 v[2:3], 2, v[16:17]
	v_ashrrev_i32_e32 v19, 31, v18
	v_add_co_u32 v14, vcc_lo, s0, v14
	v_ashrrev_i32_e32 v21, 31, v20
	v_add_nc_u32_e32 v26, s3, v24
	v_add_co_ci_u32_e32 v15, vcc_lo, s1, v15, vcc_lo
	v_lshlrev_b64 v[18:19], 2, v[18:19]
	v_add_co_u32 v16, vcc_lo, s0, v2
	v_add_co_ci_u32_e32 v17, vcc_lo, s1, v3, vcc_lo
	v_lshlrev_b64 v[2:3], 2, v[20:21]
	v_add_nc_u32_e32 v28, s3, v26
	v_add_co_u32 v18, vcc_lo, s0, v18
	v_ashrrev_i32_e32 v23, 31, v22
	v_add_co_ci_u32_e32 v19, vcc_lo, s1, v19, vcc_lo
	v_add_co_u32 v20, vcc_lo, s0, v2
	v_add_nc_u32_e32 v30, s3, v28
	v_add_co_ci_u32_e32 v21, vcc_lo, s1, v3, vcc_lo
	v_lshlrev_b64 v[2:3], 2, v[22:23]
	v_ashrrev_i32_e32 v25, 31, v24
	v_ashrrev_i32_e32 v27, 31, v26
	v_add_nc_u32_e32 v32, s3, v30
	v_ashrrev_i32_e32 v29, 31, v28
	v_ashrrev_i32_e32 v31, 31, v30
	v_lshlrev_b64 v[24:25], 2, v[24:25]
	v_add_co_u32 v22, vcc_lo, s0, v2
	v_add_co_ci_u32_e32 v23, vcc_lo, s1, v3, vcc_lo
	v_lshlrev_b64 v[2:3], 2, v[26:27]
	v_add_nc_u32_e32 v34, s3, v32
	v_add_co_u32 v24, vcc_lo, s0, v24
	v_add_co_ci_u32_e32 v25, vcc_lo, s1, v25, vcc_lo
	v_lshlrev_b64 v[28:29], 2, v[28:29]
	s_delay_alu instid0(VALU_DEP_4)
	v_add_nc_u32_e32 v36, s3, v34
	v_add_co_u32 v26, vcc_lo, s0, v2
	v_add_co_ci_u32_e32 v27, vcc_lo, s1, v3, vcc_lo
	v_lshlrev_b64 v[2:3], 2, v[30:31]
	v_ashrrev_i32_e32 v33, 31, v32
	v_add_nc_u32_e32 v38, s3, v36
	v_add_co_u32 v28, vcc_lo, s0, v28
	v_ashrrev_i32_e32 v35, 31, v34
	v_add_co_ci_u32_e32 v29, vcc_lo, s1, v29, vcc_lo
	v_lshlrev_b64 v[32:33], 2, v[32:33]
	v_add_co_u32 v30, vcc_lo, s0, v2
	v_add_nc_u32_e32 v40, s3, v38
	v_add_co_ci_u32_e32 v31, vcc_lo, s1, v3, vcc_lo
	v_lshlrev_b64 v[2:3], 2, v[34:35]
	v_ashrrev_i32_e32 v37, 31, v36
	v_add_co_u32 v32, vcc_lo, s0, v32
	v_ashrrev_i32_e32 v39, 31, v38
	v_add_nc_u32_e32 v42, s3, v40
	v_add_co_ci_u32_e32 v33, vcc_lo, s1, v33, vcc_lo
	v_lshlrev_b64 v[36:37], 2, v[36:37]
	v_add_co_u32 v34, vcc_lo, s0, v2
	v_add_co_ci_u32_e32 v35, vcc_lo, s1, v3, vcc_lo
	v_lshlrev_b64 v[2:3], 2, v[38:39]
	v_ashrrev_i32_e32 v41, 31, v40
	v_add_nc_u32_e32 v44, s3, v42
	v_add_co_u32 v36, vcc_lo, s0, v36
	v_ashrrev_i32_e32 v43, 31, v42
	v_add_co_ci_u32_e32 v37, vcc_lo, s1, v37, vcc_lo
	v_lshlrev_b64 v[40:41], 2, v[40:41]
	v_add_co_u32 v38, vcc_lo, s0, v2
	v_ashrrev_i32_e32 v45, 31, v44
	v_add_co_ci_u32_e32 v39, vcc_lo, s1, v3, vcc_lo
	v_lshlrev_b64 v[2:3], 2, v[42:43]
	v_add_co_u32 v40, vcc_lo, s0, v40
	s_delay_alu instid0(VALU_DEP_4) | instskip(SKIP_1) | instid1(VALU_DEP_4)
	v_lshlrev_b64 v[44:45], 2, v[44:45]
	v_add_co_ci_u32_e32 v41, vcc_lo, s1, v41, vcc_lo
	v_add_co_u32 v42, vcc_lo, s0, v2
	v_add_co_ci_u32_e32 v43, vcc_lo, s1, v3, vcc_lo
	s_delay_alu instid0(VALU_DEP_4)
	v_add_co_u32 v44, vcc_lo, s0, v44
	s_clause 0x8
	global_load_b32 v46, v1, s[0:1]
	global_load_b32 v47, v[6:7], off
	global_load_b32 v48, v[8:9], off
	global_load_b32 v49, v[10:11], off
	global_load_b32 v50, v[12:13], off
	global_load_b32 v51, v[14:15], off
	global_load_b32 v52, v[16:17], off
	global_load_b32 v53, v[18:19], off
	global_load_b32 v54, v[20:21], off
	v_add_co_ci_u32_e32 v45, vcc_lo, s1, v45, vcc_lo
	s_clause 0xb
	global_load_b32 v55, v[22:23], off
	global_load_b32 v56, v[24:25], off
	;; [unrolled: 1-line block ×12, first 2 shown]
	s_mov_b32 s1, -1
	s_bitcmp0_b32 s17, 0
	s_waitcnt vmcnt(17)
	scratch_store_b128 off, v[46:49], off
	s_waitcnt vmcnt(13)
	scratch_store_b128 off, v[50:53], off offset:16
	s_waitcnt vmcnt(9)
	scratch_store_b128 off, v[54:57], off offset:32
	;; [unrolled: 2-line block ×4, first 2 shown]
	s_waitcnt vmcnt(0)
	scratch_store_b32 off, v2, off offset:80
	s_cbranch_scc1 .LBB20_90
; %bb.4:
	v_cmp_eq_u32_e64 s0, 0, v0
	s_delay_alu instid0(VALU_DEP_1)
	s_and_saveexec_b32 s1, s0
	s_cbranch_execz .LBB20_6
; %bb.5:
	v_mov_b32_e32 v2, 0
	ds_store_b32 v2, v2 offset:84
.LBB20_6:
	s_or_b32 exec_lo, exec_lo, s1
	s_waitcnt lgkmcnt(0)
	s_waitcnt_vscnt null, 0x0
	s_barrier
	buffer_gl0_inv
	scratch_load_b32 v2, v1, off
	s_mov_b32 s2, exec_lo
	s_waitcnt vmcnt(0)
	v_cmpx_eq_f32_e32 0, v2
	s_cbranch_execz .LBB20_10
; %bb.7:
	v_mov_b32_e32 v2, 0
	s_mov_b32 s3, 0
	ds_load_b32 v3, v2 offset:84
	s_waitcnt lgkmcnt(0)
	v_readfirstlane_b32 s1, v3
	v_add_nc_u32_e32 v3, 1, v0
	s_delay_alu instid0(VALU_DEP_2) | instskip(NEXT) | instid1(VALU_DEP_1)
	s_cmp_eq_u32 s1, 0
	v_cmp_gt_i32_e32 vcc_lo, s1, v3
	s_cselect_b32 s4, -1, 0
	s_delay_alu instid0(SALU_CYCLE_1) | instskip(NEXT) | instid1(SALU_CYCLE_1)
	s_or_b32 s4, s4, vcc_lo
	s_and_b32 exec_lo, exec_lo, s4
	s_cbranch_execz .LBB20_10
; %bb.8:
	v_mov_b32_e32 v46, s1
.LBB20_9:                               ; =>This Inner Loop Header: Depth=1
	ds_cmpstore_rtn_b32 v46, v2, v3, v46 offset:84
	s_waitcnt lgkmcnt(0)
	v_cmp_ne_u32_e32 vcc_lo, 0, v46
	v_cmp_le_i32_e64 s1, v46, v3
	s_delay_alu instid0(VALU_DEP_1) | instskip(NEXT) | instid1(SALU_CYCLE_1)
	s_and_b32 s1, vcc_lo, s1
	s_and_b32 s1, exec_lo, s1
	s_delay_alu instid0(SALU_CYCLE_1) | instskip(NEXT) | instid1(SALU_CYCLE_1)
	s_or_b32 s3, s1, s3
	s_and_not1_b32 exec_lo, exec_lo, s3
	s_cbranch_execnz .LBB20_9
.LBB20_10:
	s_or_b32 exec_lo, exec_lo, s2
	v_mov_b32_e32 v2, 0
	s_barrier
	buffer_gl0_inv
	ds_load_b32 v3, v2 offset:84
	s_and_saveexec_b32 s1, s0
	s_cbranch_execz .LBB20_12
; %bb.11:
	s_lshl_b64 s[2:3], s[14:15], 2
	s_delay_alu instid0(SALU_CYCLE_1)
	s_add_u32 s2, s6, s2
	s_addc_u32 s3, s7, s3
	s_waitcnt lgkmcnt(0)
	global_store_b32 v2, v3, s[2:3]
.LBB20_12:
	s_or_b32 exec_lo, exec_lo, s1
	s_waitcnt lgkmcnt(0)
	v_cmp_ne_u32_e32 vcc_lo, 0, v3
	s_mov_b32 s1, 0
	s_cbranch_vccnz .LBB20_90
; %bb.13:
	v_add_nc_u32_e32 v2, 0, v1
	scratch_load_b32 v3, v2, off
	s_waitcnt vmcnt(0)
	v_div_scale_f32 v46, null, v3, v3, 1.0
	v_div_scale_f32 v49, vcc_lo, 1.0, v3, 1.0
	s_delay_alu instid0(VALU_DEP_2) | instskip(SKIP_2) | instid1(VALU_DEP_1)
	v_rcp_f32_e32 v47, v46
	s_waitcnt_depctr 0xfff
	v_fma_f32 v48, -v46, v47, 1.0
	v_fmac_f32_e32 v47, v48, v47
	s_delay_alu instid0(VALU_DEP_1) | instskip(NEXT) | instid1(VALU_DEP_1)
	v_mul_f32_e32 v48, v49, v47
	v_fma_f32 v50, -v46, v48, v49
	s_delay_alu instid0(VALU_DEP_1) | instskip(NEXT) | instid1(VALU_DEP_1)
	v_fmac_f32_e32 v48, v50, v47
	v_fma_f32 v46, -v46, v48, v49
	s_delay_alu instid0(VALU_DEP_1) | instskip(NEXT) | instid1(VALU_DEP_1)
	v_div_fmas_f32 v46, v46, v47, v48
	v_div_fixup_f32 v3, v46, v3, 1.0
	scratch_store_b32 v2, v3, off
	scratch_load_b32 v46, off, off offset:4
	v_xor_b32_e32 v47, 0x80000000, v3
	v_add_nc_u32_e32 v3, 0x60, v1
	s_waitcnt vmcnt(0)
	ds_store_2addr_b32 v1, v47, v46 offset1:24
	s_waitcnt lgkmcnt(0)
	s_waitcnt_vscnt null, 0x0
	s_barrier
	buffer_gl0_inv
	s_and_saveexec_b32 s1, s0
	s_cbranch_execz .LBB20_15
; %bb.14:
	scratch_load_b32 v46, v2, off
	ds_load_b32 v47, v3
	v_mov_b32_e32 v48, 0
	ds_load_b32 v48, v48 offset:4
	s_waitcnt vmcnt(0) lgkmcnt(1)
	v_fma_f32 v46, v46, v47, 0
	s_waitcnt lgkmcnt(0)
	s_delay_alu instid0(VALU_DEP_1)
	v_mul_f32_e32 v46, v46, v48
	scratch_store_b32 off, v46, off offset:4
.LBB20_15:
	s_or_b32 exec_lo, exec_lo, s1
	s_waitcnt_vscnt null, 0x0
	s_barrier
	buffer_gl0_inv
	scratch_load_b32 v46, off, off offset:8
	s_mov_b32 s1, exec_lo
	s_waitcnt vmcnt(0)
	ds_store_b32 v3, v46
	s_waitcnt lgkmcnt(0)
	s_barrier
	buffer_gl0_inv
	v_cmpx_gt_u32_e32 2, v0
	s_cbranch_execz .LBB20_17
; %bb.16:
	scratch_load_b32 v48, v2, off
	scratch_load_b32 v49, off, off offset:4
	ds_load_b32 v50, v3
	v_mov_b32_e32 v46, 0
	ds_load_2addr_b32 v[46:47], v46 offset0:2 offset1:25
	s_waitcnt vmcnt(1) lgkmcnt(1)
	v_fma_f32 v48, v48, v50, 0
	s_waitcnt vmcnt(0) lgkmcnt(0)
	s_delay_alu instid0(VALU_DEP_1) | instskip(NEXT) | instid1(VALU_DEP_1)
	v_fma_f32 v47, v49, v47, v48
	v_cndmask_b32_e64 v47, v48, v47, s0
	s_delay_alu instid0(VALU_DEP_1)
	v_mul_f32_e32 v46, v47, v46
	scratch_store_b32 off, v46, off offset:8
.LBB20_17:
	s_or_b32 exec_lo, exec_lo, s1
	s_waitcnt_vscnt null, 0x0
	s_barrier
	buffer_gl0_inv
	scratch_load_b32 v47, off, off offset:12
	v_add_nc_u32_e32 v46, -1, v0
	s_mov_b32 s0, exec_lo
	s_waitcnt vmcnt(0)
	ds_store_b32 v3, v47
	s_waitcnt lgkmcnt(0)
	s_barrier
	buffer_gl0_inv
	v_cmpx_gt_u32_e32 3, v0
	s_cbranch_execz .LBB20_21
; %bb.18:
	v_dual_mov_b32 v47, 0 :: v_dual_add_nc_u32 v48, -1, v0
	v_add_nc_u32_e32 v49, 0x60, v1
	v_add_nc_u32_e32 v50, 0, v1
	s_mov_b32 s1, 0
.LBB20_19:                              ; =>This Inner Loop Header: Depth=1
	scratch_load_b32 v51, v50, off
	ds_load_b32 v52, v49
	v_add_nc_u32_e32 v48, 1, v48
	v_add_nc_u32_e32 v49, 4, v49
	v_add_nc_u32_e32 v50, 4, v50
	s_delay_alu instid0(VALU_DEP_3)
	v_cmp_lt_u32_e32 vcc_lo, 1, v48
	s_or_b32 s1, vcc_lo, s1
	s_waitcnt vmcnt(0) lgkmcnt(0)
	v_fmac_f32_e32 v47, v51, v52
	s_and_not1_b32 exec_lo, exec_lo, s1
	s_cbranch_execnz .LBB20_19
; %bb.20:
	s_or_b32 exec_lo, exec_lo, s1
	v_mov_b32_e32 v48, 0
	ds_load_b32 v48, v48 offset:12
	s_waitcnt lgkmcnt(0)
	v_mul_f32_e32 v47, v47, v48
	scratch_store_b32 off, v47, off offset:12
.LBB20_21:
	s_or_b32 exec_lo, exec_lo, s0
	s_waitcnt_vscnt null, 0x0
	s_barrier
	buffer_gl0_inv
	scratch_load_b32 v47, off, off offset:16
	s_mov_b32 s0, exec_lo
	s_waitcnt vmcnt(0)
	ds_store_b32 v3, v47
	s_waitcnt lgkmcnt(0)
	s_barrier
	buffer_gl0_inv
	v_cmpx_gt_u32_e32 4, v0
	s_cbranch_execz .LBB20_25
; %bb.22:
	v_dual_mov_b32 v47, 0 :: v_dual_add_nc_u32 v48, -1, v0
	v_add_nc_u32_e32 v49, 0x60, v1
	v_add_nc_u32_e32 v50, 0, v1
	s_mov_b32 s1, 0
.LBB20_23:                              ; =>This Inner Loop Header: Depth=1
	scratch_load_b32 v51, v50, off
	ds_load_b32 v52, v49
	v_add_nc_u32_e32 v48, 1, v48
	v_add_nc_u32_e32 v49, 4, v49
	v_add_nc_u32_e32 v50, 4, v50
	s_delay_alu instid0(VALU_DEP_3)
	v_cmp_lt_u32_e32 vcc_lo, 2, v48
	s_or_b32 s1, vcc_lo, s1
	s_waitcnt vmcnt(0) lgkmcnt(0)
	v_fmac_f32_e32 v47, v51, v52
	s_and_not1_b32 exec_lo, exec_lo, s1
	s_cbranch_execnz .LBB20_23
; %bb.24:
	s_or_b32 exec_lo, exec_lo, s1
	v_mov_b32_e32 v48, 0
	ds_load_b32 v48, v48 offset:16
	s_waitcnt lgkmcnt(0)
	v_mul_f32_e32 v47, v47, v48
	scratch_store_b32 off, v47, off offset:16
.LBB20_25:
	s_or_b32 exec_lo, exec_lo, s0
	s_waitcnt_vscnt null, 0x0
	s_barrier
	buffer_gl0_inv
	scratch_load_b32 v47, off, off offset:20
	;; [unrolled: 39-line block ×16, first 2 shown]
	s_mov_b32 s0, exec_lo
	s_waitcnt vmcnt(0)
	ds_store_b32 v3, v47
	s_waitcnt lgkmcnt(0)
	s_barrier
	buffer_gl0_inv
	v_cmpx_gt_u32_e32 19, v0
	s_cbranch_execz .LBB20_85
; %bb.82:
	v_add_nc_u32_e32 v47, -1, v0
	v_add_nc_u32_e32 v48, 0x60, v1
	v_add_nc_u32_e32 v49, 0, v1
	v_mov_b32_e32 v1, 0
	s_mov_b32 s1, 0
.LBB20_83:                              ; =>This Inner Loop Header: Depth=1
	scratch_load_b32 v50, v49, off
	ds_load_b32 v51, v48
	v_add_nc_u32_e32 v47, 1, v47
	v_add_nc_u32_e32 v48, 4, v48
	;; [unrolled: 1-line block ×3, first 2 shown]
	s_delay_alu instid0(VALU_DEP_3)
	v_cmp_lt_u32_e32 vcc_lo, 17, v47
	s_or_b32 s1, vcc_lo, s1
	s_waitcnt vmcnt(0) lgkmcnt(0)
	v_fmac_f32_e32 v1, v50, v51
	s_and_not1_b32 exec_lo, exec_lo, s1
	s_cbranch_execnz .LBB20_83
; %bb.84:
	s_or_b32 exec_lo, exec_lo, s1
	v_mov_b32_e32 v47, 0
	ds_load_b32 v47, v47 offset:76
	s_waitcnt lgkmcnt(0)
	v_mul_f32_e32 v1, v1, v47
	scratch_store_b32 off, v1, off offset:76
.LBB20_85:
	s_or_b32 exec_lo, exec_lo, s0
	s_waitcnt_vscnt null, 0x0
	s_barrier
	buffer_gl0_inv
	scratch_load_b32 v1, off, off offset:80
	s_mov_b32 s0, exec_lo
	s_waitcnt vmcnt(0)
	ds_store_b32 v3, v1
	s_waitcnt lgkmcnt(0)
	s_barrier
	buffer_gl0_inv
	v_cmpx_ne_u32_e32 20, v0
	s_cbranch_execz .LBB20_89
; %bb.86:
	v_mov_b32_e32 v1, 0
	s_mov_b32 s1, 0
.LBB20_87:                              ; =>This Inner Loop Header: Depth=1
	scratch_load_b32 v47, v2, off
	ds_load_b32 v48, v3
	v_add_nc_u32_e32 v46, 1, v46
	v_add_nc_u32_e32 v3, 4, v3
	s_waitcnt vmcnt(0) lgkmcnt(0)
	v_dual_fmac_f32 v1, v47, v48 :: v_dual_add_nc_u32 v2, 4, v2
	s_delay_alu instid0(VALU_DEP_3) | instskip(SKIP_1) | instid1(SALU_CYCLE_1)
	v_cmp_lt_u32_e32 vcc_lo, 18, v46
	s_or_b32 s1, vcc_lo, s1
	s_and_not1_b32 exec_lo, exec_lo, s1
	s_cbranch_execnz .LBB20_87
; %bb.88:
	s_or_b32 exec_lo, exec_lo, s1
	v_mov_b32_e32 v2, 0
	ds_load_b32 v2, v2 offset:80
	s_waitcnt lgkmcnt(0)
	v_mul_f32_e32 v1, v1, v2
	scratch_store_b32 off, v1, off offset:80
.LBB20_89:
	s_or_b32 exec_lo, exec_lo, s0
	s_mov_b32 s1, -1
	s_waitcnt_vscnt null, 0x0
	s_barrier
	buffer_gl0_inv
.LBB20_90:
	s_and_b32 vcc_lo, exec_lo, s1
	s_cbranch_vccz .LBB20_92
; %bb.91:
	s_lshl_b64 s[0:1], s[14:15], 2
	v_mov_b32_e32 v1, 0
	s_add_u32 s0, s6, s0
	s_addc_u32 s1, s7, s1
	global_load_b32 v1, v1, s[0:1]
	s_waitcnt vmcnt(0)
	v_cmp_ne_u32_e32 vcc_lo, 0, v1
	s_cbranch_vccz .LBB20_93
.LBB20_92:
	s_endpgm
.LBB20_93:
	v_lshl_add_u32 v1, v0, 2, 0x60
	s_mov_b32 s0, exec_lo
	v_cmpx_eq_u32_e32 20, v0
	s_cbranch_execz .LBB20_95
; %bb.94:
	scratch_load_b32 v2, off, off offset:76
	v_mov_b32_e32 v3, 0
	scratch_store_b32 off, v3, off offset:76
	s_waitcnt vmcnt(0)
	ds_store_b32 v1, v2
.LBB20_95:
	s_or_b32 exec_lo, exec_lo, s0
	s_waitcnt lgkmcnt(0)
	s_waitcnt_vscnt null, 0x0
	s_barrier
	buffer_gl0_inv
	scratch_load_b64 v[46:47], off, off offset:76
	v_mov_b32_e32 v2, 0
	s_mov_b32 s0, exec_lo
	ds_load_b32 v3, v2 offset:176
	s_waitcnt vmcnt(0) lgkmcnt(0)
	v_fma_f32 v3, v47, v3, 0
	s_delay_alu instid0(VALU_DEP_1)
	v_sub_f32_e32 v3, v46, v3
	scratch_store_b32 off, v3, off offset:76
	v_cmpx_lt_u32_e32 18, v0
	s_cbranch_execz .LBB20_97
; %bb.96:
	scratch_load_b32 v3, off, off offset:72
	scratch_store_b32 off, v2, off offset:72
	s_waitcnt vmcnt(0)
	ds_store_b32 v1, v3
.LBB20_97:
	s_or_b32 exec_lo, exec_lo, s0
	s_waitcnt lgkmcnt(0)
	s_waitcnt_vscnt null, 0x0
	s_barrier
	buffer_gl0_inv
	scratch_load_b96 v[46:48], off, off offset:72
	ds_load_2addr_b32 v[2:3], v2 offset0:43 offset1:44
	s_mov_b32 s0, exec_lo
	s_waitcnt vmcnt(0) lgkmcnt(0)
	v_fma_f32 v2, v47, v2, 0
	s_delay_alu instid0(VALU_DEP_1) | instskip(NEXT) | instid1(VALU_DEP_1)
	v_fmac_f32_e32 v2, v48, v3
	v_sub_f32_e32 v2, v46, v2
	scratch_store_b32 off, v2, off offset:72
	v_cmpx_lt_u32_e32 17, v0
	s_cbranch_execz .LBB20_99
; %bb.98:
	scratch_load_b32 v2, off, off offset:68
	v_mov_b32_e32 v3, 0
	scratch_store_b32 off, v3, off offset:68
	s_waitcnt vmcnt(0)
	ds_store_b32 v1, v2
.LBB20_99:
	s_or_b32 exec_lo, exec_lo, s0
	s_waitcnt lgkmcnt(0)
	s_waitcnt_vscnt null, 0x0
	s_barrier
	buffer_gl0_inv
	scratch_load_b128 v[46:49], off, off offset:68
	v_mov_b32_e32 v2, 0
	ds_load_b64 v[50:51], v2 offset:168
	ds_load_b32 v3, v2 offset:176
	s_mov_b32 s0, exec_lo
	s_waitcnt vmcnt(0) lgkmcnt(1)
	v_fma_f32 v47, v47, v50, 0
	s_delay_alu instid0(VALU_DEP_1) | instskip(SKIP_1) | instid1(VALU_DEP_1)
	v_fmac_f32_e32 v47, v48, v51
	s_waitcnt lgkmcnt(0)
	v_fmac_f32_e32 v47, v49, v3
	s_delay_alu instid0(VALU_DEP_1)
	v_sub_f32_e32 v3, v46, v47
	scratch_store_b32 off, v3, off offset:68
	v_cmpx_lt_u32_e32 16, v0
	s_cbranch_execz .LBB20_101
; %bb.100:
	scratch_load_b32 v3, off, off offset:64
	scratch_store_b32 off, v2, off offset:64
	s_waitcnt vmcnt(0)
	ds_store_b32 v1, v3
.LBB20_101:
	s_or_b32 exec_lo, exec_lo, s0
	s_waitcnt lgkmcnt(0)
	s_waitcnt_vscnt null, 0x0
	s_barrier
	buffer_gl0_inv
	s_clause 0x1
	scratch_load_b128 v[46:49], off, off offset:64
	scratch_load_b32 v52, off, off offset:80
	ds_load_2addr_b32 v[50:51], v2 offset0:41 offset1:42
	ds_load_2addr_b32 v[2:3], v2 offset0:43 offset1:44
	s_mov_b32 s0, exec_lo
	s_waitcnt vmcnt(1) lgkmcnt(1)
	v_fma_f32 v47, v47, v50, 0
	s_delay_alu instid0(VALU_DEP_1) | instskip(SKIP_1) | instid1(VALU_DEP_1)
	v_fmac_f32_e32 v47, v48, v51
	s_waitcnt lgkmcnt(0)
	v_fmac_f32_e32 v47, v49, v2
	s_waitcnt vmcnt(0)
	s_delay_alu instid0(VALU_DEP_1) | instskip(NEXT) | instid1(VALU_DEP_1)
	v_fmac_f32_e32 v47, v52, v3
	v_sub_f32_e32 v2, v46, v47
	scratch_store_b32 off, v2, off offset:64
	v_cmpx_lt_u32_e32 15, v0
	s_cbranch_execz .LBB20_103
; %bb.102:
	scratch_load_b32 v2, off, off offset:60
	v_mov_b32_e32 v3, 0
	scratch_store_b32 off, v3, off offset:60
	s_waitcnt vmcnt(0)
	ds_store_b32 v1, v2
.LBB20_103:
	s_or_b32 exec_lo, exec_lo, s0
	s_waitcnt lgkmcnt(0)
	s_waitcnt_vscnt null, 0x0
	s_barrier
	buffer_gl0_inv
	s_clause 0x1
	scratch_load_b128 v[46:49], off, off offset:60
	scratch_load_b64 v[54:55], off, off offset:76
	v_mov_b32_e32 v2, 0
	ds_load_b128 v[50:53], v2 offset:160
	ds_load_b32 v3, v2 offset:176
	s_mov_b32 s0, exec_lo
	s_waitcnt vmcnt(1) lgkmcnt(1)
	v_fma_f32 v47, v47, v50, 0
	s_delay_alu instid0(VALU_DEP_1) | instskip(NEXT) | instid1(VALU_DEP_1)
	v_fmac_f32_e32 v47, v48, v51
	v_fmac_f32_e32 v47, v49, v52
	s_waitcnt vmcnt(0)
	s_delay_alu instid0(VALU_DEP_1) | instskip(SKIP_1) | instid1(VALU_DEP_1)
	v_fmac_f32_e32 v47, v54, v53
	s_waitcnt lgkmcnt(0)
	v_fmac_f32_e32 v47, v55, v3
	s_delay_alu instid0(VALU_DEP_1)
	v_sub_f32_e32 v3, v46, v47
	scratch_store_b32 off, v3, off offset:60
	v_cmpx_lt_u32_e32 14, v0
	s_cbranch_execz .LBB20_105
; %bb.104:
	scratch_load_b32 v3, off, off offset:56
	scratch_store_b32 off, v2, off offset:56
	s_waitcnt vmcnt(0)
	ds_store_b32 v1, v3
.LBB20_105:
	s_or_b32 exec_lo, exec_lo, s0
	s_waitcnt lgkmcnt(0)
	s_waitcnt_vscnt null, 0x0
	s_barrier
	buffer_gl0_inv
	s_clause 0x1
	scratch_load_b128 v[46:49], off, off offset:56
	scratch_load_b96 v[50:52], off, off offset:72
	ds_load_2addr_b32 v[53:54], v2 offset0:39 offset1:40
	ds_load_2addr_b32 v[55:56], v2 offset0:41 offset1:42
	;; [unrolled: 1-line block ×3, first 2 shown]
	s_mov_b32 s0, exec_lo
	s_waitcnt vmcnt(1) lgkmcnt(2)
	v_fma_f32 v47, v47, v53, 0
	s_delay_alu instid0(VALU_DEP_1) | instskip(SKIP_1) | instid1(VALU_DEP_1)
	v_fmac_f32_e32 v47, v48, v54
	s_waitcnt lgkmcnt(1)
	v_fmac_f32_e32 v47, v49, v55
	s_waitcnt vmcnt(0)
	s_delay_alu instid0(VALU_DEP_1) | instskip(SKIP_1) | instid1(VALU_DEP_1)
	v_fmac_f32_e32 v47, v50, v56
	s_waitcnt lgkmcnt(0)
	v_fmac_f32_e32 v47, v51, v2
	s_delay_alu instid0(VALU_DEP_1) | instskip(NEXT) | instid1(VALU_DEP_1)
	v_fmac_f32_e32 v47, v52, v3
	v_sub_f32_e32 v2, v46, v47
	scratch_store_b32 off, v2, off offset:56
	v_cmpx_lt_u32_e32 13, v0
	s_cbranch_execz .LBB20_107
; %bb.106:
	scratch_load_b32 v2, off, off offset:52
	v_mov_b32_e32 v3, 0
	scratch_store_b32 off, v3, off offset:52
	s_waitcnt vmcnt(0)
	ds_store_b32 v1, v2
.LBB20_107:
	s_or_b32 exec_lo, exec_lo, s0
	s_waitcnt lgkmcnt(0)
	s_waitcnt_vscnt null, 0x0
	s_barrier
	buffer_gl0_inv
	s_clause 0x1
	scratch_load_b128 v[46:49], off, off offset:52
	scratch_load_b128 v[50:53], off, off offset:68
	v_mov_b32_e32 v2, 0
	ds_load_2addr_b64 v[54:57], v2 offset0:19 offset1:20
	ds_load_b64 v[58:59], v2 offset:168
	s_mov_b32 s0, exec_lo
	s_waitcnt vmcnt(1) lgkmcnt(1)
	v_fma_f32 v3, v47, v54, 0
	s_delay_alu instid0(VALU_DEP_1) | instskip(SKIP_3) | instid1(VALU_DEP_1)
	v_fmac_f32_e32 v3, v48, v55
	ds_load_b32 v47, v2 offset:176
	v_fmac_f32_e32 v3, v49, v56
	s_waitcnt vmcnt(0)
	v_fmac_f32_e32 v3, v50, v57
	s_waitcnt lgkmcnt(1)
	s_delay_alu instid0(VALU_DEP_1) | instskip(NEXT) | instid1(VALU_DEP_1)
	v_fmac_f32_e32 v3, v51, v58
	v_fmac_f32_e32 v3, v52, v59
	s_waitcnt lgkmcnt(0)
	s_delay_alu instid0(VALU_DEP_1) | instskip(NEXT) | instid1(VALU_DEP_1)
	v_fmac_f32_e32 v3, v53, v47
	v_sub_f32_e32 v3, v46, v3
	scratch_store_b32 off, v3, off offset:52
	v_cmpx_lt_u32_e32 12, v0
	s_cbranch_execz .LBB20_109
; %bb.108:
	scratch_load_b32 v3, off, off offset:48
	scratch_store_b32 off, v2, off offset:48
	s_waitcnt vmcnt(0)
	ds_store_b32 v1, v3
.LBB20_109:
	s_or_b32 exec_lo, exec_lo, s0
	s_waitcnt lgkmcnt(0)
	s_waitcnt_vscnt null, 0x0
	s_barrier
	buffer_gl0_inv
	s_clause 0x2
	scratch_load_b128 v[46:49], off, off offset:48
	scratch_load_b128 v[50:53], off, off offset:64
	scratch_load_b32 v60, off, off offset:80
	ds_load_2addr_b32 v[54:55], v2 offset0:37 offset1:38
	ds_load_2addr_b32 v[56:57], v2 offset0:39 offset1:40
	;; [unrolled: 1-line block ×4, first 2 shown]
	s_mov_b32 s0, exec_lo
	s_waitcnt vmcnt(2) lgkmcnt(3)
	v_fma_f32 v47, v47, v54, 0
	s_delay_alu instid0(VALU_DEP_1) | instskip(SKIP_1) | instid1(VALU_DEP_1)
	v_fmac_f32_e32 v47, v48, v55
	s_waitcnt lgkmcnt(2)
	v_fmac_f32_e32 v47, v49, v56
	s_waitcnt vmcnt(1)
	s_delay_alu instid0(VALU_DEP_1) | instskip(SKIP_1) | instid1(VALU_DEP_1)
	v_fmac_f32_e32 v47, v50, v57
	s_waitcnt lgkmcnt(1)
	v_fmac_f32_e32 v47, v51, v58
	s_delay_alu instid0(VALU_DEP_1) | instskip(SKIP_1) | instid1(VALU_DEP_1)
	v_fmac_f32_e32 v47, v52, v59
	s_waitcnt lgkmcnt(0)
	v_fmac_f32_e32 v47, v53, v2
	s_waitcnt vmcnt(0)
	s_delay_alu instid0(VALU_DEP_1) | instskip(NEXT) | instid1(VALU_DEP_1)
	v_fmac_f32_e32 v47, v60, v3
	v_sub_f32_e32 v2, v46, v47
	scratch_store_b32 off, v2, off offset:48
	v_cmpx_lt_u32_e32 11, v0
	s_cbranch_execz .LBB20_111
; %bb.110:
	scratch_load_b32 v2, off, off offset:44
	v_mov_b32_e32 v3, 0
	scratch_store_b32 off, v3, off offset:44
	s_waitcnt vmcnt(0)
	ds_store_b32 v1, v2
.LBB20_111:
	s_or_b32 exec_lo, exec_lo, s0
	s_waitcnt lgkmcnt(0)
	s_waitcnt_vscnt null, 0x0
	s_barrier
	buffer_gl0_inv
	s_clause 0x2
	scratch_load_b128 v[46:49], off, off offset:44
	scratch_load_b128 v[50:53], off, off offset:60
	scratch_load_b64 v[62:63], off, off offset:76
	v_mov_b32_e32 v2, 0
	ds_load_b128 v[54:57], v2 offset:144
	ds_load_b128 v[58:61], v2 offset:160
	s_mov_b32 s0, exec_lo
	s_waitcnt vmcnt(2) lgkmcnt(1)
	v_fma_f32 v3, v47, v54, 0
	s_delay_alu instid0(VALU_DEP_1) | instskip(SKIP_3) | instid1(VALU_DEP_1)
	v_fmac_f32_e32 v3, v48, v55
	ds_load_b32 v47, v2 offset:176
	v_fmac_f32_e32 v3, v49, v56
	s_waitcnt vmcnt(1)
	v_fmac_f32_e32 v3, v50, v57
	s_waitcnt lgkmcnt(1)
	s_delay_alu instid0(VALU_DEP_1) | instskip(NEXT) | instid1(VALU_DEP_1)
	v_fmac_f32_e32 v3, v51, v58
	v_fmac_f32_e32 v3, v52, v59
	s_delay_alu instid0(VALU_DEP_1) | instskip(SKIP_1) | instid1(VALU_DEP_1)
	v_fmac_f32_e32 v3, v53, v60
	s_waitcnt vmcnt(0)
	v_fmac_f32_e32 v3, v62, v61
	s_waitcnt lgkmcnt(0)
	s_delay_alu instid0(VALU_DEP_1) | instskip(NEXT) | instid1(VALU_DEP_1)
	v_fmac_f32_e32 v3, v63, v47
	v_sub_f32_e32 v3, v46, v3
	scratch_store_b32 off, v3, off offset:44
	v_cmpx_lt_u32_e32 10, v0
	s_cbranch_execz .LBB20_113
; %bb.112:
	scratch_load_b32 v3, off, off offset:40
	scratch_store_b32 off, v2, off offset:40
	s_waitcnt vmcnt(0)
	ds_store_b32 v1, v3
.LBB20_113:
	s_or_b32 exec_lo, exec_lo, s0
	s_waitcnt lgkmcnt(0)
	s_waitcnt_vscnt null, 0x0
	s_barrier
	buffer_gl0_inv
	s_clause 0x2
	scratch_load_b128 v[46:49], off, off offset:40
	scratch_load_b128 v[50:53], off, off offset:56
	scratch_load_b96 v[54:56], off, off offset:72
	ds_load_2addr_b32 v[57:58], v2 offset0:35 offset1:36
	ds_load_2addr_b32 v[59:60], v2 offset0:37 offset1:38
	;; [unrolled: 1-line block ×5, first 2 shown]
	s_mov_b32 s0, exec_lo
	s_waitcnt vmcnt(2) lgkmcnt(4)
	v_fma_f32 v47, v47, v57, 0
	s_delay_alu instid0(VALU_DEP_1) | instskip(SKIP_1) | instid1(VALU_DEP_1)
	v_fmac_f32_e32 v47, v48, v58
	s_waitcnt lgkmcnt(3)
	v_fmac_f32_e32 v47, v49, v59
	s_waitcnt vmcnt(1)
	s_delay_alu instid0(VALU_DEP_1) | instskip(SKIP_1) | instid1(VALU_DEP_1)
	v_fmac_f32_e32 v47, v50, v60
	s_waitcnt lgkmcnt(2)
	v_fmac_f32_e32 v47, v51, v61
	s_delay_alu instid0(VALU_DEP_1) | instskip(SKIP_1) | instid1(VALU_DEP_1)
	v_fmac_f32_e32 v47, v52, v62
	s_waitcnt lgkmcnt(1)
	v_fmac_f32_e32 v47, v53, v63
	s_waitcnt vmcnt(0)
	s_delay_alu instid0(VALU_DEP_1) | instskip(SKIP_1) | instid1(VALU_DEP_1)
	v_fmac_f32_e32 v47, v54, v64
	s_waitcnt lgkmcnt(0)
	v_fmac_f32_e32 v47, v55, v2
	s_delay_alu instid0(VALU_DEP_1) | instskip(NEXT) | instid1(VALU_DEP_1)
	v_fmac_f32_e32 v47, v56, v3
	v_sub_f32_e32 v2, v46, v47
	scratch_store_b32 off, v2, off offset:40
	v_cmpx_lt_u32_e32 9, v0
	s_cbranch_execz .LBB20_115
; %bb.114:
	scratch_load_b32 v2, off, off offset:36
	v_mov_b32_e32 v3, 0
	scratch_store_b32 off, v3, off offset:36
	s_waitcnt vmcnt(0)
	ds_store_b32 v1, v2
.LBB20_115:
	s_or_b32 exec_lo, exec_lo, s0
	s_waitcnt lgkmcnt(0)
	s_waitcnt_vscnt null, 0x0
	s_barrier
	buffer_gl0_inv
	s_clause 0x2
	scratch_load_b128 v[46:49], off, off offset:36
	scratch_load_b128 v[50:53], off, off offset:52
	;; [unrolled: 1-line block ×3, first 2 shown]
	v_mov_b32_e32 v2, 0
	ds_load_2addr_b64 v[58:61], v2 offset0:17 offset1:18
	ds_load_2addr_b64 v[62:65], v2 offset0:19 offset1:20
	s_mov_b32 s0, exec_lo
	s_waitcnt vmcnt(2) lgkmcnt(1)
	v_fma_f32 v3, v47, v58, 0
	s_delay_alu instid0(VALU_DEP_1)
	v_fmac_f32_e32 v3, v48, v59
	ds_load_b64 v[47:48], v2 offset:168
	v_fmac_f32_e32 v3, v49, v60
	ds_load_b32 v49, v2 offset:176
	s_waitcnt vmcnt(1)
	v_fmac_f32_e32 v3, v50, v61
	s_waitcnt lgkmcnt(2)
	s_delay_alu instid0(VALU_DEP_1) | instskip(NEXT) | instid1(VALU_DEP_1)
	v_fmac_f32_e32 v3, v51, v62
	v_fmac_f32_e32 v3, v52, v63
	s_delay_alu instid0(VALU_DEP_1) | instskip(SKIP_1) | instid1(VALU_DEP_1)
	v_fmac_f32_e32 v3, v53, v64
	s_waitcnt vmcnt(0)
	v_fmac_f32_e32 v3, v54, v65
	s_waitcnt lgkmcnt(1)
	s_delay_alu instid0(VALU_DEP_1) | instskip(NEXT) | instid1(VALU_DEP_1)
	v_fmac_f32_e32 v3, v55, v47
	v_fmac_f32_e32 v3, v56, v48
	s_waitcnt lgkmcnt(0)
	s_delay_alu instid0(VALU_DEP_1) | instskip(NEXT) | instid1(VALU_DEP_1)
	v_fmac_f32_e32 v3, v57, v49
	v_sub_f32_e32 v3, v46, v3
	scratch_store_b32 off, v3, off offset:36
	v_cmpx_lt_u32_e32 8, v0
	s_cbranch_execz .LBB20_117
; %bb.116:
	scratch_load_b32 v3, off, off offset:32
	scratch_store_b32 off, v2, off offset:32
	s_waitcnt vmcnt(0)
	ds_store_b32 v1, v3
.LBB20_117:
	s_or_b32 exec_lo, exec_lo, s0
	s_waitcnt lgkmcnt(0)
	s_waitcnt_vscnt null, 0x0
	s_barrier
	buffer_gl0_inv
	s_clause 0x3
	scratch_load_b128 v[46:49], off, off offset:32
	scratch_load_b128 v[50:53], off, off offset:48
	;; [unrolled: 1-line block ×3, first 2 shown]
	scratch_load_b32 v66, off, off offset:80
	ds_load_2addr_b32 v[58:59], v2 offset0:33 offset1:34
	ds_load_2addr_b32 v[60:61], v2 offset0:35 offset1:36
	;; [unrolled: 1-line block ×4, first 2 shown]
	s_mov_b32 s0, exec_lo
	s_waitcnt vmcnt(3) lgkmcnt(3)
	v_fma_f32 v58, v47, v58, 0
	s_delay_alu instid0(VALU_DEP_1)
	v_fmac_f32_e32 v58, v48, v59
	ds_load_2addr_b32 v[47:48], v2 offset0:41 offset1:42
	ds_load_2addr_b32 v[2:3], v2 offset0:43 offset1:44
	s_waitcnt lgkmcnt(4)
	v_fmac_f32_e32 v58, v49, v60
	s_waitcnt vmcnt(2)
	s_delay_alu instid0(VALU_DEP_1) | instskip(SKIP_1) | instid1(VALU_DEP_1)
	v_fmac_f32_e32 v58, v50, v61
	s_waitcnt lgkmcnt(3)
	v_fmac_f32_e32 v58, v51, v62
	s_delay_alu instid0(VALU_DEP_1) | instskip(SKIP_1) | instid1(VALU_DEP_1)
	v_fmac_f32_e32 v58, v52, v63
	s_waitcnt lgkmcnt(2)
	v_fmac_f32_e32 v58, v53, v64
	s_waitcnt vmcnt(1)
	s_delay_alu instid0(VALU_DEP_1) | instskip(SKIP_1) | instid1(VALU_DEP_1)
	v_fmac_f32_e32 v58, v54, v65
	s_waitcnt lgkmcnt(1)
	v_fmac_f32_e32 v58, v55, v47
	s_delay_alu instid0(VALU_DEP_1) | instskip(SKIP_1) | instid1(VALU_DEP_1)
	v_fmac_f32_e32 v58, v56, v48
	s_waitcnt lgkmcnt(0)
	v_fmac_f32_e32 v58, v57, v2
	s_waitcnt vmcnt(0)
	s_delay_alu instid0(VALU_DEP_1) | instskip(NEXT) | instid1(VALU_DEP_1)
	v_fmac_f32_e32 v58, v66, v3
	v_sub_f32_e32 v2, v46, v58
	scratch_store_b32 off, v2, off offset:32
	v_cmpx_lt_u32_e32 7, v0
	s_cbranch_execz .LBB20_119
; %bb.118:
	scratch_load_b32 v2, off, off offset:28
	v_mov_b32_e32 v3, 0
	scratch_store_b32 off, v3, off offset:28
	s_waitcnt vmcnt(0)
	ds_store_b32 v1, v2
.LBB20_119:
	s_or_b32 exec_lo, exec_lo, s0
	s_waitcnt lgkmcnt(0)
	s_waitcnt_vscnt null, 0x0
	s_barrier
	buffer_gl0_inv
	s_clause 0x3
	scratch_load_b128 v[46:49], off, off offset:28
	scratch_load_b128 v[50:53], off, off offset:44
	;; [unrolled: 1-line block ×3, first 2 shown]
	scratch_load_b64 v[66:67], off, off offset:76
	v_mov_b32_e32 v2, 0
	ds_load_b128 v[58:61], v2 offset:128
	ds_load_b128 v[62:65], v2 offset:144
	s_mov_b32 s0, exec_lo
	s_waitcnt vmcnt(3) lgkmcnt(1)
	v_fma_f32 v3, v47, v58, 0
	s_delay_alu instid0(VALU_DEP_1) | instskip(NEXT) | instid1(VALU_DEP_1)
	v_fmac_f32_e32 v3, v48, v59
	v_fmac_f32_e32 v3, v49, v60
	s_waitcnt vmcnt(2)
	s_delay_alu instid0(VALU_DEP_1)
	v_fmac_f32_e32 v3, v50, v61
	ds_load_b128 v[47:50], v2 offset:160
	s_waitcnt lgkmcnt(1)
	v_fmac_f32_e32 v3, v51, v62
	ds_load_b32 v51, v2 offset:176
	v_fmac_f32_e32 v3, v52, v63
	s_delay_alu instid0(VALU_DEP_1) | instskip(SKIP_1) | instid1(VALU_DEP_1)
	v_fmac_f32_e32 v3, v53, v64
	s_waitcnt vmcnt(1)
	v_fmac_f32_e32 v3, v54, v65
	s_waitcnt lgkmcnt(1)
	s_delay_alu instid0(VALU_DEP_1) | instskip(NEXT) | instid1(VALU_DEP_1)
	v_fmac_f32_e32 v3, v55, v47
	v_fmac_f32_e32 v3, v56, v48
	s_delay_alu instid0(VALU_DEP_1) | instskip(SKIP_1) | instid1(VALU_DEP_1)
	v_fmac_f32_e32 v3, v57, v49
	s_waitcnt vmcnt(0)
	v_fmac_f32_e32 v3, v66, v50
	s_waitcnt lgkmcnt(0)
	s_delay_alu instid0(VALU_DEP_1) | instskip(NEXT) | instid1(VALU_DEP_1)
	v_fmac_f32_e32 v3, v67, v51
	v_sub_f32_e32 v3, v46, v3
	scratch_store_b32 off, v3, off offset:28
	v_cmpx_lt_u32_e32 6, v0
	s_cbranch_execz .LBB20_121
; %bb.120:
	scratch_load_b32 v3, off, off offset:24
	scratch_store_b32 off, v2, off offset:24
	s_waitcnt vmcnt(0)
	ds_store_b32 v1, v3
.LBB20_121:
	s_or_b32 exec_lo, exec_lo, s0
	s_waitcnt lgkmcnt(0)
	s_waitcnt_vscnt null, 0x0
	s_barrier
	buffer_gl0_inv
	s_clause 0x3
	scratch_load_b128 v[46:49], off, off offset:24
	scratch_load_b128 v[50:53], off, off offset:40
	;; [unrolled: 1-line block ×3, first 2 shown]
	scratch_load_b96 v[58:60], off, off offset:72
	ds_load_2addr_b32 v[61:62], v2 offset0:31 offset1:32
	ds_load_2addr_b32 v[63:64], v2 offset0:33 offset1:34
	;; [unrolled: 1-line block ×4, first 2 shown]
	s_mov_b32 s0, exec_lo
	s_waitcnt vmcnt(3) lgkmcnt(3)
	v_fma_f32 v61, v47, v61, 0
	s_delay_alu instid0(VALU_DEP_1) | instskip(SKIP_4) | instid1(VALU_DEP_1)
	v_fmac_f32_e32 v61, v48, v62
	ds_load_2addr_b32 v[47:48], v2 offset0:39 offset1:40
	s_waitcnt lgkmcnt(3)
	v_fmac_f32_e32 v61, v49, v63
	s_waitcnt vmcnt(2)
	v_fmac_f32_e32 v61, v50, v64
	ds_load_2addr_b32 v[49:50], v2 offset0:41 offset1:42
	ds_load_2addr_b32 v[2:3], v2 offset0:43 offset1:44
	s_waitcnt lgkmcnt(4)
	v_fmac_f32_e32 v61, v51, v65
	s_delay_alu instid0(VALU_DEP_1) | instskip(SKIP_1) | instid1(VALU_DEP_1)
	v_fmac_f32_e32 v61, v52, v66
	s_waitcnt lgkmcnt(3)
	v_fmac_f32_e32 v61, v53, v67
	s_waitcnt vmcnt(1)
	s_delay_alu instid0(VALU_DEP_1) | instskip(SKIP_1) | instid1(VALU_DEP_1)
	v_fmac_f32_e32 v61, v54, v68
	s_waitcnt lgkmcnt(2)
	v_fmac_f32_e32 v61, v55, v47
	s_delay_alu instid0(VALU_DEP_1) | instskip(SKIP_1) | instid1(VALU_DEP_1)
	v_fmac_f32_e32 v61, v56, v48
	s_waitcnt lgkmcnt(1)
	v_fmac_f32_e32 v61, v57, v49
	s_waitcnt vmcnt(0)
	s_delay_alu instid0(VALU_DEP_1) | instskip(SKIP_1) | instid1(VALU_DEP_1)
	v_fmac_f32_e32 v61, v58, v50
	s_waitcnt lgkmcnt(0)
	v_fmac_f32_e32 v61, v59, v2
	s_delay_alu instid0(VALU_DEP_1) | instskip(NEXT) | instid1(VALU_DEP_1)
	v_fmac_f32_e32 v61, v60, v3
	v_sub_f32_e32 v2, v46, v61
	scratch_store_b32 off, v2, off offset:24
	v_cmpx_lt_u32_e32 5, v0
	s_cbranch_execz .LBB20_123
; %bb.122:
	scratch_load_b32 v2, off, off offset:20
	v_mov_b32_e32 v3, 0
	scratch_store_b32 off, v3, off offset:20
	s_waitcnt vmcnt(0)
	ds_store_b32 v1, v2
.LBB20_123:
	s_or_b32 exec_lo, exec_lo, s0
	s_waitcnt lgkmcnt(0)
	s_waitcnt_vscnt null, 0x0
	s_barrier
	buffer_gl0_inv
	s_clause 0x3
	scratch_load_b128 v[46:49], off, off offset:20
	scratch_load_b128 v[50:53], off, off offset:36
	;; [unrolled: 1-line block ×4, first 2 shown]
	v_mov_b32_e32 v2, 0
	ds_load_2addr_b64 v[62:65], v2 offset0:15 offset1:16
	ds_load_2addr_b64 v[66:69], v2 offset0:17 offset1:18
	s_mov_b32 s0, exec_lo
	s_waitcnt vmcnt(3) lgkmcnt(1)
	v_fma_f32 v3, v47, v62, 0
	s_delay_alu instid0(VALU_DEP_1) | instskip(NEXT) | instid1(VALU_DEP_1)
	v_fmac_f32_e32 v3, v48, v63
	v_fmac_f32_e32 v3, v49, v64
	s_waitcnt vmcnt(2)
	s_delay_alu instid0(VALU_DEP_1) | instskip(SKIP_3) | instid1(VALU_DEP_1)
	v_fmac_f32_e32 v3, v50, v65
	ds_load_2addr_b64 v[47:50], v2 offset0:19 offset1:20
	s_waitcnt lgkmcnt(1)
	v_fmac_f32_e32 v3, v51, v66
	v_fmac_f32_e32 v3, v52, v67
	ds_load_b64 v[51:52], v2 offset:168
	v_fmac_f32_e32 v3, v53, v68
	s_waitcnt vmcnt(1)
	s_delay_alu instid0(VALU_DEP_1) | instskip(SKIP_1) | instid1(VALU_DEP_1)
	v_fmac_f32_e32 v3, v54, v69
	s_waitcnt lgkmcnt(1)
	v_fmac_f32_e32 v3, v55, v47
	ds_load_b32 v47, v2 offset:176
	v_fmac_f32_e32 v3, v56, v48
	s_delay_alu instid0(VALU_DEP_1) | instskip(SKIP_1) | instid1(VALU_DEP_1)
	v_fmac_f32_e32 v3, v57, v49
	s_waitcnt vmcnt(0)
	v_fmac_f32_e32 v3, v58, v50
	s_waitcnt lgkmcnt(1)
	s_delay_alu instid0(VALU_DEP_1) | instskip(NEXT) | instid1(VALU_DEP_1)
	v_fmac_f32_e32 v3, v59, v51
	v_fmac_f32_e32 v3, v60, v52
	s_waitcnt lgkmcnt(0)
	s_delay_alu instid0(VALU_DEP_1) | instskip(NEXT) | instid1(VALU_DEP_1)
	v_fmac_f32_e32 v3, v61, v47
	v_sub_f32_e32 v3, v46, v3
	scratch_store_b32 off, v3, off offset:20
	v_cmpx_lt_u32_e32 4, v0
	s_cbranch_execz .LBB20_125
; %bb.124:
	scratch_load_b32 v3, off, off offset:16
	scratch_store_b32 off, v2, off offset:16
	s_waitcnt vmcnt(0)
	ds_store_b32 v1, v3
.LBB20_125:
	s_or_b32 exec_lo, exec_lo, s0
	s_waitcnt lgkmcnt(0)
	s_waitcnt_vscnt null, 0x0
	s_barrier
	buffer_gl0_inv
	s_clause 0x4
	scratch_load_b128 v[46:49], off, off offset:16
	scratch_load_b128 v[50:53], off, off offset:32
	;; [unrolled: 1-line block ×4, first 2 shown]
	scratch_load_b32 v70, off, off offset:80
	ds_load_2addr_b32 v[62:63], v2 offset0:29 offset1:30
	ds_load_2addr_b32 v[64:65], v2 offset0:31 offset1:32
	;; [unrolled: 1-line block ×4, first 2 shown]
	s_mov_b32 s0, exec_lo
	s_waitcnt vmcnt(4) lgkmcnt(3)
	v_fma_f32 v62, v47, v62, 0
	s_delay_alu instid0(VALU_DEP_1) | instskip(SKIP_4) | instid1(VALU_DEP_1)
	v_fmac_f32_e32 v62, v48, v63
	ds_load_2addr_b32 v[47:48], v2 offset0:37 offset1:38
	s_waitcnt lgkmcnt(3)
	v_fmac_f32_e32 v62, v49, v64
	s_waitcnt vmcnt(3)
	v_fmac_f32_e32 v62, v50, v65
	ds_load_2addr_b32 v[49:50], v2 offset0:39 offset1:40
	s_waitcnt lgkmcnt(3)
	v_fmac_f32_e32 v62, v51, v66
	s_delay_alu instid0(VALU_DEP_1)
	v_fmac_f32_e32 v62, v52, v67
	ds_load_2addr_b32 v[51:52], v2 offset0:41 offset1:42
	ds_load_2addr_b32 v[2:3], v2 offset0:43 offset1:44
	s_waitcnt lgkmcnt(4)
	v_fmac_f32_e32 v62, v53, v68
	s_waitcnt vmcnt(2)
	s_delay_alu instid0(VALU_DEP_1) | instskip(SKIP_1) | instid1(VALU_DEP_1)
	v_fmac_f32_e32 v62, v54, v69
	s_waitcnt lgkmcnt(3)
	v_fmac_f32_e32 v62, v55, v47
	s_delay_alu instid0(VALU_DEP_1) | instskip(SKIP_1) | instid1(VALU_DEP_1)
	v_fmac_f32_e32 v62, v56, v48
	s_waitcnt lgkmcnt(2)
	v_fmac_f32_e32 v62, v57, v49
	s_waitcnt vmcnt(1)
	s_delay_alu instid0(VALU_DEP_1) | instskip(SKIP_1) | instid1(VALU_DEP_1)
	v_fmac_f32_e32 v62, v58, v50
	s_waitcnt lgkmcnt(1)
	v_fmac_f32_e32 v62, v59, v51
	s_delay_alu instid0(VALU_DEP_1) | instskip(SKIP_1) | instid1(VALU_DEP_1)
	v_fmac_f32_e32 v62, v60, v52
	s_waitcnt lgkmcnt(0)
	v_fmac_f32_e32 v62, v61, v2
	s_waitcnt vmcnt(0)
	s_delay_alu instid0(VALU_DEP_1) | instskip(NEXT) | instid1(VALU_DEP_1)
	v_fmac_f32_e32 v62, v70, v3
	v_sub_f32_e32 v2, v46, v62
	scratch_store_b32 off, v2, off offset:16
	v_cmpx_lt_u32_e32 3, v0
	s_cbranch_execz .LBB20_127
; %bb.126:
	scratch_load_b32 v2, off, off offset:12
	v_mov_b32_e32 v3, 0
	scratch_store_b32 off, v3, off offset:12
	s_waitcnt vmcnt(0)
	ds_store_b32 v1, v2
.LBB20_127:
	s_or_b32 exec_lo, exec_lo, s0
	s_waitcnt lgkmcnt(0)
	s_waitcnt_vscnt null, 0x0
	s_barrier
	buffer_gl0_inv
	s_clause 0x4
	scratch_load_b128 v[46:49], off, off offset:12
	scratch_load_b128 v[50:53], off, off offset:28
	;; [unrolled: 1-line block ×4, first 2 shown]
	scratch_load_b64 v[70:71], off, off offset:76
	v_mov_b32_e32 v2, 0
	ds_load_b128 v[62:65], v2 offset:112
	ds_load_b128 v[66:69], v2 offset:128
	s_mov_b32 s0, exec_lo
	s_waitcnt vmcnt(4) lgkmcnt(1)
	v_fma_f32 v3, v47, v62, 0
	s_delay_alu instid0(VALU_DEP_1) | instskip(NEXT) | instid1(VALU_DEP_1)
	v_fmac_f32_e32 v3, v48, v63
	v_fmac_f32_e32 v3, v49, v64
	s_waitcnt vmcnt(3)
	s_delay_alu instid0(VALU_DEP_1) | instskip(SKIP_3) | instid1(VALU_DEP_1)
	v_fmac_f32_e32 v3, v50, v65
	ds_load_b128 v[47:50], v2 offset:144
	s_waitcnt lgkmcnt(1)
	v_fmac_f32_e32 v3, v51, v66
	v_fmac_f32_e32 v3, v52, v67
	s_delay_alu instid0(VALU_DEP_1) | instskip(SKIP_1) | instid1(VALU_DEP_1)
	v_fmac_f32_e32 v3, v53, v68
	s_waitcnt vmcnt(2)
	v_fmac_f32_e32 v3, v54, v69
	ds_load_b128 v[51:54], v2 offset:160
	s_waitcnt lgkmcnt(1)
	v_fmac_f32_e32 v3, v55, v47
	ds_load_b32 v47, v2 offset:176
	v_fmac_f32_e32 v3, v56, v48
	s_delay_alu instid0(VALU_DEP_1) | instskip(SKIP_1) | instid1(VALU_DEP_1)
	v_fmac_f32_e32 v3, v57, v49
	s_waitcnt vmcnt(1)
	v_fmac_f32_e32 v3, v58, v50
	s_waitcnt lgkmcnt(1)
	s_delay_alu instid0(VALU_DEP_1) | instskip(NEXT) | instid1(VALU_DEP_1)
	v_fmac_f32_e32 v3, v59, v51
	v_fmac_f32_e32 v3, v60, v52
	s_delay_alu instid0(VALU_DEP_1) | instskip(SKIP_1) | instid1(VALU_DEP_1)
	v_fmac_f32_e32 v3, v61, v53
	s_waitcnt vmcnt(0)
	v_fmac_f32_e32 v3, v70, v54
	s_waitcnt lgkmcnt(0)
	s_delay_alu instid0(VALU_DEP_1) | instskip(NEXT) | instid1(VALU_DEP_1)
	v_fmac_f32_e32 v3, v71, v47
	v_sub_f32_e32 v3, v46, v3
	scratch_store_b32 off, v3, off offset:12
	v_cmpx_lt_u32_e32 2, v0
	s_cbranch_execz .LBB20_129
; %bb.128:
	scratch_load_b32 v3, off, off offset:8
	scratch_store_b32 off, v2, off offset:8
	s_waitcnt vmcnt(0)
	ds_store_b32 v1, v3
.LBB20_129:
	s_or_b32 exec_lo, exec_lo, s0
	s_waitcnt lgkmcnt(0)
	s_waitcnt_vscnt null, 0x0
	s_barrier
	buffer_gl0_inv
	s_clause 0x4
	scratch_load_b128 v[46:49], off, off offset:8
	scratch_load_b128 v[50:53], off, off offset:24
	scratch_load_b128 v[54:57], off, off offset:40
	scratch_load_b128 v[58:61], off, off offset:56
	scratch_load_b96 v[62:64], off, off offset:72
	ds_load_2addr_b32 v[65:66], v2 offset0:27 offset1:28
	ds_load_2addr_b32 v[67:68], v2 offset0:29 offset1:30
	;; [unrolled: 1-line block ×4, first 2 shown]
	s_mov_b32 s0, exec_lo
	s_waitcnt vmcnt(4) lgkmcnt(3)
	v_fma_f32 v65, v47, v65, 0
	s_delay_alu instid0(VALU_DEP_1) | instskip(SKIP_4) | instid1(VALU_DEP_1)
	v_fmac_f32_e32 v65, v48, v66
	ds_load_2addr_b32 v[47:48], v2 offset0:35 offset1:36
	s_waitcnt lgkmcnt(3)
	v_fmac_f32_e32 v65, v49, v67
	s_waitcnt vmcnt(3)
	v_fmac_f32_e32 v65, v50, v68
	ds_load_2addr_b32 v[49:50], v2 offset0:37 offset1:38
	s_waitcnt lgkmcnt(3)
	v_fmac_f32_e32 v65, v51, v69
	s_delay_alu instid0(VALU_DEP_1) | instskip(SKIP_1) | instid1(VALU_DEP_1)
	v_fmac_f32_e32 v65, v52, v70
	s_waitcnt lgkmcnt(2)
	v_fmac_f32_e32 v65, v53, v71
	s_waitcnt vmcnt(2)
	s_delay_alu instid0(VALU_DEP_1)
	v_fmac_f32_e32 v65, v54, v72
	ds_load_2addr_b32 v[51:52], v2 offset0:39 offset1:40
	ds_load_2addr_b32 v[53:54], v2 offset0:41 offset1:42
	;; [unrolled: 1-line block ×3, first 2 shown]
	s_waitcnt lgkmcnt(4)
	v_fmac_f32_e32 v65, v55, v47
	s_delay_alu instid0(VALU_DEP_1) | instskip(SKIP_1) | instid1(VALU_DEP_1)
	v_fmac_f32_e32 v65, v56, v48
	s_waitcnt lgkmcnt(3)
	v_fmac_f32_e32 v65, v57, v49
	s_waitcnt vmcnt(1)
	s_delay_alu instid0(VALU_DEP_1) | instskip(SKIP_1) | instid1(VALU_DEP_1)
	v_fmac_f32_e32 v65, v58, v50
	s_waitcnt lgkmcnt(2)
	v_fmac_f32_e32 v65, v59, v51
	s_delay_alu instid0(VALU_DEP_1) | instskip(SKIP_1) | instid1(VALU_DEP_1)
	v_fmac_f32_e32 v65, v60, v52
	s_waitcnt lgkmcnt(1)
	v_fmac_f32_e32 v65, v61, v53
	s_waitcnt vmcnt(0)
	s_delay_alu instid0(VALU_DEP_1) | instskip(SKIP_1) | instid1(VALU_DEP_1)
	v_fmac_f32_e32 v65, v62, v54
	s_waitcnt lgkmcnt(0)
	v_fmac_f32_e32 v65, v63, v2
	s_delay_alu instid0(VALU_DEP_1) | instskip(NEXT) | instid1(VALU_DEP_1)
	v_fmac_f32_e32 v65, v64, v3
	v_sub_f32_e32 v2, v46, v65
	scratch_store_b32 off, v2, off offset:8
	v_cmpx_lt_u32_e32 1, v0
	s_cbranch_execz .LBB20_131
; %bb.130:
	scratch_load_b32 v2, off, off offset:4
	v_mov_b32_e32 v3, 0
	scratch_store_b32 off, v3, off offset:4
	s_waitcnt vmcnt(0)
	ds_store_b32 v1, v2
.LBB20_131:
	s_or_b32 exec_lo, exec_lo, s0
	s_waitcnt lgkmcnt(0)
	s_waitcnt_vscnt null, 0x0
	s_barrier
	buffer_gl0_inv
	s_clause 0x4
	scratch_load_b128 v[47:50], off, off offset:4
	scratch_load_b128 v[51:54], off, off offset:20
	;; [unrolled: 1-line block ×5, first 2 shown]
	v_mov_b32_e32 v46, 0
	ds_load_2addr_b64 v[67:70], v46 offset0:13 offset1:14
	ds_load_2addr_b64 v[71:74], v46 offset0:15 offset1:16
	s_mov_b32 s0, exec_lo
	s_waitcnt vmcnt(4) lgkmcnt(1)
	v_fma_f32 v67, v48, v67, 0
	s_delay_alu instid0(VALU_DEP_1) | instskip(SKIP_3) | instid1(VALU_DEP_1)
	v_fmac_f32_e32 v67, v49, v68
	ds_load_b64 v[2:3], v46 offset:168
	v_fmac_f32_e32 v67, v50, v69
	s_waitcnt vmcnt(3)
	v_fmac_f32_e32 v67, v51, v70
	ds_load_2addr_b64 v[48:51], v46 offset0:17 offset1:18
	s_waitcnt lgkmcnt(2)
	v_fmac_f32_e32 v67, v52, v71
	s_delay_alu instid0(VALU_DEP_1) | instskip(NEXT) | instid1(VALU_DEP_1)
	v_fmac_f32_e32 v67, v53, v72
	v_fmac_f32_e32 v67, v54, v73
	s_waitcnt vmcnt(2)
	s_delay_alu instid0(VALU_DEP_1)
	v_fmac_f32_e32 v67, v55, v74
	ds_load_2addr_b64 v[52:55], v46 offset0:19 offset1:20
	s_waitcnt lgkmcnt(1)
	v_fmac_f32_e32 v67, v56, v48
	ds_load_b32 v48, v46 offset:176
	v_fmac_f32_e32 v67, v57, v49
	s_delay_alu instid0(VALU_DEP_1) | instskip(SKIP_1) | instid1(VALU_DEP_1)
	v_fmac_f32_e32 v67, v58, v50
	s_waitcnt vmcnt(1)
	v_fmac_f32_e32 v67, v59, v51
	s_waitcnt lgkmcnt(1)
	s_delay_alu instid0(VALU_DEP_1) | instskip(NEXT) | instid1(VALU_DEP_1)
	v_fmac_f32_e32 v67, v60, v52
	v_fmac_f32_e32 v67, v61, v53
	s_delay_alu instid0(VALU_DEP_1) | instskip(SKIP_1) | instid1(VALU_DEP_1)
	v_fmac_f32_e32 v67, v62, v54
	s_waitcnt vmcnt(0)
	v_fmac_f32_e32 v67, v63, v55
	s_delay_alu instid0(VALU_DEP_1) | instskip(NEXT) | instid1(VALU_DEP_1)
	v_fmac_f32_e32 v67, v64, v2
	v_fmac_f32_e32 v67, v65, v3
	s_waitcnt lgkmcnt(0)
	s_delay_alu instid0(VALU_DEP_1) | instskip(NEXT) | instid1(VALU_DEP_1)
	v_fmac_f32_e32 v67, v66, v48
	v_sub_f32_e32 v2, v47, v67
	scratch_store_b32 off, v2, off offset:4
	v_cmpx_ne_u32_e32 0, v0
	s_cbranch_execz .LBB20_133
; %bb.132:
	scratch_load_b32 v0, off, off
	scratch_store_b32 off, v46, off
	s_waitcnt vmcnt(0)
	ds_store_b32 v1, v0
.LBB20_133:
	s_or_b32 exec_lo, exec_lo, s0
	s_waitcnt lgkmcnt(0)
	s_waitcnt_vscnt null, 0x0
	s_barrier
	buffer_gl0_inv
	s_clause 0x5
	scratch_load_b128 v[47:50], off, off
	scratch_load_b128 v[51:54], off, off offset:16
	scratch_load_b128 v[55:58], off, off offset:32
	scratch_load_b128 v[59:62], off, off offset:48
	scratch_load_b128 v[0:3], off, off offset:64
	scratch_load_b32 v71, off, off offset:80
	ds_load_2addr_b32 v[63:64], v46 offset0:25 offset1:26
	ds_load_2addr_b32 v[65:66], v46 offset0:27 offset1:28
	;; [unrolled: 1-line block ×4, first 2 shown]
	s_and_b32 vcc_lo, exec_lo, s16
	s_waitcnt vmcnt(5) lgkmcnt(3)
	v_fma_f32 v63, v48, v63, 0
	s_delay_alu instid0(VALU_DEP_1) | instskip(SKIP_4) | instid1(VALU_DEP_1)
	v_fmac_f32_e32 v63, v49, v64
	ds_load_2addr_b32 v[48:49], v46 offset0:33 offset1:34
	s_waitcnt lgkmcnt(3)
	v_fmac_f32_e32 v63, v50, v65
	s_waitcnt vmcnt(4)
	v_fmac_f32_e32 v63, v51, v66
	ds_load_2addr_b32 v[50:51], v46 offset0:35 offset1:36
	s_waitcnt lgkmcnt(3)
	v_fmac_f32_e32 v63, v52, v67
	s_delay_alu instid0(VALU_DEP_1) | instskip(SKIP_1) | instid1(VALU_DEP_1)
	v_fmac_f32_e32 v63, v53, v68
	s_waitcnt lgkmcnt(2)
	v_fmac_f32_e32 v63, v54, v69
	s_waitcnt vmcnt(3)
	s_delay_alu instid0(VALU_DEP_1) | instskip(SKIP_4) | instid1(VALU_DEP_1)
	v_fmac_f32_e32 v63, v55, v70
	ds_load_2addr_b32 v[52:53], v46 offset0:37 offset1:38
	ds_load_2addr_b32 v[54:55], v46 offset0:39 offset1:40
	s_waitcnt lgkmcnt(3)
	v_fmac_f32_e32 v63, v56, v48
	v_fmac_f32_e32 v63, v57, v49
	ds_load_2addr_b32 v[48:49], v46 offset0:41 offset1:42
	s_waitcnt lgkmcnt(3)
	v_fmac_f32_e32 v63, v58, v50
	s_waitcnt vmcnt(2)
	s_delay_alu instid0(VALU_DEP_1) | instskip(SKIP_3) | instid1(VALU_DEP_1)
	v_fmac_f32_e32 v63, v59, v51
	ds_load_2addr_b32 v[50:51], v46 offset0:43 offset1:44
	s_waitcnt lgkmcnt(3)
	v_fmac_f32_e32 v63, v60, v52
	v_fmac_f32_e32 v63, v61, v53
	s_waitcnt lgkmcnt(2)
	s_delay_alu instid0(VALU_DEP_1) | instskip(SKIP_1) | instid1(VALU_DEP_1)
	v_fmac_f32_e32 v63, v62, v54
	s_waitcnt vmcnt(1)
	v_fmac_f32_e32 v63, v0, v55
	s_waitcnt lgkmcnt(1)
	s_delay_alu instid0(VALU_DEP_1) | instskip(NEXT) | instid1(VALU_DEP_1)
	v_fmac_f32_e32 v63, v1, v48
	v_fmac_f32_e32 v63, v2, v49
	s_waitcnt lgkmcnt(0)
	s_delay_alu instid0(VALU_DEP_1) | instskip(SKIP_1) | instid1(VALU_DEP_1)
	v_fmac_f32_e32 v63, v3, v50
	s_waitcnt vmcnt(0)
	v_fmac_f32_e32 v63, v71, v51
	s_delay_alu instid0(VALU_DEP_1)
	v_sub_f32_e32 v0, v47, v63
	scratch_store_b32 off, v0, off
	s_cbranch_vccz .LBB20_175
; %bb.134:
	v_dual_mov_b32 v0, s12 :: v_dual_mov_b32 v1, s13
	s_mov_b32 s0, exec_lo
	flat_load_b32 v0, v[0:1] offset:76
	s_waitcnt vmcnt(0) lgkmcnt(0)
	v_cmpx_ne_u32_e32 20, v0
	s_cbranch_execz .LBB20_136
; %bb.135:
	v_lshl_add_u32 v0, v0, 2, 0
	scratch_load_b32 v1, v0, off offset:-4
	s_waitcnt vmcnt(0)
	scratch_store_b32 off, v1, off offset:76
	scratch_store_b32 v0, v3, off offset:-4
.LBB20_136:
	s_or_b32 exec_lo, exec_lo, s0
	v_dual_mov_b32 v0, s12 :: v_dual_mov_b32 v1, s13
	s_mov_b32 s0, exec_lo
	flat_load_b32 v0, v[0:1] offset:72
	s_waitcnt vmcnt(0) lgkmcnt(0)
	v_cmpx_ne_u32_e32 19, v0
	s_cbranch_execz .LBB20_138
; %bb.137:
	v_lshl_add_u32 v0, v0, 2, 0
	scratch_load_b32 v1, v0, off offset:-4
	scratch_load_b32 v2, off, off offset:72
	s_waitcnt vmcnt(1)
	scratch_store_b32 off, v1, off offset:72
	s_waitcnt vmcnt(0)
	scratch_store_b32 v0, v2, off offset:-4
.LBB20_138:
	s_or_b32 exec_lo, exec_lo, s0
	v_dual_mov_b32 v0, s12 :: v_dual_mov_b32 v1, s13
	s_mov_b32 s0, exec_lo
	flat_load_b32 v0, v[0:1] offset:68
	s_waitcnt vmcnt(0) lgkmcnt(0)
	v_cmpx_ne_u32_e32 18, v0
	s_cbranch_execz .LBB20_140
; %bb.139:
	v_lshl_add_u32 v0, v0, 2, 0
	scratch_load_b32 v1, v0, off offset:-4
	scratch_load_b32 v2, off, off offset:68
	s_waitcnt vmcnt(1)
	scratch_store_b32 off, v1, off offset:68
	s_waitcnt vmcnt(0)
	scratch_store_b32 v0, v2, off offset:-4
.LBB20_140:
	;; [unrolled: 16-line block ×18, first 2 shown]
	s_or_b32 exec_lo, exec_lo, s0
	v_dual_mov_b32 v0, s12 :: v_dual_mov_b32 v1, s13
	s_mov_b32 s0, exec_lo
	flat_load_b32 v1, v[0:1]
	scratch_load_b32 v0, off, off
	s_waitcnt vmcnt(1) lgkmcnt(0)
	v_cmpx_ne_u32_e32 1, v1
	s_cbranch_execz .LBB20_174
; %bb.173:
	v_lshl_add_u32 v1, v1, 2, 0
	scratch_load_b32 v2, v1, off offset:-4
	s_waitcnt vmcnt(0)
	scratch_store_b32 off, v2, off
	scratch_store_b32 v1, v0, off offset:-4
	scratch_load_b32 v0, off, off
.LBB20_174:
	s_or_b32 exec_lo, exec_lo, s0
.LBB20_175:
	s_clause 0x4
	scratch_load_b128 v[46:49], off, off offset:4
	scratch_load_b128 v[50:53], off, off offset:20
	scratch_load_b128 v[54:57], off, off offset:36
	scratch_load_b128 v[58:61], off, off offset:52
	scratch_load_b128 v[62:65], off, off offset:68
	s_waitcnt vmcnt(5)
	global_store_b32 v[4:5], v0, off
	s_waitcnt vmcnt(4)
	s_clause 0x3
	global_store_b32 v[6:7], v46, off
	global_store_b32 v[8:9], v47, off
	global_store_b32 v[10:11], v48, off
	global_store_b32 v[12:13], v49, off
	s_waitcnt vmcnt(3)
	s_clause 0x3
	global_store_b32 v[14:15], v50, off
	global_store_b32 v[16:17], v51, off
	global_store_b32 v[18:19], v52, off
	;; [unrolled: 6-line block ×5, first 2 shown]
	global_store_b32 v[44:45], v65, off
	s_endpgm
	.section	.rodata,"a",@progbits
	.p2align	6, 0x0
	.amdhsa_kernel _ZN9rocsolver6v33100L18getri_kernel_smallILi21EfPfEEvT1_iilPiilS4_bb
		.amdhsa_group_segment_fixed_size 180
		.amdhsa_private_segment_fixed_size 96
		.amdhsa_kernarg_size 60
		.amdhsa_user_sgpr_count 15
		.amdhsa_user_sgpr_dispatch_ptr 0
		.amdhsa_user_sgpr_queue_ptr 0
		.amdhsa_user_sgpr_kernarg_segment_ptr 1
		.amdhsa_user_sgpr_dispatch_id 0
		.amdhsa_user_sgpr_private_segment_size 0
		.amdhsa_wavefront_size32 1
		.amdhsa_uses_dynamic_stack 0
		.amdhsa_enable_private_segment 1
		.amdhsa_system_sgpr_workgroup_id_x 1
		.amdhsa_system_sgpr_workgroup_id_y 0
		.amdhsa_system_sgpr_workgroup_id_z 0
		.amdhsa_system_sgpr_workgroup_info 0
		.amdhsa_system_vgpr_workitem_id 0
		.amdhsa_next_free_vgpr 75
		.amdhsa_next_free_sgpr 18
		.amdhsa_reserve_vcc 1
		.amdhsa_float_round_mode_32 0
		.amdhsa_float_round_mode_16_64 0
		.amdhsa_float_denorm_mode_32 3
		.amdhsa_float_denorm_mode_16_64 3
		.amdhsa_dx10_clamp 1
		.amdhsa_ieee_mode 1
		.amdhsa_fp16_overflow 0
		.amdhsa_workgroup_processor_mode 1
		.amdhsa_memory_ordered 1
		.amdhsa_forward_progress 0
		.amdhsa_shared_vgpr_count 0
		.amdhsa_exception_fp_ieee_invalid_op 0
		.amdhsa_exception_fp_denorm_src 0
		.amdhsa_exception_fp_ieee_div_zero 0
		.amdhsa_exception_fp_ieee_overflow 0
		.amdhsa_exception_fp_ieee_underflow 0
		.amdhsa_exception_fp_ieee_inexact 0
		.amdhsa_exception_int_div_zero 0
	.end_amdhsa_kernel
	.section	.text._ZN9rocsolver6v33100L18getri_kernel_smallILi21EfPfEEvT1_iilPiilS4_bb,"axG",@progbits,_ZN9rocsolver6v33100L18getri_kernel_smallILi21EfPfEEvT1_iilPiilS4_bb,comdat
.Lfunc_end20:
	.size	_ZN9rocsolver6v33100L18getri_kernel_smallILi21EfPfEEvT1_iilPiilS4_bb, .Lfunc_end20-_ZN9rocsolver6v33100L18getri_kernel_smallILi21EfPfEEvT1_iilPiilS4_bb
                                        ; -- End function
	.section	.AMDGPU.csdata,"",@progbits
; Kernel info:
; codeLenInByte = 11752
; NumSgprs: 20
; NumVgprs: 75
; ScratchSize: 96
; MemoryBound: 0
; FloatMode: 240
; IeeeMode: 1
; LDSByteSize: 180 bytes/workgroup (compile time only)
; SGPRBlocks: 2
; VGPRBlocks: 9
; NumSGPRsForWavesPerEU: 20
; NumVGPRsForWavesPerEU: 75
; Occupancy: 16
; WaveLimiterHint : 1
; COMPUTE_PGM_RSRC2:SCRATCH_EN: 1
; COMPUTE_PGM_RSRC2:USER_SGPR: 15
; COMPUTE_PGM_RSRC2:TRAP_HANDLER: 0
; COMPUTE_PGM_RSRC2:TGID_X_EN: 1
; COMPUTE_PGM_RSRC2:TGID_Y_EN: 0
; COMPUTE_PGM_RSRC2:TGID_Z_EN: 0
; COMPUTE_PGM_RSRC2:TIDIG_COMP_CNT: 0
	.section	.text._ZN9rocsolver6v33100L18getri_kernel_smallILi22EfPfEEvT1_iilPiilS4_bb,"axG",@progbits,_ZN9rocsolver6v33100L18getri_kernel_smallILi22EfPfEEvT1_iilPiilS4_bb,comdat
	.globl	_ZN9rocsolver6v33100L18getri_kernel_smallILi22EfPfEEvT1_iilPiilS4_bb ; -- Begin function _ZN9rocsolver6v33100L18getri_kernel_smallILi22EfPfEEvT1_iilPiilS4_bb
	.p2align	8
	.type	_ZN9rocsolver6v33100L18getri_kernel_smallILi22EfPfEEvT1_iilPiilS4_bb,@function
_ZN9rocsolver6v33100L18getri_kernel_smallILi22EfPfEEvT1_iilPiilS4_bb: ; @_ZN9rocsolver6v33100L18getri_kernel_smallILi22EfPfEEvT1_iilPiilS4_bb
; %bb.0:
	s_mov_b32 s2, exec_lo
	v_cmpx_gt_u32_e32 22, v0
	s_cbranch_execz .LBB21_96
; %bb.1:
	s_clause 0x2
	s_load_b32 s17, s[0:1], 0x38
	s_load_b128 s[8:11], s[0:1], 0x10
	s_load_b128 s[4:7], s[0:1], 0x28
	s_mov_b32 s14, s15
                                        ; implicit-def: $sgpr12_sgpr13
	s_waitcnt lgkmcnt(0)
	s_bitcmp1_b32 s17, 8
	s_cselect_b32 s16, -1, 0
	s_bfe_u32 s2, s17, 0x10008
	s_ashr_i32 s15, s15, 31
	s_cmp_eq_u32 s2, 0
	s_cbranch_scc1 .LBB21_3
; %bb.2:
	s_load_b32 s2, s[0:1], 0x20
	s_mul_i32 s3, s14, s5
	s_mul_hi_u32 s5, s14, s4
	s_mul_i32 s12, s15, s4
	s_add_i32 s3, s5, s3
	s_mul_i32 s4, s14, s4
	s_add_i32 s5, s3, s12
	s_delay_alu instid0(SALU_CYCLE_1)
	s_lshl_b64 s[4:5], s[4:5], 2
	s_waitcnt lgkmcnt(0)
	s_ashr_i32 s3, s2, 31
	s_add_u32 s4, s10, s4
	s_addc_u32 s5, s11, s5
	s_lshl_b64 s[2:3], s[2:3], 2
	s_delay_alu instid0(SALU_CYCLE_1)
	s_add_u32 s12, s4, s2
	s_addc_u32 s13, s5, s3
.LBB21_3:
	s_load_b128 s[0:3], s[0:1], 0x0
	s_mul_i32 s4, s14, s9
	s_mul_hi_u32 s5, s14, s8
	s_mul_i32 s9, s15, s8
	s_add_i32 s5, s5, s4
	s_mul_i32 s4, s14, s8
	s_add_i32 s5, s5, s9
	v_lshlrev_b32_e32 v45, 2, v0
	s_lshl_b64 s[4:5], s[4:5], 2
	s_waitcnt lgkmcnt(0)
	v_add3_u32 v3, s3, s3, v0
	s_ashr_i32 s9, s2, 31
	s_mov_b32 s8, s2
	s_add_u32 s2, s0, s4
	s_addc_u32 s5, s1, s5
	v_add_nc_u32_e32 v5, s3, v3
	s_lshl_b64 s[0:1], s[8:9], 2
	v_ashrrev_i32_e32 v4, 31, v3
	s_add_u32 s0, s2, s0
	s_addc_u32 s1, s5, s1
	v_add_nc_u32_e32 v9, s3, v5
	v_add_co_u32 v1, s2, s0, v45
	v_ashrrev_i32_e32 v6, 31, v5
	s_mov_b32 s4, s3
	s_ashr_i32 s5, s3, 31
	v_add_co_ci_u32_e64 v2, null, s1, 0, s2
	v_lshlrev_b64 v[7:8], 2, v[3:4]
	s_lshl_b64 s[4:5], s[4:5], 2
	v_add_nc_u32_e32 v13, s3, v9
	v_add_co_u32 v3, vcc_lo, v1, s4
	v_lshlrev_b64 v[11:12], 2, v[5:6]
	v_add_co_ci_u32_e32 v4, vcc_lo, s5, v2, vcc_lo
	v_add_co_u32 v5, vcc_lo, s0, v7
	v_ashrrev_i32_e32 v14, 31, v13
	v_add_nc_u32_e32 v15, s3, v13
	v_add_co_ci_u32_e32 v6, vcc_lo, s1, v8, vcc_lo
	v_ashrrev_i32_e32 v10, 31, v9
	v_add_co_u32 v7, vcc_lo, s0, v11
	v_add_co_ci_u32_e32 v8, vcc_lo, s1, v12, vcc_lo
	v_lshlrev_b64 v[11:12], 2, v[13:14]
	v_add_nc_u32_e32 v13, s3, v15
	v_lshlrev_b64 v[9:10], 2, v[9:10]
	v_ashrrev_i32_e32 v16, 31, v15
	global_load_b32 v46, v45, s[0:1]
	s_bitcmp0_b32 s17, 0
	v_add_nc_u32_e32 v17, s3, v13
	v_ashrrev_i32_e32 v14, 31, v13
	v_add_co_u32 v9, vcc_lo, s0, v9
	v_lshlrev_b64 v[15:16], 2, v[15:16]
	s_delay_alu instid0(VALU_DEP_4)
	v_ashrrev_i32_e32 v18, 31, v17
	v_add_co_ci_u32_e32 v10, vcc_lo, s1, v10, vcc_lo
	v_add_co_u32 v11, vcc_lo, s0, v11
	v_lshlrev_b64 v[19:20], 2, v[13:14]
	v_add_nc_u32_e32 v23, s3, v17
	v_add_co_ci_u32_e32 v12, vcc_lo, s1, v12, vcc_lo
	v_add_co_u32 v13, vcc_lo, s0, v15
	v_lshlrev_b64 v[21:22], 2, v[17:18]
	v_add_co_ci_u32_e32 v14, vcc_lo, s1, v16, vcc_lo
	v_add_co_u32 v15, vcc_lo, s0, v19
	v_ashrrev_i32_e32 v24, 31, v23
	v_add_nc_u32_e32 v19, s3, v23
	v_add_co_ci_u32_e32 v16, vcc_lo, s1, v20, vcc_lo
	v_add_co_u32 v17, vcc_lo, s0, v21
	v_add_co_ci_u32_e32 v18, vcc_lo, s1, v22, vcc_lo
	v_lshlrev_b64 v[21:22], 2, v[23:24]
	v_add_nc_u32_e32 v23, s3, v19
	v_ashrrev_i32_e32 v20, 31, v19
	s_clause 0x7
	global_load_b32 v47, v[3:4], off
	global_load_b32 v48, v[5:6], off
	;; [unrolled: 1-line block ×8, first 2 shown]
	v_add_nc_u32_e32 v27, s3, v23
	v_lshlrev_b64 v[25:26], 2, v[19:20]
	v_add_co_u32 v19, vcc_lo, s0, v21
	v_add_co_ci_u32_e32 v20, vcc_lo, s1, v22, vcc_lo
	s_delay_alu instid0(VALU_DEP_4)
	v_ashrrev_i32_e32 v28, 31, v27
	v_add_nc_u32_e32 v29, s3, v27
	v_ashrrev_i32_e32 v24, 31, v23
	v_add_co_u32 v21, vcc_lo, s0, v25
	v_add_co_ci_u32_e32 v22, vcc_lo, s1, v26, vcc_lo
	v_lshlrev_b64 v[25:26], 2, v[27:28]
	v_add_nc_u32_e32 v27, s3, v29
	v_lshlrev_b64 v[23:24], 2, v[23:24]
	v_ashrrev_i32_e32 v30, 31, v29
	s_delay_alu instid0(VALU_DEP_3) | instskip(SKIP_1) | instid1(VALU_DEP_4)
	v_add_nc_u32_e32 v31, s3, v27
	v_ashrrev_i32_e32 v28, 31, v27
	v_add_co_u32 v23, vcc_lo, s0, v23
	s_delay_alu instid0(VALU_DEP_4) | instskip(NEXT) | instid1(VALU_DEP_4)
	v_lshlrev_b64 v[29:30], 2, v[29:30]
	v_add_nc_u32_e32 v35, s3, v31
	v_add_co_ci_u32_e32 v24, vcc_lo, s1, v24, vcc_lo
	v_add_co_u32 v25, vcc_lo, s0, v25
	v_lshlrev_b64 v[33:34], 2, v[27:28]
	v_add_co_ci_u32_e32 v26, vcc_lo, s1, v26, vcc_lo
	v_add_co_u32 v27, vcc_lo, s0, v29
	v_ashrrev_i32_e32 v36, 31, v35
	v_add_co_ci_u32_e32 v28, vcc_lo, s1, v30, vcc_lo
	v_add_co_u32 v29, vcc_lo, s0, v33
	v_add_co_ci_u32_e32 v30, vcc_lo, s1, v34, vcc_lo
	s_delay_alu instid0(VALU_DEP_4) | instskip(SKIP_2) | instid1(VALU_DEP_2)
	v_lshlrev_b64 v[33:34], 2, v[35:36]
	v_add_nc_u32_e32 v35, s3, v35
	v_ashrrev_i32_e32 v32, 31, v31
	v_add_nc_u32_e32 v37, s3, v35
	s_delay_alu instid0(VALU_DEP_2) | instskip(SKIP_1) | instid1(VALU_DEP_3)
	v_lshlrev_b64 v[31:32], 2, v[31:32]
	v_ashrrev_i32_e32 v36, 31, v35
	v_add_nc_u32_e32 v39, s3, v37
	v_ashrrev_i32_e32 v38, 31, v37
	s_delay_alu instid0(VALU_DEP_4) | instskip(NEXT) | instid1(VALU_DEP_4)
	v_add_co_u32 v31, vcc_lo, s0, v31
	v_lshlrev_b64 v[35:36], 2, v[35:36]
	s_delay_alu instid0(VALU_DEP_4) | instskip(SKIP_3) | instid1(VALU_DEP_4)
	v_add_nc_u32_e32 v41, s3, v39
	v_ashrrev_i32_e32 v40, 31, v39
	v_add_co_ci_u32_e32 v32, vcc_lo, s1, v32, vcc_lo
	v_add_co_u32 v33, vcc_lo, s0, v33
	v_add_nc_u32_e32 v43, s3, v41
	v_lshlrev_b64 v[37:38], 2, v[37:38]
	v_ashrrev_i32_e32 v42, 31, v41
	v_add_co_ci_u32_e32 v34, vcc_lo, s1, v34, vcc_lo
	v_add_co_u32 v35, vcc_lo, s0, v35
	v_lshlrev_b64 v[39:40], 2, v[39:40]
	v_ashrrev_i32_e32 v44, 31, v43
	v_add_co_ci_u32_e32 v36, vcc_lo, s1, v36, vcc_lo
	v_add_co_u32 v37, vcc_lo, s0, v37
	v_lshlrev_b64 v[41:42], 2, v[41:42]
	v_add_co_ci_u32_e32 v38, vcc_lo, s1, v38, vcc_lo
	v_add_co_u32 v39, vcc_lo, s0, v39
	v_lshlrev_b64 v[43:44], 2, v[43:44]
	v_add_co_ci_u32_e32 v40, vcc_lo, s1, v40, vcc_lo
	v_add_co_u32 v41, vcc_lo, s0, v41
	v_add_co_ci_u32_e32 v42, vcc_lo, s1, v42, vcc_lo
	s_delay_alu instid0(VALU_DEP_4)
	v_add_co_u32 v43, vcc_lo, s0, v43
	v_add_co_ci_u32_e32 v44, vcc_lo, s1, v44, vcc_lo
	s_clause 0xc
	global_load_b32 v55, v[19:20], off
	global_load_b32 v56, v[21:22], off
	;; [unrolled: 1-line block ×13, first 2 shown]
	s_mov_b32 s1, -1
	s_waitcnt vmcnt(18)
	scratch_store_b128 off, v[46:49], off
	s_waitcnt vmcnt(14)
	scratch_store_b128 off, v[50:53], off offset:16
	s_waitcnt vmcnt(10)
	scratch_store_b128 off, v[54:57], off offset:32
	;; [unrolled: 2-line block ×4, first 2 shown]
	s_waitcnt vmcnt(0)
	scratch_store_b64 off, v[66:67], off offset:80
	s_cbranch_scc1 .LBB21_94
; %bb.4:
	v_cmp_eq_u32_e64 s0, 0, v0
	s_delay_alu instid0(VALU_DEP_1)
	s_and_saveexec_b32 s1, s0
	s_cbranch_execz .LBB21_6
; %bb.5:
	v_mov_b32_e32 v46, 0
	ds_store_b32 v46, v46 offset:88
.LBB21_6:
	s_or_b32 exec_lo, exec_lo, s1
	s_waitcnt lgkmcnt(0)
	s_waitcnt_vscnt null, 0x0
	s_barrier
	buffer_gl0_inv
	scratch_load_b32 v46, v45, off
	s_mov_b32 s2, exec_lo
	s_waitcnt vmcnt(0)
	v_cmpx_eq_f32_e32 0, v46
	s_cbranch_execz .LBB21_10
; %bb.7:
	v_mov_b32_e32 v46, 0
	s_mov_b32 s3, 0
	ds_load_b32 v47, v46 offset:88
	s_waitcnt lgkmcnt(0)
	v_readfirstlane_b32 s1, v47
	v_add_nc_u32_e32 v47, 1, v0
	s_delay_alu instid0(VALU_DEP_2) | instskip(NEXT) | instid1(VALU_DEP_1)
	s_cmp_eq_u32 s1, 0
	v_cmp_gt_i32_e32 vcc_lo, s1, v47
	s_cselect_b32 s4, -1, 0
	s_delay_alu instid0(SALU_CYCLE_1) | instskip(NEXT) | instid1(SALU_CYCLE_1)
	s_or_b32 s4, s4, vcc_lo
	s_and_b32 exec_lo, exec_lo, s4
	s_cbranch_execz .LBB21_10
; %bb.8:
	v_mov_b32_e32 v48, s1
.LBB21_9:                               ; =>This Inner Loop Header: Depth=1
	ds_cmpstore_rtn_b32 v48, v46, v47, v48 offset:88
	s_waitcnt lgkmcnt(0)
	v_cmp_ne_u32_e32 vcc_lo, 0, v48
	v_cmp_le_i32_e64 s1, v48, v47
	s_delay_alu instid0(VALU_DEP_1) | instskip(NEXT) | instid1(SALU_CYCLE_1)
	s_and_b32 s1, vcc_lo, s1
	s_and_b32 s1, exec_lo, s1
	s_delay_alu instid0(SALU_CYCLE_1) | instskip(NEXT) | instid1(SALU_CYCLE_1)
	s_or_b32 s3, s1, s3
	s_and_not1_b32 exec_lo, exec_lo, s3
	s_cbranch_execnz .LBB21_9
.LBB21_10:
	s_or_b32 exec_lo, exec_lo, s2
	v_mov_b32_e32 v46, 0
	s_barrier
	buffer_gl0_inv
	ds_load_b32 v47, v46 offset:88
	s_and_saveexec_b32 s1, s0
	s_cbranch_execz .LBB21_12
; %bb.11:
	s_lshl_b64 s[2:3], s[14:15], 2
	s_delay_alu instid0(SALU_CYCLE_1)
	s_add_u32 s2, s6, s2
	s_addc_u32 s3, s7, s3
	s_waitcnt lgkmcnt(0)
	global_store_b32 v46, v47, s[2:3]
.LBB21_12:
	s_or_b32 exec_lo, exec_lo, s1
	s_waitcnt lgkmcnt(0)
	v_cmp_ne_u32_e32 vcc_lo, 0, v47
	s_mov_b32 s1, 0
	s_cbranch_vccnz .LBB21_94
; %bb.13:
	v_add_nc_u32_e32 v46, 0, v45
	scratch_load_b32 v47, v46, off
	s_waitcnt vmcnt(0)
	v_div_scale_f32 v48, null, v47, v47, 1.0
	v_div_scale_f32 v51, vcc_lo, 1.0, v47, 1.0
	s_delay_alu instid0(VALU_DEP_2) | instskip(SKIP_2) | instid1(VALU_DEP_1)
	v_rcp_f32_e32 v49, v48
	s_waitcnt_depctr 0xfff
	v_fma_f32 v50, -v48, v49, 1.0
	v_fmac_f32_e32 v49, v50, v49
	s_delay_alu instid0(VALU_DEP_1) | instskip(NEXT) | instid1(VALU_DEP_1)
	v_mul_f32_e32 v50, v51, v49
	v_fma_f32 v52, -v48, v50, v51
	s_delay_alu instid0(VALU_DEP_1) | instskip(NEXT) | instid1(VALU_DEP_1)
	v_fmac_f32_e32 v50, v52, v49
	v_fma_f32 v48, -v48, v50, v51
	s_delay_alu instid0(VALU_DEP_1) | instskip(NEXT) | instid1(VALU_DEP_1)
	v_div_fmas_f32 v48, v48, v49, v50
	v_div_fixup_f32 v47, v48, v47, 1.0
	scratch_store_b32 v46, v47, off
	scratch_load_b32 v48, off, off offset:4
	v_xor_b32_e32 v49, 0x80000000, v47
	v_add_nc_u32_e32 v47, 0x60, v45
	s_waitcnt vmcnt(0)
	ds_store_2addr_b32 v45, v49, v48 offset1:24
	s_waitcnt lgkmcnt(0)
	s_waitcnt_vscnt null, 0x0
	s_barrier
	buffer_gl0_inv
	s_and_saveexec_b32 s1, s0
	s_cbranch_execz .LBB21_15
; %bb.14:
	scratch_load_b32 v48, v46, off
	ds_load_b32 v49, v47
	v_mov_b32_e32 v50, 0
	ds_load_b32 v50, v50 offset:4
	s_waitcnt vmcnt(0) lgkmcnt(1)
	v_fma_f32 v48, v48, v49, 0
	s_waitcnt lgkmcnt(0)
	s_delay_alu instid0(VALU_DEP_1)
	v_mul_f32_e32 v48, v48, v50
	scratch_store_b32 off, v48, off offset:4
.LBB21_15:
	s_or_b32 exec_lo, exec_lo, s1
	s_waitcnt_vscnt null, 0x0
	s_barrier
	buffer_gl0_inv
	scratch_load_b32 v48, off, off offset:8
	s_mov_b32 s1, exec_lo
	s_waitcnt vmcnt(0)
	ds_store_b32 v47, v48
	s_waitcnt lgkmcnt(0)
	s_barrier
	buffer_gl0_inv
	v_cmpx_gt_u32_e32 2, v0
	s_cbranch_execz .LBB21_17
; %bb.16:
	scratch_load_b32 v50, v46, off
	scratch_load_b32 v51, off, off offset:4
	ds_load_b32 v52, v47
	v_mov_b32_e32 v48, 0
	ds_load_2addr_b32 v[48:49], v48 offset0:2 offset1:25
	s_waitcnt vmcnt(1) lgkmcnt(1)
	v_fma_f32 v50, v50, v52, 0
	s_waitcnt vmcnt(0) lgkmcnt(0)
	s_delay_alu instid0(VALU_DEP_1) | instskip(NEXT) | instid1(VALU_DEP_1)
	v_fma_f32 v49, v51, v49, v50
	v_cndmask_b32_e64 v49, v50, v49, s0
	s_delay_alu instid0(VALU_DEP_1)
	v_mul_f32_e32 v48, v49, v48
	scratch_store_b32 off, v48, off offset:8
.LBB21_17:
	s_or_b32 exec_lo, exec_lo, s1
	s_waitcnt_vscnt null, 0x0
	s_barrier
	buffer_gl0_inv
	scratch_load_b32 v49, off, off offset:12
	v_add_nc_u32_e32 v48, -1, v0
	s_mov_b32 s0, exec_lo
	s_waitcnt vmcnt(0)
	ds_store_b32 v47, v49
	s_waitcnt lgkmcnt(0)
	s_barrier
	buffer_gl0_inv
	v_cmpx_gt_u32_e32 3, v0
	s_cbranch_execz .LBB21_21
; %bb.18:
	v_dual_mov_b32 v49, 0 :: v_dual_add_nc_u32 v50, -1, v0
	v_add_nc_u32_e32 v51, 0x60, v45
	v_add_nc_u32_e32 v52, 0, v45
	s_mov_b32 s1, 0
.LBB21_19:                              ; =>This Inner Loop Header: Depth=1
	scratch_load_b32 v53, v52, off
	ds_load_b32 v54, v51
	v_add_nc_u32_e32 v50, 1, v50
	v_add_nc_u32_e32 v51, 4, v51
	v_add_nc_u32_e32 v52, 4, v52
	s_delay_alu instid0(VALU_DEP_3)
	v_cmp_lt_u32_e32 vcc_lo, 1, v50
	s_or_b32 s1, vcc_lo, s1
	s_waitcnt vmcnt(0) lgkmcnt(0)
	v_fmac_f32_e32 v49, v53, v54
	s_and_not1_b32 exec_lo, exec_lo, s1
	s_cbranch_execnz .LBB21_19
; %bb.20:
	s_or_b32 exec_lo, exec_lo, s1
	v_mov_b32_e32 v50, 0
	ds_load_b32 v50, v50 offset:12
	s_waitcnt lgkmcnt(0)
	v_mul_f32_e32 v49, v49, v50
	scratch_store_b32 off, v49, off offset:12
.LBB21_21:
	s_or_b32 exec_lo, exec_lo, s0
	s_waitcnt_vscnt null, 0x0
	s_barrier
	buffer_gl0_inv
	scratch_load_b32 v49, off, off offset:16
	s_mov_b32 s0, exec_lo
	s_waitcnt vmcnt(0)
	ds_store_b32 v47, v49
	s_waitcnt lgkmcnt(0)
	s_barrier
	buffer_gl0_inv
	v_cmpx_gt_u32_e32 4, v0
	s_cbranch_execz .LBB21_25
; %bb.22:
	v_dual_mov_b32 v49, 0 :: v_dual_add_nc_u32 v50, -1, v0
	v_add_nc_u32_e32 v51, 0x60, v45
	v_add_nc_u32_e32 v52, 0, v45
	s_mov_b32 s1, 0
.LBB21_23:                              ; =>This Inner Loop Header: Depth=1
	scratch_load_b32 v53, v52, off
	ds_load_b32 v54, v51
	v_add_nc_u32_e32 v50, 1, v50
	v_add_nc_u32_e32 v51, 4, v51
	v_add_nc_u32_e32 v52, 4, v52
	s_delay_alu instid0(VALU_DEP_3)
	v_cmp_lt_u32_e32 vcc_lo, 2, v50
	s_or_b32 s1, vcc_lo, s1
	s_waitcnt vmcnt(0) lgkmcnt(0)
	v_fmac_f32_e32 v49, v53, v54
	s_and_not1_b32 exec_lo, exec_lo, s1
	s_cbranch_execnz .LBB21_23
; %bb.24:
	s_or_b32 exec_lo, exec_lo, s1
	v_mov_b32_e32 v50, 0
	ds_load_b32 v50, v50 offset:16
	s_waitcnt lgkmcnt(0)
	v_mul_f32_e32 v49, v49, v50
	scratch_store_b32 off, v49, off offset:16
.LBB21_25:
	s_or_b32 exec_lo, exec_lo, s0
	s_waitcnt_vscnt null, 0x0
	s_barrier
	buffer_gl0_inv
	scratch_load_b32 v49, off, off offset:20
	;; [unrolled: 39-line block ×17, first 2 shown]
	s_mov_b32 s0, exec_lo
	s_waitcnt vmcnt(0)
	ds_store_b32 v47, v49
	s_waitcnt lgkmcnt(0)
	s_barrier
	buffer_gl0_inv
	v_cmpx_gt_u32_e32 20, v0
	s_cbranch_execz .LBB21_89
; %bb.86:
	v_add_nc_u32_e32 v49, -1, v0
	v_add_nc_u32_e32 v50, 0x60, v45
	v_add_nc_u32_e32 v51, 0, v45
	v_mov_b32_e32 v45, 0
	s_mov_b32 s1, 0
.LBB21_87:                              ; =>This Inner Loop Header: Depth=1
	scratch_load_b32 v52, v51, off
	ds_load_b32 v53, v50
	v_add_nc_u32_e32 v49, 1, v49
	v_add_nc_u32_e32 v50, 4, v50
	;; [unrolled: 1-line block ×3, first 2 shown]
	s_delay_alu instid0(VALU_DEP_3)
	v_cmp_lt_u32_e32 vcc_lo, 18, v49
	s_or_b32 s1, vcc_lo, s1
	s_waitcnt vmcnt(0) lgkmcnt(0)
	v_fmac_f32_e32 v45, v52, v53
	s_and_not1_b32 exec_lo, exec_lo, s1
	s_cbranch_execnz .LBB21_87
; %bb.88:
	s_or_b32 exec_lo, exec_lo, s1
	v_mov_b32_e32 v49, 0
	ds_load_b32 v49, v49 offset:80
	s_waitcnt lgkmcnt(0)
	v_mul_f32_e32 v45, v45, v49
	scratch_store_b32 off, v45, off offset:80
.LBB21_89:
	s_or_b32 exec_lo, exec_lo, s0
	s_waitcnt_vscnt null, 0x0
	s_barrier
	buffer_gl0_inv
	scratch_load_b32 v45, off, off offset:84
	s_mov_b32 s0, exec_lo
	s_waitcnt vmcnt(0)
	ds_store_b32 v47, v45
	s_waitcnt lgkmcnt(0)
	s_barrier
	buffer_gl0_inv
	v_cmpx_ne_u32_e32 21, v0
	s_cbranch_execz .LBB21_93
; %bb.90:
	v_mov_b32_e32 v45, 0
	s_mov_b32 s1, 0
.LBB21_91:                              ; =>This Inner Loop Header: Depth=1
	scratch_load_b32 v49, v46, off
	ds_load_b32 v50, v47
	v_add_nc_u32_e32 v48, 1, v48
	v_add_nc_u32_e32 v47, 4, v47
	;; [unrolled: 1-line block ×3, first 2 shown]
	s_waitcnt vmcnt(0) lgkmcnt(0)
	v_fmac_f32_e32 v45, v49, v50
	v_cmp_lt_u32_e32 vcc_lo, 19, v48
	s_or_b32 s1, vcc_lo, s1
	s_delay_alu instid0(SALU_CYCLE_1)
	s_and_not1_b32 exec_lo, exec_lo, s1
	s_cbranch_execnz .LBB21_91
; %bb.92:
	s_or_b32 exec_lo, exec_lo, s1
	v_mov_b32_e32 v46, 0
	ds_load_b32 v46, v46 offset:84
	s_waitcnt lgkmcnt(0)
	v_mul_f32_e32 v45, v45, v46
	scratch_store_b32 off, v45, off offset:84
.LBB21_93:
	s_or_b32 exec_lo, exec_lo, s0
	s_mov_b32 s1, -1
	s_waitcnt_vscnt null, 0x0
	s_barrier
	buffer_gl0_inv
.LBB21_94:
	s_and_b32 vcc_lo, exec_lo, s1
	s_cbranch_vccz .LBB21_96
; %bb.95:
	s_lshl_b64 s[0:1], s[14:15], 2
	v_mov_b32_e32 v45, 0
	s_add_u32 s0, s6, s0
	s_addc_u32 s1, s7, s1
	global_load_b32 v45, v45, s[0:1]
	s_waitcnt vmcnt(0)
	v_cmp_ne_u32_e32 vcc_lo, 0, v45
	s_cbranch_vccz .LBB21_97
.LBB21_96:
	s_endpgm
.LBB21_97:
	v_lshl_add_u32 v45, v0, 2, 0x60
	s_mov_b32 s0, exec_lo
	v_cmpx_eq_u32_e32 21, v0
	s_cbranch_execz .LBB21_99
; %bb.98:
	scratch_load_b32 v46, off, off offset:80
	v_mov_b32_e32 v47, 0
	scratch_store_b32 off, v47, off offset:80
	s_waitcnt vmcnt(0)
	ds_store_b32 v45, v46
.LBB21_99:
	s_or_b32 exec_lo, exec_lo, s0
	s_waitcnt lgkmcnt(0)
	s_waitcnt_vscnt null, 0x0
	s_barrier
	buffer_gl0_inv
	scratch_load_b64 v[47:48], off, off offset:80
	v_mov_b32_e32 v46, 0
	s_mov_b32 s0, exec_lo
	ds_load_b32 v49, v46 offset:180
	s_waitcnt vmcnt(0) lgkmcnt(0)
	v_fma_f32 v48, v48, v49, 0
	s_delay_alu instid0(VALU_DEP_1)
	v_sub_f32_e32 v47, v47, v48
	scratch_store_b32 off, v47, off offset:80
	v_cmpx_lt_u32_e32 19, v0
	s_cbranch_execz .LBB21_101
; %bb.100:
	scratch_load_b32 v47, off, off offset:76
	scratch_store_b32 off, v46, off offset:76
	s_waitcnt vmcnt(0)
	ds_store_b32 v45, v47
.LBB21_101:
	s_or_b32 exec_lo, exec_lo, s0
	s_waitcnt lgkmcnt(0)
	s_waitcnt_vscnt null, 0x0
	s_barrier
	buffer_gl0_inv
	scratch_load_b96 v[47:49], off, off offset:76
	ds_load_b64 v[50:51], v46 offset:176
	s_mov_b32 s0, exec_lo
	s_waitcnt vmcnt(0) lgkmcnt(0)
	v_fma_f32 v46, v48, v50, 0
	s_delay_alu instid0(VALU_DEP_1) | instskip(NEXT) | instid1(VALU_DEP_1)
	v_fmac_f32_e32 v46, v49, v51
	v_sub_f32_e32 v46, v47, v46
	scratch_store_b32 off, v46, off offset:76
	v_cmpx_lt_u32_e32 18, v0
	s_cbranch_execz .LBB21_103
; %bb.102:
	scratch_load_b32 v46, off, off offset:72
	v_mov_b32_e32 v47, 0
	scratch_store_b32 off, v47, off offset:72
	s_waitcnt vmcnt(0)
	ds_store_b32 v45, v46
.LBB21_103:
	s_or_b32 exec_lo, exec_lo, s0
	s_waitcnt lgkmcnt(0)
	s_waitcnt_vscnt null, 0x0
	s_barrier
	buffer_gl0_inv
	scratch_load_b128 v[47:50], off, off offset:72
	v_mov_b32_e32 v46, 0
	ds_load_2addr_b32 v[51:52], v46 offset0:43 offset1:44
	ds_load_b32 v53, v46 offset:180
	s_mov_b32 s0, exec_lo
	s_waitcnt vmcnt(0) lgkmcnt(1)
	v_fma_f32 v48, v48, v51, 0
	s_delay_alu instid0(VALU_DEP_1) | instskip(SKIP_1) | instid1(VALU_DEP_1)
	v_fmac_f32_e32 v48, v49, v52
	s_waitcnt lgkmcnt(0)
	v_fmac_f32_e32 v48, v50, v53
	s_delay_alu instid0(VALU_DEP_1)
	v_sub_f32_e32 v47, v47, v48
	scratch_store_b32 off, v47, off offset:72
	v_cmpx_lt_u32_e32 17, v0
	s_cbranch_execz .LBB21_105
; %bb.104:
	scratch_load_b32 v47, off, off offset:68
	scratch_store_b32 off, v46, off offset:68
	s_waitcnt vmcnt(0)
	ds_store_b32 v45, v47
.LBB21_105:
	s_or_b32 exec_lo, exec_lo, s0
	s_waitcnt lgkmcnt(0)
	s_waitcnt_vscnt null, 0x0
	s_barrier
	buffer_gl0_inv
	s_clause 0x1
	scratch_load_b128 v[47:50], off, off offset:68
	scratch_load_b32 v55, off, off offset:84
	ds_load_2addr_b64 v[51:54], v46 offset0:21 offset1:22
	s_mov_b32 s0, exec_lo
	s_waitcnt vmcnt(1) lgkmcnt(0)
	v_fma_f32 v46, v48, v51, 0
	s_delay_alu instid0(VALU_DEP_1) | instskip(NEXT) | instid1(VALU_DEP_1)
	v_fmac_f32_e32 v46, v49, v52
	v_fmac_f32_e32 v46, v50, v53
	s_waitcnt vmcnt(0)
	s_delay_alu instid0(VALU_DEP_1) | instskip(NEXT) | instid1(VALU_DEP_1)
	v_fmac_f32_e32 v46, v55, v54
	v_sub_f32_e32 v46, v47, v46
	scratch_store_b32 off, v46, off offset:68
	v_cmpx_lt_u32_e32 16, v0
	s_cbranch_execz .LBB21_107
; %bb.106:
	scratch_load_b32 v46, off, off offset:64
	v_mov_b32_e32 v47, 0
	scratch_store_b32 off, v47, off offset:64
	s_waitcnt vmcnt(0)
	ds_store_b32 v45, v46
.LBB21_107:
	s_or_b32 exec_lo, exec_lo, s0
	s_waitcnt lgkmcnt(0)
	s_waitcnt_vscnt null, 0x0
	s_barrier
	buffer_gl0_inv
	s_clause 0x1
	scratch_load_b128 v[47:50], off, off offset:64
	scratch_load_b64 v[51:52], off, off offset:80
	v_mov_b32_e32 v46, 0
	ds_load_2addr_b32 v[53:54], v46 offset0:41 offset1:42
	ds_load_2addr_b32 v[55:56], v46 offset0:43 offset1:44
	ds_load_b32 v57, v46 offset:180
	s_mov_b32 s0, exec_lo
	s_waitcnt vmcnt(1) lgkmcnt(2)
	v_fma_f32 v48, v48, v53, 0
	s_delay_alu instid0(VALU_DEP_1) | instskip(SKIP_1) | instid1(VALU_DEP_1)
	v_fmac_f32_e32 v48, v49, v54
	s_waitcnt lgkmcnt(1)
	v_fmac_f32_e32 v48, v50, v55
	s_waitcnt vmcnt(0)
	s_delay_alu instid0(VALU_DEP_1) | instskip(SKIP_1) | instid1(VALU_DEP_1)
	v_fmac_f32_e32 v48, v51, v56
	s_waitcnt lgkmcnt(0)
	v_fmac_f32_e32 v48, v52, v57
	s_delay_alu instid0(VALU_DEP_1)
	v_sub_f32_e32 v47, v47, v48
	scratch_store_b32 off, v47, off offset:64
	v_cmpx_lt_u32_e32 15, v0
	s_cbranch_execz .LBB21_109
; %bb.108:
	scratch_load_b32 v47, off, off offset:60
	scratch_store_b32 off, v46, off offset:60
	s_waitcnt vmcnt(0)
	ds_store_b32 v45, v47
.LBB21_109:
	s_or_b32 exec_lo, exec_lo, s0
	s_waitcnt lgkmcnt(0)
	s_waitcnt_vscnt null, 0x0
	s_barrier
	buffer_gl0_inv
	s_clause 0x1
	scratch_load_b128 v[47:50], off, off offset:60
	scratch_load_b96 v[55:57], off, off offset:76
	ds_load_b128 v[51:54], v46 offset:160
	ds_load_b64 v[58:59], v46 offset:176
	s_mov_b32 s0, exec_lo
	s_waitcnt vmcnt(1) lgkmcnt(1)
	v_fma_f32 v46, v48, v51, 0
	s_delay_alu instid0(VALU_DEP_1) | instskip(NEXT) | instid1(VALU_DEP_1)
	v_fmac_f32_e32 v46, v49, v52
	v_fmac_f32_e32 v46, v50, v53
	s_waitcnt vmcnt(0)
	s_delay_alu instid0(VALU_DEP_1) | instskip(SKIP_1) | instid1(VALU_DEP_1)
	v_fmac_f32_e32 v46, v55, v54
	s_waitcnt lgkmcnt(0)
	v_fmac_f32_e32 v46, v56, v58
	s_delay_alu instid0(VALU_DEP_1) | instskip(NEXT) | instid1(VALU_DEP_1)
	v_fmac_f32_e32 v46, v57, v59
	v_sub_f32_e32 v46, v47, v46
	scratch_store_b32 off, v46, off offset:60
	v_cmpx_lt_u32_e32 14, v0
	s_cbranch_execz .LBB21_111
; %bb.110:
	scratch_load_b32 v46, off, off offset:56
	v_mov_b32_e32 v47, 0
	scratch_store_b32 off, v47, off offset:56
	s_waitcnt vmcnt(0)
	ds_store_b32 v45, v46
.LBB21_111:
	s_or_b32 exec_lo, exec_lo, s0
	s_waitcnt lgkmcnt(0)
	s_waitcnt_vscnt null, 0x0
	s_barrier
	buffer_gl0_inv
	s_clause 0x1
	scratch_load_b128 v[47:50], off, off offset:56
	scratch_load_b128 v[51:54], off, off offset:72
	v_mov_b32_e32 v46, 0
	ds_load_2addr_b32 v[55:56], v46 offset0:39 offset1:40
	ds_load_2addr_b32 v[57:58], v46 offset0:41 offset1:42
	;; [unrolled: 1-line block ×3, first 2 shown]
	ds_load_b32 v61, v46 offset:180
	s_mov_b32 s0, exec_lo
	s_waitcnt vmcnt(1) lgkmcnt(3)
	v_fma_f32 v48, v48, v55, 0
	s_delay_alu instid0(VALU_DEP_1) | instskip(SKIP_1) | instid1(VALU_DEP_1)
	v_fmac_f32_e32 v48, v49, v56
	s_waitcnt lgkmcnt(2)
	v_fmac_f32_e32 v48, v50, v57
	s_waitcnt vmcnt(0)
	s_delay_alu instid0(VALU_DEP_1) | instskip(SKIP_1) | instid1(VALU_DEP_1)
	v_fmac_f32_e32 v48, v51, v58
	s_waitcnt lgkmcnt(1)
	v_fmac_f32_e32 v48, v52, v59
	s_delay_alu instid0(VALU_DEP_1) | instskip(SKIP_1) | instid1(VALU_DEP_1)
	v_fmac_f32_e32 v48, v53, v60
	s_waitcnt lgkmcnt(0)
	v_fmac_f32_e32 v48, v54, v61
	s_delay_alu instid0(VALU_DEP_1)
	v_sub_f32_e32 v47, v47, v48
	scratch_store_b32 off, v47, off offset:56
	v_cmpx_lt_u32_e32 13, v0
	s_cbranch_execz .LBB21_113
; %bb.112:
	scratch_load_b32 v47, off, off offset:52
	scratch_store_b32 off, v46, off offset:52
	s_waitcnt vmcnt(0)
	ds_store_b32 v45, v47
.LBB21_113:
	s_or_b32 exec_lo, exec_lo, s0
	s_waitcnt lgkmcnt(0)
	s_waitcnt_vscnt null, 0x0
	s_barrier
	buffer_gl0_inv
	s_clause 0x2
	scratch_load_b128 v[47:50], off, off offset:52
	scratch_load_b128 v[51:54], off, off offset:68
	scratch_load_b32 v63, off, off offset:84
	ds_load_2addr_b64 v[55:58], v46 offset0:19 offset1:20
	ds_load_2addr_b64 v[59:62], v46 offset0:21 offset1:22
	s_mov_b32 s0, exec_lo
	s_waitcnt vmcnt(2) lgkmcnt(1)
	v_fma_f32 v46, v48, v55, 0
	s_delay_alu instid0(VALU_DEP_1) | instskip(NEXT) | instid1(VALU_DEP_1)
	v_fmac_f32_e32 v46, v49, v56
	v_fmac_f32_e32 v46, v50, v57
	s_waitcnt vmcnt(1)
	s_delay_alu instid0(VALU_DEP_1) | instskip(SKIP_1) | instid1(VALU_DEP_1)
	v_fmac_f32_e32 v46, v51, v58
	s_waitcnt lgkmcnt(0)
	v_fmac_f32_e32 v46, v52, v59
	s_delay_alu instid0(VALU_DEP_1) | instskip(NEXT) | instid1(VALU_DEP_1)
	v_fmac_f32_e32 v46, v53, v60
	v_fmac_f32_e32 v46, v54, v61
	s_waitcnt vmcnt(0)
	s_delay_alu instid0(VALU_DEP_1) | instskip(NEXT) | instid1(VALU_DEP_1)
	v_fmac_f32_e32 v46, v63, v62
	v_sub_f32_e32 v46, v47, v46
	scratch_store_b32 off, v46, off offset:52
	v_cmpx_lt_u32_e32 12, v0
	s_cbranch_execz .LBB21_115
; %bb.114:
	scratch_load_b32 v46, off, off offset:48
	v_mov_b32_e32 v47, 0
	scratch_store_b32 off, v47, off offset:48
	s_waitcnt vmcnt(0)
	ds_store_b32 v45, v46
.LBB21_115:
	s_or_b32 exec_lo, exec_lo, s0
	s_waitcnt lgkmcnt(0)
	s_waitcnt_vscnt null, 0x0
	s_barrier
	buffer_gl0_inv
	s_clause 0x2
	scratch_load_b128 v[47:50], off, off offset:48
	scratch_load_b128 v[51:54], off, off offset:64
	scratch_load_b64 v[55:56], off, off offset:80
	v_mov_b32_e32 v46, 0
	ds_load_2addr_b32 v[57:58], v46 offset0:37 offset1:38
	ds_load_2addr_b32 v[59:60], v46 offset0:39 offset1:40
	;; [unrolled: 1-line block ×4, first 2 shown]
	s_mov_b32 s0, exec_lo
	s_waitcnt vmcnt(2) lgkmcnt(3)
	v_fma_f32 v48, v48, v57, 0
	s_delay_alu instid0(VALU_DEP_1) | instskip(SKIP_4) | instid1(VALU_DEP_1)
	v_fmac_f32_e32 v48, v49, v58
	ds_load_b32 v49, v46 offset:180
	s_waitcnt lgkmcnt(3)
	v_fmac_f32_e32 v48, v50, v59
	s_waitcnt vmcnt(1)
	v_fmac_f32_e32 v48, v51, v60
	s_waitcnt lgkmcnt(2)
	s_delay_alu instid0(VALU_DEP_1) | instskip(NEXT) | instid1(VALU_DEP_1)
	v_fmac_f32_e32 v48, v52, v61
	v_fmac_f32_e32 v48, v53, v62
	s_waitcnt lgkmcnt(1)
	s_delay_alu instid0(VALU_DEP_1) | instskip(SKIP_1) | instid1(VALU_DEP_1)
	v_fmac_f32_e32 v48, v54, v63
	s_waitcnt vmcnt(0)
	v_fmac_f32_e32 v48, v55, v64
	s_waitcnt lgkmcnt(0)
	s_delay_alu instid0(VALU_DEP_1) | instskip(NEXT) | instid1(VALU_DEP_1)
	v_fmac_f32_e32 v48, v56, v49
	v_sub_f32_e32 v47, v47, v48
	scratch_store_b32 off, v47, off offset:48
	v_cmpx_lt_u32_e32 11, v0
	s_cbranch_execz .LBB21_117
; %bb.116:
	scratch_load_b32 v47, off, off offset:44
	scratch_store_b32 off, v46, off offset:44
	s_waitcnt vmcnt(0)
	ds_store_b32 v45, v47
.LBB21_117:
	s_or_b32 exec_lo, exec_lo, s0
	s_waitcnt lgkmcnt(0)
	s_waitcnt_vscnt null, 0x0
	s_barrier
	buffer_gl0_inv
	s_clause 0x2
	scratch_load_b128 v[47:50], off, off offset:44
	scratch_load_b128 v[51:54], off, off offset:60
	scratch_load_b96 v[63:65], off, off offset:76
	ds_load_b128 v[55:58], v46 offset:144
	ds_load_b128 v[59:62], v46 offset:160
	s_mov_b32 s0, exec_lo
	s_waitcnt vmcnt(2) lgkmcnt(1)
	v_fma_f32 v55, v48, v55, 0
	s_delay_alu instid0(VALU_DEP_1) | instskip(SKIP_3) | instid1(VALU_DEP_1)
	v_fmac_f32_e32 v55, v49, v56
	ds_load_b64 v[48:49], v46 offset:176
	v_fmac_f32_e32 v55, v50, v57
	s_waitcnt vmcnt(1)
	v_fmac_f32_e32 v55, v51, v58
	s_waitcnt lgkmcnt(1)
	s_delay_alu instid0(VALU_DEP_1) | instskip(NEXT) | instid1(VALU_DEP_1)
	v_fmac_f32_e32 v55, v52, v59
	v_fmac_f32_e32 v55, v53, v60
	s_delay_alu instid0(VALU_DEP_1) | instskip(SKIP_1) | instid1(VALU_DEP_1)
	v_fmac_f32_e32 v55, v54, v61
	s_waitcnt vmcnt(0)
	v_fmac_f32_e32 v55, v63, v62
	s_waitcnt lgkmcnt(0)
	s_delay_alu instid0(VALU_DEP_1) | instskip(NEXT) | instid1(VALU_DEP_1)
	v_fmac_f32_e32 v55, v64, v48
	v_fmac_f32_e32 v55, v65, v49
	s_delay_alu instid0(VALU_DEP_1)
	v_sub_f32_e32 v46, v47, v55
	scratch_store_b32 off, v46, off offset:44
	v_cmpx_lt_u32_e32 10, v0
	s_cbranch_execz .LBB21_119
; %bb.118:
	scratch_load_b32 v46, off, off offset:40
	v_mov_b32_e32 v47, 0
	scratch_store_b32 off, v47, off offset:40
	s_waitcnt vmcnt(0)
	ds_store_b32 v45, v46
.LBB21_119:
	s_or_b32 exec_lo, exec_lo, s0
	s_waitcnt lgkmcnt(0)
	s_waitcnt_vscnt null, 0x0
	s_barrier
	buffer_gl0_inv
	s_clause 0x2
	scratch_load_b128 v[47:50], off, off offset:40
	scratch_load_b128 v[51:54], off, off offset:56
	;; [unrolled: 1-line block ×3, first 2 shown]
	v_mov_b32_e32 v46, 0
	ds_load_2addr_b32 v[59:60], v46 offset0:35 offset1:36
	ds_load_2addr_b32 v[61:62], v46 offset0:37 offset1:38
	;; [unrolled: 1-line block ×4, first 2 shown]
	s_mov_b32 s0, exec_lo
	s_waitcnt vmcnt(2) lgkmcnt(3)
	v_fma_f32 v59, v48, v59, 0
	s_delay_alu instid0(VALU_DEP_1)
	v_fmac_f32_e32 v59, v49, v60
	ds_load_2addr_b32 v[48:49], v46 offset0:43 offset1:44
	s_waitcnt lgkmcnt(3)
	v_fmac_f32_e32 v59, v50, v61
	ds_load_b32 v50, v46 offset:180
	s_waitcnt vmcnt(1)
	v_fmac_f32_e32 v59, v51, v62
	s_waitcnt lgkmcnt(3)
	s_delay_alu instid0(VALU_DEP_1) | instskip(NEXT) | instid1(VALU_DEP_1)
	v_fmac_f32_e32 v59, v52, v63
	v_fmac_f32_e32 v59, v53, v64
	s_waitcnt lgkmcnt(2)
	s_delay_alu instid0(VALU_DEP_1) | instskip(SKIP_1) | instid1(VALU_DEP_1)
	v_fmac_f32_e32 v59, v54, v65
	s_waitcnt vmcnt(0)
	v_fmac_f32_e32 v59, v55, v66
	s_waitcnt lgkmcnt(1)
	s_delay_alu instid0(VALU_DEP_1) | instskip(NEXT) | instid1(VALU_DEP_1)
	v_fmac_f32_e32 v59, v56, v48
	v_fmac_f32_e32 v59, v57, v49
	s_waitcnt lgkmcnt(0)
	s_delay_alu instid0(VALU_DEP_1) | instskip(NEXT) | instid1(VALU_DEP_1)
	v_fmac_f32_e32 v59, v58, v50
	v_sub_f32_e32 v47, v47, v59
	scratch_store_b32 off, v47, off offset:40
	v_cmpx_lt_u32_e32 9, v0
	s_cbranch_execz .LBB21_121
; %bb.120:
	scratch_load_b32 v47, off, off offset:36
	scratch_store_b32 off, v46, off offset:36
	s_waitcnt vmcnt(0)
	ds_store_b32 v45, v47
.LBB21_121:
	s_or_b32 exec_lo, exec_lo, s0
	s_waitcnt lgkmcnt(0)
	s_waitcnt_vscnt null, 0x0
	s_barrier
	buffer_gl0_inv
	s_clause 0x3
	scratch_load_b128 v[47:50], off, off offset:36
	scratch_load_b128 v[51:54], off, off offset:52
	;; [unrolled: 1-line block ×3, first 2 shown]
	scratch_load_b32 v67, off, off offset:84
	ds_load_2addr_b64 v[59:62], v46 offset0:17 offset1:18
	ds_load_2addr_b64 v[63:66], v46 offset0:19 offset1:20
	s_mov_b32 s0, exec_lo
	s_waitcnt vmcnt(3) lgkmcnt(1)
	v_fma_f32 v59, v48, v59, 0
	s_delay_alu instid0(VALU_DEP_1) | instskip(NEXT) | instid1(VALU_DEP_1)
	v_fmac_f32_e32 v59, v49, v60
	v_fmac_f32_e32 v59, v50, v61
	s_waitcnt vmcnt(2)
	s_delay_alu instid0(VALU_DEP_1) | instskip(SKIP_3) | instid1(VALU_DEP_1)
	v_fmac_f32_e32 v59, v51, v62
	ds_load_2addr_b64 v[48:51], v46 offset0:21 offset1:22
	s_waitcnt lgkmcnt(1)
	v_fmac_f32_e32 v59, v52, v63
	v_fmac_f32_e32 v59, v53, v64
	s_delay_alu instid0(VALU_DEP_1) | instskip(SKIP_1) | instid1(VALU_DEP_1)
	v_fmac_f32_e32 v59, v54, v65
	s_waitcnt vmcnt(1)
	v_fmac_f32_e32 v59, v55, v66
	s_waitcnt lgkmcnt(0)
	s_delay_alu instid0(VALU_DEP_1) | instskip(NEXT) | instid1(VALU_DEP_1)
	v_fmac_f32_e32 v59, v56, v48
	v_fmac_f32_e32 v59, v57, v49
	s_delay_alu instid0(VALU_DEP_1) | instskip(SKIP_1) | instid1(VALU_DEP_1)
	v_fmac_f32_e32 v59, v58, v50
	s_waitcnt vmcnt(0)
	v_fmac_f32_e32 v59, v67, v51
	s_delay_alu instid0(VALU_DEP_1)
	v_sub_f32_e32 v46, v47, v59
	scratch_store_b32 off, v46, off offset:36
	v_cmpx_lt_u32_e32 8, v0
	s_cbranch_execz .LBB21_123
; %bb.122:
	scratch_load_b32 v46, off, off offset:32
	v_mov_b32_e32 v47, 0
	scratch_store_b32 off, v47, off offset:32
	s_waitcnt vmcnt(0)
	ds_store_b32 v45, v46
.LBB21_123:
	s_or_b32 exec_lo, exec_lo, s0
	s_waitcnt lgkmcnt(0)
	s_waitcnt_vscnt null, 0x0
	s_barrier
	buffer_gl0_inv
	s_clause 0x3
	scratch_load_b128 v[47:50], off, off offset:32
	scratch_load_b128 v[51:54], off, off offset:48
	;; [unrolled: 1-line block ×3, first 2 shown]
	scratch_load_b64 v[59:60], off, off offset:80
	v_mov_b32_e32 v46, 0
	ds_load_2addr_b32 v[61:62], v46 offset0:33 offset1:34
	ds_load_2addr_b32 v[63:64], v46 offset0:35 offset1:36
	ds_load_2addr_b32 v[65:66], v46 offset0:37 offset1:38
	ds_load_2addr_b32 v[67:68], v46 offset0:39 offset1:40
	s_mov_b32 s0, exec_lo
	s_waitcnt vmcnt(3) lgkmcnt(3)
	v_fma_f32 v61, v48, v61, 0
	s_delay_alu instid0(VALU_DEP_1) | instskip(SKIP_4) | instid1(VALU_DEP_1)
	v_fmac_f32_e32 v61, v49, v62
	ds_load_2addr_b32 v[48:49], v46 offset0:41 offset1:42
	s_waitcnt lgkmcnt(3)
	v_fmac_f32_e32 v61, v50, v63
	s_waitcnt vmcnt(2)
	v_fmac_f32_e32 v61, v51, v64
	ds_load_2addr_b32 v[50:51], v46 offset0:43 offset1:44
	s_waitcnt lgkmcnt(3)
	v_fmac_f32_e32 v61, v52, v65
	ds_load_b32 v52, v46 offset:180
	v_fmac_f32_e32 v61, v53, v66
	s_waitcnt lgkmcnt(3)
	s_delay_alu instid0(VALU_DEP_1) | instskip(SKIP_1) | instid1(VALU_DEP_1)
	v_fmac_f32_e32 v61, v54, v67
	s_waitcnt vmcnt(1)
	v_fmac_f32_e32 v61, v55, v68
	s_waitcnt lgkmcnt(2)
	s_delay_alu instid0(VALU_DEP_1) | instskip(NEXT) | instid1(VALU_DEP_1)
	v_fmac_f32_e32 v61, v56, v48
	v_fmac_f32_e32 v61, v57, v49
	s_waitcnt lgkmcnt(1)
	s_delay_alu instid0(VALU_DEP_1) | instskip(SKIP_1) | instid1(VALU_DEP_1)
	v_fmac_f32_e32 v61, v58, v50
	s_waitcnt vmcnt(0)
	v_fmac_f32_e32 v61, v59, v51
	s_waitcnt lgkmcnt(0)
	s_delay_alu instid0(VALU_DEP_1) | instskip(NEXT) | instid1(VALU_DEP_1)
	v_fmac_f32_e32 v61, v60, v52
	v_sub_f32_e32 v47, v47, v61
	scratch_store_b32 off, v47, off offset:32
	v_cmpx_lt_u32_e32 7, v0
	s_cbranch_execz .LBB21_125
; %bb.124:
	scratch_load_b32 v47, off, off offset:28
	scratch_store_b32 off, v46, off offset:28
	s_waitcnt vmcnt(0)
	ds_store_b32 v45, v47
.LBB21_125:
	s_or_b32 exec_lo, exec_lo, s0
	s_waitcnt lgkmcnt(0)
	s_waitcnt_vscnt null, 0x0
	s_barrier
	buffer_gl0_inv
	s_clause 0x3
	scratch_load_b128 v[47:50], off, off offset:28
	scratch_load_b128 v[51:54], off, off offset:44
	;; [unrolled: 1-line block ×3, first 2 shown]
	scratch_load_b96 v[67:69], off, off offset:76
	ds_load_b128 v[59:62], v46 offset:128
	ds_load_b128 v[63:66], v46 offset:144
	s_mov_b32 s0, exec_lo
	s_waitcnt vmcnt(3) lgkmcnt(1)
	v_fma_f32 v59, v48, v59, 0
	s_delay_alu instid0(VALU_DEP_1) | instskip(NEXT) | instid1(VALU_DEP_1)
	v_fmac_f32_e32 v59, v49, v60
	v_fmac_f32_e32 v59, v50, v61
	s_waitcnt vmcnt(2)
	s_delay_alu instid0(VALU_DEP_1) | instskip(SKIP_3) | instid1(VALU_DEP_1)
	v_fmac_f32_e32 v59, v51, v62
	ds_load_b128 v[48:51], v46 offset:160
	s_waitcnt lgkmcnt(1)
	v_fmac_f32_e32 v59, v52, v63
	v_fmac_f32_e32 v59, v53, v64
	ds_load_b64 v[52:53], v46 offset:176
	v_fmac_f32_e32 v59, v54, v65
	s_waitcnt vmcnt(1)
	s_delay_alu instid0(VALU_DEP_1) | instskip(SKIP_1) | instid1(VALU_DEP_1)
	v_fmac_f32_e32 v59, v55, v66
	s_waitcnt lgkmcnt(1)
	v_fmac_f32_e32 v59, v56, v48
	s_delay_alu instid0(VALU_DEP_1) | instskip(NEXT) | instid1(VALU_DEP_1)
	v_fmac_f32_e32 v59, v57, v49
	v_fmac_f32_e32 v59, v58, v50
	s_waitcnt vmcnt(0)
	s_delay_alu instid0(VALU_DEP_1) | instskip(SKIP_1) | instid1(VALU_DEP_1)
	v_fmac_f32_e32 v59, v67, v51
	s_waitcnt lgkmcnt(0)
	v_fmac_f32_e32 v59, v68, v52
	s_delay_alu instid0(VALU_DEP_1) | instskip(NEXT) | instid1(VALU_DEP_1)
	v_fmac_f32_e32 v59, v69, v53
	v_sub_f32_e32 v46, v47, v59
	scratch_store_b32 off, v46, off offset:28
	v_cmpx_lt_u32_e32 6, v0
	s_cbranch_execz .LBB21_127
; %bb.126:
	scratch_load_b32 v46, off, off offset:24
	v_mov_b32_e32 v47, 0
	scratch_store_b32 off, v47, off offset:24
	s_waitcnt vmcnt(0)
	ds_store_b32 v45, v46
.LBB21_127:
	s_or_b32 exec_lo, exec_lo, s0
	s_waitcnt lgkmcnt(0)
	s_waitcnt_vscnt null, 0x0
	s_barrier
	buffer_gl0_inv
	s_clause 0x3
	scratch_load_b128 v[47:50], off, off offset:24
	scratch_load_b128 v[51:54], off, off offset:40
	;; [unrolled: 1-line block ×4, first 2 shown]
	v_mov_b32_e32 v46, 0
	ds_load_2addr_b32 v[63:64], v46 offset0:31 offset1:32
	ds_load_2addr_b32 v[65:66], v46 offset0:33 offset1:34
	;; [unrolled: 1-line block ×4, first 2 shown]
	s_mov_b32 s0, exec_lo
	s_waitcnt vmcnt(3) lgkmcnt(3)
	v_fma_f32 v63, v48, v63, 0
	s_delay_alu instid0(VALU_DEP_1) | instskip(SKIP_4) | instid1(VALU_DEP_1)
	v_fmac_f32_e32 v63, v49, v64
	ds_load_2addr_b32 v[48:49], v46 offset0:39 offset1:40
	s_waitcnt lgkmcnt(3)
	v_fmac_f32_e32 v63, v50, v65
	s_waitcnt vmcnt(2)
	v_fmac_f32_e32 v63, v51, v66
	ds_load_2addr_b32 v[50:51], v46 offset0:41 offset1:42
	s_waitcnt lgkmcnt(3)
	v_fmac_f32_e32 v63, v52, v67
	s_delay_alu instid0(VALU_DEP_1) | instskip(SKIP_1) | instid1(VALU_DEP_1)
	v_fmac_f32_e32 v63, v53, v68
	s_waitcnt lgkmcnt(2)
	v_fmac_f32_e32 v63, v54, v69
	ds_load_2addr_b32 v[52:53], v46 offset0:43 offset1:44
	ds_load_b32 v54, v46 offset:180
	s_waitcnt vmcnt(1)
	v_fmac_f32_e32 v63, v55, v70
	s_waitcnt lgkmcnt(3)
	s_delay_alu instid0(VALU_DEP_1) | instskip(NEXT) | instid1(VALU_DEP_1)
	v_fmac_f32_e32 v63, v56, v48
	v_fmac_f32_e32 v63, v57, v49
	s_waitcnt lgkmcnt(2)
	s_delay_alu instid0(VALU_DEP_1) | instskip(SKIP_1) | instid1(VALU_DEP_1)
	v_fmac_f32_e32 v63, v58, v50
	s_waitcnt vmcnt(0)
	v_fmac_f32_e32 v63, v59, v51
	s_waitcnt lgkmcnt(1)
	s_delay_alu instid0(VALU_DEP_1) | instskip(NEXT) | instid1(VALU_DEP_1)
	v_fmac_f32_e32 v63, v60, v52
	v_fmac_f32_e32 v63, v61, v53
	s_waitcnt lgkmcnt(0)
	s_delay_alu instid0(VALU_DEP_1) | instskip(NEXT) | instid1(VALU_DEP_1)
	v_fmac_f32_e32 v63, v62, v54
	v_sub_f32_e32 v47, v47, v63
	scratch_store_b32 off, v47, off offset:24
	v_cmpx_lt_u32_e32 5, v0
	s_cbranch_execz .LBB21_129
; %bb.128:
	scratch_load_b32 v47, off, off offset:20
	scratch_store_b32 off, v46, off offset:20
	s_waitcnt vmcnt(0)
	ds_store_b32 v45, v47
.LBB21_129:
	s_or_b32 exec_lo, exec_lo, s0
	s_waitcnt lgkmcnt(0)
	s_waitcnt_vscnt null, 0x0
	s_barrier
	buffer_gl0_inv
	s_clause 0x4
	scratch_load_b128 v[47:50], off, off offset:20
	scratch_load_b128 v[51:54], off, off offset:36
	scratch_load_b128 v[55:58], off, off offset:52
	scratch_load_b128 v[59:62], off, off offset:68
	scratch_load_b32 v71, off, off offset:84
	ds_load_2addr_b64 v[63:66], v46 offset0:15 offset1:16
	ds_load_2addr_b64 v[67:70], v46 offset0:17 offset1:18
	s_mov_b32 s0, exec_lo
	s_waitcnt vmcnt(4) lgkmcnt(1)
	v_fma_f32 v63, v48, v63, 0
	s_delay_alu instid0(VALU_DEP_1) | instskip(NEXT) | instid1(VALU_DEP_1)
	v_fmac_f32_e32 v63, v49, v64
	v_fmac_f32_e32 v63, v50, v65
	s_waitcnt vmcnt(3)
	s_delay_alu instid0(VALU_DEP_1) | instskip(SKIP_3) | instid1(VALU_DEP_1)
	v_fmac_f32_e32 v63, v51, v66
	ds_load_2addr_b64 v[48:51], v46 offset0:19 offset1:20
	s_waitcnt lgkmcnt(1)
	v_fmac_f32_e32 v63, v52, v67
	v_fmac_f32_e32 v63, v53, v68
	s_delay_alu instid0(VALU_DEP_1) | instskip(SKIP_1) | instid1(VALU_DEP_1)
	v_fmac_f32_e32 v63, v54, v69
	s_waitcnt vmcnt(2)
	v_fmac_f32_e32 v63, v55, v70
	ds_load_2addr_b64 v[52:55], v46 offset0:21 offset1:22
	s_waitcnt lgkmcnt(1)
	v_fmac_f32_e32 v63, v56, v48
	s_delay_alu instid0(VALU_DEP_1) | instskip(NEXT) | instid1(VALU_DEP_1)
	v_fmac_f32_e32 v63, v57, v49
	v_fmac_f32_e32 v63, v58, v50
	s_waitcnt vmcnt(1)
	s_delay_alu instid0(VALU_DEP_1) | instskip(SKIP_1) | instid1(VALU_DEP_1)
	v_fmac_f32_e32 v63, v59, v51
	s_waitcnt lgkmcnt(0)
	v_fmac_f32_e32 v63, v60, v52
	s_delay_alu instid0(VALU_DEP_1) | instskip(NEXT) | instid1(VALU_DEP_1)
	v_fmac_f32_e32 v63, v61, v53
	v_fmac_f32_e32 v63, v62, v54
	s_waitcnt vmcnt(0)
	s_delay_alu instid0(VALU_DEP_1) | instskip(NEXT) | instid1(VALU_DEP_1)
	v_fmac_f32_e32 v63, v71, v55
	v_sub_f32_e32 v46, v47, v63
	scratch_store_b32 off, v46, off offset:20
	v_cmpx_lt_u32_e32 4, v0
	s_cbranch_execz .LBB21_131
; %bb.130:
	scratch_load_b32 v46, off, off offset:16
	v_mov_b32_e32 v47, 0
	scratch_store_b32 off, v47, off offset:16
	s_waitcnt vmcnt(0)
	ds_store_b32 v45, v46
.LBB21_131:
	s_or_b32 exec_lo, exec_lo, s0
	s_waitcnt lgkmcnt(0)
	s_waitcnt_vscnt null, 0x0
	s_barrier
	buffer_gl0_inv
	s_clause 0x4
	scratch_load_b128 v[47:50], off, off offset:16
	scratch_load_b128 v[51:54], off, off offset:32
	;; [unrolled: 1-line block ×4, first 2 shown]
	scratch_load_b64 v[63:64], off, off offset:80
	v_mov_b32_e32 v46, 0
	ds_load_2addr_b32 v[65:66], v46 offset0:29 offset1:30
	ds_load_2addr_b32 v[67:68], v46 offset0:31 offset1:32
	;; [unrolled: 1-line block ×4, first 2 shown]
	s_mov_b32 s0, exec_lo
	s_waitcnt vmcnt(4) lgkmcnt(3)
	v_fma_f32 v65, v48, v65, 0
	s_delay_alu instid0(VALU_DEP_1) | instskip(SKIP_4) | instid1(VALU_DEP_1)
	v_fmac_f32_e32 v65, v49, v66
	ds_load_2addr_b32 v[48:49], v46 offset0:37 offset1:38
	s_waitcnt lgkmcnt(3)
	v_fmac_f32_e32 v65, v50, v67
	s_waitcnt vmcnt(3)
	v_fmac_f32_e32 v65, v51, v68
	ds_load_2addr_b32 v[50:51], v46 offset0:39 offset1:40
	s_waitcnt lgkmcnt(3)
	v_fmac_f32_e32 v65, v52, v69
	s_delay_alu instid0(VALU_DEP_1) | instskip(SKIP_1) | instid1(VALU_DEP_1)
	v_fmac_f32_e32 v65, v53, v70
	s_waitcnt lgkmcnt(2)
	v_fmac_f32_e32 v65, v54, v71
	s_waitcnt vmcnt(2)
	s_delay_alu instid0(VALU_DEP_1)
	v_fmac_f32_e32 v65, v55, v72
	ds_load_2addr_b32 v[52:53], v46 offset0:41 offset1:42
	ds_load_2addr_b32 v[54:55], v46 offset0:43 offset1:44
	s_waitcnt lgkmcnt(3)
	v_fmac_f32_e32 v65, v56, v48
	ds_load_b32 v48, v46 offset:180
	v_fmac_f32_e32 v65, v57, v49
	s_waitcnt lgkmcnt(3)
	s_delay_alu instid0(VALU_DEP_1) | instskip(SKIP_1) | instid1(VALU_DEP_1)
	v_fmac_f32_e32 v65, v58, v50
	s_waitcnt vmcnt(1)
	v_fmac_f32_e32 v65, v59, v51
	s_waitcnt lgkmcnt(2)
	s_delay_alu instid0(VALU_DEP_1) | instskip(NEXT) | instid1(VALU_DEP_1)
	v_fmac_f32_e32 v65, v60, v52
	v_fmac_f32_e32 v65, v61, v53
	s_waitcnt lgkmcnt(1)
	s_delay_alu instid0(VALU_DEP_1) | instskip(SKIP_1) | instid1(VALU_DEP_1)
	v_fmac_f32_e32 v65, v62, v54
	s_waitcnt vmcnt(0)
	v_fmac_f32_e32 v65, v63, v55
	s_waitcnt lgkmcnt(0)
	s_delay_alu instid0(VALU_DEP_1) | instskip(NEXT) | instid1(VALU_DEP_1)
	v_fmac_f32_e32 v65, v64, v48
	v_sub_f32_e32 v47, v47, v65
	scratch_store_b32 off, v47, off offset:16
	v_cmpx_lt_u32_e32 3, v0
	s_cbranch_execz .LBB21_133
; %bb.132:
	scratch_load_b32 v47, off, off offset:12
	scratch_store_b32 off, v46, off offset:12
	s_waitcnt vmcnt(0)
	ds_store_b32 v45, v47
.LBB21_133:
	s_or_b32 exec_lo, exec_lo, s0
	s_waitcnt lgkmcnt(0)
	s_waitcnt_vscnt null, 0x0
	s_barrier
	buffer_gl0_inv
	s_clause 0x4
	scratch_load_b128 v[47:50], off, off offset:12
	scratch_load_b128 v[51:54], off, off offset:28
	;; [unrolled: 1-line block ×4, first 2 shown]
	scratch_load_b96 v[71:73], off, off offset:76
	ds_load_b128 v[63:66], v46 offset:112
	ds_load_b128 v[67:70], v46 offset:128
	s_mov_b32 s0, exec_lo
	s_waitcnt vmcnt(4) lgkmcnt(1)
	v_fma_f32 v63, v48, v63, 0
	s_delay_alu instid0(VALU_DEP_1) | instskip(NEXT) | instid1(VALU_DEP_1)
	v_fmac_f32_e32 v63, v49, v64
	v_fmac_f32_e32 v63, v50, v65
	s_waitcnt vmcnt(3)
	s_delay_alu instid0(VALU_DEP_1) | instskip(SKIP_3) | instid1(VALU_DEP_1)
	v_fmac_f32_e32 v63, v51, v66
	ds_load_b128 v[48:51], v46 offset:144
	s_waitcnt lgkmcnt(1)
	v_fmac_f32_e32 v63, v52, v67
	v_fmac_f32_e32 v63, v53, v68
	s_delay_alu instid0(VALU_DEP_1) | instskip(SKIP_1) | instid1(VALU_DEP_1)
	v_fmac_f32_e32 v63, v54, v69
	s_waitcnt vmcnt(2)
	v_fmac_f32_e32 v63, v55, v70
	ds_load_b128 v[52:55], v46 offset:160
	s_waitcnt lgkmcnt(1)
	v_fmac_f32_e32 v63, v56, v48
	s_delay_alu instid0(VALU_DEP_1) | instskip(SKIP_3) | instid1(VALU_DEP_1)
	v_fmac_f32_e32 v63, v57, v49
	ds_load_b64 v[48:49], v46 offset:176
	v_fmac_f32_e32 v63, v58, v50
	s_waitcnt vmcnt(1)
	v_fmac_f32_e32 v63, v59, v51
	s_waitcnt lgkmcnt(1)
	s_delay_alu instid0(VALU_DEP_1) | instskip(NEXT) | instid1(VALU_DEP_1)
	v_fmac_f32_e32 v63, v60, v52
	v_fmac_f32_e32 v63, v61, v53
	s_delay_alu instid0(VALU_DEP_1) | instskip(SKIP_1) | instid1(VALU_DEP_1)
	v_fmac_f32_e32 v63, v62, v54
	s_waitcnt vmcnt(0)
	v_fmac_f32_e32 v63, v71, v55
	s_waitcnt lgkmcnt(0)
	s_delay_alu instid0(VALU_DEP_1) | instskip(NEXT) | instid1(VALU_DEP_1)
	v_fmac_f32_e32 v63, v72, v48
	v_fmac_f32_e32 v63, v73, v49
	s_delay_alu instid0(VALU_DEP_1)
	v_sub_f32_e32 v46, v47, v63
	scratch_store_b32 off, v46, off offset:12
	v_cmpx_lt_u32_e32 2, v0
	s_cbranch_execz .LBB21_135
; %bb.134:
	scratch_load_b32 v46, off, off offset:8
	v_mov_b32_e32 v47, 0
	scratch_store_b32 off, v47, off offset:8
	s_waitcnt vmcnt(0)
	ds_store_b32 v45, v46
.LBB21_135:
	s_or_b32 exec_lo, exec_lo, s0
	s_waitcnt lgkmcnt(0)
	s_waitcnt_vscnt null, 0x0
	s_barrier
	buffer_gl0_inv
	s_clause 0x4
	scratch_load_b128 v[47:50], off, off offset:8
	scratch_load_b128 v[51:54], off, off offset:24
	;; [unrolled: 1-line block ×5, first 2 shown]
	v_mov_b32_e32 v46, 0
	ds_load_2addr_b32 v[67:68], v46 offset0:27 offset1:28
	ds_load_2addr_b32 v[69:70], v46 offset0:29 offset1:30
	;; [unrolled: 1-line block ×4, first 2 shown]
	s_mov_b32 s0, exec_lo
	s_waitcnt vmcnt(4) lgkmcnt(3)
	v_fma_f32 v67, v48, v67, 0
	s_delay_alu instid0(VALU_DEP_1) | instskip(SKIP_4) | instid1(VALU_DEP_1)
	v_fmac_f32_e32 v67, v49, v68
	ds_load_2addr_b32 v[48:49], v46 offset0:35 offset1:36
	s_waitcnt lgkmcnt(3)
	v_fmac_f32_e32 v67, v50, v69
	s_waitcnt vmcnt(3)
	v_fmac_f32_e32 v67, v51, v70
	ds_load_2addr_b32 v[50:51], v46 offset0:37 offset1:38
	s_waitcnt lgkmcnt(3)
	v_fmac_f32_e32 v67, v52, v71
	s_delay_alu instid0(VALU_DEP_1) | instskip(SKIP_1) | instid1(VALU_DEP_1)
	v_fmac_f32_e32 v67, v53, v72
	s_waitcnt lgkmcnt(2)
	v_fmac_f32_e32 v67, v54, v73
	s_waitcnt vmcnt(2)
	s_delay_alu instid0(VALU_DEP_1) | instskip(SKIP_4) | instid1(VALU_DEP_1)
	v_fmac_f32_e32 v67, v55, v74
	ds_load_2addr_b32 v[52:53], v46 offset0:39 offset1:40
	ds_load_2addr_b32 v[54:55], v46 offset0:41 offset1:42
	s_waitcnt lgkmcnt(3)
	v_fmac_f32_e32 v67, v56, v48
	v_fmac_f32_e32 v67, v57, v49
	ds_load_2addr_b32 v[48:49], v46 offset0:43 offset1:44
	s_waitcnt lgkmcnt(3)
	v_fmac_f32_e32 v67, v58, v50
	ds_load_b32 v50, v46 offset:180
	s_waitcnt vmcnt(1)
	v_fmac_f32_e32 v67, v59, v51
	s_waitcnt lgkmcnt(3)
	s_delay_alu instid0(VALU_DEP_1) | instskip(NEXT) | instid1(VALU_DEP_1)
	v_fmac_f32_e32 v67, v60, v52
	v_fmac_f32_e32 v67, v61, v53
	s_waitcnt lgkmcnt(2)
	s_delay_alu instid0(VALU_DEP_1) | instskip(SKIP_1) | instid1(VALU_DEP_1)
	v_fmac_f32_e32 v67, v62, v54
	s_waitcnt vmcnt(0)
	v_fmac_f32_e32 v67, v63, v55
	s_waitcnt lgkmcnt(1)
	s_delay_alu instid0(VALU_DEP_1) | instskip(NEXT) | instid1(VALU_DEP_1)
	v_fmac_f32_e32 v67, v64, v48
	v_fmac_f32_e32 v67, v65, v49
	s_waitcnt lgkmcnt(0)
	s_delay_alu instid0(VALU_DEP_1) | instskip(NEXT) | instid1(VALU_DEP_1)
	v_fmac_f32_e32 v67, v66, v50
	v_sub_f32_e32 v47, v47, v67
	scratch_store_b32 off, v47, off offset:8
	v_cmpx_lt_u32_e32 1, v0
	s_cbranch_execz .LBB21_137
; %bb.136:
	scratch_load_b32 v47, off, off offset:4
	scratch_store_b32 off, v46, off offset:4
	s_waitcnt vmcnt(0)
	ds_store_b32 v45, v47
.LBB21_137:
	s_or_b32 exec_lo, exec_lo, s0
	s_waitcnt lgkmcnt(0)
	s_waitcnt_vscnt null, 0x0
	s_barrier
	buffer_gl0_inv
	s_clause 0x5
	scratch_load_b128 v[47:50], off, off offset:4
	scratch_load_b128 v[51:54], off, off offset:20
	;; [unrolled: 1-line block ×5, first 2 shown]
	scratch_load_b32 v75, off, off offset:84
	ds_load_2addr_b64 v[67:70], v46 offset0:13 offset1:14
	ds_load_2addr_b64 v[71:74], v46 offset0:15 offset1:16
	s_mov_b32 s0, exec_lo
	s_waitcnt vmcnt(5) lgkmcnt(1)
	v_fma_f32 v67, v48, v67, 0
	s_delay_alu instid0(VALU_DEP_1) | instskip(NEXT) | instid1(VALU_DEP_1)
	v_fmac_f32_e32 v67, v49, v68
	v_fmac_f32_e32 v67, v50, v69
	s_waitcnt vmcnt(4)
	s_delay_alu instid0(VALU_DEP_1) | instskip(SKIP_3) | instid1(VALU_DEP_1)
	v_fmac_f32_e32 v67, v51, v70
	ds_load_2addr_b64 v[48:51], v46 offset0:17 offset1:18
	s_waitcnt lgkmcnt(1)
	v_fmac_f32_e32 v67, v52, v71
	v_fmac_f32_e32 v67, v53, v72
	s_delay_alu instid0(VALU_DEP_1) | instskip(SKIP_1) | instid1(VALU_DEP_1)
	v_fmac_f32_e32 v67, v54, v73
	s_waitcnt vmcnt(3)
	v_fmac_f32_e32 v67, v55, v74
	ds_load_2addr_b64 v[52:55], v46 offset0:19 offset1:20
	s_waitcnt lgkmcnt(1)
	v_fmac_f32_e32 v67, v56, v48
	s_delay_alu instid0(VALU_DEP_1) | instskip(NEXT) | instid1(VALU_DEP_1)
	v_fmac_f32_e32 v67, v57, v49
	v_fmac_f32_e32 v67, v58, v50
	s_waitcnt vmcnt(2)
	s_delay_alu instid0(VALU_DEP_1) | instskip(SKIP_3) | instid1(VALU_DEP_1)
	v_fmac_f32_e32 v67, v59, v51
	ds_load_2addr_b64 v[48:51], v46 offset0:21 offset1:22
	s_waitcnt lgkmcnt(1)
	v_fmac_f32_e32 v67, v60, v52
	v_fmac_f32_e32 v67, v61, v53
	s_delay_alu instid0(VALU_DEP_1) | instskip(SKIP_1) | instid1(VALU_DEP_1)
	v_fmac_f32_e32 v67, v62, v54
	s_waitcnt vmcnt(1)
	v_fmac_f32_e32 v67, v63, v55
	s_waitcnt lgkmcnt(0)
	s_delay_alu instid0(VALU_DEP_1) | instskip(NEXT) | instid1(VALU_DEP_1)
	v_fmac_f32_e32 v67, v64, v48
	v_fmac_f32_e32 v67, v65, v49
	s_delay_alu instid0(VALU_DEP_1) | instskip(SKIP_1) | instid1(VALU_DEP_1)
	v_fmac_f32_e32 v67, v66, v50
	s_waitcnt vmcnt(0)
	v_fmac_f32_e32 v67, v75, v51
	s_delay_alu instid0(VALU_DEP_1)
	v_sub_f32_e32 v46, v47, v67
	scratch_store_b32 off, v46, off offset:4
	v_cmpx_ne_u32_e32 0, v0
	s_cbranch_execz .LBB21_139
; %bb.138:
	scratch_load_b32 v0, off, off
	v_mov_b32_e32 v46, 0
	scratch_store_b32 off, v46, off
	s_waitcnt vmcnt(0)
	ds_store_b32 v45, v0
.LBB21_139:
	s_or_b32 exec_lo, exec_lo, s0
	s_waitcnt lgkmcnt(0)
	s_waitcnt_vscnt null, 0x0
	s_barrier
	buffer_gl0_inv
	s_clause 0x5
	scratch_load_b128 v[47:50], off, off
	scratch_load_b128 v[51:54], off, off offset:16
	scratch_load_b128 v[55:58], off, off offset:32
	;; [unrolled: 1-line block ×4, first 2 shown]
	scratch_load_b64 v[45:46], off, off offset:80
	v_mov_b32_e32 v0, 0
	ds_load_2addr_b32 v[67:68], v0 offset0:25 offset1:26
	ds_load_2addr_b32 v[69:70], v0 offset0:27 offset1:28
	;; [unrolled: 1-line block ×4, first 2 shown]
	s_and_b32 vcc_lo, exec_lo, s16
	s_waitcnt vmcnt(5) lgkmcnt(3)
	v_fma_f32 v67, v48, v67, 0
	s_delay_alu instid0(VALU_DEP_1) | instskip(SKIP_4) | instid1(VALU_DEP_1)
	v_fmac_f32_e32 v67, v49, v68
	ds_load_2addr_b32 v[48:49], v0 offset0:33 offset1:34
	s_waitcnt lgkmcnt(3)
	v_fmac_f32_e32 v67, v50, v69
	s_waitcnt vmcnt(4)
	v_fmac_f32_e32 v67, v51, v70
	ds_load_2addr_b32 v[50:51], v0 offset0:35 offset1:36
	s_waitcnt lgkmcnt(3)
	v_fmac_f32_e32 v67, v52, v71
	s_delay_alu instid0(VALU_DEP_1) | instskip(SKIP_1) | instid1(VALU_DEP_1)
	v_fmac_f32_e32 v67, v53, v72
	s_waitcnt lgkmcnt(2)
	v_fmac_f32_e32 v67, v54, v73
	s_waitcnt vmcnt(3)
	s_delay_alu instid0(VALU_DEP_1) | instskip(SKIP_4) | instid1(VALU_DEP_1)
	v_fmac_f32_e32 v67, v55, v74
	ds_load_2addr_b32 v[52:53], v0 offset0:37 offset1:38
	ds_load_2addr_b32 v[54:55], v0 offset0:39 offset1:40
	s_waitcnt lgkmcnt(3)
	v_fmac_f32_e32 v67, v56, v48
	v_fmac_f32_e32 v67, v57, v49
	ds_load_2addr_b32 v[48:49], v0 offset0:41 offset1:42
	s_waitcnt lgkmcnt(3)
	v_fmac_f32_e32 v67, v58, v50
	s_waitcnt vmcnt(2)
	s_delay_alu instid0(VALU_DEP_1) | instskip(SKIP_4) | instid1(VALU_DEP_1)
	v_fmac_f32_e32 v67, v59, v51
	ds_load_2addr_b32 v[50:51], v0 offset0:43 offset1:44
	ds_load_b32 v0, v0 offset:180
	s_waitcnt lgkmcnt(4)
	v_fmac_f32_e32 v67, v60, v52
	v_fmac_f32_e32 v67, v61, v53
	s_waitcnt lgkmcnt(3)
	s_delay_alu instid0(VALU_DEP_1) | instskip(SKIP_1) | instid1(VALU_DEP_1)
	v_fmac_f32_e32 v67, v62, v54
	s_waitcnt vmcnt(1)
	v_fmac_f32_e32 v67, v63, v55
	s_waitcnt lgkmcnt(2)
	s_delay_alu instid0(VALU_DEP_1) | instskip(NEXT) | instid1(VALU_DEP_1)
	v_fmac_f32_e32 v67, v64, v48
	v_fmac_f32_e32 v67, v65, v49
	s_waitcnt lgkmcnt(1)
	s_delay_alu instid0(VALU_DEP_1) | instskip(SKIP_1) | instid1(VALU_DEP_1)
	v_fmac_f32_e32 v67, v66, v50
	s_waitcnt vmcnt(0)
	v_fmac_f32_e32 v67, v45, v51
	s_waitcnt lgkmcnt(0)
	s_delay_alu instid0(VALU_DEP_1) | instskip(NEXT) | instid1(VALU_DEP_1)
	v_fmac_f32_e32 v67, v46, v0
	v_sub_f32_e32 v0, v47, v67
	scratch_store_b32 off, v0, off
	s_cbranch_vccz .LBB21_183
; %bb.140:
	v_dual_mov_b32 v47, s13 :: v_dual_mov_b32 v46, s12
	s_mov_b32 s0, exec_lo
	flat_load_b32 v0, v[46:47] offset:80
	s_waitcnt vmcnt(0) lgkmcnt(0)
	v_cmpx_ne_u32_e32 21, v0
	s_cbranch_execz .LBB21_142
; %bb.141:
	v_lshl_add_u32 v0, v0, 2, 0
	scratch_load_b32 v46, v0, off offset:-4
	s_waitcnt vmcnt(0)
	scratch_store_b32 off, v46, off offset:80
	scratch_store_b32 v0, v45, off offset:-4
.LBB21_142:
	s_or_b32 exec_lo, exec_lo, s0
	v_dual_mov_b32 v46, s13 :: v_dual_mov_b32 v45, s12
	s_mov_b32 s0, exec_lo
	flat_load_b32 v0, v[45:46] offset:76
	s_waitcnt vmcnt(0) lgkmcnt(0)
	v_cmpx_ne_u32_e32 20, v0
	s_cbranch_execz .LBB21_144
; %bb.143:
	v_lshl_add_u32 v0, v0, 2, 0
	scratch_load_b32 v45, v0, off offset:-4
	scratch_load_b32 v46, off, off offset:76
	s_waitcnt vmcnt(1)
	scratch_store_b32 off, v45, off offset:76
	s_waitcnt vmcnt(0)
	scratch_store_b32 v0, v46, off offset:-4
.LBB21_144:
	s_or_b32 exec_lo, exec_lo, s0
	v_dual_mov_b32 v46, s13 :: v_dual_mov_b32 v45, s12
	s_mov_b32 s0, exec_lo
	flat_load_b32 v0, v[45:46] offset:72
	s_waitcnt vmcnt(0) lgkmcnt(0)
	v_cmpx_ne_u32_e32 19, v0
	s_cbranch_execz .LBB21_146
; %bb.145:
	v_lshl_add_u32 v0, v0, 2, 0
	scratch_load_b32 v45, v0, off offset:-4
	scratch_load_b32 v46, off, off offset:72
	s_waitcnt vmcnt(1)
	scratch_store_b32 off, v45, off offset:72
	s_waitcnt vmcnt(0)
	scratch_store_b32 v0, v46, off offset:-4
.LBB21_146:
	;; [unrolled: 16-line block ×19, first 2 shown]
	s_or_b32 exec_lo, exec_lo, s0
	v_dual_mov_b32 v46, s13 :: v_dual_mov_b32 v45, s12
	s_mov_b32 s0, exec_lo
	flat_load_b32 v45, v[45:46]
	scratch_load_b32 v0, off, off
	s_waitcnt vmcnt(1) lgkmcnt(0)
	v_cmpx_ne_u32_e32 1, v45
	s_cbranch_execz .LBB21_182
; %bb.181:
	v_lshl_add_u32 v45, v45, 2, 0
	scratch_load_b32 v46, v45, off offset:-4
	s_waitcnt vmcnt(0)
	scratch_store_b32 off, v46, off
	scratch_store_b32 v45, v0, off offset:-4
	scratch_load_b32 v0, off, off
.LBB21_182:
	s_or_b32 exec_lo, exec_lo, s0
.LBB21_183:
	s_clause 0x5
	scratch_load_b128 v[45:48], off, off offset:4
	scratch_load_b128 v[49:52], off, off offset:20
	;; [unrolled: 1-line block ×5, first 2 shown]
	scratch_load_b32 v65, off, off offset:84
	s_waitcnt vmcnt(6)
	global_store_b32 v[1:2], v0, off
	s_waitcnt vmcnt(5)
	s_clause 0x3
	global_store_b32 v[3:4], v45, off
	global_store_b32 v[5:6], v46, off
	global_store_b32 v[7:8], v47, off
	global_store_b32 v[9:10], v48, off
	s_waitcnt vmcnt(4)
	s_clause 0x3
	global_store_b32 v[11:12], v49, off
	global_store_b32 v[13:14], v50, off
	global_store_b32 v[15:16], v51, off
	;; [unrolled: 6-line block ×5, first 2 shown]
	global_store_b32 v[41:42], v64, off
	s_waitcnt vmcnt(0)
	global_store_b32 v[43:44], v65, off
	s_endpgm
	.section	.rodata,"a",@progbits
	.p2align	6, 0x0
	.amdhsa_kernel _ZN9rocsolver6v33100L18getri_kernel_smallILi22EfPfEEvT1_iilPiilS4_bb
		.amdhsa_group_segment_fixed_size 184
		.amdhsa_private_segment_fixed_size 96
		.amdhsa_kernarg_size 60
		.amdhsa_user_sgpr_count 15
		.amdhsa_user_sgpr_dispatch_ptr 0
		.amdhsa_user_sgpr_queue_ptr 0
		.amdhsa_user_sgpr_kernarg_segment_ptr 1
		.amdhsa_user_sgpr_dispatch_id 0
		.amdhsa_user_sgpr_private_segment_size 0
		.amdhsa_wavefront_size32 1
		.amdhsa_uses_dynamic_stack 0
		.amdhsa_enable_private_segment 1
		.amdhsa_system_sgpr_workgroup_id_x 1
		.amdhsa_system_sgpr_workgroup_id_y 0
		.amdhsa_system_sgpr_workgroup_id_z 0
		.amdhsa_system_sgpr_workgroup_info 0
		.amdhsa_system_vgpr_workitem_id 0
		.amdhsa_next_free_vgpr 76
		.amdhsa_next_free_sgpr 18
		.amdhsa_reserve_vcc 1
		.amdhsa_float_round_mode_32 0
		.amdhsa_float_round_mode_16_64 0
		.amdhsa_float_denorm_mode_32 3
		.amdhsa_float_denorm_mode_16_64 3
		.amdhsa_dx10_clamp 1
		.amdhsa_ieee_mode 1
		.amdhsa_fp16_overflow 0
		.amdhsa_workgroup_processor_mode 1
		.amdhsa_memory_ordered 1
		.amdhsa_forward_progress 0
		.amdhsa_shared_vgpr_count 0
		.amdhsa_exception_fp_ieee_invalid_op 0
		.amdhsa_exception_fp_denorm_src 0
		.amdhsa_exception_fp_ieee_div_zero 0
		.amdhsa_exception_fp_ieee_overflow 0
		.amdhsa_exception_fp_ieee_underflow 0
		.amdhsa_exception_fp_ieee_inexact 0
		.amdhsa_exception_int_div_zero 0
	.end_amdhsa_kernel
	.section	.text._ZN9rocsolver6v33100L18getri_kernel_smallILi22EfPfEEvT1_iilPiilS4_bb,"axG",@progbits,_ZN9rocsolver6v33100L18getri_kernel_smallILi22EfPfEEvT1_iilPiilS4_bb,comdat
.Lfunc_end21:
	.size	_ZN9rocsolver6v33100L18getri_kernel_smallILi22EfPfEEvT1_iilPiilS4_bb, .Lfunc_end21-_ZN9rocsolver6v33100L18getri_kernel_smallILi22EfPfEEvT1_iilPiilS4_bb
                                        ; -- End function
	.section	.AMDGPU.csdata,"",@progbits
; Kernel info:
; codeLenInByte = 12436
; NumSgprs: 20
; NumVgprs: 76
; ScratchSize: 96
; MemoryBound: 0
; FloatMode: 240
; IeeeMode: 1
; LDSByteSize: 184 bytes/workgroup (compile time only)
; SGPRBlocks: 2
; VGPRBlocks: 9
; NumSGPRsForWavesPerEU: 20
; NumVGPRsForWavesPerEU: 76
; Occupancy: 16
; WaveLimiterHint : 1
; COMPUTE_PGM_RSRC2:SCRATCH_EN: 1
; COMPUTE_PGM_RSRC2:USER_SGPR: 15
; COMPUTE_PGM_RSRC2:TRAP_HANDLER: 0
; COMPUTE_PGM_RSRC2:TGID_X_EN: 1
; COMPUTE_PGM_RSRC2:TGID_Y_EN: 0
; COMPUTE_PGM_RSRC2:TGID_Z_EN: 0
; COMPUTE_PGM_RSRC2:TIDIG_COMP_CNT: 0
	.section	.text._ZN9rocsolver6v33100L18getri_kernel_smallILi23EfPfEEvT1_iilPiilS4_bb,"axG",@progbits,_ZN9rocsolver6v33100L18getri_kernel_smallILi23EfPfEEvT1_iilPiilS4_bb,comdat
	.globl	_ZN9rocsolver6v33100L18getri_kernel_smallILi23EfPfEEvT1_iilPiilS4_bb ; -- Begin function _ZN9rocsolver6v33100L18getri_kernel_smallILi23EfPfEEvT1_iilPiilS4_bb
	.p2align	8
	.type	_ZN9rocsolver6v33100L18getri_kernel_smallILi23EfPfEEvT1_iilPiilS4_bb,@function
_ZN9rocsolver6v33100L18getri_kernel_smallILi23EfPfEEvT1_iilPiilS4_bb: ; @_ZN9rocsolver6v33100L18getri_kernel_smallILi23EfPfEEvT1_iilPiilS4_bb
; %bb.0:
	s_mov_b32 s2, exec_lo
	v_cmpx_gt_u32_e32 23, v0
	s_cbranch_execz .LBB22_100
; %bb.1:
	s_clause 0x2
	s_load_b32 s17, s[0:1], 0x38
	s_load_b128 s[8:11], s[0:1], 0x10
	s_load_b128 s[4:7], s[0:1], 0x28
	s_mov_b32 s14, s15
                                        ; implicit-def: $sgpr12_sgpr13
	s_waitcnt lgkmcnt(0)
	s_bitcmp1_b32 s17, 8
	s_cselect_b32 s16, -1, 0
	s_bfe_u32 s2, s17, 0x10008
	s_ashr_i32 s15, s15, 31
	s_cmp_eq_u32 s2, 0
	s_cbranch_scc1 .LBB22_3
; %bb.2:
	s_load_b32 s2, s[0:1], 0x20
	s_mul_i32 s3, s14, s5
	s_mul_hi_u32 s5, s14, s4
	s_mul_i32 s12, s15, s4
	s_add_i32 s3, s5, s3
	s_mul_i32 s4, s14, s4
	s_add_i32 s5, s3, s12
	s_delay_alu instid0(SALU_CYCLE_1)
	s_lshl_b64 s[4:5], s[4:5], 2
	s_waitcnt lgkmcnt(0)
	s_ashr_i32 s3, s2, 31
	s_add_u32 s4, s10, s4
	s_addc_u32 s5, s11, s5
	s_lshl_b64 s[2:3], s[2:3], 2
	s_delay_alu instid0(SALU_CYCLE_1)
	s_add_u32 s12, s4, s2
	s_addc_u32 s13, s5, s3
.LBB22_3:
	s_load_b128 s[0:3], s[0:1], 0x0
	s_mul_i32 s4, s14, s9
	s_mul_hi_u32 s5, s14, s8
	s_mul_i32 s9, s15, s8
	s_add_i32 s5, s5, s4
	s_mul_i32 s4, s14, s8
	s_add_i32 s5, s5, s9
	v_lshlrev_b32_e32 v1, 2, v0
	s_lshl_b64 s[4:5], s[4:5], 2
	s_waitcnt lgkmcnt(0)
	v_add3_u32 v5, s3, s3, v0
	s_ashr_i32 s9, s2, 31
	s_mov_b32 s8, s2
	s_add_u32 s2, s0, s4
	s_addc_u32 s5, s1, s5
	v_add_nc_u32_e32 v7, s3, v5
	s_lshl_b64 s[0:1], s[8:9], 2
	v_ashrrev_i32_e32 v6, 31, v5
	s_add_u32 s0, s2, s0
	s_addc_u32 s1, s5, s1
	v_add_nc_u32_e32 v11, s3, v7
	v_add_co_u32 v3, s2, s0, v1
	v_ashrrev_i32_e32 v8, 31, v7
	s_mov_b32 s4, s3
	s_ashr_i32 s5, s3, 31
	v_add_co_ci_u32_e64 v4, null, s1, 0, s2
	v_lshlrev_b64 v[9:10], 2, v[5:6]
	s_lshl_b64 s[4:5], s[4:5], 2
	v_add_nc_u32_e32 v15, s3, v11
	v_add_co_u32 v5, vcc_lo, v3, s4
	v_lshlrev_b64 v[13:14], 2, v[7:8]
	v_add_co_ci_u32_e32 v6, vcc_lo, s5, v4, vcc_lo
	v_add_co_u32 v7, vcc_lo, s0, v9
	v_ashrrev_i32_e32 v16, 31, v15
	v_add_nc_u32_e32 v17, s3, v15
	v_add_co_ci_u32_e32 v8, vcc_lo, s1, v10, vcc_lo
	v_ashrrev_i32_e32 v12, 31, v11
	v_add_co_u32 v9, vcc_lo, s0, v13
	v_add_co_ci_u32_e32 v10, vcc_lo, s1, v14, vcc_lo
	v_lshlrev_b64 v[13:14], 2, v[15:16]
	v_add_nc_u32_e32 v15, s3, v17
	v_lshlrev_b64 v[11:12], 2, v[11:12]
	v_ashrrev_i32_e32 v18, 31, v17
	global_load_b32 v49, v1, s[0:1]
	s_bitcmp0_b32 s17, 0
	v_add_nc_u32_e32 v19, s3, v15
	v_ashrrev_i32_e32 v16, 31, v15
	v_add_co_u32 v11, vcc_lo, s0, v11
	v_lshlrev_b64 v[17:18], 2, v[17:18]
	s_delay_alu instid0(VALU_DEP_4)
	v_ashrrev_i32_e32 v20, 31, v19
	v_add_co_ci_u32_e32 v12, vcc_lo, s1, v12, vcc_lo
	v_add_co_u32 v13, vcc_lo, s0, v13
	v_lshlrev_b64 v[21:22], 2, v[15:16]
	v_add_nc_u32_e32 v25, s3, v19
	v_add_co_ci_u32_e32 v14, vcc_lo, s1, v14, vcc_lo
	v_add_co_u32 v15, vcc_lo, s0, v17
	v_lshlrev_b64 v[23:24], 2, v[19:20]
	v_add_co_ci_u32_e32 v16, vcc_lo, s1, v18, vcc_lo
	v_add_co_u32 v17, vcc_lo, s0, v21
	v_ashrrev_i32_e32 v26, 31, v25
	v_add_nc_u32_e32 v21, s3, v25
	v_add_co_ci_u32_e32 v18, vcc_lo, s1, v22, vcc_lo
	v_add_co_u32 v19, vcc_lo, s0, v23
	v_add_co_ci_u32_e32 v20, vcc_lo, s1, v24, vcc_lo
	v_lshlrev_b64 v[23:24], 2, v[25:26]
	v_add_nc_u32_e32 v25, s3, v21
	v_ashrrev_i32_e32 v22, 31, v21
	s_clause 0x7
	global_load_b32 v50, v[5:6], off
	global_load_b32 v51, v[7:8], off
	;; [unrolled: 1-line block ×8, first 2 shown]
	v_add_nc_u32_e32 v29, s3, v25
	v_lshlrev_b64 v[27:28], 2, v[21:22]
	v_add_co_u32 v21, vcc_lo, s0, v23
	v_add_co_ci_u32_e32 v22, vcc_lo, s1, v24, vcc_lo
	s_delay_alu instid0(VALU_DEP_4)
	v_ashrrev_i32_e32 v30, 31, v29
	v_add_nc_u32_e32 v31, s3, v29
	v_ashrrev_i32_e32 v26, 31, v25
	v_add_co_u32 v23, vcc_lo, s0, v27
	v_add_co_ci_u32_e32 v24, vcc_lo, s1, v28, vcc_lo
	v_lshlrev_b64 v[27:28], 2, v[29:30]
	v_add_nc_u32_e32 v29, s3, v31
	v_lshlrev_b64 v[25:26], 2, v[25:26]
	v_ashrrev_i32_e32 v32, 31, v31
	s_delay_alu instid0(VALU_DEP_3) | instskip(SKIP_1) | instid1(VALU_DEP_4)
	v_add_nc_u32_e32 v33, s3, v29
	v_ashrrev_i32_e32 v30, 31, v29
	v_add_co_u32 v25, vcc_lo, s0, v25
	s_delay_alu instid0(VALU_DEP_4) | instskip(NEXT) | instid1(VALU_DEP_4)
	v_lshlrev_b64 v[31:32], 2, v[31:32]
	v_add_nc_u32_e32 v37, s3, v33
	v_add_co_ci_u32_e32 v26, vcc_lo, s1, v26, vcc_lo
	v_add_co_u32 v27, vcc_lo, s0, v27
	v_lshlrev_b64 v[35:36], 2, v[29:30]
	v_add_co_ci_u32_e32 v28, vcc_lo, s1, v28, vcc_lo
	v_add_co_u32 v29, vcc_lo, s0, v31
	v_ashrrev_i32_e32 v38, 31, v37
	v_add_co_ci_u32_e32 v30, vcc_lo, s1, v32, vcc_lo
	v_add_co_u32 v31, vcc_lo, s0, v35
	v_add_co_ci_u32_e32 v32, vcc_lo, s1, v36, vcc_lo
	s_delay_alu instid0(VALU_DEP_4) | instskip(SKIP_2) | instid1(VALU_DEP_2)
	v_lshlrev_b64 v[35:36], 2, v[37:38]
	v_add_nc_u32_e32 v37, s3, v37
	v_ashrrev_i32_e32 v34, 31, v33
	v_add_nc_u32_e32 v39, s3, v37
	s_delay_alu instid0(VALU_DEP_2) | instskip(SKIP_1) | instid1(VALU_DEP_3)
	v_lshlrev_b64 v[33:34], 2, v[33:34]
	v_ashrrev_i32_e32 v38, 31, v37
	v_add_nc_u32_e32 v41, s3, v39
	v_ashrrev_i32_e32 v40, 31, v39
	s_delay_alu instid0(VALU_DEP_4) | instskip(NEXT) | instid1(VALU_DEP_4)
	v_add_co_u32 v33, vcc_lo, s0, v33
	v_lshlrev_b64 v[37:38], 2, v[37:38]
	s_delay_alu instid0(VALU_DEP_4) | instskip(SKIP_3) | instid1(VALU_DEP_4)
	v_add_nc_u32_e32 v43, s3, v41
	v_ashrrev_i32_e32 v42, 31, v41
	v_add_co_ci_u32_e32 v34, vcc_lo, s1, v34, vcc_lo
	v_add_co_u32 v35, vcc_lo, s0, v35
	v_add_nc_u32_e32 v45, s3, v43
	v_lshlrev_b64 v[39:40], 2, v[39:40]
	v_ashrrev_i32_e32 v44, 31, v43
	v_add_co_ci_u32_e32 v36, vcc_lo, s1, v36, vcc_lo
	s_delay_alu instid0(VALU_DEP_4)
	v_add_nc_u32_e32 v47, s3, v45
	v_add_co_u32 v37, vcc_lo, s0, v37
	v_lshlrev_b64 v[41:42], 2, v[41:42]
	v_ashrrev_i32_e32 v46, 31, v45
	v_add_co_ci_u32_e32 v38, vcc_lo, s1, v38, vcc_lo
	v_add_co_u32 v39, vcc_lo, s0, v39
	v_lshlrev_b64 v[43:44], 2, v[43:44]
	v_ashrrev_i32_e32 v48, 31, v47
	v_add_co_ci_u32_e32 v40, vcc_lo, s1, v40, vcc_lo
	v_add_co_u32 v41, vcc_lo, s0, v41
	v_lshlrev_b64 v[45:46], 2, v[45:46]
	v_add_co_ci_u32_e32 v42, vcc_lo, s1, v42, vcc_lo
	v_add_co_u32 v43, vcc_lo, s0, v43
	v_lshlrev_b64 v[47:48], 2, v[47:48]
	v_add_co_ci_u32_e32 v44, vcc_lo, s1, v44, vcc_lo
	v_add_co_u32 v45, vcc_lo, s0, v45
	v_add_co_ci_u32_e32 v46, vcc_lo, s1, v46, vcc_lo
	s_delay_alu instid0(VALU_DEP_4)
	v_add_co_u32 v47, vcc_lo, s0, v47
	s_clause 0x7
	global_load_b32 v58, v[21:22], off
	global_load_b32 v59, v[23:24], off
	;; [unrolled: 1-line block ×8, first 2 shown]
	v_add_co_ci_u32_e32 v48, vcc_lo, s1, v48, vcc_lo
	s_clause 0x5
	global_load_b32 v66, v[37:38], off
	global_load_b32 v67, v[39:40], off
	;; [unrolled: 1-line block ×6, first 2 shown]
	s_mov_b32 s1, -1
	s_waitcnt vmcnt(19)
	scratch_store_b128 off, v[49:52], off
	s_waitcnt vmcnt(15)
	scratch_store_b128 off, v[53:56], off offset:16
	s_waitcnt vmcnt(11)
	scratch_store_b128 off, v[57:60], off offset:32
	;; [unrolled: 2-line block ×4, first 2 shown]
	s_waitcnt vmcnt(0)
	scratch_store_b96 off, v[69:71], off offset:80
	s_cbranch_scc1 .LBB22_98
; %bb.4:
	v_cmp_eq_u32_e64 s0, 0, v0
	s_delay_alu instid0(VALU_DEP_1)
	s_and_saveexec_b32 s1, s0
	s_cbranch_execz .LBB22_6
; %bb.5:
	v_mov_b32_e32 v2, 0
	ds_store_b32 v2, v2 offset:92
.LBB22_6:
	s_or_b32 exec_lo, exec_lo, s1
	s_waitcnt lgkmcnt(0)
	s_waitcnt_vscnt null, 0x0
	s_barrier
	buffer_gl0_inv
	scratch_load_b32 v2, v1, off
	s_mov_b32 s2, exec_lo
	s_waitcnt vmcnt(0)
	v_cmpx_eq_f32_e32 0, v2
	s_cbranch_execz .LBB22_10
; %bb.7:
	v_mov_b32_e32 v2, 0
	s_mov_b32 s3, 0
	ds_load_b32 v49, v2 offset:92
	s_waitcnt lgkmcnt(0)
	v_readfirstlane_b32 s1, v49
	v_add_nc_u32_e32 v49, 1, v0
	s_delay_alu instid0(VALU_DEP_2) | instskip(NEXT) | instid1(VALU_DEP_1)
	s_cmp_eq_u32 s1, 0
	v_cmp_gt_i32_e32 vcc_lo, s1, v49
	s_cselect_b32 s4, -1, 0
	s_delay_alu instid0(SALU_CYCLE_1) | instskip(NEXT) | instid1(SALU_CYCLE_1)
	s_or_b32 s4, s4, vcc_lo
	s_and_b32 exec_lo, exec_lo, s4
	s_cbranch_execz .LBB22_10
; %bb.8:
	v_mov_b32_e32 v50, s1
.LBB22_9:                               ; =>This Inner Loop Header: Depth=1
	ds_cmpstore_rtn_b32 v50, v2, v49, v50 offset:92
	s_waitcnt lgkmcnt(0)
	v_cmp_ne_u32_e32 vcc_lo, 0, v50
	v_cmp_le_i32_e64 s1, v50, v49
	s_delay_alu instid0(VALU_DEP_1) | instskip(NEXT) | instid1(SALU_CYCLE_1)
	s_and_b32 s1, vcc_lo, s1
	s_and_b32 s1, exec_lo, s1
	s_delay_alu instid0(SALU_CYCLE_1) | instskip(NEXT) | instid1(SALU_CYCLE_1)
	s_or_b32 s3, s1, s3
	s_and_not1_b32 exec_lo, exec_lo, s3
	s_cbranch_execnz .LBB22_9
.LBB22_10:
	s_or_b32 exec_lo, exec_lo, s2
	v_mov_b32_e32 v2, 0
	s_barrier
	buffer_gl0_inv
	ds_load_b32 v49, v2 offset:92
	s_and_saveexec_b32 s1, s0
	s_cbranch_execz .LBB22_12
; %bb.11:
	s_lshl_b64 s[2:3], s[14:15], 2
	s_delay_alu instid0(SALU_CYCLE_1)
	s_add_u32 s2, s6, s2
	s_addc_u32 s3, s7, s3
	s_waitcnt lgkmcnt(0)
	global_store_b32 v2, v49, s[2:3]
.LBB22_12:
	s_or_b32 exec_lo, exec_lo, s1
	s_waitcnt lgkmcnt(0)
	v_cmp_ne_u32_e32 vcc_lo, 0, v49
	s_mov_b32 s1, 0
	s_cbranch_vccnz .LBB22_98
; %bb.13:
	v_add_nc_u32_e32 v2, 0, v1
	scratch_load_b32 v49, v2, off
	s_waitcnt vmcnt(0)
	v_div_scale_f32 v50, null, v49, v49, 1.0
	v_div_scale_f32 v53, vcc_lo, 1.0, v49, 1.0
	s_delay_alu instid0(VALU_DEP_2) | instskip(SKIP_2) | instid1(VALU_DEP_1)
	v_rcp_f32_e32 v51, v50
	s_waitcnt_depctr 0xfff
	v_fma_f32 v52, -v50, v51, 1.0
	v_fmac_f32_e32 v51, v52, v51
	s_delay_alu instid0(VALU_DEP_1) | instskip(NEXT) | instid1(VALU_DEP_1)
	v_mul_f32_e32 v52, v53, v51
	v_fma_f32 v54, -v50, v52, v53
	s_delay_alu instid0(VALU_DEP_1) | instskip(NEXT) | instid1(VALU_DEP_1)
	v_fmac_f32_e32 v52, v54, v51
	v_fma_f32 v50, -v50, v52, v53
	s_delay_alu instid0(VALU_DEP_1) | instskip(NEXT) | instid1(VALU_DEP_1)
	v_div_fmas_f32 v50, v50, v51, v52
	v_div_fixup_f32 v49, v50, v49, 1.0
	scratch_store_b32 v2, v49, off
	scratch_load_b32 v50, off, off offset:4
	v_xor_b32_e32 v51, 0x80000000, v49
	v_add_nc_u32_e32 v49, 0x60, v1
	s_waitcnt vmcnt(0)
	ds_store_2addr_b32 v1, v51, v50 offset1:24
	s_waitcnt lgkmcnt(0)
	s_waitcnt_vscnt null, 0x0
	s_barrier
	buffer_gl0_inv
	s_and_saveexec_b32 s1, s0
	s_cbranch_execz .LBB22_15
; %bb.14:
	scratch_load_b32 v50, v2, off
	ds_load_b32 v51, v49
	v_mov_b32_e32 v52, 0
	ds_load_b32 v52, v52 offset:4
	s_waitcnt vmcnt(0) lgkmcnt(1)
	v_fma_f32 v50, v50, v51, 0
	s_waitcnt lgkmcnt(0)
	s_delay_alu instid0(VALU_DEP_1)
	v_mul_f32_e32 v50, v50, v52
	scratch_store_b32 off, v50, off offset:4
.LBB22_15:
	s_or_b32 exec_lo, exec_lo, s1
	s_waitcnt_vscnt null, 0x0
	s_barrier
	buffer_gl0_inv
	scratch_load_b32 v50, off, off offset:8
	s_mov_b32 s1, exec_lo
	s_waitcnt vmcnt(0)
	ds_store_b32 v49, v50
	s_waitcnt lgkmcnt(0)
	s_barrier
	buffer_gl0_inv
	v_cmpx_gt_u32_e32 2, v0
	s_cbranch_execz .LBB22_17
; %bb.16:
	scratch_load_b32 v52, v2, off
	scratch_load_b32 v53, off, off offset:4
	ds_load_b32 v54, v49
	v_mov_b32_e32 v50, 0
	ds_load_2addr_b32 v[50:51], v50 offset0:2 offset1:25
	s_waitcnt vmcnt(1) lgkmcnt(1)
	v_fma_f32 v52, v52, v54, 0
	s_waitcnt vmcnt(0) lgkmcnt(0)
	s_delay_alu instid0(VALU_DEP_1) | instskip(NEXT) | instid1(VALU_DEP_1)
	v_fma_f32 v51, v53, v51, v52
	v_cndmask_b32_e64 v51, v52, v51, s0
	s_delay_alu instid0(VALU_DEP_1)
	v_mul_f32_e32 v50, v51, v50
	scratch_store_b32 off, v50, off offset:8
.LBB22_17:
	s_or_b32 exec_lo, exec_lo, s1
	s_waitcnt_vscnt null, 0x0
	s_barrier
	buffer_gl0_inv
	scratch_load_b32 v51, off, off offset:12
	v_add_nc_u32_e32 v50, -1, v0
	s_mov_b32 s0, exec_lo
	s_waitcnt vmcnt(0)
	ds_store_b32 v49, v51
	s_waitcnt lgkmcnt(0)
	s_barrier
	buffer_gl0_inv
	v_cmpx_gt_u32_e32 3, v0
	s_cbranch_execz .LBB22_21
; %bb.18:
	v_dual_mov_b32 v51, 0 :: v_dual_add_nc_u32 v52, -1, v0
	v_add_nc_u32_e32 v53, 0x60, v1
	v_add_nc_u32_e32 v54, 0, v1
	s_mov_b32 s1, 0
.LBB22_19:                              ; =>This Inner Loop Header: Depth=1
	scratch_load_b32 v55, v54, off
	ds_load_b32 v56, v53
	v_add_nc_u32_e32 v52, 1, v52
	v_add_nc_u32_e32 v53, 4, v53
	v_add_nc_u32_e32 v54, 4, v54
	s_delay_alu instid0(VALU_DEP_3)
	v_cmp_lt_u32_e32 vcc_lo, 1, v52
	s_or_b32 s1, vcc_lo, s1
	s_waitcnt vmcnt(0) lgkmcnt(0)
	v_fmac_f32_e32 v51, v55, v56
	s_and_not1_b32 exec_lo, exec_lo, s1
	s_cbranch_execnz .LBB22_19
; %bb.20:
	s_or_b32 exec_lo, exec_lo, s1
	v_mov_b32_e32 v52, 0
	ds_load_b32 v52, v52 offset:12
	s_waitcnt lgkmcnt(0)
	v_mul_f32_e32 v51, v51, v52
	scratch_store_b32 off, v51, off offset:12
.LBB22_21:
	s_or_b32 exec_lo, exec_lo, s0
	s_waitcnt_vscnt null, 0x0
	s_barrier
	buffer_gl0_inv
	scratch_load_b32 v51, off, off offset:16
	s_mov_b32 s0, exec_lo
	s_waitcnt vmcnt(0)
	ds_store_b32 v49, v51
	s_waitcnt lgkmcnt(0)
	s_barrier
	buffer_gl0_inv
	v_cmpx_gt_u32_e32 4, v0
	s_cbranch_execz .LBB22_25
; %bb.22:
	v_dual_mov_b32 v51, 0 :: v_dual_add_nc_u32 v52, -1, v0
	v_add_nc_u32_e32 v53, 0x60, v1
	v_add_nc_u32_e32 v54, 0, v1
	s_mov_b32 s1, 0
.LBB22_23:                              ; =>This Inner Loop Header: Depth=1
	scratch_load_b32 v55, v54, off
	ds_load_b32 v56, v53
	v_add_nc_u32_e32 v52, 1, v52
	v_add_nc_u32_e32 v53, 4, v53
	v_add_nc_u32_e32 v54, 4, v54
	s_delay_alu instid0(VALU_DEP_3)
	v_cmp_lt_u32_e32 vcc_lo, 2, v52
	s_or_b32 s1, vcc_lo, s1
	s_waitcnt vmcnt(0) lgkmcnt(0)
	v_fmac_f32_e32 v51, v55, v56
	s_and_not1_b32 exec_lo, exec_lo, s1
	s_cbranch_execnz .LBB22_23
; %bb.24:
	s_or_b32 exec_lo, exec_lo, s1
	v_mov_b32_e32 v52, 0
	ds_load_b32 v52, v52 offset:16
	s_waitcnt lgkmcnt(0)
	v_mul_f32_e32 v51, v51, v52
	scratch_store_b32 off, v51, off offset:16
.LBB22_25:
	s_or_b32 exec_lo, exec_lo, s0
	s_waitcnt_vscnt null, 0x0
	s_barrier
	buffer_gl0_inv
	scratch_load_b32 v51, off, off offset:20
	s_mov_b32 s0, exec_lo
	s_waitcnt vmcnt(0)
	ds_store_b32 v49, v51
	s_waitcnt lgkmcnt(0)
	s_barrier
	buffer_gl0_inv
	v_cmpx_gt_u32_e32 5, v0
	s_cbranch_execz .LBB22_29
; %bb.26:
	v_dual_mov_b32 v51, 0 :: v_dual_add_nc_u32 v52, -1, v0
	v_add_nc_u32_e32 v53, 0x60, v1
	v_add_nc_u32_e32 v54, 0, v1
	s_mov_b32 s1, 0
.LBB22_27:                              ; =>This Inner Loop Header: Depth=1
	scratch_load_b32 v55, v54, off
	ds_load_b32 v56, v53
	v_add_nc_u32_e32 v52, 1, v52
	v_add_nc_u32_e32 v53, 4, v53
	v_add_nc_u32_e32 v54, 4, v54
	s_delay_alu instid0(VALU_DEP_3)
	v_cmp_lt_u32_e32 vcc_lo, 3, v52
	s_or_b32 s1, vcc_lo, s1
	s_waitcnt vmcnt(0) lgkmcnt(0)
	v_fmac_f32_e32 v51, v55, v56
	s_and_not1_b32 exec_lo, exec_lo, s1
	s_cbranch_execnz .LBB22_27
; %bb.28:
	s_or_b32 exec_lo, exec_lo, s1
	v_mov_b32_e32 v52, 0
	ds_load_b32 v52, v52 offset:20
	s_waitcnt lgkmcnt(0)
	v_mul_f32_e32 v51, v51, v52
	scratch_store_b32 off, v51, off offset:20
.LBB22_29:
	s_or_b32 exec_lo, exec_lo, s0
	s_waitcnt_vscnt null, 0x0
	s_barrier
	buffer_gl0_inv
	scratch_load_b32 v51, off, off offset:24
	s_mov_b32 s0, exec_lo
	s_waitcnt vmcnt(0)
	ds_store_b32 v49, v51
	s_waitcnt lgkmcnt(0)
	s_barrier
	buffer_gl0_inv
	v_cmpx_gt_u32_e32 6, v0
	s_cbranch_execz .LBB22_33
; %bb.30:
	v_dual_mov_b32 v51, 0 :: v_dual_add_nc_u32 v52, -1, v0
	v_add_nc_u32_e32 v53, 0x60, v1
	v_add_nc_u32_e32 v54, 0, v1
	s_mov_b32 s1, 0
.LBB22_31:                              ; =>This Inner Loop Header: Depth=1
	scratch_load_b32 v55, v54, off
	ds_load_b32 v56, v53
	v_add_nc_u32_e32 v52, 1, v52
	v_add_nc_u32_e32 v53, 4, v53
	v_add_nc_u32_e32 v54, 4, v54
	s_delay_alu instid0(VALU_DEP_3)
	v_cmp_lt_u32_e32 vcc_lo, 4, v52
	s_or_b32 s1, vcc_lo, s1
	s_waitcnt vmcnt(0) lgkmcnt(0)
	v_fmac_f32_e32 v51, v55, v56
	s_and_not1_b32 exec_lo, exec_lo, s1
	s_cbranch_execnz .LBB22_31
; %bb.32:
	s_or_b32 exec_lo, exec_lo, s1
	v_mov_b32_e32 v52, 0
	ds_load_b32 v52, v52 offset:24
	s_waitcnt lgkmcnt(0)
	v_mul_f32_e32 v51, v51, v52
	scratch_store_b32 off, v51, off offset:24
.LBB22_33:
	s_or_b32 exec_lo, exec_lo, s0
	s_waitcnt_vscnt null, 0x0
	s_barrier
	buffer_gl0_inv
	scratch_load_b32 v51, off, off offset:28
	s_mov_b32 s0, exec_lo
	s_waitcnt vmcnt(0)
	ds_store_b32 v49, v51
	s_waitcnt lgkmcnt(0)
	s_barrier
	buffer_gl0_inv
	v_cmpx_gt_u32_e32 7, v0
	s_cbranch_execz .LBB22_37
; %bb.34:
	v_dual_mov_b32 v51, 0 :: v_dual_add_nc_u32 v52, -1, v0
	v_add_nc_u32_e32 v53, 0x60, v1
	v_add_nc_u32_e32 v54, 0, v1
	s_mov_b32 s1, 0
.LBB22_35:                              ; =>This Inner Loop Header: Depth=1
	scratch_load_b32 v55, v54, off
	ds_load_b32 v56, v53
	v_add_nc_u32_e32 v52, 1, v52
	v_add_nc_u32_e32 v53, 4, v53
	v_add_nc_u32_e32 v54, 4, v54
	s_delay_alu instid0(VALU_DEP_3)
	v_cmp_lt_u32_e32 vcc_lo, 5, v52
	s_or_b32 s1, vcc_lo, s1
	s_waitcnt vmcnt(0) lgkmcnt(0)
	v_fmac_f32_e32 v51, v55, v56
	s_and_not1_b32 exec_lo, exec_lo, s1
	s_cbranch_execnz .LBB22_35
; %bb.36:
	s_or_b32 exec_lo, exec_lo, s1
	v_mov_b32_e32 v52, 0
	ds_load_b32 v52, v52 offset:28
	s_waitcnt lgkmcnt(0)
	v_mul_f32_e32 v51, v51, v52
	scratch_store_b32 off, v51, off offset:28
.LBB22_37:
	s_or_b32 exec_lo, exec_lo, s0
	s_waitcnt_vscnt null, 0x0
	s_barrier
	buffer_gl0_inv
	scratch_load_b32 v51, off, off offset:32
	s_mov_b32 s0, exec_lo
	s_waitcnt vmcnt(0)
	ds_store_b32 v49, v51
	s_waitcnt lgkmcnt(0)
	s_barrier
	buffer_gl0_inv
	v_cmpx_gt_u32_e32 8, v0
	s_cbranch_execz .LBB22_41
; %bb.38:
	v_dual_mov_b32 v51, 0 :: v_dual_add_nc_u32 v52, -1, v0
	v_add_nc_u32_e32 v53, 0x60, v1
	v_add_nc_u32_e32 v54, 0, v1
	s_mov_b32 s1, 0
.LBB22_39:                              ; =>This Inner Loop Header: Depth=1
	scratch_load_b32 v55, v54, off
	ds_load_b32 v56, v53
	v_add_nc_u32_e32 v52, 1, v52
	v_add_nc_u32_e32 v53, 4, v53
	v_add_nc_u32_e32 v54, 4, v54
	s_delay_alu instid0(VALU_DEP_3)
	v_cmp_lt_u32_e32 vcc_lo, 6, v52
	s_or_b32 s1, vcc_lo, s1
	s_waitcnt vmcnt(0) lgkmcnt(0)
	v_fmac_f32_e32 v51, v55, v56
	s_and_not1_b32 exec_lo, exec_lo, s1
	s_cbranch_execnz .LBB22_39
; %bb.40:
	s_or_b32 exec_lo, exec_lo, s1
	v_mov_b32_e32 v52, 0
	ds_load_b32 v52, v52 offset:32
	s_waitcnt lgkmcnt(0)
	v_mul_f32_e32 v51, v51, v52
	scratch_store_b32 off, v51, off offset:32
.LBB22_41:
	s_or_b32 exec_lo, exec_lo, s0
	s_waitcnt_vscnt null, 0x0
	s_barrier
	buffer_gl0_inv
	scratch_load_b32 v51, off, off offset:36
	s_mov_b32 s0, exec_lo
	s_waitcnt vmcnt(0)
	ds_store_b32 v49, v51
	s_waitcnt lgkmcnt(0)
	s_barrier
	buffer_gl0_inv
	v_cmpx_gt_u32_e32 9, v0
	s_cbranch_execz .LBB22_45
; %bb.42:
	v_dual_mov_b32 v51, 0 :: v_dual_add_nc_u32 v52, -1, v0
	v_add_nc_u32_e32 v53, 0x60, v1
	v_add_nc_u32_e32 v54, 0, v1
	s_mov_b32 s1, 0
.LBB22_43:                              ; =>This Inner Loop Header: Depth=1
	scratch_load_b32 v55, v54, off
	ds_load_b32 v56, v53
	v_add_nc_u32_e32 v52, 1, v52
	v_add_nc_u32_e32 v53, 4, v53
	v_add_nc_u32_e32 v54, 4, v54
	s_delay_alu instid0(VALU_DEP_3)
	v_cmp_lt_u32_e32 vcc_lo, 7, v52
	s_or_b32 s1, vcc_lo, s1
	s_waitcnt vmcnt(0) lgkmcnt(0)
	v_fmac_f32_e32 v51, v55, v56
	s_and_not1_b32 exec_lo, exec_lo, s1
	s_cbranch_execnz .LBB22_43
; %bb.44:
	s_or_b32 exec_lo, exec_lo, s1
	v_mov_b32_e32 v52, 0
	ds_load_b32 v52, v52 offset:36
	s_waitcnt lgkmcnt(0)
	v_mul_f32_e32 v51, v51, v52
	scratch_store_b32 off, v51, off offset:36
.LBB22_45:
	s_or_b32 exec_lo, exec_lo, s0
	s_waitcnt_vscnt null, 0x0
	s_barrier
	buffer_gl0_inv
	scratch_load_b32 v51, off, off offset:40
	s_mov_b32 s0, exec_lo
	s_waitcnt vmcnt(0)
	ds_store_b32 v49, v51
	s_waitcnt lgkmcnt(0)
	s_barrier
	buffer_gl0_inv
	v_cmpx_gt_u32_e32 10, v0
	s_cbranch_execz .LBB22_49
; %bb.46:
	v_dual_mov_b32 v51, 0 :: v_dual_add_nc_u32 v52, -1, v0
	v_add_nc_u32_e32 v53, 0x60, v1
	v_add_nc_u32_e32 v54, 0, v1
	s_mov_b32 s1, 0
.LBB22_47:                              ; =>This Inner Loop Header: Depth=1
	scratch_load_b32 v55, v54, off
	ds_load_b32 v56, v53
	v_add_nc_u32_e32 v52, 1, v52
	v_add_nc_u32_e32 v53, 4, v53
	v_add_nc_u32_e32 v54, 4, v54
	s_delay_alu instid0(VALU_DEP_3)
	v_cmp_lt_u32_e32 vcc_lo, 8, v52
	s_or_b32 s1, vcc_lo, s1
	s_waitcnt vmcnt(0) lgkmcnt(0)
	v_fmac_f32_e32 v51, v55, v56
	s_and_not1_b32 exec_lo, exec_lo, s1
	s_cbranch_execnz .LBB22_47
; %bb.48:
	s_or_b32 exec_lo, exec_lo, s1
	v_mov_b32_e32 v52, 0
	ds_load_b32 v52, v52 offset:40
	s_waitcnt lgkmcnt(0)
	v_mul_f32_e32 v51, v51, v52
	scratch_store_b32 off, v51, off offset:40
.LBB22_49:
	s_or_b32 exec_lo, exec_lo, s0
	s_waitcnt_vscnt null, 0x0
	s_barrier
	buffer_gl0_inv
	scratch_load_b32 v51, off, off offset:44
	s_mov_b32 s0, exec_lo
	s_waitcnt vmcnt(0)
	ds_store_b32 v49, v51
	s_waitcnt lgkmcnt(0)
	s_barrier
	buffer_gl0_inv
	v_cmpx_gt_u32_e32 11, v0
	s_cbranch_execz .LBB22_53
; %bb.50:
	v_dual_mov_b32 v51, 0 :: v_dual_add_nc_u32 v52, -1, v0
	v_add_nc_u32_e32 v53, 0x60, v1
	v_add_nc_u32_e32 v54, 0, v1
	s_mov_b32 s1, 0
.LBB22_51:                              ; =>This Inner Loop Header: Depth=1
	scratch_load_b32 v55, v54, off
	ds_load_b32 v56, v53
	v_add_nc_u32_e32 v52, 1, v52
	v_add_nc_u32_e32 v53, 4, v53
	v_add_nc_u32_e32 v54, 4, v54
	s_delay_alu instid0(VALU_DEP_3)
	v_cmp_lt_u32_e32 vcc_lo, 9, v52
	s_or_b32 s1, vcc_lo, s1
	s_waitcnt vmcnt(0) lgkmcnt(0)
	v_fmac_f32_e32 v51, v55, v56
	s_and_not1_b32 exec_lo, exec_lo, s1
	s_cbranch_execnz .LBB22_51
; %bb.52:
	s_or_b32 exec_lo, exec_lo, s1
	v_mov_b32_e32 v52, 0
	ds_load_b32 v52, v52 offset:44
	s_waitcnt lgkmcnt(0)
	v_mul_f32_e32 v51, v51, v52
	scratch_store_b32 off, v51, off offset:44
.LBB22_53:
	s_or_b32 exec_lo, exec_lo, s0
	s_waitcnt_vscnt null, 0x0
	s_barrier
	buffer_gl0_inv
	scratch_load_b32 v51, off, off offset:48
	s_mov_b32 s0, exec_lo
	s_waitcnt vmcnt(0)
	ds_store_b32 v49, v51
	s_waitcnt lgkmcnt(0)
	s_barrier
	buffer_gl0_inv
	v_cmpx_gt_u32_e32 12, v0
	s_cbranch_execz .LBB22_57
; %bb.54:
	v_dual_mov_b32 v51, 0 :: v_dual_add_nc_u32 v52, -1, v0
	v_add_nc_u32_e32 v53, 0x60, v1
	v_add_nc_u32_e32 v54, 0, v1
	s_mov_b32 s1, 0
.LBB22_55:                              ; =>This Inner Loop Header: Depth=1
	scratch_load_b32 v55, v54, off
	ds_load_b32 v56, v53
	v_add_nc_u32_e32 v52, 1, v52
	v_add_nc_u32_e32 v53, 4, v53
	v_add_nc_u32_e32 v54, 4, v54
	s_delay_alu instid0(VALU_DEP_3)
	v_cmp_lt_u32_e32 vcc_lo, 10, v52
	s_or_b32 s1, vcc_lo, s1
	s_waitcnt vmcnt(0) lgkmcnt(0)
	v_fmac_f32_e32 v51, v55, v56
	s_and_not1_b32 exec_lo, exec_lo, s1
	s_cbranch_execnz .LBB22_55
; %bb.56:
	s_or_b32 exec_lo, exec_lo, s1
	v_mov_b32_e32 v52, 0
	ds_load_b32 v52, v52 offset:48
	s_waitcnt lgkmcnt(0)
	v_mul_f32_e32 v51, v51, v52
	scratch_store_b32 off, v51, off offset:48
.LBB22_57:
	s_or_b32 exec_lo, exec_lo, s0
	s_waitcnt_vscnt null, 0x0
	s_barrier
	buffer_gl0_inv
	scratch_load_b32 v51, off, off offset:52
	s_mov_b32 s0, exec_lo
	s_waitcnt vmcnt(0)
	ds_store_b32 v49, v51
	s_waitcnt lgkmcnt(0)
	s_barrier
	buffer_gl0_inv
	v_cmpx_gt_u32_e32 13, v0
	s_cbranch_execz .LBB22_61
; %bb.58:
	v_dual_mov_b32 v51, 0 :: v_dual_add_nc_u32 v52, -1, v0
	v_add_nc_u32_e32 v53, 0x60, v1
	v_add_nc_u32_e32 v54, 0, v1
	s_mov_b32 s1, 0
.LBB22_59:                              ; =>This Inner Loop Header: Depth=1
	scratch_load_b32 v55, v54, off
	ds_load_b32 v56, v53
	v_add_nc_u32_e32 v52, 1, v52
	v_add_nc_u32_e32 v53, 4, v53
	v_add_nc_u32_e32 v54, 4, v54
	s_delay_alu instid0(VALU_DEP_3)
	v_cmp_lt_u32_e32 vcc_lo, 11, v52
	s_or_b32 s1, vcc_lo, s1
	s_waitcnt vmcnt(0) lgkmcnt(0)
	v_fmac_f32_e32 v51, v55, v56
	s_and_not1_b32 exec_lo, exec_lo, s1
	s_cbranch_execnz .LBB22_59
; %bb.60:
	s_or_b32 exec_lo, exec_lo, s1
	v_mov_b32_e32 v52, 0
	ds_load_b32 v52, v52 offset:52
	s_waitcnt lgkmcnt(0)
	v_mul_f32_e32 v51, v51, v52
	scratch_store_b32 off, v51, off offset:52
.LBB22_61:
	s_or_b32 exec_lo, exec_lo, s0
	s_waitcnt_vscnt null, 0x0
	s_barrier
	buffer_gl0_inv
	scratch_load_b32 v51, off, off offset:56
	s_mov_b32 s0, exec_lo
	s_waitcnt vmcnt(0)
	ds_store_b32 v49, v51
	s_waitcnt lgkmcnt(0)
	s_barrier
	buffer_gl0_inv
	v_cmpx_gt_u32_e32 14, v0
	s_cbranch_execz .LBB22_65
; %bb.62:
	v_dual_mov_b32 v51, 0 :: v_dual_add_nc_u32 v52, -1, v0
	v_add_nc_u32_e32 v53, 0x60, v1
	v_add_nc_u32_e32 v54, 0, v1
	s_mov_b32 s1, 0
.LBB22_63:                              ; =>This Inner Loop Header: Depth=1
	scratch_load_b32 v55, v54, off
	ds_load_b32 v56, v53
	v_add_nc_u32_e32 v52, 1, v52
	v_add_nc_u32_e32 v53, 4, v53
	v_add_nc_u32_e32 v54, 4, v54
	s_delay_alu instid0(VALU_DEP_3)
	v_cmp_lt_u32_e32 vcc_lo, 12, v52
	s_or_b32 s1, vcc_lo, s1
	s_waitcnt vmcnt(0) lgkmcnt(0)
	v_fmac_f32_e32 v51, v55, v56
	s_and_not1_b32 exec_lo, exec_lo, s1
	s_cbranch_execnz .LBB22_63
; %bb.64:
	s_or_b32 exec_lo, exec_lo, s1
	v_mov_b32_e32 v52, 0
	ds_load_b32 v52, v52 offset:56
	s_waitcnt lgkmcnt(0)
	v_mul_f32_e32 v51, v51, v52
	scratch_store_b32 off, v51, off offset:56
.LBB22_65:
	s_or_b32 exec_lo, exec_lo, s0
	s_waitcnt_vscnt null, 0x0
	s_barrier
	buffer_gl0_inv
	scratch_load_b32 v51, off, off offset:60
	s_mov_b32 s0, exec_lo
	s_waitcnt vmcnt(0)
	ds_store_b32 v49, v51
	s_waitcnt lgkmcnt(0)
	s_barrier
	buffer_gl0_inv
	v_cmpx_gt_u32_e32 15, v0
	s_cbranch_execz .LBB22_69
; %bb.66:
	v_dual_mov_b32 v51, 0 :: v_dual_add_nc_u32 v52, -1, v0
	v_add_nc_u32_e32 v53, 0x60, v1
	v_add_nc_u32_e32 v54, 0, v1
	s_mov_b32 s1, 0
.LBB22_67:                              ; =>This Inner Loop Header: Depth=1
	scratch_load_b32 v55, v54, off
	ds_load_b32 v56, v53
	v_add_nc_u32_e32 v52, 1, v52
	v_add_nc_u32_e32 v53, 4, v53
	v_add_nc_u32_e32 v54, 4, v54
	s_delay_alu instid0(VALU_DEP_3)
	v_cmp_lt_u32_e32 vcc_lo, 13, v52
	s_or_b32 s1, vcc_lo, s1
	s_waitcnt vmcnt(0) lgkmcnt(0)
	v_fmac_f32_e32 v51, v55, v56
	s_and_not1_b32 exec_lo, exec_lo, s1
	s_cbranch_execnz .LBB22_67
; %bb.68:
	s_or_b32 exec_lo, exec_lo, s1
	v_mov_b32_e32 v52, 0
	ds_load_b32 v52, v52 offset:60
	s_waitcnt lgkmcnt(0)
	v_mul_f32_e32 v51, v51, v52
	scratch_store_b32 off, v51, off offset:60
.LBB22_69:
	s_or_b32 exec_lo, exec_lo, s0
	s_waitcnt_vscnt null, 0x0
	s_barrier
	buffer_gl0_inv
	scratch_load_b32 v51, off, off offset:64
	s_mov_b32 s0, exec_lo
	s_waitcnt vmcnt(0)
	ds_store_b32 v49, v51
	s_waitcnt lgkmcnt(0)
	s_barrier
	buffer_gl0_inv
	v_cmpx_gt_u32_e32 16, v0
	s_cbranch_execz .LBB22_73
; %bb.70:
	v_dual_mov_b32 v51, 0 :: v_dual_add_nc_u32 v52, -1, v0
	v_add_nc_u32_e32 v53, 0x60, v1
	v_add_nc_u32_e32 v54, 0, v1
	s_mov_b32 s1, 0
.LBB22_71:                              ; =>This Inner Loop Header: Depth=1
	scratch_load_b32 v55, v54, off
	ds_load_b32 v56, v53
	v_add_nc_u32_e32 v52, 1, v52
	v_add_nc_u32_e32 v53, 4, v53
	v_add_nc_u32_e32 v54, 4, v54
	s_delay_alu instid0(VALU_DEP_3)
	v_cmp_lt_u32_e32 vcc_lo, 14, v52
	s_or_b32 s1, vcc_lo, s1
	s_waitcnt vmcnt(0) lgkmcnt(0)
	v_fmac_f32_e32 v51, v55, v56
	s_and_not1_b32 exec_lo, exec_lo, s1
	s_cbranch_execnz .LBB22_71
; %bb.72:
	s_or_b32 exec_lo, exec_lo, s1
	v_mov_b32_e32 v52, 0
	ds_load_b32 v52, v52 offset:64
	s_waitcnt lgkmcnt(0)
	v_mul_f32_e32 v51, v51, v52
	scratch_store_b32 off, v51, off offset:64
.LBB22_73:
	s_or_b32 exec_lo, exec_lo, s0
	s_waitcnt_vscnt null, 0x0
	s_barrier
	buffer_gl0_inv
	scratch_load_b32 v51, off, off offset:68
	s_mov_b32 s0, exec_lo
	s_waitcnt vmcnt(0)
	ds_store_b32 v49, v51
	s_waitcnt lgkmcnt(0)
	s_barrier
	buffer_gl0_inv
	v_cmpx_gt_u32_e32 17, v0
	s_cbranch_execz .LBB22_77
; %bb.74:
	v_dual_mov_b32 v51, 0 :: v_dual_add_nc_u32 v52, -1, v0
	v_add_nc_u32_e32 v53, 0x60, v1
	v_add_nc_u32_e32 v54, 0, v1
	s_mov_b32 s1, 0
.LBB22_75:                              ; =>This Inner Loop Header: Depth=1
	scratch_load_b32 v55, v54, off
	ds_load_b32 v56, v53
	v_add_nc_u32_e32 v52, 1, v52
	v_add_nc_u32_e32 v53, 4, v53
	v_add_nc_u32_e32 v54, 4, v54
	s_delay_alu instid0(VALU_DEP_3)
	v_cmp_lt_u32_e32 vcc_lo, 15, v52
	s_or_b32 s1, vcc_lo, s1
	s_waitcnt vmcnt(0) lgkmcnt(0)
	v_fmac_f32_e32 v51, v55, v56
	s_and_not1_b32 exec_lo, exec_lo, s1
	s_cbranch_execnz .LBB22_75
; %bb.76:
	s_or_b32 exec_lo, exec_lo, s1
	v_mov_b32_e32 v52, 0
	ds_load_b32 v52, v52 offset:68
	s_waitcnt lgkmcnt(0)
	v_mul_f32_e32 v51, v51, v52
	scratch_store_b32 off, v51, off offset:68
.LBB22_77:
	s_or_b32 exec_lo, exec_lo, s0
	s_waitcnt_vscnt null, 0x0
	s_barrier
	buffer_gl0_inv
	scratch_load_b32 v51, off, off offset:72
	s_mov_b32 s0, exec_lo
	s_waitcnt vmcnt(0)
	ds_store_b32 v49, v51
	s_waitcnt lgkmcnt(0)
	s_barrier
	buffer_gl0_inv
	v_cmpx_gt_u32_e32 18, v0
	s_cbranch_execz .LBB22_81
; %bb.78:
	v_dual_mov_b32 v51, 0 :: v_dual_add_nc_u32 v52, -1, v0
	v_add_nc_u32_e32 v53, 0x60, v1
	v_add_nc_u32_e32 v54, 0, v1
	s_mov_b32 s1, 0
.LBB22_79:                              ; =>This Inner Loop Header: Depth=1
	scratch_load_b32 v55, v54, off
	ds_load_b32 v56, v53
	v_add_nc_u32_e32 v52, 1, v52
	v_add_nc_u32_e32 v53, 4, v53
	v_add_nc_u32_e32 v54, 4, v54
	s_delay_alu instid0(VALU_DEP_3)
	v_cmp_lt_u32_e32 vcc_lo, 16, v52
	s_or_b32 s1, vcc_lo, s1
	s_waitcnt vmcnt(0) lgkmcnt(0)
	v_fmac_f32_e32 v51, v55, v56
	s_and_not1_b32 exec_lo, exec_lo, s1
	s_cbranch_execnz .LBB22_79
; %bb.80:
	s_or_b32 exec_lo, exec_lo, s1
	v_mov_b32_e32 v52, 0
	ds_load_b32 v52, v52 offset:72
	s_waitcnt lgkmcnt(0)
	v_mul_f32_e32 v51, v51, v52
	scratch_store_b32 off, v51, off offset:72
.LBB22_81:
	s_or_b32 exec_lo, exec_lo, s0
	s_waitcnt_vscnt null, 0x0
	s_barrier
	buffer_gl0_inv
	scratch_load_b32 v51, off, off offset:76
	s_mov_b32 s0, exec_lo
	s_waitcnt vmcnt(0)
	ds_store_b32 v49, v51
	s_waitcnt lgkmcnt(0)
	s_barrier
	buffer_gl0_inv
	v_cmpx_gt_u32_e32 19, v0
	s_cbranch_execz .LBB22_85
; %bb.82:
	v_dual_mov_b32 v51, 0 :: v_dual_add_nc_u32 v52, -1, v0
	v_add_nc_u32_e32 v53, 0x60, v1
	v_add_nc_u32_e32 v54, 0, v1
	s_mov_b32 s1, 0
.LBB22_83:                              ; =>This Inner Loop Header: Depth=1
	scratch_load_b32 v55, v54, off
	ds_load_b32 v56, v53
	v_add_nc_u32_e32 v52, 1, v52
	v_add_nc_u32_e32 v53, 4, v53
	v_add_nc_u32_e32 v54, 4, v54
	s_delay_alu instid0(VALU_DEP_3)
	v_cmp_lt_u32_e32 vcc_lo, 17, v52
	s_or_b32 s1, vcc_lo, s1
	s_waitcnt vmcnt(0) lgkmcnt(0)
	v_fmac_f32_e32 v51, v55, v56
	s_and_not1_b32 exec_lo, exec_lo, s1
	s_cbranch_execnz .LBB22_83
; %bb.84:
	s_or_b32 exec_lo, exec_lo, s1
	v_mov_b32_e32 v52, 0
	ds_load_b32 v52, v52 offset:76
	s_waitcnt lgkmcnt(0)
	v_mul_f32_e32 v51, v51, v52
	scratch_store_b32 off, v51, off offset:76
.LBB22_85:
	s_or_b32 exec_lo, exec_lo, s0
	s_waitcnt_vscnt null, 0x0
	s_barrier
	buffer_gl0_inv
	scratch_load_b32 v51, off, off offset:80
	s_mov_b32 s0, exec_lo
	s_waitcnt vmcnt(0)
	ds_store_b32 v49, v51
	s_waitcnt lgkmcnt(0)
	s_barrier
	buffer_gl0_inv
	v_cmpx_gt_u32_e32 20, v0
	s_cbranch_execz .LBB22_89
; %bb.86:
	v_dual_mov_b32 v51, 0 :: v_dual_add_nc_u32 v52, -1, v0
	v_add_nc_u32_e32 v53, 0x60, v1
	v_add_nc_u32_e32 v54, 0, v1
	s_mov_b32 s1, 0
.LBB22_87:                              ; =>This Inner Loop Header: Depth=1
	scratch_load_b32 v55, v54, off
	ds_load_b32 v56, v53
	v_add_nc_u32_e32 v52, 1, v52
	v_add_nc_u32_e32 v53, 4, v53
	v_add_nc_u32_e32 v54, 4, v54
	s_delay_alu instid0(VALU_DEP_3)
	v_cmp_lt_u32_e32 vcc_lo, 18, v52
	s_or_b32 s1, vcc_lo, s1
	s_waitcnt vmcnt(0) lgkmcnt(0)
	v_fmac_f32_e32 v51, v55, v56
	s_and_not1_b32 exec_lo, exec_lo, s1
	s_cbranch_execnz .LBB22_87
; %bb.88:
	s_or_b32 exec_lo, exec_lo, s1
	v_mov_b32_e32 v52, 0
	ds_load_b32 v52, v52 offset:80
	s_waitcnt lgkmcnt(0)
	v_mul_f32_e32 v51, v51, v52
	scratch_store_b32 off, v51, off offset:80
.LBB22_89:
	s_or_b32 exec_lo, exec_lo, s0
	s_waitcnt_vscnt null, 0x0
	s_barrier
	buffer_gl0_inv
	scratch_load_b32 v51, off, off offset:84
	s_mov_b32 s0, exec_lo
	s_waitcnt vmcnt(0)
	ds_store_b32 v49, v51
	s_waitcnt lgkmcnt(0)
	s_barrier
	buffer_gl0_inv
	v_cmpx_gt_u32_e32 21, v0
	s_cbranch_execz .LBB22_93
; %bb.90:
	v_add_nc_u32_e32 v51, -1, v0
	v_add_nc_u32_e32 v52, 0x60, v1
	v_add_nc_u32_e32 v53, 0, v1
	v_mov_b32_e32 v1, 0
	s_mov_b32 s1, 0
.LBB22_91:                              ; =>This Inner Loop Header: Depth=1
	scratch_load_b32 v54, v53, off
	ds_load_b32 v55, v52
	v_add_nc_u32_e32 v51, 1, v51
	v_add_nc_u32_e32 v52, 4, v52
	;; [unrolled: 1-line block ×3, first 2 shown]
	s_delay_alu instid0(VALU_DEP_3)
	v_cmp_lt_u32_e32 vcc_lo, 19, v51
	s_or_b32 s1, vcc_lo, s1
	s_waitcnt vmcnt(0) lgkmcnt(0)
	v_fmac_f32_e32 v1, v54, v55
	s_and_not1_b32 exec_lo, exec_lo, s1
	s_cbranch_execnz .LBB22_91
; %bb.92:
	s_or_b32 exec_lo, exec_lo, s1
	v_mov_b32_e32 v51, 0
	ds_load_b32 v51, v51 offset:84
	s_waitcnt lgkmcnt(0)
	v_mul_f32_e32 v1, v1, v51
	scratch_store_b32 off, v1, off offset:84
.LBB22_93:
	s_or_b32 exec_lo, exec_lo, s0
	s_waitcnt_vscnt null, 0x0
	s_barrier
	buffer_gl0_inv
	scratch_load_b32 v1, off, off offset:88
	s_mov_b32 s0, exec_lo
	s_waitcnt vmcnt(0)
	ds_store_b32 v49, v1
	s_waitcnt lgkmcnt(0)
	s_barrier
	buffer_gl0_inv
	v_cmpx_ne_u32_e32 22, v0
	s_cbranch_execz .LBB22_97
; %bb.94:
	v_mov_b32_e32 v1, 0
	s_mov_b32 s1, 0
.LBB22_95:                              ; =>This Inner Loop Header: Depth=1
	scratch_load_b32 v51, v2, off
	ds_load_b32 v52, v49
	v_add_nc_u32_e32 v50, 1, v50
	v_add_nc_u32_e32 v49, 4, v49
	s_waitcnt vmcnt(0) lgkmcnt(0)
	v_dual_fmac_f32 v1, v51, v52 :: v_dual_add_nc_u32 v2, 4, v2
	s_delay_alu instid0(VALU_DEP_3) | instskip(SKIP_1) | instid1(SALU_CYCLE_1)
	v_cmp_lt_u32_e32 vcc_lo, 20, v50
	s_or_b32 s1, vcc_lo, s1
	s_and_not1_b32 exec_lo, exec_lo, s1
	s_cbranch_execnz .LBB22_95
; %bb.96:
	s_or_b32 exec_lo, exec_lo, s1
	v_mov_b32_e32 v2, 0
	ds_load_b32 v2, v2 offset:88
	s_waitcnt lgkmcnt(0)
	v_mul_f32_e32 v1, v1, v2
	scratch_store_b32 off, v1, off offset:88
.LBB22_97:
	s_or_b32 exec_lo, exec_lo, s0
	s_mov_b32 s1, -1
	s_waitcnt_vscnt null, 0x0
	s_barrier
	buffer_gl0_inv
.LBB22_98:
	s_and_b32 vcc_lo, exec_lo, s1
	s_cbranch_vccz .LBB22_100
; %bb.99:
	s_lshl_b64 s[0:1], s[14:15], 2
	v_mov_b32_e32 v1, 0
	s_add_u32 s0, s6, s0
	s_addc_u32 s1, s7, s1
	global_load_b32 v1, v1, s[0:1]
	s_waitcnt vmcnt(0)
	v_cmp_ne_u32_e32 vcc_lo, 0, v1
	s_cbranch_vccz .LBB22_101
.LBB22_100:
	s_endpgm
.LBB22_101:
	v_lshl_add_u32 v1, v0, 2, 0x60
	s_mov_b32 s0, exec_lo
	v_cmpx_eq_u32_e32 22, v0
	s_cbranch_execz .LBB22_103
; %bb.102:
	scratch_load_b32 v2, off, off offset:84
	v_mov_b32_e32 v49, 0
	scratch_store_b32 off, v49, off offset:84
	s_waitcnt vmcnt(0)
	ds_store_b32 v1, v2
.LBB22_103:
	s_or_b32 exec_lo, exec_lo, s0
	s_waitcnt lgkmcnt(0)
	s_waitcnt_vscnt null, 0x0
	s_barrier
	buffer_gl0_inv
	scratch_load_b64 v[49:50], off, off offset:84
	v_mov_b32_e32 v2, 0
	s_mov_b32 s0, exec_lo
	ds_load_b32 v51, v2 offset:184
	s_waitcnt vmcnt(0) lgkmcnt(0)
	v_fma_f32 v50, v50, v51, 0
	s_delay_alu instid0(VALU_DEP_1)
	v_sub_f32_e32 v49, v49, v50
	scratch_store_b32 off, v49, off offset:84
	v_cmpx_lt_u32_e32 20, v0
	s_cbranch_execz .LBB22_105
; %bb.104:
	scratch_load_b32 v49, off, off offset:80
	scratch_store_b32 off, v2, off offset:80
	s_waitcnt vmcnt(0)
	ds_store_b32 v1, v49
.LBB22_105:
	s_or_b32 exec_lo, exec_lo, s0
	s_waitcnt lgkmcnt(0)
	s_waitcnt_vscnt null, 0x0
	s_barrier
	buffer_gl0_inv
	scratch_load_b96 v[49:51], off, off offset:80
	ds_load_2addr_b32 v[52:53], v2 offset0:45 offset1:46
	s_mov_b32 s0, exec_lo
	s_waitcnt vmcnt(0) lgkmcnt(0)
	v_fma_f32 v2, v50, v52, 0
	s_delay_alu instid0(VALU_DEP_1) | instskip(NEXT) | instid1(VALU_DEP_1)
	v_fmac_f32_e32 v2, v51, v53
	v_sub_f32_e32 v2, v49, v2
	scratch_store_b32 off, v2, off offset:80
	v_cmpx_lt_u32_e32 19, v0
	s_cbranch_execz .LBB22_107
; %bb.106:
	scratch_load_b32 v2, off, off offset:76
	v_mov_b32_e32 v49, 0
	scratch_store_b32 off, v49, off offset:76
	s_waitcnt vmcnt(0)
	ds_store_b32 v1, v2
.LBB22_107:
	s_or_b32 exec_lo, exec_lo, s0
	s_waitcnt lgkmcnt(0)
	s_waitcnt_vscnt null, 0x0
	s_barrier
	buffer_gl0_inv
	scratch_load_b128 v[49:52], off, off offset:76
	v_mov_b32_e32 v2, 0
	s_mov_b32 s0, exec_lo
	ds_load_b96 v[53:55], v2 offset:176
	s_waitcnt vmcnt(0) lgkmcnt(0)
	v_fma_f32 v50, v50, v53, 0
	s_delay_alu instid0(VALU_DEP_1) | instskip(NEXT) | instid1(VALU_DEP_1)
	v_fmac_f32_e32 v50, v51, v54
	v_fmac_f32_e32 v50, v52, v55
	s_delay_alu instid0(VALU_DEP_1)
	v_sub_f32_e32 v49, v49, v50
	scratch_store_b32 off, v49, off offset:76
	v_cmpx_lt_u32_e32 18, v0
	s_cbranch_execz .LBB22_109
; %bb.108:
	scratch_load_b32 v49, off, off offset:72
	scratch_store_b32 off, v2, off offset:72
	s_waitcnt vmcnt(0)
	ds_store_b32 v1, v49
.LBB22_109:
	s_or_b32 exec_lo, exec_lo, s0
	s_waitcnt lgkmcnt(0)
	s_waitcnt_vscnt null, 0x0
	s_barrier
	buffer_gl0_inv
	s_clause 0x1
	scratch_load_b128 v[49:52], off, off offset:72
	scratch_load_b32 v57, off, off offset:88
	ds_load_2addr_b32 v[53:54], v2 offset0:43 offset1:44
	ds_load_2addr_b32 v[55:56], v2 offset0:45 offset1:46
	s_mov_b32 s0, exec_lo
	s_waitcnt vmcnt(1) lgkmcnt(1)
	v_fma_f32 v2, v50, v53, 0
	s_delay_alu instid0(VALU_DEP_1) | instskip(SKIP_1) | instid1(VALU_DEP_1)
	v_fmac_f32_e32 v2, v51, v54
	s_waitcnt lgkmcnt(0)
	v_fmac_f32_e32 v2, v52, v55
	s_waitcnt vmcnt(0)
	s_delay_alu instid0(VALU_DEP_1) | instskip(NEXT) | instid1(VALU_DEP_1)
	v_fmac_f32_e32 v2, v57, v56
	v_sub_f32_e32 v2, v49, v2
	scratch_store_b32 off, v2, off offset:72
	v_cmpx_lt_u32_e32 17, v0
	s_cbranch_execz .LBB22_111
; %bb.110:
	scratch_load_b32 v2, off, off offset:68
	v_mov_b32_e32 v49, 0
	scratch_store_b32 off, v49, off offset:68
	s_waitcnt vmcnt(0)
	ds_store_b32 v1, v2
.LBB22_111:
	s_or_b32 exec_lo, exec_lo, s0
	s_waitcnt lgkmcnt(0)
	s_waitcnt_vscnt null, 0x0
	s_barrier
	buffer_gl0_inv
	s_clause 0x1
	scratch_load_b128 v[49:52], off, off offset:68
	scratch_load_b64 v[57:58], off, off offset:84
	v_mov_b32_e32 v2, 0
	ds_load_2addr_b64 v[53:56], v2 offset0:21 offset1:22
	ds_load_b32 v59, v2 offset:184
	s_mov_b32 s0, exec_lo
	s_waitcnt vmcnt(1) lgkmcnt(1)
	v_fma_f32 v50, v50, v53, 0
	s_delay_alu instid0(VALU_DEP_1) | instskip(NEXT) | instid1(VALU_DEP_1)
	v_fmac_f32_e32 v50, v51, v54
	v_fmac_f32_e32 v50, v52, v55
	s_waitcnt vmcnt(0)
	s_delay_alu instid0(VALU_DEP_1) | instskip(SKIP_1) | instid1(VALU_DEP_1)
	v_fmac_f32_e32 v50, v57, v56
	s_waitcnt lgkmcnt(0)
	v_fmac_f32_e32 v50, v58, v59
	s_delay_alu instid0(VALU_DEP_1)
	v_sub_f32_e32 v49, v49, v50
	scratch_store_b32 off, v49, off offset:68
	v_cmpx_lt_u32_e32 16, v0
	s_cbranch_execz .LBB22_113
; %bb.112:
	scratch_load_b32 v49, off, off offset:64
	scratch_store_b32 off, v2, off offset:64
	s_waitcnt vmcnt(0)
	ds_store_b32 v1, v49
.LBB22_113:
	s_or_b32 exec_lo, exec_lo, s0
	s_waitcnt lgkmcnt(0)
	s_waitcnt_vscnt null, 0x0
	s_barrier
	buffer_gl0_inv
	s_clause 0x1
	scratch_load_b128 v[49:52], off, off offset:64
	scratch_load_b96 v[53:55], off, off offset:80
	ds_load_2addr_b32 v[56:57], v2 offset0:41 offset1:42
	ds_load_2addr_b32 v[58:59], v2 offset0:43 offset1:44
	;; [unrolled: 1-line block ×3, first 2 shown]
	s_mov_b32 s0, exec_lo
	s_waitcnt vmcnt(1) lgkmcnt(2)
	v_fma_f32 v2, v50, v56, 0
	s_delay_alu instid0(VALU_DEP_1) | instskip(SKIP_1) | instid1(VALU_DEP_1)
	v_fmac_f32_e32 v2, v51, v57
	s_waitcnt lgkmcnt(1)
	v_fmac_f32_e32 v2, v52, v58
	s_waitcnt vmcnt(0)
	s_delay_alu instid0(VALU_DEP_1) | instskip(SKIP_1) | instid1(VALU_DEP_1)
	v_fmac_f32_e32 v2, v53, v59
	s_waitcnt lgkmcnt(0)
	v_fmac_f32_e32 v2, v54, v60
	s_delay_alu instid0(VALU_DEP_1) | instskip(NEXT) | instid1(VALU_DEP_1)
	v_fmac_f32_e32 v2, v55, v61
	v_sub_f32_e32 v2, v49, v2
	scratch_store_b32 off, v2, off offset:64
	v_cmpx_lt_u32_e32 15, v0
	s_cbranch_execz .LBB22_115
; %bb.114:
	scratch_load_b32 v2, off, off offset:60
	v_mov_b32_e32 v49, 0
	scratch_store_b32 off, v49, off offset:60
	s_waitcnt vmcnt(0)
	ds_store_b32 v1, v2
.LBB22_115:
	s_or_b32 exec_lo, exec_lo, s0
	s_waitcnt lgkmcnt(0)
	s_waitcnt_vscnt null, 0x0
	s_barrier
	buffer_gl0_inv
	s_clause 0x1
	scratch_load_b128 v[49:52], off, off offset:60
	scratch_load_b128 v[53:56], off, off offset:76
	v_mov_b32_e32 v2, 0
	ds_load_b128 v[57:60], v2 offset:160
	ds_load_b96 v[61:63], v2 offset:176
	s_mov_b32 s0, exec_lo
	s_waitcnt vmcnt(1) lgkmcnt(1)
	v_fma_f32 v50, v50, v57, 0
	s_delay_alu instid0(VALU_DEP_1) | instskip(NEXT) | instid1(VALU_DEP_1)
	v_fmac_f32_e32 v50, v51, v58
	v_fmac_f32_e32 v50, v52, v59
	s_waitcnt vmcnt(0)
	s_delay_alu instid0(VALU_DEP_1) | instskip(SKIP_1) | instid1(VALU_DEP_1)
	v_fmac_f32_e32 v50, v53, v60
	s_waitcnt lgkmcnt(0)
	v_fmac_f32_e32 v50, v54, v61
	s_delay_alu instid0(VALU_DEP_1) | instskip(NEXT) | instid1(VALU_DEP_1)
	v_fmac_f32_e32 v50, v55, v62
	v_fmac_f32_e32 v50, v56, v63
	s_delay_alu instid0(VALU_DEP_1)
	v_sub_f32_e32 v49, v49, v50
	scratch_store_b32 off, v49, off offset:60
	v_cmpx_lt_u32_e32 14, v0
	s_cbranch_execz .LBB22_117
; %bb.116:
	scratch_load_b32 v49, off, off offset:56
	scratch_store_b32 off, v2, off offset:56
	s_waitcnt vmcnt(0)
	ds_store_b32 v1, v49
.LBB22_117:
	s_or_b32 exec_lo, exec_lo, s0
	s_waitcnt lgkmcnt(0)
	s_waitcnt_vscnt null, 0x0
	s_barrier
	buffer_gl0_inv
	s_clause 0x2
	scratch_load_b128 v[49:52], off, off offset:56
	scratch_load_b128 v[53:56], off, off offset:72
	scratch_load_b32 v65, off, off offset:88
	ds_load_2addr_b32 v[57:58], v2 offset0:39 offset1:40
	ds_load_2addr_b32 v[59:60], v2 offset0:41 offset1:42
	;; [unrolled: 1-line block ×4, first 2 shown]
	s_mov_b32 s0, exec_lo
	s_waitcnt vmcnt(2) lgkmcnt(3)
	v_fma_f32 v2, v50, v57, 0
	s_delay_alu instid0(VALU_DEP_1) | instskip(SKIP_1) | instid1(VALU_DEP_1)
	v_fmac_f32_e32 v2, v51, v58
	s_waitcnt lgkmcnt(2)
	v_fmac_f32_e32 v2, v52, v59
	s_waitcnt vmcnt(1)
	s_delay_alu instid0(VALU_DEP_1) | instskip(SKIP_1) | instid1(VALU_DEP_1)
	v_fmac_f32_e32 v2, v53, v60
	s_waitcnt lgkmcnt(1)
	v_fmac_f32_e32 v2, v54, v61
	s_delay_alu instid0(VALU_DEP_1) | instskip(SKIP_1) | instid1(VALU_DEP_1)
	v_fmac_f32_e32 v2, v55, v62
	s_waitcnt lgkmcnt(0)
	v_fmac_f32_e32 v2, v56, v63
	s_waitcnt vmcnt(0)
	s_delay_alu instid0(VALU_DEP_1) | instskip(NEXT) | instid1(VALU_DEP_1)
	v_fmac_f32_e32 v2, v65, v64
	v_sub_f32_e32 v2, v49, v2
	scratch_store_b32 off, v2, off offset:56
	v_cmpx_lt_u32_e32 13, v0
	s_cbranch_execz .LBB22_119
; %bb.118:
	scratch_load_b32 v2, off, off offset:52
	v_mov_b32_e32 v49, 0
	scratch_store_b32 off, v49, off offset:52
	s_waitcnt vmcnt(0)
	ds_store_b32 v1, v2
.LBB22_119:
	s_or_b32 exec_lo, exec_lo, s0
	s_waitcnt lgkmcnt(0)
	s_waitcnt_vscnt null, 0x0
	s_barrier
	buffer_gl0_inv
	s_clause 0x2
	scratch_load_b128 v[49:52], off, off offset:52
	scratch_load_b128 v[53:56], off, off offset:68
	scratch_load_b64 v[65:66], off, off offset:84
	v_mov_b32_e32 v2, 0
	ds_load_2addr_b64 v[57:60], v2 offset0:19 offset1:20
	ds_load_2addr_b64 v[61:64], v2 offset0:21 offset1:22
	s_mov_b32 s0, exec_lo
	s_waitcnt vmcnt(2) lgkmcnt(1)
	v_fma_f32 v50, v50, v57, 0
	s_delay_alu instid0(VALU_DEP_1) | instskip(SKIP_3) | instid1(VALU_DEP_1)
	v_fmac_f32_e32 v50, v51, v58
	ds_load_b32 v51, v2 offset:184
	v_fmac_f32_e32 v50, v52, v59
	s_waitcnt vmcnt(1)
	v_fmac_f32_e32 v50, v53, v60
	s_waitcnt lgkmcnt(1)
	s_delay_alu instid0(VALU_DEP_1) | instskip(NEXT) | instid1(VALU_DEP_1)
	v_fmac_f32_e32 v50, v54, v61
	v_fmac_f32_e32 v50, v55, v62
	s_delay_alu instid0(VALU_DEP_1) | instskip(SKIP_1) | instid1(VALU_DEP_1)
	v_fmac_f32_e32 v50, v56, v63
	s_waitcnt vmcnt(0)
	v_fmac_f32_e32 v50, v65, v64
	s_waitcnt lgkmcnt(0)
	s_delay_alu instid0(VALU_DEP_1) | instskip(NEXT) | instid1(VALU_DEP_1)
	v_fmac_f32_e32 v50, v66, v51
	v_sub_f32_e32 v49, v49, v50
	scratch_store_b32 off, v49, off offset:52
	v_cmpx_lt_u32_e32 12, v0
	s_cbranch_execz .LBB22_121
; %bb.120:
	scratch_load_b32 v49, off, off offset:48
	scratch_store_b32 off, v2, off offset:48
	s_waitcnt vmcnt(0)
	ds_store_b32 v1, v49
.LBB22_121:
	s_or_b32 exec_lo, exec_lo, s0
	s_waitcnt lgkmcnt(0)
	s_waitcnt_vscnt null, 0x0
	s_barrier
	buffer_gl0_inv
	s_clause 0x2
	scratch_load_b128 v[49:52], off, off offset:48
	scratch_load_b128 v[53:56], off, off offset:64
	scratch_load_b96 v[57:59], off, off offset:80
	ds_load_2addr_b32 v[60:61], v2 offset0:37 offset1:38
	ds_load_2addr_b32 v[62:63], v2 offset0:39 offset1:40
	;; [unrolled: 1-line block ×4, first 2 shown]
	s_mov_b32 s0, exec_lo
	s_waitcnt vmcnt(2) lgkmcnt(3)
	v_fma_f32 v60, v50, v60, 0
	s_delay_alu instid0(VALU_DEP_1) | instskip(SKIP_4) | instid1(VALU_DEP_1)
	v_fmac_f32_e32 v60, v51, v61
	ds_load_2addr_b32 v[50:51], v2 offset0:45 offset1:46
	s_waitcnt lgkmcnt(3)
	v_fmac_f32_e32 v60, v52, v62
	s_waitcnt vmcnt(1)
	v_fmac_f32_e32 v60, v53, v63
	s_waitcnt lgkmcnt(2)
	s_delay_alu instid0(VALU_DEP_1) | instskip(NEXT) | instid1(VALU_DEP_1)
	v_fmac_f32_e32 v60, v54, v64
	v_fmac_f32_e32 v60, v55, v65
	s_waitcnt lgkmcnt(1)
	s_delay_alu instid0(VALU_DEP_1) | instskip(SKIP_1) | instid1(VALU_DEP_1)
	v_fmac_f32_e32 v60, v56, v66
	s_waitcnt vmcnt(0)
	v_fmac_f32_e32 v60, v57, v67
	s_waitcnt lgkmcnt(0)
	s_delay_alu instid0(VALU_DEP_1) | instskip(NEXT) | instid1(VALU_DEP_1)
	v_fmac_f32_e32 v60, v58, v50
	v_fmac_f32_e32 v60, v59, v51
	s_delay_alu instid0(VALU_DEP_1)
	v_sub_f32_e32 v2, v49, v60
	scratch_store_b32 off, v2, off offset:48
	v_cmpx_lt_u32_e32 11, v0
	s_cbranch_execz .LBB22_123
; %bb.122:
	scratch_load_b32 v2, off, off offset:44
	v_mov_b32_e32 v49, 0
	scratch_store_b32 off, v49, off offset:44
	s_waitcnt vmcnt(0)
	ds_store_b32 v1, v2
.LBB22_123:
	s_or_b32 exec_lo, exec_lo, s0
	s_waitcnt lgkmcnt(0)
	s_waitcnt_vscnt null, 0x0
	s_barrier
	buffer_gl0_inv
	s_clause 0x2
	scratch_load_b128 v[49:52], off, off offset:44
	scratch_load_b128 v[53:56], off, off offset:60
	;; [unrolled: 1-line block ×3, first 2 shown]
	v_mov_b32_e32 v2, 0
	ds_load_b128 v[61:64], v2 offset:144
	ds_load_b128 v[65:68], v2 offset:160
	s_mov_b32 s0, exec_lo
	s_waitcnt vmcnt(2) lgkmcnt(1)
	v_fma_f32 v61, v50, v61, 0
	s_delay_alu instid0(VALU_DEP_1) | instskip(NEXT) | instid1(VALU_DEP_1)
	v_fmac_f32_e32 v61, v51, v62
	v_fmac_f32_e32 v61, v52, v63
	ds_load_b96 v[50:52], v2 offset:176
	s_waitcnt vmcnt(1)
	v_fmac_f32_e32 v61, v53, v64
	s_waitcnt lgkmcnt(1)
	s_delay_alu instid0(VALU_DEP_1) | instskip(NEXT) | instid1(VALU_DEP_1)
	v_fmac_f32_e32 v61, v54, v65
	v_fmac_f32_e32 v61, v55, v66
	s_delay_alu instid0(VALU_DEP_1) | instskip(SKIP_1) | instid1(VALU_DEP_1)
	v_fmac_f32_e32 v61, v56, v67
	s_waitcnt vmcnt(0)
	v_fmac_f32_e32 v61, v57, v68
	s_waitcnt lgkmcnt(0)
	s_delay_alu instid0(VALU_DEP_1) | instskip(NEXT) | instid1(VALU_DEP_1)
	v_fmac_f32_e32 v61, v58, v50
	v_fmac_f32_e32 v61, v59, v51
	s_delay_alu instid0(VALU_DEP_1) | instskip(NEXT) | instid1(VALU_DEP_1)
	v_fmac_f32_e32 v61, v60, v52
	v_sub_f32_e32 v49, v49, v61
	scratch_store_b32 off, v49, off offset:44
	v_cmpx_lt_u32_e32 10, v0
	s_cbranch_execz .LBB22_125
; %bb.124:
	scratch_load_b32 v49, off, off offset:40
	scratch_store_b32 off, v2, off offset:40
	s_waitcnt vmcnt(0)
	ds_store_b32 v1, v49
.LBB22_125:
	s_or_b32 exec_lo, exec_lo, s0
	s_waitcnt lgkmcnt(0)
	s_waitcnt_vscnt null, 0x0
	s_barrier
	buffer_gl0_inv
	s_clause 0x3
	scratch_load_b128 v[49:52], off, off offset:40
	scratch_load_b128 v[53:56], off, off offset:56
	;; [unrolled: 1-line block ×3, first 2 shown]
	scratch_load_b32 v69, off, off offset:88
	ds_load_2addr_b32 v[61:62], v2 offset0:35 offset1:36
	ds_load_2addr_b32 v[63:64], v2 offset0:37 offset1:38
	;; [unrolled: 1-line block ×4, first 2 shown]
	s_mov_b32 s0, exec_lo
	s_waitcnt vmcnt(3) lgkmcnt(3)
	v_fma_f32 v61, v50, v61, 0
	s_delay_alu instid0(VALU_DEP_1) | instskip(SKIP_4) | instid1(VALU_DEP_1)
	v_fmac_f32_e32 v61, v51, v62
	ds_load_2addr_b32 v[50:51], v2 offset0:43 offset1:44
	s_waitcnt lgkmcnt(3)
	v_fmac_f32_e32 v61, v52, v63
	s_waitcnt vmcnt(2)
	v_fmac_f32_e32 v61, v53, v64
	ds_load_2addr_b32 v[52:53], v2 offset0:45 offset1:46
	s_waitcnt lgkmcnt(3)
	v_fmac_f32_e32 v61, v54, v65
	s_delay_alu instid0(VALU_DEP_1) | instskip(SKIP_1) | instid1(VALU_DEP_1)
	v_fmac_f32_e32 v61, v55, v66
	s_waitcnt lgkmcnt(2)
	v_fmac_f32_e32 v61, v56, v67
	s_waitcnt vmcnt(1)
	s_delay_alu instid0(VALU_DEP_1) | instskip(SKIP_1) | instid1(VALU_DEP_1)
	v_fmac_f32_e32 v61, v57, v68
	s_waitcnt lgkmcnt(1)
	v_fmac_f32_e32 v61, v58, v50
	s_delay_alu instid0(VALU_DEP_1) | instskip(SKIP_1) | instid1(VALU_DEP_1)
	v_fmac_f32_e32 v61, v59, v51
	s_waitcnt lgkmcnt(0)
	v_fmac_f32_e32 v61, v60, v52
	s_waitcnt vmcnt(0)
	s_delay_alu instid0(VALU_DEP_1) | instskip(NEXT) | instid1(VALU_DEP_1)
	v_fmac_f32_e32 v61, v69, v53
	v_sub_f32_e32 v2, v49, v61
	scratch_store_b32 off, v2, off offset:40
	v_cmpx_lt_u32_e32 9, v0
	s_cbranch_execz .LBB22_127
; %bb.126:
	scratch_load_b32 v2, off, off offset:36
	v_mov_b32_e32 v49, 0
	scratch_store_b32 off, v49, off offset:36
	s_waitcnt vmcnt(0)
	ds_store_b32 v1, v2
.LBB22_127:
	s_or_b32 exec_lo, exec_lo, s0
	s_waitcnt lgkmcnt(0)
	s_waitcnt_vscnt null, 0x0
	s_barrier
	buffer_gl0_inv
	s_clause 0x3
	scratch_load_b128 v[49:52], off, off offset:36
	scratch_load_b128 v[53:56], off, off offset:52
	;; [unrolled: 1-line block ×3, first 2 shown]
	scratch_load_b64 v[69:70], off, off offset:84
	v_mov_b32_e32 v2, 0
	ds_load_2addr_b64 v[61:64], v2 offset0:17 offset1:18
	ds_load_2addr_b64 v[65:68], v2 offset0:19 offset1:20
	s_mov_b32 s0, exec_lo
	s_waitcnt vmcnt(3) lgkmcnt(1)
	v_fma_f32 v61, v50, v61, 0
	s_delay_alu instid0(VALU_DEP_1) | instskip(NEXT) | instid1(VALU_DEP_1)
	v_fmac_f32_e32 v61, v51, v62
	v_fmac_f32_e32 v61, v52, v63
	s_waitcnt vmcnt(2)
	s_delay_alu instid0(VALU_DEP_1)
	v_fmac_f32_e32 v61, v53, v64
	ds_load_2addr_b64 v[50:53], v2 offset0:21 offset1:22
	s_waitcnt lgkmcnt(1)
	v_fmac_f32_e32 v61, v54, v65
	ds_load_b32 v54, v2 offset:184
	v_fmac_f32_e32 v61, v55, v66
	s_delay_alu instid0(VALU_DEP_1) | instskip(SKIP_1) | instid1(VALU_DEP_1)
	v_fmac_f32_e32 v61, v56, v67
	s_waitcnt vmcnt(1)
	v_fmac_f32_e32 v61, v57, v68
	s_waitcnt lgkmcnt(1)
	s_delay_alu instid0(VALU_DEP_1) | instskip(NEXT) | instid1(VALU_DEP_1)
	v_fmac_f32_e32 v61, v58, v50
	v_fmac_f32_e32 v61, v59, v51
	s_delay_alu instid0(VALU_DEP_1) | instskip(SKIP_1) | instid1(VALU_DEP_1)
	v_fmac_f32_e32 v61, v60, v52
	s_waitcnt vmcnt(0)
	v_fmac_f32_e32 v61, v69, v53
	s_waitcnt lgkmcnt(0)
	s_delay_alu instid0(VALU_DEP_1) | instskip(NEXT) | instid1(VALU_DEP_1)
	v_fmac_f32_e32 v61, v70, v54
	v_sub_f32_e32 v49, v49, v61
	scratch_store_b32 off, v49, off offset:36
	v_cmpx_lt_u32_e32 8, v0
	s_cbranch_execz .LBB22_129
; %bb.128:
	scratch_load_b32 v49, off, off offset:32
	scratch_store_b32 off, v2, off offset:32
	s_waitcnt vmcnt(0)
	ds_store_b32 v1, v49
.LBB22_129:
	s_or_b32 exec_lo, exec_lo, s0
	s_waitcnt lgkmcnt(0)
	s_waitcnt_vscnt null, 0x0
	s_barrier
	buffer_gl0_inv
	s_clause 0x3
	scratch_load_b128 v[49:52], off, off offset:32
	scratch_load_b128 v[53:56], off, off offset:48
	;; [unrolled: 1-line block ×3, first 2 shown]
	scratch_load_b96 v[61:63], off, off offset:80
	ds_load_2addr_b32 v[64:65], v2 offset0:33 offset1:34
	ds_load_2addr_b32 v[66:67], v2 offset0:35 offset1:36
	;; [unrolled: 1-line block ×4, first 2 shown]
	s_mov_b32 s0, exec_lo
	s_waitcnt vmcnt(3) lgkmcnt(3)
	v_fma_f32 v64, v50, v64, 0
	s_delay_alu instid0(VALU_DEP_1) | instskip(SKIP_4) | instid1(VALU_DEP_1)
	v_fmac_f32_e32 v64, v51, v65
	ds_load_2addr_b32 v[50:51], v2 offset0:41 offset1:42
	s_waitcnt lgkmcnt(3)
	v_fmac_f32_e32 v64, v52, v66
	s_waitcnt vmcnt(2)
	v_fmac_f32_e32 v64, v53, v67
	ds_load_2addr_b32 v[52:53], v2 offset0:43 offset1:44
	s_waitcnt lgkmcnt(3)
	v_fmac_f32_e32 v64, v54, v68
	s_delay_alu instid0(VALU_DEP_1) | instskip(SKIP_4) | instid1(VALU_DEP_1)
	v_fmac_f32_e32 v64, v55, v69
	ds_load_2addr_b32 v[54:55], v2 offset0:45 offset1:46
	s_waitcnt lgkmcnt(3)
	v_fmac_f32_e32 v64, v56, v70
	s_waitcnt vmcnt(1)
	v_fmac_f32_e32 v64, v57, v71
	s_waitcnt lgkmcnt(2)
	s_delay_alu instid0(VALU_DEP_1) | instskip(NEXT) | instid1(VALU_DEP_1)
	v_fmac_f32_e32 v64, v58, v50
	v_fmac_f32_e32 v64, v59, v51
	s_waitcnt lgkmcnt(1)
	s_delay_alu instid0(VALU_DEP_1) | instskip(SKIP_1) | instid1(VALU_DEP_1)
	v_fmac_f32_e32 v64, v60, v52
	s_waitcnt vmcnt(0)
	v_fmac_f32_e32 v64, v61, v53
	s_waitcnt lgkmcnt(0)
	s_delay_alu instid0(VALU_DEP_1) | instskip(NEXT) | instid1(VALU_DEP_1)
	v_fmac_f32_e32 v64, v62, v54
	v_fmac_f32_e32 v64, v63, v55
	s_delay_alu instid0(VALU_DEP_1)
	v_sub_f32_e32 v2, v49, v64
	scratch_store_b32 off, v2, off offset:32
	v_cmpx_lt_u32_e32 7, v0
	s_cbranch_execz .LBB22_131
; %bb.130:
	scratch_load_b32 v2, off, off offset:28
	v_mov_b32_e32 v49, 0
	scratch_store_b32 off, v49, off offset:28
	s_waitcnt vmcnt(0)
	ds_store_b32 v1, v2
.LBB22_131:
	s_or_b32 exec_lo, exec_lo, s0
	s_waitcnt lgkmcnt(0)
	s_waitcnt_vscnt null, 0x0
	s_barrier
	buffer_gl0_inv
	s_clause 0x3
	scratch_load_b128 v[49:52], off, off offset:28
	scratch_load_b128 v[53:56], off, off offset:44
	;; [unrolled: 1-line block ×4, first 2 shown]
	v_mov_b32_e32 v2, 0
	ds_load_b128 v[65:68], v2 offset:128
	ds_load_b128 v[69:72], v2 offset:144
	s_mov_b32 s0, exec_lo
	s_waitcnt vmcnt(3) lgkmcnt(1)
	v_fma_f32 v65, v50, v65, 0
	s_delay_alu instid0(VALU_DEP_1) | instskip(NEXT) | instid1(VALU_DEP_1)
	v_fmac_f32_e32 v65, v51, v66
	v_fmac_f32_e32 v65, v52, v67
	s_waitcnt vmcnt(2)
	s_delay_alu instid0(VALU_DEP_1) | instskip(SKIP_3) | instid1(VALU_DEP_1)
	v_fmac_f32_e32 v65, v53, v68
	ds_load_b128 v[50:53], v2 offset:160
	s_waitcnt lgkmcnt(1)
	v_fmac_f32_e32 v65, v54, v69
	v_fmac_f32_e32 v65, v55, v70
	s_delay_alu instid0(VALU_DEP_1) | instskip(SKIP_4) | instid1(VALU_DEP_1)
	v_fmac_f32_e32 v65, v56, v71
	ds_load_b96 v[54:56], v2 offset:176
	s_waitcnt vmcnt(1)
	v_fmac_f32_e32 v65, v57, v72
	s_waitcnt lgkmcnt(1)
	v_fmac_f32_e32 v65, v58, v50
	s_delay_alu instid0(VALU_DEP_1) | instskip(NEXT) | instid1(VALU_DEP_1)
	v_fmac_f32_e32 v65, v59, v51
	v_fmac_f32_e32 v65, v60, v52
	s_waitcnt vmcnt(0)
	s_delay_alu instid0(VALU_DEP_1) | instskip(SKIP_1) | instid1(VALU_DEP_1)
	v_fmac_f32_e32 v65, v61, v53
	s_waitcnt lgkmcnt(0)
	v_fmac_f32_e32 v65, v62, v54
	s_delay_alu instid0(VALU_DEP_1) | instskip(NEXT) | instid1(VALU_DEP_1)
	v_fmac_f32_e32 v65, v63, v55
	v_fmac_f32_e32 v65, v64, v56
	s_delay_alu instid0(VALU_DEP_1)
	v_sub_f32_e32 v49, v49, v65
	scratch_store_b32 off, v49, off offset:28
	v_cmpx_lt_u32_e32 6, v0
	s_cbranch_execz .LBB22_133
; %bb.132:
	scratch_load_b32 v49, off, off offset:24
	scratch_store_b32 off, v2, off offset:24
	s_waitcnt vmcnt(0)
	ds_store_b32 v1, v49
.LBB22_133:
	s_or_b32 exec_lo, exec_lo, s0
	s_waitcnt lgkmcnt(0)
	s_waitcnt_vscnt null, 0x0
	s_barrier
	buffer_gl0_inv
	s_clause 0x4
	scratch_load_b128 v[49:52], off, off offset:24
	scratch_load_b128 v[53:56], off, off offset:40
	;; [unrolled: 1-line block ×4, first 2 shown]
	scratch_load_b32 v73, off, off offset:88
	ds_load_2addr_b32 v[65:66], v2 offset0:31 offset1:32
	ds_load_2addr_b32 v[67:68], v2 offset0:33 offset1:34
	;; [unrolled: 1-line block ×4, first 2 shown]
	s_mov_b32 s0, exec_lo
	s_waitcnt vmcnt(4) lgkmcnt(3)
	v_fma_f32 v65, v50, v65, 0
	s_delay_alu instid0(VALU_DEP_1) | instskip(SKIP_4) | instid1(VALU_DEP_1)
	v_fmac_f32_e32 v65, v51, v66
	ds_load_2addr_b32 v[50:51], v2 offset0:39 offset1:40
	s_waitcnt lgkmcnt(3)
	v_fmac_f32_e32 v65, v52, v67
	s_waitcnt vmcnt(3)
	v_fmac_f32_e32 v65, v53, v68
	ds_load_2addr_b32 v[52:53], v2 offset0:41 offset1:42
	s_waitcnt lgkmcnt(3)
	v_fmac_f32_e32 v65, v54, v69
	s_delay_alu instid0(VALU_DEP_1) | instskip(SKIP_1) | instid1(VALU_DEP_1)
	v_fmac_f32_e32 v65, v55, v70
	s_waitcnt lgkmcnt(2)
	v_fmac_f32_e32 v65, v56, v71
	s_waitcnt vmcnt(2)
	s_delay_alu instid0(VALU_DEP_1) | instskip(SKIP_4) | instid1(VALU_DEP_1)
	v_fmac_f32_e32 v65, v57, v72
	ds_load_2addr_b32 v[54:55], v2 offset0:43 offset1:44
	ds_load_2addr_b32 v[56:57], v2 offset0:45 offset1:46
	s_waitcnt lgkmcnt(3)
	v_fmac_f32_e32 v65, v58, v50
	v_fmac_f32_e32 v65, v59, v51
	s_waitcnt lgkmcnt(2)
	s_delay_alu instid0(VALU_DEP_1) | instskip(SKIP_1) | instid1(VALU_DEP_1)
	v_fmac_f32_e32 v65, v60, v52
	s_waitcnt vmcnt(1)
	v_fmac_f32_e32 v65, v61, v53
	s_waitcnt lgkmcnt(1)
	s_delay_alu instid0(VALU_DEP_1) | instskip(NEXT) | instid1(VALU_DEP_1)
	v_fmac_f32_e32 v65, v62, v54
	v_fmac_f32_e32 v65, v63, v55
	s_waitcnt lgkmcnt(0)
	s_delay_alu instid0(VALU_DEP_1) | instskip(SKIP_1) | instid1(VALU_DEP_1)
	v_fmac_f32_e32 v65, v64, v56
	s_waitcnt vmcnt(0)
	v_fmac_f32_e32 v65, v73, v57
	s_delay_alu instid0(VALU_DEP_1)
	v_sub_f32_e32 v2, v49, v65
	scratch_store_b32 off, v2, off offset:24
	v_cmpx_lt_u32_e32 5, v0
	s_cbranch_execz .LBB22_135
; %bb.134:
	scratch_load_b32 v2, off, off offset:20
	v_mov_b32_e32 v49, 0
	scratch_store_b32 off, v49, off offset:20
	s_waitcnt vmcnt(0)
	ds_store_b32 v1, v2
.LBB22_135:
	s_or_b32 exec_lo, exec_lo, s0
	s_waitcnt lgkmcnt(0)
	s_waitcnt_vscnt null, 0x0
	s_barrier
	buffer_gl0_inv
	s_clause 0x4
	scratch_load_b128 v[49:52], off, off offset:20
	scratch_load_b128 v[53:56], off, off offset:36
	;; [unrolled: 1-line block ×4, first 2 shown]
	scratch_load_b64 v[73:74], off, off offset:84
	v_mov_b32_e32 v2, 0
	ds_load_2addr_b64 v[65:68], v2 offset0:15 offset1:16
	ds_load_2addr_b64 v[69:72], v2 offset0:17 offset1:18
	s_mov_b32 s0, exec_lo
	s_waitcnt vmcnt(4) lgkmcnt(1)
	v_fma_f32 v65, v50, v65, 0
	s_delay_alu instid0(VALU_DEP_1) | instskip(NEXT) | instid1(VALU_DEP_1)
	v_fmac_f32_e32 v65, v51, v66
	v_fmac_f32_e32 v65, v52, v67
	s_waitcnt vmcnt(3)
	s_delay_alu instid0(VALU_DEP_1) | instskip(SKIP_3) | instid1(VALU_DEP_1)
	v_fmac_f32_e32 v65, v53, v68
	ds_load_2addr_b64 v[50:53], v2 offset0:19 offset1:20
	s_waitcnt lgkmcnt(1)
	v_fmac_f32_e32 v65, v54, v69
	v_fmac_f32_e32 v65, v55, v70
	s_delay_alu instid0(VALU_DEP_1) | instskip(SKIP_1) | instid1(VALU_DEP_1)
	v_fmac_f32_e32 v65, v56, v71
	s_waitcnt vmcnt(2)
	v_fmac_f32_e32 v65, v57, v72
	ds_load_2addr_b64 v[54:57], v2 offset0:21 offset1:22
	s_waitcnt lgkmcnt(1)
	v_fmac_f32_e32 v65, v58, v50
	ds_load_b32 v50, v2 offset:184
	v_fmac_f32_e32 v65, v59, v51
	s_delay_alu instid0(VALU_DEP_1) | instskip(SKIP_1) | instid1(VALU_DEP_1)
	v_fmac_f32_e32 v65, v60, v52
	s_waitcnt vmcnt(1)
	v_fmac_f32_e32 v65, v61, v53
	s_waitcnt lgkmcnt(1)
	s_delay_alu instid0(VALU_DEP_1) | instskip(NEXT) | instid1(VALU_DEP_1)
	v_fmac_f32_e32 v65, v62, v54
	v_fmac_f32_e32 v65, v63, v55
	s_delay_alu instid0(VALU_DEP_1) | instskip(SKIP_1) | instid1(VALU_DEP_1)
	v_fmac_f32_e32 v65, v64, v56
	s_waitcnt vmcnt(0)
	v_fmac_f32_e32 v65, v73, v57
	s_waitcnt lgkmcnt(0)
	s_delay_alu instid0(VALU_DEP_1) | instskip(NEXT) | instid1(VALU_DEP_1)
	v_fmac_f32_e32 v65, v74, v50
	v_sub_f32_e32 v49, v49, v65
	scratch_store_b32 off, v49, off offset:20
	v_cmpx_lt_u32_e32 4, v0
	s_cbranch_execz .LBB22_137
; %bb.136:
	scratch_load_b32 v49, off, off offset:16
	scratch_store_b32 off, v2, off offset:16
	s_waitcnt vmcnt(0)
	ds_store_b32 v1, v49
.LBB22_137:
	s_or_b32 exec_lo, exec_lo, s0
	s_waitcnt lgkmcnt(0)
	s_waitcnt_vscnt null, 0x0
	s_barrier
	buffer_gl0_inv
	s_clause 0x4
	scratch_load_b128 v[49:52], off, off offset:16
	scratch_load_b128 v[53:56], off, off offset:32
	;; [unrolled: 1-line block ×4, first 2 shown]
	scratch_load_b96 v[65:67], off, off offset:80
	ds_load_2addr_b32 v[68:69], v2 offset0:29 offset1:30
	ds_load_2addr_b32 v[70:71], v2 offset0:31 offset1:32
	;; [unrolled: 1-line block ×4, first 2 shown]
	s_mov_b32 s0, exec_lo
	s_waitcnt vmcnt(4) lgkmcnt(3)
	v_fma_f32 v68, v50, v68, 0
	s_delay_alu instid0(VALU_DEP_1) | instskip(SKIP_4) | instid1(VALU_DEP_1)
	v_fmac_f32_e32 v68, v51, v69
	ds_load_2addr_b32 v[50:51], v2 offset0:37 offset1:38
	s_waitcnt lgkmcnt(3)
	v_fmac_f32_e32 v68, v52, v70
	s_waitcnt vmcnt(3)
	v_fmac_f32_e32 v68, v53, v71
	ds_load_2addr_b32 v[52:53], v2 offset0:39 offset1:40
	s_waitcnt lgkmcnt(3)
	v_fmac_f32_e32 v68, v54, v72
	s_delay_alu instid0(VALU_DEP_1) | instskip(SKIP_1) | instid1(VALU_DEP_1)
	v_fmac_f32_e32 v68, v55, v73
	s_waitcnt lgkmcnt(2)
	v_fmac_f32_e32 v68, v56, v74
	s_waitcnt vmcnt(2)
	s_delay_alu instid0(VALU_DEP_1) | instskip(SKIP_4) | instid1(VALU_DEP_1)
	v_fmac_f32_e32 v68, v57, v75
	ds_load_2addr_b32 v[54:55], v2 offset0:41 offset1:42
	ds_load_2addr_b32 v[56:57], v2 offset0:43 offset1:44
	s_waitcnt lgkmcnt(3)
	v_fmac_f32_e32 v68, v58, v50
	v_fmac_f32_e32 v68, v59, v51
	ds_load_2addr_b32 v[50:51], v2 offset0:45 offset1:46
	s_waitcnt lgkmcnt(3)
	v_fmac_f32_e32 v68, v60, v52
	s_waitcnt vmcnt(1)
	s_delay_alu instid0(VALU_DEP_1) | instskip(SKIP_1) | instid1(VALU_DEP_1)
	v_fmac_f32_e32 v68, v61, v53
	s_waitcnt lgkmcnt(2)
	v_fmac_f32_e32 v68, v62, v54
	s_delay_alu instid0(VALU_DEP_1) | instskip(SKIP_1) | instid1(VALU_DEP_1)
	v_fmac_f32_e32 v68, v63, v55
	s_waitcnt lgkmcnt(1)
	v_fmac_f32_e32 v68, v64, v56
	s_waitcnt vmcnt(0)
	s_delay_alu instid0(VALU_DEP_1) | instskip(SKIP_1) | instid1(VALU_DEP_1)
	v_fmac_f32_e32 v68, v65, v57
	s_waitcnt lgkmcnt(0)
	v_fmac_f32_e32 v68, v66, v50
	s_delay_alu instid0(VALU_DEP_1) | instskip(NEXT) | instid1(VALU_DEP_1)
	v_fmac_f32_e32 v68, v67, v51
	v_sub_f32_e32 v2, v49, v68
	scratch_store_b32 off, v2, off offset:16
	v_cmpx_lt_u32_e32 3, v0
	s_cbranch_execz .LBB22_139
; %bb.138:
	scratch_load_b32 v2, off, off offset:12
	v_mov_b32_e32 v49, 0
	scratch_store_b32 off, v49, off offset:12
	s_waitcnt vmcnt(0)
	ds_store_b32 v1, v2
.LBB22_139:
	s_or_b32 exec_lo, exec_lo, s0
	s_waitcnt lgkmcnt(0)
	s_waitcnt_vscnt null, 0x0
	s_barrier
	buffer_gl0_inv
	s_clause 0x4
	scratch_load_b128 v[49:52], off, off offset:12
	scratch_load_b128 v[53:56], off, off offset:28
	;; [unrolled: 1-line block ×5, first 2 shown]
	v_mov_b32_e32 v2, 0
	ds_load_b128 v[69:72], v2 offset:112
	ds_load_b128 v[73:76], v2 offset:128
	s_mov_b32 s0, exec_lo
	s_waitcnt vmcnt(4) lgkmcnt(1)
	v_fma_f32 v69, v50, v69, 0
	s_delay_alu instid0(VALU_DEP_1) | instskip(NEXT) | instid1(VALU_DEP_1)
	v_fmac_f32_e32 v69, v51, v70
	v_fmac_f32_e32 v69, v52, v71
	s_waitcnt vmcnt(3)
	s_delay_alu instid0(VALU_DEP_1) | instskip(SKIP_3) | instid1(VALU_DEP_1)
	v_fmac_f32_e32 v69, v53, v72
	ds_load_b128 v[50:53], v2 offset:144
	s_waitcnt lgkmcnt(1)
	v_fmac_f32_e32 v69, v54, v73
	v_fmac_f32_e32 v69, v55, v74
	s_delay_alu instid0(VALU_DEP_1) | instskip(SKIP_1) | instid1(VALU_DEP_1)
	v_fmac_f32_e32 v69, v56, v75
	s_waitcnt vmcnt(2)
	v_fmac_f32_e32 v69, v57, v76
	ds_load_b128 v[54:57], v2 offset:160
	s_waitcnt lgkmcnt(1)
	v_fmac_f32_e32 v69, v58, v50
	s_delay_alu instid0(VALU_DEP_1) | instskip(NEXT) | instid1(VALU_DEP_1)
	v_fmac_f32_e32 v69, v59, v51
	v_fmac_f32_e32 v69, v60, v52
	ds_load_b96 v[50:52], v2 offset:176
	s_waitcnt vmcnt(1)
	v_fmac_f32_e32 v69, v61, v53
	s_waitcnt lgkmcnt(1)
	s_delay_alu instid0(VALU_DEP_1) | instskip(NEXT) | instid1(VALU_DEP_1)
	v_fmac_f32_e32 v69, v62, v54
	v_fmac_f32_e32 v69, v63, v55
	s_delay_alu instid0(VALU_DEP_1) | instskip(SKIP_1) | instid1(VALU_DEP_1)
	v_fmac_f32_e32 v69, v64, v56
	s_waitcnt vmcnt(0)
	v_fmac_f32_e32 v69, v65, v57
	s_waitcnt lgkmcnt(0)
	s_delay_alu instid0(VALU_DEP_1) | instskip(NEXT) | instid1(VALU_DEP_1)
	v_fmac_f32_e32 v69, v66, v50
	v_fmac_f32_e32 v69, v67, v51
	s_delay_alu instid0(VALU_DEP_1) | instskip(NEXT) | instid1(VALU_DEP_1)
	v_fmac_f32_e32 v69, v68, v52
	v_sub_f32_e32 v49, v49, v69
	scratch_store_b32 off, v49, off offset:12
	v_cmpx_lt_u32_e32 2, v0
	s_cbranch_execz .LBB22_141
; %bb.140:
	scratch_load_b32 v49, off, off offset:8
	scratch_store_b32 off, v2, off offset:8
	s_waitcnt vmcnt(0)
	ds_store_b32 v1, v49
.LBB22_141:
	s_or_b32 exec_lo, exec_lo, s0
	s_waitcnt lgkmcnt(0)
	s_waitcnt_vscnt null, 0x0
	s_barrier
	buffer_gl0_inv
	s_clause 0x5
	scratch_load_b128 v[49:52], off, off offset:8
	scratch_load_b128 v[53:56], off, off offset:24
	;; [unrolled: 1-line block ×5, first 2 shown]
	scratch_load_b32 v77, off, off offset:88
	ds_load_2addr_b32 v[69:70], v2 offset0:27 offset1:28
	ds_load_2addr_b32 v[71:72], v2 offset0:29 offset1:30
	ds_load_2addr_b32 v[73:74], v2 offset0:31 offset1:32
	ds_load_2addr_b32 v[75:76], v2 offset0:33 offset1:34
	s_mov_b32 s0, exec_lo
	s_waitcnt vmcnt(5) lgkmcnt(3)
	v_fma_f32 v69, v50, v69, 0
	s_delay_alu instid0(VALU_DEP_1) | instskip(SKIP_4) | instid1(VALU_DEP_1)
	v_fmac_f32_e32 v69, v51, v70
	ds_load_2addr_b32 v[50:51], v2 offset0:35 offset1:36
	s_waitcnt lgkmcnt(3)
	v_fmac_f32_e32 v69, v52, v71
	s_waitcnt vmcnt(4)
	v_fmac_f32_e32 v69, v53, v72
	ds_load_2addr_b32 v[52:53], v2 offset0:37 offset1:38
	s_waitcnt lgkmcnt(3)
	v_fmac_f32_e32 v69, v54, v73
	s_delay_alu instid0(VALU_DEP_1) | instskip(SKIP_1) | instid1(VALU_DEP_1)
	v_fmac_f32_e32 v69, v55, v74
	s_waitcnt lgkmcnt(2)
	v_fmac_f32_e32 v69, v56, v75
	s_waitcnt vmcnt(3)
	s_delay_alu instid0(VALU_DEP_1) | instskip(SKIP_4) | instid1(VALU_DEP_1)
	v_fmac_f32_e32 v69, v57, v76
	ds_load_2addr_b32 v[54:55], v2 offset0:39 offset1:40
	ds_load_2addr_b32 v[56:57], v2 offset0:41 offset1:42
	s_waitcnt lgkmcnt(3)
	v_fmac_f32_e32 v69, v58, v50
	v_fmac_f32_e32 v69, v59, v51
	ds_load_2addr_b32 v[50:51], v2 offset0:43 offset1:44
	s_waitcnt lgkmcnt(3)
	v_fmac_f32_e32 v69, v60, v52
	s_waitcnt vmcnt(2)
	s_delay_alu instid0(VALU_DEP_1) | instskip(SKIP_3) | instid1(VALU_DEP_1)
	v_fmac_f32_e32 v69, v61, v53
	ds_load_2addr_b32 v[52:53], v2 offset0:45 offset1:46
	s_waitcnt lgkmcnt(3)
	v_fmac_f32_e32 v69, v62, v54
	v_fmac_f32_e32 v69, v63, v55
	s_waitcnt lgkmcnt(2)
	s_delay_alu instid0(VALU_DEP_1) | instskip(SKIP_1) | instid1(VALU_DEP_1)
	v_fmac_f32_e32 v69, v64, v56
	s_waitcnt vmcnt(1)
	v_fmac_f32_e32 v69, v65, v57
	s_waitcnt lgkmcnt(1)
	s_delay_alu instid0(VALU_DEP_1) | instskip(NEXT) | instid1(VALU_DEP_1)
	v_fmac_f32_e32 v69, v66, v50
	v_fmac_f32_e32 v69, v67, v51
	s_waitcnt lgkmcnt(0)
	s_delay_alu instid0(VALU_DEP_1) | instskip(SKIP_1) | instid1(VALU_DEP_1)
	v_fmac_f32_e32 v69, v68, v52
	s_waitcnt vmcnt(0)
	v_fmac_f32_e32 v69, v77, v53
	s_delay_alu instid0(VALU_DEP_1)
	v_sub_f32_e32 v2, v49, v69
	scratch_store_b32 off, v2, off offset:8
	v_cmpx_lt_u32_e32 1, v0
	s_cbranch_execz .LBB22_143
; %bb.142:
	scratch_load_b32 v2, off, off offset:4
	v_mov_b32_e32 v49, 0
	scratch_store_b32 off, v49, off offset:4
	s_waitcnt vmcnt(0)
	ds_store_b32 v1, v2
.LBB22_143:
	s_or_b32 exec_lo, exec_lo, s0
	s_waitcnt lgkmcnt(0)
	s_waitcnt_vscnt null, 0x0
	s_barrier
	buffer_gl0_inv
	s_clause 0x5
	scratch_load_b128 v[50:53], off, off offset:4
	scratch_load_b128 v[54:57], off, off offset:20
	scratch_load_b128 v[58:61], off, off offset:36
	scratch_load_b128 v[62:65], off, off offset:52
	scratch_load_b128 v[66:69], off, off offset:68
	scratch_load_b64 v[78:79], off, off offset:84
	v_mov_b32_e32 v49, 0
	ds_load_2addr_b64 v[70:73], v49 offset0:13 offset1:14
	ds_load_2addr_b64 v[74:77], v49 offset0:15 offset1:16
	s_mov_b32 s0, exec_lo
	s_waitcnt vmcnt(5) lgkmcnt(1)
	v_fma_f32 v2, v51, v70, 0
	s_delay_alu instid0(VALU_DEP_1) | instskip(NEXT) | instid1(VALU_DEP_1)
	v_fmac_f32_e32 v2, v52, v71
	v_fmac_f32_e32 v2, v53, v72
	s_waitcnt vmcnt(4)
	s_delay_alu instid0(VALU_DEP_1) | instskip(SKIP_3) | instid1(VALU_DEP_1)
	v_fmac_f32_e32 v2, v54, v73
	ds_load_2addr_b64 v[51:54], v49 offset0:17 offset1:18
	s_waitcnt lgkmcnt(1)
	v_fmac_f32_e32 v2, v55, v74
	v_fmac_f32_e32 v2, v56, v75
	s_delay_alu instid0(VALU_DEP_1) | instskip(SKIP_1) | instid1(VALU_DEP_1)
	v_fmac_f32_e32 v2, v57, v76
	s_waitcnt vmcnt(3)
	v_fmac_f32_e32 v2, v58, v77
	ds_load_2addr_b64 v[55:58], v49 offset0:19 offset1:20
	s_waitcnt lgkmcnt(1)
	v_fmac_f32_e32 v2, v59, v51
	s_delay_alu instid0(VALU_DEP_1) | instskip(NEXT) | instid1(VALU_DEP_1)
	v_fmac_f32_e32 v2, v60, v52
	v_fmac_f32_e32 v2, v61, v53
	s_waitcnt vmcnt(2)
	s_delay_alu instid0(VALU_DEP_1)
	v_fmac_f32_e32 v2, v62, v54
	ds_load_2addr_b64 v[51:54], v49 offset0:21 offset1:22
	s_waitcnt lgkmcnt(1)
	v_fmac_f32_e32 v2, v63, v55
	ds_load_b32 v55, v49 offset:184
	v_fmac_f32_e32 v2, v64, v56
	s_delay_alu instid0(VALU_DEP_1) | instskip(SKIP_1) | instid1(VALU_DEP_1)
	v_fmac_f32_e32 v2, v65, v57
	s_waitcnt vmcnt(1)
	v_fmac_f32_e32 v2, v66, v58
	s_waitcnt lgkmcnt(1)
	s_delay_alu instid0(VALU_DEP_1) | instskip(NEXT) | instid1(VALU_DEP_1)
	v_fmac_f32_e32 v2, v67, v51
	v_fmac_f32_e32 v2, v68, v52
	s_delay_alu instid0(VALU_DEP_1) | instskip(SKIP_1) | instid1(VALU_DEP_1)
	v_fmac_f32_e32 v2, v69, v53
	s_waitcnt vmcnt(0)
	v_fmac_f32_e32 v2, v78, v54
	s_waitcnt lgkmcnt(0)
	s_delay_alu instid0(VALU_DEP_1) | instskip(NEXT) | instid1(VALU_DEP_1)
	v_fmac_f32_e32 v2, v79, v55
	v_sub_f32_e32 v2, v50, v2
	scratch_store_b32 off, v2, off offset:4
	v_cmpx_ne_u32_e32 0, v0
	s_cbranch_execz .LBB22_145
; %bb.144:
	scratch_load_b32 v0, off, off
	scratch_store_b32 off, v49, off
	s_waitcnt vmcnt(0)
	ds_store_b32 v1, v0
.LBB22_145:
	s_or_b32 exec_lo, exec_lo, s0
	s_waitcnt lgkmcnt(0)
	s_waitcnt_vscnt null, 0x0
	s_barrier
	buffer_gl0_inv
	s_clause 0x5
	scratch_load_b128 v[50:53], off, off
	scratch_load_b128 v[54:57], off, off offset:16
	scratch_load_b128 v[58:61], off, off offset:32
	;; [unrolled: 1-line block ×4, first 2 shown]
	scratch_load_b96 v[0:2], off, off offset:80
	ds_load_2addr_b32 v[70:71], v49 offset0:25 offset1:26
	ds_load_2addr_b32 v[72:73], v49 offset0:27 offset1:28
	ds_load_2addr_b32 v[74:75], v49 offset0:29 offset1:30
	ds_load_2addr_b32 v[76:77], v49 offset0:31 offset1:32
	s_and_b32 vcc_lo, exec_lo, s16
	s_waitcnt vmcnt(5) lgkmcnt(3)
	v_fma_f32 v70, v51, v70, 0
	s_delay_alu instid0(VALU_DEP_1) | instskip(SKIP_4) | instid1(VALU_DEP_1)
	v_fmac_f32_e32 v70, v52, v71
	ds_load_2addr_b32 v[51:52], v49 offset0:33 offset1:34
	s_waitcnt lgkmcnt(3)
	v_fmac_f32_e32 v70, v53, v72
	s_waitcnt vmcnt(4)
	v_fmac_f32_e32 v70, v54, v73
	ds_load_2addr_b32 v[53:54], v49 offset0:35 offset1:36
	s_waitcnt lgkmcnt(3)
	v_fmac_f32_e32 v70, v55, v74
	s_delay_alu instid0(VALU_DEP_1) | instskip(SKIP_1) | instid1(VALU_DEP_1)
	v_fmac_f32_e32 v70, v56, v75
	s_waitcnt lgkmcnt(2)
	v_fmac_f32_e32 v70, v57, v76
	s_waitcnt vmcnt(3)
	s_delay_alu instid0(VALU_DEP_1) | instskip(SKIP_4) | instid1(VALU_DEP_1)
	v_fmac_f32_e32 v70, v58, v77
	ds_load_2addr_b32 v[55:56], v49 offset0:37 offset1:38
	ds_load_2addr_b32 v[57:58], v49 offset0:39 offset1:40
	s_waitcnt lgkmcnt(3)
	v_fmac_f32_e32 v70, v59, v51
	v_fmac_f32_e32 v70, v60, v52
	ds_load_2addr_b32 v[51:52], v49 offset0:41 offset1:42
	s_waitcnt lgkmcnt(3)
	v_fmac_f32_e32 v70, v61, v53
	s_waitcnt vmcnt(2)
	s_delay_alu instid0(VALU_DEP_1) | instskip(SKIP_3) | instid1(VALU_DEP_1)
	v_fmac_f32_e32 v70, v62, v54
	ds_load_2addr_b32 v[53:54], v49 offset0:43 offset1:44
	s_waitcnt lgkmcnt(3)
	v_fmac_f32_e32 v70, v63, v55
	v_fmac_f32_e32 v70, v64, v56
	ds_load_2addr_b32 v[55:56], v49 offset0:45 offset1:46
	s_waitcnt lgkmcnt(3)
	v_fmac_f32_e32 v70, v65, v57
	s_waitcnt vmcnt(1)
	s_delay_alu instid0(VALU_DEP_1) | instskip(SKIP_1) | instid1(VALU_DEP_1)
	v_fmac_f32_e32 v70, v66, v58
	s_waitcnt lgkmcnt(2)
	v_fmac_f32_e32 v70, v67, v51
	s_delay_alu instid0(VALU_DEP_1) | instskip(SKIP_1) | instid1(VALU_DEP_1)
	v_fmac_f32_e32 v70, v68, v52
	s_waitcnt lgkmcnt(1)
	v_fmac_f32_e32 v70, v69, v53
	s_waitcnt vmcnt(0)
	s_delay_alu instid0(VALU_DEP_1) | instskip(SKIP_1) | instid1(VALU_DEP_1)
	v_fmac_f32_e32 v70, v0, v54
	s_waitcnt lgkmcnt(0)
	v_fmac_f32_e32 v70, v1, v55
	s_delay_alu instid0(VALU_DEP_1) | instskip(NEXT) | instid1(VALU_DEP_1)
	v_fmac_f32_e32 v70, v2, v56
	v_sub_f32_e32 v0, v50, v70
	scratch_store_b32 off, v0, off
	s_cbranch_vccz .LBB22_191
; %bb.146:
	v_dual_mov_b32 v50, s13 :: v_dual_mov_b32 v49, s12
	s_mov_b32 s0, exec_lo
	flat_load_b32 v0, v[49:50] offset:84
	s_waitcnt vmcnt(0) lgkmcnt(0)
	v_cmpx_ne_u32_e32 22, v0
	s_cbranch_execz .LBB22_148
; %bb.147:
	v_lshl_add_u32 v0, v0, 2, 0
	scratch_load_b32 v2, v0, off offset:-4
	s_waitcnt vmcnt(0)
	scratch_store_b32 off, v2, off offset:84
	scratch_store_b32 v0, v1, off offset:-4
.LBB22_148:
	s_or_b32 exec_lo, exec_lo, s0
	v_dual_mov_b32 v0, s12 :: v_dual_mov_b32 v1, s13
	s_mov_b32 s0, exec_lo
	flat_load_b32 v0, v[0:1] offset:80
	s_waitcnt vmcnt(0) lgkmcnt(0)
	v_cmpx_ne_u32_e32 21, v0
	s_cbranch_execz .LBB22_150
; %bb.149:
	v_lshl_add_u32 v0, v0, 2, 0
	scratch_load_b32 v1, v0, off offset:-4
	scratch_load_b32 v2, off, off offset:80
	s_waitcnt vmcnt(1)
	scratch_store_b32 off, v1, off offset:80
	s_waitcnt vmcnt(0)
	scratch_store_b32 v0, v2, off offset:-4
.LBB22_150:
	s_or_b32 exec_lo, exec_lo, s0
	v_dual_mov_b32 v0, s12 :: v_dual_mov_b32 v1, s13
	s_mov_b32 s0, exec_lo
	flat_load_b32 v0, v[0:1] offset:76
	s_waitcnt vmcnt(0) lgkmcnt(0)
	v_cmpx_ne_u32_e32 20, v0
	s_cbranch_execz .LBB22_152
; %bb.151:
	v_lshl_add_u32 v0, v0, 2, 0
	scratch_load_b32 v1, v0, off offset:-4
	scratch_load_b32 v2, off, off offset:76
	s_waitcnt vmcnt(1)
	scratch_store_b32 off, v1, off offset:76
	s_waitcnt vmcnt(0)
	scratch_store_b32 v0, v2, off offset:-4
.LBB22_152:
	;; [unrolled: 16-line block ×20, first 2 shown]
	s_or_b32 exec_lo, exec_lo, s0
	v_dual_mov_b32 v0, s12 :: v_dual_mov_b32 v1, s13
	s_mov_b32 s0, exec_lo
	flat_load_b32 v1, v[0:1]
	scratch_load_b32 v0, off, off
	s_waitcnt vmcnt(1) lgkmcnt(0)
	v_cmpx_ne_u32_e32 1, v1
	s_cbranch_execz .LBB22_190
; %bb.189:
	v_lshl_add_u32 v1, v1, 2, 0
	scratch_load_b32 v2, v1, off offset:-4
	s_waitcnt vmcnt(0)
	scratch_store_b32 off, v2, off
	scratch_store_b32 v1, v0, off offset:-4
	scratch_load_b32 v0, off, off
.LBB22_190:
	s_or_b32 exec_lo, exec_lo, s0
.LBB22_191:
	s_clause 0x5
	scratch_load_b128 v[49:52], off, off offset:4
	scratch_load_b128 v[53:56], off, off offset:20
	;; [unrolled: 1-line block ×5, first 2 shown]
	scratch_load_b64 v[1:2], off, off offset:84
	s_waitcnt vmcnt(6)
	global_store_b32 v[3:4], v0, off
	s_waitcnt vmcnt(5)
	s_clause 0x3
	global_store_b32 v[5:6], v49, off
	global_store_b32 v[7:8], v50, off
	global_store_b32 v[9:10], v51, off
	global_store_b32 v[11:12], v52, off
	s_waitcnt vmcnt(4)
	s_clause 0x3
	global_store_b32 v[13:14], v53, off
	global_store_b32 v[15:16], v54, off
	global_store_b32 v[17:18], v55, off
	;; [unrolled: 6-line block ×5, first 2 shown]
	global_store_b32 v[43:44], v68, off
	s_waitcnt vmcnt(0)
	s_clause 0x1
	global_store_b32 v[45:46], v1, off
	global_store_b32 v[47:48], v2, off
	s_endpgm
	.section	.rodata,"a",@progbits
	.p2align	6, 0x0
	.amdhsa_kernel _ZN9rocsolver6v33100L18getri_kernel_smallILi23EfPfEEvT1_iilPiilS4_bb
		.amdhsa_group_segment_fixed_size 188
		.amdhsa_private_segment_fixed_size 96
		.amdhsa_kernarg_size 60
		.amdhsa_user_sgpr_count 15
		.amdhsa_user_sgpr_dispatch_ptr 0
		.amdhsa_user_sgpr_queue_ptr 0
		.amdhsa_user_sgpr_kernarg_segment_ptr 1
		.amdhsa_user_sgpr_dispatch_id 0
		.amdhsa_user_sgpr_private_segment_size 0
		.amdhsa_wavefront_size32 1
		.amdhsa_uses_dynamic_stack 0
		.amdhsa_enable_private_segment 1
		.amdhsa_system_sgpr_workgroup_id_x 1
		.amdhsa_system_sgpr_workgroup_id_y 0
		.amdhsa_system_sgpr_workgroup_id_z 0
		.amdhsa_system_sgpr_workgroup_info 0
		.amdhsa_system_vgpr_workitem_id 0
		.amdhsa_next_free_vgpr 80
		.amdhsa_next_free_sgpr 18
		.amdhsa_reserve_vcc 1
		.amdhsa_float_round_mode_32 0
		.amdhsa_float_round_mode_16_64 0
		.amdhsa_float_denorm_mode_32 3
		.amdhsa_float_denorm_mode_16_64 3
		.amdhsa_dx10_clamp 1
		.amdhsa_ieee_mode 1
		.amdhsa_fp16_overflow 0
		.amdhsa_workgroup_processor_mode 1
		.amdhsa_memory_ordered 1
		.amdhsa_forward_progress 0
		.amdhsa_shared_vgpr_count 0
		.amdhsa_exception_fp_ieee_invalid_op 0
		.amdhsa_exception_fp_denorm_src 0
		.amdhsa_exception_fp_ieee_div_zero 0
		.amdhsa_exception_fp_ieee_overflow 0
		.amdhsa_exception_fp_ieee_underflow 0
		.amdhsa_exception_fp_ieee_inexact 0
		.amdhsa_exception_int_div_zero 0
	.end_amdhsa_kernel
	.section	.text._ZN9rocsolver6v33100L18getri_kernel_smallILi23EfPfEEvT1_iilPiilS4_bb,"axG",@progbits,_ZN9rocsolver6v33100L18getri_kernel_smallILi23EfPfEEvT1_iilPiilS4_bb,comdat
.Lfunc_end22:
	.size	_ZN9rocsolver6v33100L18getri_kernel_smallILi23EfPfEEvT1_iilPiilS4_bb, .Lfunc_end22-_ZN9rocsolver6v33100L18getri_kernel_smallILi23EfPfEEvT1_iilPiilS4_bb
                                        ; -- End function
	.section	.AMDGPU.csdata,"",@progbits
; Kernel info:
; codeLenInByte = 13104
; NumSgprs: 20
; NumVgprs: 80
; ScratchSize: 96
; MemoryBound: 0
; FloatMode: 240
; IeeeMode: 1
; LDSByteSize: 188 bytes/workgroup (compile time only)
; SGPRBlocks: 2
; VGPRBlocks: 9
; NumSGPRsForWavesPerEU: 20
; NumVGPRsForWavesPerEU: 80
; Occupancy: 16
; WaveLimiterHint : 1
; COMPUTE_PGM_RSRC2:SCRATCH_EN: 1
; COMPUTE_PGM_RSRC2:USER_SGPR: 15
; COMPUTE_PGM_RSRC2:TRAP_HANDLER: 0
; COMPUTE_PGM_RSRC2:TGID_X_EN: 1
; COMPUTE_PGM_RSRC2:TGID_Y_EN: 0
; COMPUTE_PGM_RSRC2:TGID_Z_EN: 0
; COMPUTE_PGM_RSRC2:TIDIG_COMP_CNT: 0
	.section	.text._ZN9rocsolver6v33100L18getri_kernel_smallILi24EfPfEEvT1_iilPiilS4_bb,"axG",@progbits,_ZN9rocsolver6v33100L18getri_kernel_smallILi24EfPfEEvT1_iilPiilS4_bb,comdat
	.globl	_ZN9rocsolver6v33100L18getri_kernel_smallILi24EfPfEEvT1_iilPiilS4_bb ; -- Begin function _ZN9rocsolver6v33100L18getri_kernel_smallILi24EfPfEEvT1_iilPiilS4_bb
	.p2align	8
	.type	_ZN9rocsolver6v33100L18getri_kernel_smallILi24EfPfEEvT1_iilPiilS4_bb,@function
_ZN9rocsolver6v33100L18getri_kernel_smallILi24EfPfEEvT1_iilPiilS4_bb: ; @_ZN9rocsolver6v33100L18getri_kernel_smallILi24EfPfEEvT1_iilPiilS4_bb
; %bb.0:
	s_mov_b32 s2, exec_lo
	v_cmpx_gt_u32_e32 24, v0
	s_cbranch_execz .LBB23_104
; %bb.1:
	s_clause 0x2
	s_load_b32 s17, s[0:1], 0x38
	s_load_b128 s[8:11], s[0:1], 0x10
	s_load_b128 s[4:7], s[0:1], 0x28
	s_mov_b32 s14, s15
                                        ; implicit-def: $sgpr12_sgpr13
	s_waitcnt lgkmcnt(0)
	s_bitcmp1_b32 s17, 8
	s_cselect_b32 s16, -1, 0
	s_bfe_u32 s2, s17, 0x10008
	s_ashr_i32 s15, s15, 31
	s_cmp_eq_u32 s2, 0
	s_cbranch_scc1 .LBB23_3
; %bb.2:
	s_load_b32 s2, s[0:1], 0x20
	s_mul_i32 s3, s14, s5
	s_mul_hi_u32 s5, s14, s4
	s_mul_i32 s12, s15, s4
	s_add_i32 s3, s5, s3
	s_mul_i32 s4, s14, s4
	s_add_i32 s5, s3, s12
	s_delay_alu instid0(SALU_CYCLE_1)
	s_lshl_b64 s[4:5], s[4:5], 2
	s_waitcnt lgkmcnt(0)
	s_ashr_i32 s3, s2, 31
	s_add_u32 s4, s10, s4
	s_addc_u32 s5, s11, s5
	s_lshl_b64 s[2:3], s[2:3], 2
	s_delay_alu instid0(SALU_CYCLE_1)
	s_add_u32 s12, s4, s2
	s_addc_u32 s13, s5, s3
.LBB23_3:
	s_load_b128 s[0:3], s[0:1], 0x0
	s_mul_i32 s4, s14, s9
	s_mul_hi_u32 s5, s14, s8
	s_mul_i32 s9, s15, s8
	s_add_i32 s5, s5, s4
	s_mul_i32 s4, s14, s8
	s_add_i32 s5, s5, s9
	v_lshlrev_b32_e32 v1, 2, v0
	s_lshl_b64 s[4:5], s[4:5], 2
	s_waitcnt lgkmcnt(0)
	v_add3_u32 v2, s3, s3, v0
	s_ashr_i32 s9, s2, 31
	s_mov_b32 s8, s2
	s_add_u32 s2, s0, s4
	s_addc_u32 s5, s1, s5
	v_add_nc_u32_e32 v8, s3, v2
	s_lshl_b64 s[0:1], s[8:9], 2
	v_ashrrev_i32_e32 v3, 31, v2
	s_add_u32 s0, s2, s0
	s_addc_u32 s1, s5, s1
	v_add_nc_u32_e32 v10, s3, v8
	v_add_co_u32 v4, s2, s0, v1
	s_mov_b32 s4, s3
	s_ashr_i32 s5, s3, 31
	s_delay_alu instid0(VALU_DEP_2) | instskip(SKIP_3) | instid1(VALU_DEP_4)
	v_add_nc_u32_e32 v14, s3, v10
	v_add_co_ci_u32_e64 v5, null, s1, 0, s2
	v_lshlrev_b64 v[2:3], 2, v[2:3]
	v_ashrrev_i32_e32 v9, 31, v8
	v_add_nc_u32_e32 v16, s3, v14
	s_lshl_b64 s[4:5], s[4:5], 2
	v_ashrrev_i32_e32 v11, 31, v10
	v_add_co_u32 v6, vcc_lo, v4, s4
	s_delay_alu instid0(VALU_DEP_3)
	v_add_nc_u32_e32 v18, s3, v16
	v_add_co_ci_u32_e32 v7, vcc_lo, s5, v5, vcc_lo
	v_lshlrev_b64 v[12:13], 2, v[8:9]
	v_add_co_u32 v8, vcc_lo, s0, v2
	v_add_co_ci_u32_e32 v9, vcc_lo, s1, v3, vcc_lo
	v_lshlrev_b64 v[2:3], 2, v[10:11]
	v_ashrrev_i32_e32 v15, 31, v14
	v_add_nc_u32_e32 v20, s3, v18
	v_add_co_u32 v10, vcc_lo, s0, v12
	v_ashrrev_i32_e32 v17, 31, v16
	v_add_co_ci_u32_e32 v11, vcc_lo, s1, v13, vcc_lo
	v_lshlrev_b64 v[14:15], 2, v[14:15]
	v_add_co_u32 v12, vcc_lo, s0, v2
	v_add_nc_u32_e32 v22, s3, v20
	v_add_co_ci_u32_e32 v13, vcc_lo, s1, v3, vcc_lo
	v_lshlrev_b64 v[2:3], 2, v[16:17]
	v_ashrrev_i32_e32 v19, 31, v18
	v_add_co_u32 v14, vcc_lo, s0, v14
	v_ashrrev_i32_e32 v21, 31, v20
	v_add_nc_u32_e32 v24, s3, v22
	v_add_co_ci_u32_e32 v15, vcc_lo, s1, v15, vcc_lo
	v_lshlrev_b64 v[18:19], 2, v[18:19]
	v_add_co_u32 v16, vcc_lo, s0, v2
	v_add_co_ci_u32_e32 v17, vcc_lo, s1, v3, vcc_lo
	v_lshlrev_b64 v[2:3], 2, v[20:21]
	v_add_nc_u32_e32 v26, s3, v24
	v_add_co_u32 v18, vcc_lo, s0, v18
	v_ashrrev_i32_e32 v23, 31, v22
	v_add_co_ci_u32_e32 v19, vcc_lo, s1, v19, vcc_lo
	s_delay_alu instid0(VALU_DEP_4)
	v_add_nc_u32_e32 v28, s3, v26
	v_add_co_u32 v20, vcc_lo, s0, v2
	v_add_co_ci_u32_e32 v21, vcc_lo, s1, v3, vcc_lo
	v_lshlrev_b64 v[2:3], 2, v[22:23]
	v_ashrrev_i32_e32 v25, 31, v24
	v_add_nc_u32_e32 v30, s3, v28
	v_ashrrev_i32_e32 v27, 31, v26
	v_ashrrev_i32_e32 v29, 31, v28
	global_load_b32 v52, v1, s[0:1]
	v_lshlrev_b64 v[24:25], 2, v[24:25]
	v_add_co_u32 v22, vcc_lo, s0, v2
	v_add_nc_u32_e32 v32, s3, v30
	v_add_co_ci_u32_e32 v23, vcc_lo, s1, v3, vcc_lo
	v_lshlrev_b64 v[2:3], 2, v[26:27]
	v_add_co_u32 v24, vcc_lo, s0, v24
	v_ashrrev_i32_e32 v31, 31, v30
	v_add_nc_u32_e32 v34, s3, v32
	v_add_co_ci_u32_e32 v25, vcc_lo, s1, v25, vcc_lo
	v_lshlrev_b64 v[28:29], 2, v[28:29]
	v_add_co_u32 v26, vcc_lo, s0, v2
	v_add_co_ci_u32_e32 v27, vcc_lo, s1, v3, vcc_lo
	v_lshlrev_b64 v[2:3], 2, v[30:31]
	v_ashrrev_i32_e32 v33, 31, v32
	v_add_nc_u32_e32 v36, s3, v34
	v_add_co_u32 v28, vcc_lo, s0, v28
	v_ashrrev_i32_e32 v35, 31, v34
	v_add_co_ci_u32_e32 v29, vcc_lo, s1, v29, vcc_lo
	v_lshlrev_b64 v[32:33], 2, v[32:33]
	v_add_co_u32 v30, vcc_lo, s0, v2
	v_ashrrev_i32_e32 v37, 31, v36
	v_add_co_ci_u32_e32 v31, vcc_lo, s1, v3, vcc_lo
	v_lshlrev_b64 v[2:3], 2, v[34:35]
	v_add_nc_u32_e32 v39, s3, v36
	v_add_co_u32 v32, vcc_lo, s0, v32
	v_lshlrev_b64 v[37:38], 2, v[36:37]
	v_add_co_ci_u32_e32 v33, vcc_lo, s1, v33, vcc_lo
	v_add_co_u32 v34, vcc_lo, s0, v2
	v_ashrrev_i32_e32 v40, 31, v39
	v_add_nc_u32_e32 v2, s3, v39
	v_add_co_ci_u32_e32 v35, vcc_lo, s1, v3, vcc_lo
	v_add_co_u32 v36, vcc_lo, s0, v37
	v_add_co_ci_u32_e32 v37, vcc_lo, s1, v38, vcc_lo
	v_lshlrev_b64 v[38:39], 2, v[39:40]
	v_add_nc_u32_e32 v40, s3, v2
	v_ashrrev_i32_e32 v3, 31, v2
	s_clause 0xf
	global_load_b32 v53, v[6:7], off
	global_load_b32 v54, v[8:9], off
	;; [unrolled: 1-line block ×16, first 2 shown]
	s_bitcmp0_b32 s17, 0
	v_add_nc_u32_e32 v42, s3, v40
	v_lshlrev_b64 v[2:3], 2, v[2:3]
	v_ashrrev_i32_e32 v41, 31, v40
	v_add_co_u32 v38, vcc_lo, s0, v38
	s_delay_alu instid0(VALU_DEP_4) | instskip(SKIP_3) | instid1(VALU_DEP_4)
	v_add_nc_u32_e32 v46, s3, v42
	v_ashrrev_i32_e32 v43, 31, v42
	v_add_co_ci_u32_e32 v39, vcc_lo, s1, v39, vcc_lo
	v_lshlrev_b64 v[44:45], 2, v[40:41]
	v_add_nc_u32_e32 v48, s3, v46
	v_add_co_u32 v40, vcc_lo, s0, v2
	v_add_co_ci_u32_e32 v41, vcc_lo, s1, v3, vcc_lo
	v_lshlrev_b64 v[2:3], 2, v[42:43]
	v_ashrrev_i32_e32 v47, 31, v46
	v_add_nc_u32_e32 v50, s3, v48
	v_add_co_u32 v42, vcc_lo, s0, v44
	v_ashrrev_i32_e32 v49, 31, v48
	v_add_co_ci_u32_e32 v43, vcc_lo, s1, v45, vcc_lo
	v_lshlrev_b64 v[46:47], 2, v[46:47]
	v_add_co_u32 v44, vcc_lo, s0, v2
	v_ashrrev_i32_e32 v51, 31, v50
	v_add_co_ci_u32_e32 v45, vcc_lo, s1, v3, vcc_lo
	v_lshlrev_b64 v[2:3], 2, v[48:49]
	v_add_co_u32 v46, vcc_lo, s0, v46
	s_delay_alu instid0(VALU_DEP_4) | instskip(SKIP_1) | instid1(VALU_DEP_4)
	v_lshlrev_b64 v[50:51], 2, v[50:51]
	v_add_co_ci_u32_e32 v47, vcc_lo, s1, v47, vcc_lo
	v_add_co_u32 v48, vcc_lo, s0, v2
	v_add_co_ci_u32_e32 v49, vcc_lo, s1, v3, vcc_lo
	s_delay_alu instid0(VALU_DEP_4)
	v_add_co_u32 v50, vcc_lo, s0, v50
	v_add_co_ci_u32_e32 v51, vcc_lo, s1, v51, vcc_lo
	s_clause 0x6
	global_load_b32 v69, v[38:39], off
	global_load_b32 v70, v[40:41], off
	;; [unrolled: 1-line block ×7, first 2 shown]
	s_mov_b32 s1, -1
	s_waitcnt vmcnt(20)
	scratch_store_b128 off, v[52:55], off
	s_waitcnt vmcnt(16)
	scratch_store_b128 off, v[56:59], off offset:16
	s_waitcnt vmcnt(12)
	scratch_store_b128 off, v[60:63], off offset:32
	s_waitcnt vmcnt(8)
	scratch_store_b128 off, v[64:67], off offset:48
	s_waitcnt vmcnt(4)
	scratch_store_b128 off, v[68:71], off offset:64
	s_waitcnt vmcnt(0)
	scratch_store_b128 off, v[72:75], off offset:80
	s_cbranch_scc1 .LBB23_102
; %bb.4:
	v_cmp_eq_u32_e64 s0, 0, v0
	s_delay_alu instid0(VALU_DEP_1)
	s_and_saveexec_b32 s1, s0
	s_cbranch_execz .LBB23_6
; %bb.5:
	v_mov_b32_e32 v2, 0
	ds_store_b32 v2, v2 offset:192
.LBB23_6:
	s_or_b32 exec_lo, exec_lo, s1
	s_waitcnt lgkmcnt(0)
	s_waitcnt_vscnt null, 0x0
	s_barrier
	buffer_gl0_inv
	scratch_load_b32 v2, v1, off
	s_mov_b32 s2, exec_lo
	s_waitcnt vmcnt(0)
	v_cmpx_eq_f32_e32 0, v2
	s_cbranch_execz .LBB23_10
; %bb.7:
	v_mov_b32_e32 v2, 0
	s_mov_b32 s3, 0
	ds_load_b32 v3, v2 offset:192
	s_waitcnt lgkmcnt(0)
	v_readfirstlane_b32 s1, v3
	v_add_nc_u32_e32 v3, 1, v0
	s_delay_alu instid0(VALU_DEP_2) | instskip(NEXT) | instid1(VALU_DEP_1)
	s_cmp_eq_u32 s1, 0
	v_cmp_gt_i32_e32 vcc_lo, s1, v3
	s_cselect_b32 s4, -1, 0
	s_delay_alu instid0(SALU_CYCLE_1) | instskip(NEXT) | instid1(SALU_CYCLE_1)
	s_or_b32 s4, s4, vcc_lo
	s_and_b32 exec_lo, exec_lo, s4
	s_cbranch_execz .LBB23_10
; %bb.8:
	v_mov_b32_e32 v52, s1
.LBB23_9:                               ; =>This Inner Loop Header: Depth=1
	ds_cmpstore_rtn_b32 v52, v2, v3, v52 offset:192
	s_waitcnt lgkmcnt(0)
	v_cmp_ne_u32_e32 vcc_lo, 0, v52
	v_cmp_le_i32_e64 s1, v52, v3
	s_delay_alu instid0(VALU_DEP_1) | instskip(NEXT) | instid1(SALU_CYCLE_1)
	s_and_b32 s1, vcc_lo, s1
	s_and_b32 s1, exec_lo, s1
	s_delay_alu instid0(SALU_CYCLE_1) | instskip(NEXT) | instid1(SALU_CYCLE_1)
	s_or_b32 s3, s1, s3
	s_and_not1_b32 exec_lo, exec_lo, s3
	s_cbranch_execnz .LBB23_9
.LBB23_10:
	s_or_b32 exec_lo, exec_lo, s2
	v_mov_b32_e32 v2, 0
	s_barrier
	buffer_gl0_inv
	ds_load_b32 v3, v2 offset:192
	s_and_saveexec_b32 s1, s0
	s_cbranch_execz .LBB23_12
; %bb.11:
	s_lshl_b64 s[2:3], s[14:15], 2
	s_delay_alu instid0(SALU_CYCLE_1)
	s_add_u32 s2, s6, s2
	s_addc_u32 s3, s7, s3
	s_waitcnt lgkmcnt(0)
	global_store_b32 v2, v3, s[2:3]
.LBB23_12:
	s_or_b32 exec_lo, exec_lo, s1
	s_waitcnt lgkmcnt(0)
	v_cmp_ne_u32_e32 vcc_lo, 0, v3
	s_mov_b32 s1, 0
	s_cbranch_vccnz .LBB23_102
; %bb.13:
	v_add_nc_u32_e32 v2, 0, v1
	scratch_load_b32 v3, v2, off
	s_waitcnt vmcnt(0)
	v_div_scale_f32 v52, null, v3, v3, 1.0
	v_div_scale_f32 v55, vcc_lo, 1.0, v3, 1.0
	s_delay_alu instid0(VALU_DEP_2) | instskip(SKIP_2) | instid1(VALU_DEP_1)
	v_rcp_f32_e32 v53, v52
	s_waitcnt_depctr 0xfff
	v_fma_f32 v54, -v52, v53, 1.0
	v_fmac_f32_e32 v53, v54, v53
	s_delay_alu instid0(VALU_DEP_1) | instskip(NEXT) | instid1(VALU_DEP_1)
	v_mul_f32_e32 v54, v55, v53
	v_fma_f32 v56, -v52, v54, v55
	s_delay_alu instid0(VALU_DEP_1) | instskip(NEXT) | instid1(VALU_DEP_1)
	v_fmac_f32_e32 v54, v56, v53
	v_fma_f32 v52, -v52, v54, v55
	s_delay_alu instid0(VALU_DEP_1) | instskip(NEXT) | instid1(VALU_DEP_1)
	v_div_fmas_f32 v52, v52, v53, v54
	v_div_fixup_f32 v3, v52, v3, 1.0
	scratch_store_b32 v2, v3, off
	scratch_load_b32 v52, off, off offset:4
	v_xor_b32_e32 v53, 0x80000000, v3
	v_add_nc_u32_e32 v3, 0x60, v1
	s_waitcnt vmcnt(0)
	ds_store_2addr_b32 v1, v53, v52 offset1:24
	s_waitcnt lgkmcnt(0)
	s_waitcnt_vscnt null, 0x0
	s_barrier
	buffer_gl0_inv
	s_and_saveexec_b32 s1, s0
	s_cbranch_execz .LBB23_15
; %bb.14:
	scratch_load_b32 v52, v2, off
	ds_load_b32 v53, v3
	v_mov_b32_e32 v54, 0
	ds_load_b32 v54, v54 offset:4
	s_waitcnt vmcnt(0) lgkmcnt(1)
	v_fma_f32 v52, v52, v53, 0
	s_waitcnt lgkmcnt(0)
	s_delay_alu instid0(VALU_DEP_1)
	v_mul_f32_e32 v52, v52, v54
	scratch_store_b32 off, v52, off offset:4
.LBB23_15:
	s_or_b32 exec_lo, exec_lo, s1
	s_waitcnt_vscnt null, 0x0
	s_barrier
	buffer_gl0_inv
	scratch_load_b32 v52, off, off offset:8
	s_mov_b32 s1, exec_lo
	s_waitcnt vmcnt(0)
	ds_store_b32 v3, v52
	s_waitcnt lgkmcnt(0)
	s_barrier
	buffer_gl0_inv
	v_cmpx_gt_u32_e32 2, v0
	s_cbranch_execz .LBB23_17
; %bb.16:
	scratch_load_b32 v54, v2, off
	scratch_load_b32 v55, off, off offset:4
	ds_load_b32 v56, v3
	v_mov_b32_e32 v52, 0
	ds_load_2addr_b32 v[52:53], v52 offset0:2 offset1:25
	s_waitcnt vmcnt(1) lgkmcnt(1)
	v_fma_f32 v54, v54, v56, 0
	s_waitcnt vmcnt(0) lgkmcnt(0)
	s_delay_alu instid0(VALU_DEP_1) | instskip(NEXT) | instid1(VALU_DEP_1)
	v_fma_f32 v53, v55, v53, v54
	v_cndmask_b32_e64 v53, v54, v53, s0
	s_delay_alu instid0(VALU_DEP_1)
	v_mul_f32_e32 v52, v53, v52
	scratch_store_b32 off, v52, off offset:8
.LBB23_17:
	s_or_b32 exec_lo, exec_lo, s1
	s_waitcnt_vscnt null, 0x0
	s_barrier
	buffer_gl0_inv
	scratch_load_b32 v53, off, off offset:12
	v_add_nc_u32_e32 v52, -1, v0
	s_mov_b32 s0, exec_lo
	s_waitcnt vmcnt(0)
	ds_store_b32 v3, v53
	s_waitcnt lgkmcnt(0)
	s_barrier
	buffer_gl0_inv
	v_cmpx_gt_u32_e32 3, v0
	s_cbranch_execz .LBB23_21
; %bb.18:
	v_dual_mov_b32 v53, 0 :: v_dual_add_nc_u32 v54, -1, v0
	v_add_nc_u32_e32 v55, 0x60, v1
	v_add_nc_u32_e32 v56, 0, v1
	s_mov_b32 s1, 0
.LBB23_19:                              ; =>This Inner Loop Header: Depth=1
	scratch_load_b32 v57, v56, off
	ds_load_b32 v58, v55
	v_add_nc_u32_e32 v54, 1, v54
	v_add_nc_u32_e32 v55, 4, v55
	v_add_nc_u32_e32 v56, 4, v56
	s_delay_alu instid0(VALU_DEP_3)
	v_cmp_lt_u32_e32 vcc_lo, 1, v54
	s_or_b32 s1, vcc_lo, s1
	s_waitcnt vmcnt(0) lgkmcnt(0)
	v_fmac_f32_e32 v53, v57, v58
	s_and_not1_b32 exec_lo, exec_lo, s1
	s_cbranch_execnz .LBB23_19
; %bb.20:
	s_or_b32 exec_lo, exec_lo, s1
	v_mov_b32_e32 v54, 0
	ds_load_b32 v54, v54 offset:12
	s_waitcnt lgkmcnt(0)
	v_mul_f32_e32 v53, v53, v54
	scratch_store_b32 off, v53, off offset:12
.LBB23_21:
	s_or_b32 exec_lo, exec_lo, s0
	s_waitcnt_vscnt null, 0x0
	s_barrier
	buffer_gl0_inv
	scratch_load_b32 v53, off, off offset:16
	s_mov_b32 s0, exec_lo
	s_waitcnt vmcnt(0)
	ds_store_b32 v3, v53
	s_waitcnt lgkmcnt(0)
	s_barrier
	buffer_gl0_inv
	v_cmpx_gt_u32_e32 4, v0
	s_cbranch_execz .LBB23_25
; %bb.22:
	v_dual_mov_b32 v53, 0 :: v_dual_add_nc_u32 v54, -1, v0
	v_add_nc_u32_e32 v55, 0x60, v1
	v_add_nc_u32_e32 v56, 0, v1
	s_mov_b32 s1, 0
.LBB23_23:                              ; =>This Inner Loop Header: Depth=1
	scratch_load_b32 v57, v56, off
	ds_load_b32 v58, v55
	v_add_nc_u32_e32 v54, 1, v54
	v_add_nc_u32_e32 v55, 4, v55
	v_add_nc_u32_e32 v56, 4, v56
	s_delay_alu instid0(VALU_DEP_3)
	v_cmp_lt_u32_e32 vcc_lo, 2, v54
	s_or_b32 s1, vcc_lo, s1
	s_waitcnt vmcnt(0) lgkmcnt(0)
	v_fmac_f32_e32 v53, v57, v58
	s_and_not1_b32 exec_lo, exec_lo, s1
	s_cbranch_execnz .LBB23_23
; %bb.24:
	s_or_b32 exec_lo, exec_lo, s1
	v_mov_b32_e32 v54, 0
	ds_load_b32 v54, v54 offset:16
	s_waitcnt lgkmcnt(0)
	v_mul_f32_e32 v53, v53, v54
	scratch_store_b32 off, v53, off offset:16
.LBB23_25:
	s_or_b32 exec_lo, exec_lo, s0
	s_waitcnt_vscnt null, 0x0
	s_barrier
	buffer_gl0_inv
	scratch_load_b32 v53, off, off offset:20
	;; [unrolled: 39-line block ×19, first 2 shown]
	s_mov_b32 s0, exec_lo
	s_waitcnt vmcnt(0)
	ds_store_b32 v3, v53
	s_waitcnt lgkmcnt(0)
	s_barrier
	buffer_gl0_inv
	v_cmpx_gt_u32_e32 22, v0
	s_cbranch_execz .LBB23_97
; %bb.94:
	v_add_nc_u32_e32 v53, -1, v0
	v_add_nc_u32_e32 v54, 0x60, v1
	v_add_nc_u32_e32 v55, 0, v1
	v_mov_b32_e32 v1, 0
	s_mov_b32 s1, 0
.LBB23_95:                              ; =>This Inner Loop Header: Depth=1
	scratch_load_b32 v56, v55, off
	ds_load_b32 v57, v54
	v_add_nc_u32_e32 v53, 1, v53
	v_add_nc_u32_e32 v54, 4, v54
	v_add_nc_u32_e32 v55, 4, v55
	s_delay_alu instid0(VALU_DEP_3)
	v_cmp_lt_u32_e32 vcc_lo, 20, v53
	s_or_b32 s1, vcc_lo, s1
	s_waitcnt vmcnt(0) lgkmcnt(0)
	v_fmac_f32_e32 v1, v56, v57
	s_and_not1_b32 exec_lo, exec_lo, s1
	s_cbranch_execnz .LBB23_95
; %bb.96:
	s_or_b32 exec_lo, exec_lo, s1
	v_mov_b32_e32 v53, 0
	ds_load_b32 v53, v53 offset:88
	s_waitcnt lgkmcnt(0)
	v_mul_f32_e32 v1, v1, v53
	scratch_store_b32 off, v1, off offset:88
.LBB23_97:
	s_or_b32 exec_lo, exec_lo, s0
	s_waitcnt_vscnt null, 0x0
	s_barrier
	buffer_gl0_inv
	scratch_load_b32 v1, off, off offset:92
	s_mov_b32 s0, exec_lo
	s_waitcnt vmcnt(0)
	ds_store_b32 v3, v1
	s_waitcnt lgkmcnt(0)
	s_barrier
	buffer_gl0_inv
	v_cmpx_ne_u32_e32 23, v0
	s_cbranch_execz .LBB23_101
; %bb.98:
	v_mov_b32_e32 v1, 0
	s_mov_b32 s1, 0
.LBB23_99:                              ; =>This Inner Loop Header: Depth=1
	scratch_load_b32 v53, v2, off
	ds_load_b32 v54, v3
	v_add_nc_u32_e32 v52, 1, v52
	v_add_nc_u32_e32 v3, 4, v3
	;; [unrolled: 1-line block ×3, first 2 shown]
	s_waitcnt vmcnt(0) lgkmcnt(0)
	v_fmac_f32_e32 v1, v53, v54
	v_cmp_lt_u32_e32 vcc_lo, 21, v52
	s_or_b32 s1, vcc_lo, s1
	s_delay_alu instid0(SALU_CYCLE_1)
	s_and_not1_b32 exec_lo, exec_lo, s1
	s_cbranch_execnz .LBB23_99
; %bb.100:
	s_or_b32 exec_lo, exec_lo, s1
	v_mov_b32_e32 v2, 0
	ds_load_b32 v2, v2 offset:92
	s_waitcnt lgkmcnt(0)
	v_mul_f32_e32 v1, v1, v2
	scratch_store_b32 off, v1, off offset:92
.LBB23_101:
	s_or_b32 exec_lo, exec_lo, s0
	s_mov_b32 s1, -1
	s_waitcnt_vscnt null, 0x0
	s_barrier
	buffer_gl0_inv
.LBB23_102:
	s_and_b32 vcc_lo, exec_lo, s1
	s_cbranch_vccz .LBB23_104
; %bb.103:
	s_lshl_b64 s[0:1], s[14:15], 2
	v_mov_b32_e32 v1, 0
	s_add_u32 s0, s6, s0
	s_addc_u32 s1, s7, s1
	global_load_b32 v1, v1, s[0:1]
	s_waitcnt vmcnt(0)
	v_cmp_ne_u32_e32 vcc_lo, 0, v1
	s_cbranch_vccz .LBB23_105
.LBB23_104:
	s_endpgm
.LBB23_105:
	v_lshl_add_u32 v1, v0, 2, 0x60
	s_mov_b32 s0, exec_lo
	v_cmpx_eq_u32_e32 23, v0
	s_cbranch_execz .LBB23_107
; %bb.106:
	scratch_load_b32 v2, off, off offset:88
	v_mov_b32_e32 v3, 0
	scratch_store_b32 off, v3, off offset:88
	s_waitcnt vmcnt(0)
	ds_store_b32 v1, v2
.LBB23_107:
	s_or_b32 exec_lo, exec_lo, s0
	s_waitcnt lgkmcnt(0)
	s_waitcnt_vscnt null, 0x0
	s_barrier
	buffer_gl0_inv
	scratch_load_b64 v[52:53], off, off offset:88
	v_mov_b32_e32 v2, 0
	s_mov_b32 s0, exec_lo
	ds_load_b32 v3, v2 offset:188
	s_waitcnt vmcnt(0) lgkmcnt(0)
	v_fma_f32 v3, v53, v3, 0
	s_delay_alu instid0(VALU_DEP_1)
	v_sub_f32_e32 v3, v52, v3
	scratch_store_b32 off, v3, off offset:88
	v_cmpx_lt_u32_e32 21, v0
	s_cbranch_execz .LBB23_109
; %bb.108:
	scratch_load_b32 v3, off, off offset:84
	scratch_store_b32 off, v2, off offset:84
	s_waitcnt vmcnt(0)
	ds_store_b32 v1, v3
.LBB23_109:
	s_or_b32 exec_lo, exec_lo, s0
	s_waitcnt lgkmcnt(0)
	s_waitcnt_vscnt null, 0x0
	s_barrier
	buffer_gl0_inv
	scratch_load_b96 v[52:54], off, off offset:84
	ds_load_b64 v[2:3], v2 offset:184
	s_mov_b32 s0, exec_lo
	s_waitcnt vmcnt(0) lgkmcnt(0)
	v_fma_f32 v2, v53, v2, 0
	s_delay_alu instid0(VALU_DEP_1) | instskip(NEXT) | instid1(VALU_DEP_1)
	v_fmac_f32_e32 v2, v54, v3
	v_sub_f32_e32 v2, v52, v2
	scratch_store_b32 off, v2, off offset:84
	v_cmpx_lt_u32_e32 20, v0
	s_cbranch_execz .LBB23_111
; %bb.110:
	scratch_load_b32 v2, off, off offset:80
	v_mov_b32_e32 v3, 0
	scratch_store_b32 off, v3, off offset:80
	s_waitcnt vmcnt(0)
	ds_store_b32 v1, v2
.LBB23_111:
	s_or_b32 exec_lo, exec_lo, s0
	s_waitcnt lgkmcnt(0)
	s_waitcnt_vscnt null, 0x0
	s_barrier
	buffer_gl0_inv
	scratch_load_b128 v[52:55], off, off offset:80
	v_mov_b32_e32 v2, 0
	ds_load_2addr_b32 v[56:57], v2 offset0:45 offset1:46
	ds_load_b32 v3, v2 offset:188
	s_mov_b32 s0, exec_lo
	s_waitcnt vmcnt(0) lgkmcnt(1)
	v_fma_f32 v53, v53, v56, 0
	s_delay_alu instid0(VALU_DEP_1) | instskip(SKIP_1) | instid1(VALU_DEP_1)
	v_fmac_f32_e32 v53, v54, v57
	s_waitcnt lgkmcnt(0)
	v_fmac_f32_e32 v53, v55, v3
	s_delay_alu instid0(VALU_DEP_1)
	v_sub_f32_e32 v3, v52, v53
	scratch_store_b32 off, v3, off offset:80
	v_cmpx_lt_u32_e32 19, v0
	s_cbranch_execz .LBB23_113
; %bb.112:
	scratch_load_b32 v3, off, off offset:76
	scratch_store_b32 off, v2, off offset:76
	s_waitcnt vmcnt(0)
	ds_store_b32 v1, v3
.LBB23_113:
	s_or_b32 exec_lo, exec_lo, s0
	s_waitcnt lgkmcnt(0)
	s_waitcnt_vscnt null, 0x0
	s_barrier
	buffer_gl0_inv
	s_clause 0x1
	scratch_load_b128 v[52:55], off, off offset:76
	scratch_load_b32 v3, off, off offset:92
	ds_load_b128 v[56:59], v2 offset:176
	s_mov_b32 s0, exec_lo
	s_waitcnt vmcnt(1) lgkmcnt(0)
	v_fma_f32 v2, v53, v56, 0
	s_delay_alu instid0(VALU_DEP_1) | instskip(NEXT) | instid1(VALU_DEP_1)
	v_fmac_f32_e32 v2, v54, v57
	v_fmac_f32_e32 v2, v55, v58
	s_waitcnt vmcnt(0)
	s_delay_alu instid0(VALU_DEP_1) | instskip(NEXT) | instid1(VALU_DEP_1)
	v_fmac_f32_e32 v2, v3, v59
	v_sub_f32_e32 v2, v52, v2
	scratch_store_b32 off, v2, off offset:76
	v_cmpx_lt_u32_e32 18, v0
	s_cbranch_execz .LBB23_115
; %bb.114:
	scratch_load_b32 v2, off, off offset:72
	v_mov_b32_e32 v3, 0
	scratch_store_b32 off, v3, off offset:72
	s_waitcnt vmcnt(0)
	ds_store_b32 v1, v2
.LBB23_115:
	s_or_b32 exec_lo, exec_lo, s0
	s_waitcnt lgkmcnt(0)
	s_waitcnt_vscnt null, 0x0
	s_barrier
	buffer_gl0_inv
	s_clause 0x1
	scratch_load_b128 v[52:55], off, off offset:72
	scratch_load_b64 v[56:57], off, off offset:88
	v_mov_b32_e32 v2, 0
	ds_load_2addr_b32 v[58:59], v2 offset0:43 offset1:44
	ds_load_2addr_b32 v[60:61], v2 offset0:45 offset1:46
	ds_load_b32 v3, v2 offset:188
	s_mov_b32 s0, exec_lo
	s_waitcnt vmcnt(1) lgkmcnt(2)
	v_fma_f32 v53, v53, v58, 0
	s_delay_alu instid0(VALU_DEP_1) | instskip(SKIP_1) | instid1(VALU_DEP_1)
	v_fmac_f32_e32 v53, v54, v59
	s_waitcnt lgkmcnt(1)
	v_fmac_f32_e32 v53, v55, v60
	s_waitcnt vmcnt(0)
	s_delay_alu instid0(VALU_DEP_1) | instskip(SKIP_1) | instid1(VALU_DEP_1)
	v_fmac_f32_e32 v53, v56, v61
	s_waitcnt lgkmcnt(0)
	v_fmac_f32_e32 v53, v57, v3
	s_delay_alu instid0(VALU_DEP_1)
	v_sub_f32_e32 v3, v52, v53
	scratch_store_b32 off, v3, off offset:72
	v_cmpx_lt_u32_e32 17, v0
	s_cbranch_execz .LBB23_117
; %bb.116:
	scratch_load_b32 v3, off, off offset:68
	scratch_store_b32 off, v2, off offset:68
	s_waitcnt vmcnt(0)
	ds_store_b32 v1, v3
.LBB23_117:
	s_or_b32 exec_lo, exec_lo, s0
	s_waitcnt lgkmcnt(0)
	s_waitcnt_vscnt null, 0x0
	s_barrier
	buffer_gl0_inv
	s_clause 0x1
	scratch_load_b128 v[52:55], off, off offset:68
	scratch_load_b96 v[60:62], off, off offset:84
	ds_load_2addr_b64 v[56:59], v2 offset0:21 offset1:22
	ds_load_b64 v[2:3], v2 offset:184
	s_mov_b32 s0, exec_lo
	s_waitcnt vmcnt(1) lgkmcnt(1)
	v_fma_f32 v53, v53, v56, 0
	s_delay_alu instid0(VALU_DEP_1) | instskip(NEXT) | instid1(VALU_DEP_1)
	v_fmac_f32_e32 v53, v54, v57
	v_fmac_f32_e32 v53, v55, v58
	s_waitcnt vmcnt(0)
	s_delay_alu instid0(VALU_DEP_1) | instskip(SKIP_1) | instid1(VALU_DEP_1)
	v_fmac_f32_e32 v53, v60, v59
	s_waitcnt lgkmcnt(0)
	v_fmac_f32_e32 v53, v61, v2
	s_delay_alu instid0(VALU_DEP_1) | instskip(NEXT) | instid1(VALU_DEP_1)
	v_fmac_f32_e32 v53, v62, v3
	v_sub_f32_e32 v2, v52, v53
	scratch_store_b32 off, v2, off offset:68
	v_cmpx_lt_u32_e32 16, v0
	s_cbranch_execz .LBB23_119
; %bb.118:
	scratch_load_b32 v2, off, off offset:64
	v_mov_b32_e32 v3, 0
	scratch_store_b32 off, v3, off offset:64
	s_waitcnt vmcnt(0)
	ds_store_b32 v1, v2
.LBB23_119:
	s_or_b32 exec_lo, exec_lo, s0
	s_waitcnt lgkmcnt(0)
	s_waitcnt_vscnt null, 0x0
	s_barrier
	buffer_gl0_inv
	s_clause 0x1
	scratch_load_b128 v[52:55], off, off offset:64
	scratch_load_b128 v[56:59], off, off offset:80
	v_mov_b32_e32 v2, 0
	ds_load_2addr_b32 v[60:61], v2 offset0:41 offset1:42
	ds_load_2addr_b32 v[62:63], v2 offset0:43 offset1:44
	;; [unrolled: 1-line block ×3, first 2 shown]
	ds_load_b32 v3, v2 offset:188
	s_mov_b32 s0, exec_lo
	s_waitcnt vmcnt(1) lgkmcnt(3)
	v_fma_f32 v53, v53, v60, 0
	s_delay_alu instid0(VALU_DEP_1) | instskip(SKIP_1) | instid1(VALU_DEP_1)
	v_fmac_f32_e32 v53, v54, v61
	s_waitcnt lgkmcnt(2)
	v_fmac_f32_e32 v53, v55, v62
	s_waitcnt vmcnt(0)
	s_delay_alu instid0(VALU_DEP_1) | instskip(SKIP_1) | instid1(VALU_DEP_1)
	v_fmac_f32_e32 v53, v56, v63
	s_waitcnt lgkmcnt(1)
	v_fmac_f32_e32 v53, v57, v64
	s_delay_alu instid0(VALU_DEP_1) | instskip(SKIP_1) | instid1(VALU_DEP_1)
	v_fmac_f32_e32 v53, v58, v65
	s_waitcnt lgkmcnt(0)
	v_fmac_f32_e32 v53, v59, v3
	s_delay_alu instid0(VALU_DEP_1)
	v_sub_f32_e32 v3, v52, v53
	scratch_store_b32 off, v3, off offset:64
	v_cmpx_lt_u32_e32 15, v0
	s_cbranch_execz .LBB23_121
; %bb.120:
	scratch_load_b32 v3, off, off offset:60
	scratch_store_b32 off, v2, off offset:60
	s_waitcnt vmcnt(0)
	ds_store_b32 v1, v3
.LBB23_121:
	s_or_b32 exec_lo, exec_lo, s0
	s_waitcnt lgkmcnt(0)
	s_waitcnt_vscnt null, 0x0
	s_barrier
	buffer_gl0_inv
	s_clause 0x2
	scratch_load_b128 v[52:55], off, off offset:60
	scratch_load_b128 v[56:59], off, off offset:76
	scratch_load_b32 v3, off, off offset:92
	ds_load_b128 v[60:63], v2 offset:160
	ds_load_b128 v[64:67], v2 offset:176
	s_mov_b32 s0, exec_lo
	s_waitcnt vmcnt(2) lgkmcnt(1)
	v_fma_f32 v2, v53, v60, 0
	s_delay_alu instid0(VALU_DEP_1) | instskip(NEXT) | instid1(VALU_DEP_1)
	v_fmac_f32_e32 v2, v54, v61
	v_fmac_f32_e32 v2, v55, v62
	s_waitcnt vmcnt(1)
	s_delay_alu instid0(VALU_DEP_1) | instskip(SKIP_1) | instid1(VALU_DEP_1)
	v_fmac_f32_e32 v2, v56, v63
	s_waitcnt lgkmcnt(0)
	v_fmac_f32_e32 v2, v57, v64
	s_delay_alu instid0(VALU_DEP_1) | instskip(NEXT) | instid1(VALU_DEP_1)
	v_fmac_f32_e32 v2, v58, v65
	v_fmac_f32_e32 v2, v59, v66
	s_waitcnt vmcnt(0)
	s_delay_alu instid0(VALU_DEP_1) | instskip(NEXT) | instid1(VALU_DEP_1)
	v_fmac_f32_e32 v2, v3, v67
	v_sub_f32_e32 v2, v52, v2
	scratch_store_b32 off, v2, off offset:60
	v_cmpx_lt_u32_e32 14, v0
	s_cbranch_execz .LBB23_123
; %bb.122:
	scratch_load_b32 v2, off, off offset:56
	v_mov_b32_e32 v3, 0
	scratch_store_b32 off, v3, off offset:56
	s_waitcnt vmcnt(0)
	ds_store_b32 v1, v2
.LBB23_123:
	s_or_b32 exec_lo, exec_lo, s0
	s_waitcnt lgkmcnt(0)
	s_waitcnt_vscnt null, 0x0
	s_barrier
	buffer_gl0_inv
	s_clause 0x2
	scratch_load_b128 v[52:55], off, off offset:56
	scratch_load_b128 v[56:59], off, off offset:72
	scratch_load_b64 v[60:61], off, off offset:88
	v_mov_b32_e32 v2, 0
	ds_load_2addr_b32 v[62:63], v2 offset0:39 offset1:40
	ds_load_2addr_b32 v[64:65], v2 offset0:41 offset1:42
	;; [unrolled: 1-line block ×4, first 2 shown]
	s_mov_b32 s0, exec_lo
	s_waitcnt vmcnt(2) lgkmcnt(3)
	v_fma_f32 v3, v53, v62, 0
	s_delay_alu instid0(VALU_DEP_1) | instskip(SKIP_4) | instid1(VALU_DEP_1)
	v_fmac_f32_e32 v3, v54, v63
	ds_load_b32 v53, v2 offset:188
	s_waitcnt lgkmcnt(3)
	v_fmac_f32_e32 v3, v55, v64
	s_waitcnt vmcnt(1)
	v_fmac_f32_e32 v3, v56, v65
	s_waitcnt lgkmcnt(2)
	s_delay_alu instid0(VALU_DEP_1) | instskip(NEXT) | instid1(VALU_DEP_1)
	v_fmac_f32_e32 v3, v57, v66
	v_fmac_f32_e32 v3, v58, v67
	s_waitcnt lgkmcnt(1)
	s_delay_alu instid0(VALU_DEP_1) | instskip(SKIP_1) | instid1(VALU_DEP_1)
	v_fmac_f32_e32 v3, v59, v68
	s_waitcnt vmcnt(0)
	v_fmac_f32_e32 v3, v60, v69
	s_waitcnt lgkmcnt(0)
	s_delay_alu instid0(VALU_DEP_1) | instskip(NEXT) | instid1(VALU_DEP_1)
	v_fmac_f32_e32 v3, v61, v53
	v_sub_f32_e32 v3, v52, v3
	scratch_store_b32 off, v3, off offset:56
	v_cmpx_lt_u32_e32 13, v0
	s_cbranch_execz .LBB23_125
; %bb.124:
	scratch_load_b32 v3, off, off offset:52
	scratch_store_b32 off, v2, off offset:52
	s_waitcnt vmcnt(0)
	ds_store_b32 v1, v3
.LBB23_125:
	s_or_b32 exec_lo, exec_lo, s0
	s_waitcnt lgkmcnt(0)
	s_waitcnt_vscnt null, 0x0
	s_barrier
	buffer_gl0_inv
	s_clause 0x2
	scratch_load_b128 v[52:55], off, off offset:52
	scratch_load_b128 v[56:59], off, off offset:68
	scratch_load_b96 v[68:70], off, off offset:84
	ds_load_2addr_b64 v[60:63], v2 offset0:19 offset1:20
	ds_load_2addr_b64 v[64:67], v2 offset0:21 offset1:22
	ds_load_b64 v[2:3], v2 offset:184
	s_mov_b32 s0, exec_lo
	s_waitcnt vmcnt(2) lgkmcnt(2)
	v_fma_f32 v53, v53, v60, 0
	s_delay_alu instid0(VALU_DEP_1) | instskip(NEXT) | instid1(VALU_DEP_1)
	v_fmac_f32_e32 v53, v54, v61
	v_fmac_f32_e32 v53, v55, v62
	s_waitcnt vmcnt(1)
	s_delay_alu instid0(VALU_DEP_1) | instskip(SKIP_1) | instid1(VALU_DEP_1)
	v_fmac_f32_e32 v53, v56, v63
	s_waitcnt lgkmcnt(1)
	v_fmac_f32_e32 v53, v57, v64
	s_delay_alu instid0(VALU_DEP_1) | instskip(NEXT) | instid1(VALU_DEP_1)
	v_fmac_f32_e32 v53, v58, v65
	v_fmac_f32_e32 v53, v59, v66
	s_waitcnt vmcnt(0)
	s_delay_alu instid0(VALU_DEP_1) | instskip(SKIP_1) | instid1(VALU_DEP_1)
	v_fmac_f32_e32 v53, v68, v67
	s_waitcnt lgkmcnt(0)
	v_fmac_f32_e32 v53, v69, v2
	s_delay_alu instid0(VALU_DEP_1) | instskip(NEXT) | instid1(VALU_DEP_1)
	v_fmac_f32_e32 v53, v70, v3
	v_sub_f32_e32 v2, v52, v53
	scratch_store_b32 off, v2, off offset:52
	v_cmpx_lt_u32_e32 12, v0
	s_cbranch_execz .LBB23_127
; %bb.126:
	scratch_load_b32 v2, off, off offset:48
	v_mov_b32_e32 v3, 0
	scratch_store_b32 off, v3, off offset:48
	s_waitcnt vmcnt(0)
	ds_store_b32 v1, v2
.LBB23_127:
	s_or_b32 exec_lo, exec_lo, s0
	s_waitcnt lgkmcnt(0)
	s_waitcnt_vscnt null, 0x0
	s_barrier
	buffer_gl0_inv
	s_clause 0x2
	scratch_load_b128 v[52:55], off, off offset:48
	scratch_load_b128 v[56:59], off, off offset:64
	;; [unrolled: 1-line block ×3, first 2 shown]
	v_mov_b32_e32 v2, 0
	ds_load_2addr_b32 v[64:65], v2 offset0:37 offset1:38
	ds_load_2addr_b32 v[66:67], v2 offset0:39 offset1:40
	;; [unrolled: 1-line block ×4, first 2 shown]
	s_mov_b32 s0, exec_lo
	s_waitcnt vmcnt(2) lgkmcnt(3)
	v_fma_f32 v3, v53, v64, 0
	s_delay_alu instid0(VALU_DEP_1)
	v_fmac_f32_e32 v3, v54, v65
	ds_load_2addr_b32 v[53:54], v2 offset0:45 offset1:46
	s_waitcnt lgkmcnt(3)
	v_fmac_f32_e32 v3, v55, v66
	ds_load_b32 v55, v2 offset:188
	s_waitcnt vmcnt(1)
	v_fmac_f32_e32 v3, v56, v67
	s_waitcnt lgkmcnt(3)
	s_delay_alu instid0(VALU_DEP_1) | instskip(NEXT) | instid1(VALU_DEP_1)
	v_fmac_f32_e32 v3, v57, v68
	v_fmac_f32_e32 v3, v58, v69
	s_waitcnt lgkmcnt(2)
	s_delay_alu instid0(VALU_DEP_1) | instskip(SKIP_1) | instid1(VALU_DEP_1)
	v_fmac_f32_e32 v3, v59, v70
	s_waitcnt vmcnt(0)
	v_fmac_f32_e32 v3, v60, v71
	s_waitcnt lgkmcnt(1)
	s_delay_alu instid0(VALU_DEP_1) | instskip(NEXT) | instid1(VALU_DEP_1)
	v_fmac_f32_e32 v3, v61, v53
	v_fmac_f32_e32 v3, v62, v54
	s_waitcnt lgkmcnt(0)
	s_delay_alu instid0(VALU_DEP_1) | instskip(NEXT) | instid1(VALU_DEP_1)
	v_fmac_f32_e32 v3, v63, v55
	v_sub_f32_e32 v3, v52, v3
	scratch_store_b32 off, v3, off offset:48
	v_cmpx_lt_u32_e32 11, v0
	s_cbranch_execz .LBB23_129
; %bb.128:
	scratch_load_b32 v3, off, off offset:44
	scratch_store_b32 off, v2, off offset:44
	s_waitcnt vmcnt(0)
	ds_store_b32 v1, v3
.LBB23_129:
	s_or_b32 exec_lo, exec_lo, s0
	s_waitcnt lgkmcnt(0)
	s_waitcnt_vscnt null, 0x0
	s_barrier
	buffer_gl0_inv
	s_clause 0x3
	scratch_load_b128 v[52:55], off, off offset:44
	scratch_load_b128 v[56:59], off, off offset:60
	;; [unrolled: 1-line block ×3, first 2 shown]
	scratch_load_b32 v3, off, off offset:92
	ds_load_b128 v[64:67], v2 offset:144
	ds_load_b128 v[68:71], v2 offset:160
	s_mov_b32 s0, exec_lo
	s_waitcnt vmcnt(3) lgkmcnt(1)
	v_fma_f32 v64, v53, v64, 0
	s_delay_alu instid0(VALU_DEP_1) | instskip(NEXT) | instid1(VALU_DEP_1)
	v_fmac_f32_e32 v64, v54, v65
	v_fmac_f32_e32 v64, v55, v66
	s_waitcnt vmcnt(2)
	s_delay_alu instid0(VALU_DEP_1) | instskip(SKIP_3) | instid1(VALU_DEP_1)
	v_fmac_f32_e32 v64, v56, v67
	ds_load_b128 v[53:56], v2 offset:176
	s_waitcnt lgkmcnt(1)
	v_fmac_f32_e32 v64, v57, v68
	v_fmac_f32_e32 v64, v58, v69
	s_delay_alu instid0(VALU_DEP_1) | instskip(SKIP_1) | instid1(VALU_DEP_1)
	v_fmac_f32_e32 v64, v59, v70
	s_waitcnt vmcnt(1)
	v_fmac_f32_e32 v64, v60, v71
	s_waitcnt lgkmcnt(0)
	s_delay_alu instid0(VALU_DEP_1) | instskip(NEXT) | instid1(VALU_DEP_1)
	v_fmac_f32_e32 v64, v61, v53
	v_fmac_f32_e32 v64, v62, v54
	s_delay_alu instid0(VALU_DEP_1) | instskip(SKIP_1) | instid1(VALU_DEP_1)
	v_fmac_f32_e32 v64, v63, v55
	s_waitcnt vmcnt(0)
	v_fmac_f32_e32 v64, v3, v56
	s_delay_alu instid0(VALU_DEP_1)
	v_sub_f32_e32 v2, v52, v64
	scratch_store_b32 off, v2, off offset:44
	v_cmpx_lt_u32_e32 10, v0
	s_cbranch_execz .LBB23_131
; %bb.130:
	scratch_load_b32 v2, off, off offset:40
	v_mov_b32_e32 v3, 0
	scratch_store_b32 off, v3, off offset:40
	s_waitcnt vmcnt(0)
	ds_store_b32 v1, v2
.LBB23_131:
	s_or_b32 exec_lo, exec_lo, s0
	s_waitcnt lgkmcnt(0)
	s_waitcnt_vscnt null, 0x0
	s_barrier
	buffer_gl0_inv
	s_clause 0x3
	scratch_load_b128 v[52:55], off, off offset:40
	scratch_load_b128 v[56:59], off, off offset:56
	;; [unrolled: 1-line block ×3, first 2 shown]
	scratch_load_b64 v[64:65], off, off offset:88
	v_mov_b32_e32 v2, 0
	ds_load_2addr_b32 v[66:67], v2 offset0:35 offset1:36
	ds_load_2addr_b32 v[68:69], v2 offset0:37 offset1:38
	;; [unrolled: 1-line block ×4, first 2 shown]
	s_mov_b32 s0, exec_lo
	s_waitcnt vmcnt(3) lgkmcnt(3)
	v_fma_f32 v3, v53, v66, 0
	s_delay_alu instid0(VALU_DEP_1) | instskip(SKIP_4) | instid1(VALU_DEP_1)
	v_fmac_f32_e32 v3, v54, v67
	ds_load_2addr_b32 v[53:54], v2 offset0:43 offset1:44
	s_waitcnt lgkmcnt(3)
	v_fmac_f32_e32 v3, v55, v68
	s_waitcnt vmcnt(2)
	v_fmac_f32_e32 v3, v56, v69
	ds_load_2addr_b32 v[55:56], v2 offset0:45 offset1:46
	s_waitcnt lgkmcnt(3)
	v_fmac_f32_e32 v3, v57, v70
	ds_load_b32 v57, v2 offset:188
	v_fmac_f32_e32 v3, v58, v71
	s_waitcnt lgkmcnt(3)
	s_delay_alu instid0(VALU_DEP_1) | instskip(SKIP_1) | instid1(VALU_DEP_1)
	v_fmac_f32_e32 v3, v59, v72
	s_waitcnt vmcnt(1)
	v_fmac_f32_e32 v3, v60, v73
	s_waitcnt lgkmcnt(2)
	s_delay_alu instid0(VALU_DEP_1) | instskip(NEXT) | instid1(VALU_DEP_1)
	v_fmac_f32_e32 v3, v61, v53
	v_fmac_f32_e32 v3, v62, v54
	s_waitcnt lgkmcnt(1)
	s_delay_alu instid0(VALU_DEP_1) | instskip(SKIP_1) | instid1(VALU_DEP_1)
	v_fmac_f32_e32 v3, v63, v55
	s_waitcnt vmcnt(0)
	v_fmac_f32_e32 v3, v64, v56
	s_waitcnt lgkmcnt(0)
	s_delay_alu instid0(VALU_DEP_1) | instskip(NEXT) | instid1(VALU_DEP_1)
	v_fmac_f32_e32 v3, v65, v57
	v_sub_f32_e32 v3, v52, v3
	scratch_store_b32 off, v3, off offset:40
	v_cmpx_lt_u32_e32 9, v0
	s_cbranch_execz .LBB23_133
; %bb.132:
	scratch_load_b32 v3, off, off offset:36
	scratch_store_b32 off, v2, off offset:36
	s_waitcnt vmcnt(0)
	ds_store_b32 v1, v3
.LBB23_133:
	s_or_b32 exec_lo, exec_lo, s0
	s_waitcnt lgkmcnt(0)
	s_waitcnt_vscnt null, 0x0
	s_barrier
	buffer_gl0_inv
	s_clause 0x3
	scratch_load_b128 v[52:55], off, off offset:36
	scratch_load_b128 v[56:59], off, off offset:52
	;; [unrolled: 1-line block ×3, first 2 shown]
	scratch_load_b96 v[72:74], off, off offset:84
	ds_load_2addr_b64 v[64:67], v2 offset0:17 offset1:18
	ds_load_2addr_b64 v[68:71], v2 offset0:19 offset1:20
	s_mov_b32 s0, exec_lo
	s_waitcnt vmcnt(3) lgkmcnt(1)
	v_fma_f32 v64, v53, v64, 0
	s_delay_alu instid0(VALU_DEP_1) | instskip(NEXT) | instid1(VALU_DEP_1)
	v_fmac_f32_e32 v64, v54, v65
	v_fmac_f32_e32 v64, v55, v66
	s_waitcnt vmcnt(2)
	s_delay_alu instid0(VALU_DEP_1) | instskip(SKIP_4) | instid1(VALU_DEP_1)
	v_fmac_f32_e32 v64, v56, v67
	ds_load_2addr_b64 v[53:56], v2 offset0:21 offset1:22
	ds_load_b64 v[2:3], v2 offset:184
	s_waitcnt lgkmcnt(2)
	v_fmac_f32_e32 v64, v57, v68
	v_fmac_f32_e32 v64, v58, v69
	s_delay_alu instid0(VALU_DEP_1) | instskip(SKIP_1) | instid1(VALU_DEP_1)
	v_fmac_f32_e32 v64, v59, v70
	s_waitcnt vmcnt(1)
	v_fmac_f32_e32 v64, v60, v71
	s_waitcnt lgkmcnt(1)
	s_delay_alu instid0(VALU_DEP_1) | instskip(NEXT) | instid1(VALU_DEP_1)
	v_fmac_f32_e32 v64, v61, v53
	v_fmac_f32_e32 v64, v62, v54
	s_delay_alu instid0(VALU_DEP_1) | instskip(SKIP_1) | instid1(VALU_DEP_1)
	v_fmac_f32_e32 v64, v63, v55
	s_waitcnt vmcnt(0)
	v_fmac_f32_e32 v64, v72, v56
	s_waitcnt lgkmcnt(0)
	s_delay_alu instid0(VALU_DEP_1) | instskip(NEXT) | instid1(VALU_DEP_1)
	v_fmac_f32_e32 v64, v73, v2
	v_fmac_f32_e32 v64, v74, v3
	s_delay_alu instid0(VALU_DEP_1)
	v_sub_f32_e32 v2, v52, v64
	scratch_store_b32 off, v2, off offset:36
	v_cmpx_lt_u32_e32 8, v0
	s_cbranch_execz .LBB23_135
; %bb.134:
	scratch_load_b32 v2, off, off offset:32
	v_mov_b32_e32 v3, 0
	scratch_store_b32 off, v3, off offset:32
	s_waitcnt vmcnt(0)
	ds_store_b32 v1, v2
.LBB23_135:
	s_or_b32 exec_lo, exec_lo, s0
	s_waitcnt lgkmcnt(0)
	s_waitcnt_vscnt null, 0x0
	s_barrier
	buffer_gl0_inv
	s_clause 0x3
	scratch_load_b128 v[52:55], off, off offset:32
	scratch_load_b128 v[56:59], off, off offset:48
	;; [unrolled: 1-line block ×4, first 2 shown]
	v_mov_b32_e32 v2, 0
	ds_load_2addr_b32 v[68:69], v2 offset0:33 offset1:34
	ds_load_2addr_b32 v[70:71], v2 offset0:35 offset1:36
	;; [unrolled: 1-line block ×4, first 2 shown]
	s_mov_b32 s0, exec_lo
	s_waitcnt vmcnt(3) lgkmcnt(3)
	v_fma_f32 v3, v53, v68, 0
	s_delay_alu instid0(VALU_DEP_1) | instskip(SKIP_4) | instid1(VALU_DEP_1)
	v_fmac_f32_e32 v3, v54, v69
	ds_load_2addr_b32 v[53:54], v2 offset0:41 offset1:42
	s_waitcnt lgkmcnt(3)
	v_fmac_f32_e32 v3, v55, v70
	s_waitcnt vmcnt(2)
	v_fmac_f32_e32 v3, v56, v71
	ds_load_2addr_b32 v[55:56], v2 offset0:43 offset1:44
	s_waitcnt lgkmcnt(3)
	v_fmac_f32_e32 v3, v57, v72
	s_delay_alu instid0(VALU_DEP_1) | instskip(SKIP_1) | instid1(VALU_DEP_1)
	v_fmac_f32_e32 v3, v58, v73
	s_waitcnt lgkmcnt(2)
	v_fmac_f32_e32 v3, v59, v74
	ds_load_2addr_b32 v[57:58], v2 offset0:45 offset1:46
	ds_load_b32 v59, v2 offset:188
	s_waitcnt vmcnt(1)
	v_fmac_f32_e32 v3, v60, v75
	s_waitcnt lgkmcnt(3)
	s_delay_alu instid0(VALU_DEP_1) | instskip(NEXT) | instid1(VALU_DEP_1)
	v_fmac_f32_e32 v3, v61, v53
	v_fmac_f32_e32 v3, v62, v54
	s_waitcnt lgkmcnt(2)
	s_delay_alu instid0(VALU_DEP_1) | instskip(SKIP_1) | instid1(VALU_DEP_1)
	v_fmac_f32_e32 v3, v63, v55
	s_waitcnt vmcnt(0)
	v_fmac_f32_e32 v3, v64, v56
	s_waitcnt lgkmcnt(1)
	s_delay_alu instid0(VALU_DEP_1) | instskip(NEXT) | instid1(VALU_DEP_1)
	v_fmac_f32_e32 v3, v65, v57
	v_fmac_f32_e32 v3, v66, v58
	s_waitcnt lgkmcnt(0)
	s_delay_alu instid0(VALU_DEP_1) | instskip(NEXT) | instid1(VALU_DEP_1)
	v_fmac_f32_e32 v3, v67, v59
	v_sub_f32_e32 v3, v52, v3
	scratch_store_b32 off, v3, off offset:32
	v_cmpx_lt_u32_e32 7, v0
	s_cbranch_execz .LBB23_137
; %bb.136:
	scratch_load_b32 v3, off, off offset:28
	scratch_store_b32 off, v2, off offset:28
	s_waitcnt vmcnt(0)
	ds_store_b32 v1, v3
.LBB23_137:
	s_or_b32 exec_lo, exec_lo, s0
	s_waitcnt lgkmcnt(0)
	s_waitcnt_vscnt null, 0x0
	s_barrier
	buffer_gl0_inv
	s_clause 0x4
	scratch_load_b128 v[52:55], off, off offset:28
	scratch_load_b128 v[56:59], off, off offset:44
	;; [unrolled: 1-line block ×4, first 2 shown]
	scratch_load_b32 v3, off, off offset:92
	ds_load_b128 v[68:71], v2 offset:128
	ds_load_b128 v[72:75], v2 offset:144
	s_mov_b32 s0, exec_lo
	s_waitcnt vmcnt(4) lgkmcnt(1)
	v_fma_f32 v68, v53, v68, 0
	s_delay_alu instid0(VALU_DEP_1) | instskip(NEXT) | instid1(VALU_DEP_1)
	v_fmac_f32_e32 v68, v54, v69
	v_fmac_f32_e32 v68, v55, v70
	s_waitcnt vmcnt(3)
	s_delay_alu instid0(VALU_DEP_1) | instskip(SKIP_3) | instid1(VALU_DEP_1)
	v_fmac_f32_e32 v68, v56, v71
	ds_load_b128 v[53:56], v2 offset:160
	s_waitcnt lgkmcnt(1)
	v_fmac_f32_e32 v68, v57, v72
	v_fmac_f32_e32 v68, v58, v73
	s_delay_alu instid0(VALU_DEP_1) | instskip(SKIP_1) | instid1(VALU_DEP_1)
	v_fmac_f32_e32 v68, v59, v74
	s_waitcnt vmcnt(2)
	v_fmac_f32_e32 v68, v60, v75
	ds_load_b128 v[57:60], v2 offset:176
	s_waitcnt lgkmcnt(1)
	v_fmac_f32_e32 v68, v61, v53
	s_delay_alu instid0(VALU_DEP_1) | instskip(NEXT) | instid1(VALU_DEP_1)
	v_fmac_f32_e32 v68, v62, v54
	v_fmac_f32_e32 v68, v63, v55
	s_waitcnt vmcnt(1)
	s_delay_alu instid0(VALU_DEP_1) | instskip(SKIP_1) | instid1(VALU_DEP_1)
	v_fmac_f32_e32 v68, v64, v56
	s_waitcnt lgkmcnt(0)
	v_fmac_f32_e32 v68, v65, v57
	s_delay_alu instid0(VALU_DEP_1) | instskip(NEXT) | instid1(VALU_DEP_1)
	v_fmac_f32_e32 v68, v66, v58
	v_fmac_f32_e32 v68, v67, v59
	s_waitcnt vmcnt(0)
	s_delay_alu instid0(VALU_DEP_1) | instskip(NEXT) | instid1(VALU_DEP_1)
	v_fmac_f32_e32 v68, v3, v60
	v_sub_f32_e32 v2, v52, v68
	scratch_store_b32 off, v2, off offset:28
	v_cmpx_lt_u32_e32 6, v0
	s_cbranch_execz .LBB23_139
; %bb.138:
	scratch_load_b32 v2, off, off offset:24
	v_mov_b32_e32 v3, 0
	scratch_store_b32 off, v3, off offset:24
	s_waitcnt vmcnt(0)
	ds_store_b32 v1, v2
.LBB23_139:
	s_or_b32 exec_lo, exec_lo, s0
	s_waitcnt lgkmcnt(0)
	s_waitcnt_vscnt null, 0x0
	s_barrier
	buffer_gl0_inv
	s_clause 0x4
	scratch_load_b128 v[52:55], off, off offset:24
	scratch_load_b128 v[56:59], off, off offset:40
	;; [unrolled: 1-line block ×4, first 2 shown]
	scratch_load_b64 v[68:69], off, off offset:88
	v_mov_b32_e32 v2, 0
	ds_load_2addr_b32 v[70:71], v2 offset0:31 offset1:32
	ds_load_2addr_b32 v[72:73], v2 offset0:33 offset1:34
	;; [unrolled: 1-line block ×4, first 2 shown]
	s_mov_b32 s0, exec_lo
	s_waitcnt vmcnt(4) lgkmcnt(3)
	v_fma_f32 v3, v53, v70, 0
	s_delay_alu instid0(VALU_DEP_1) | instskip(SKIP_4) | instid1(VALU_DEP_1)
	v_fmac_f32_e32 v3, v54, v71
	ds_load_2addr_b32 v[53:54], v2 offset0:39 offset1:40
	s_waitcnt lgkmcnt(3)
	v_fmac_f32_e32 v3, v55, v72
	s_waitcnt vmcnt(3)
	v_fmac_f32_e32 v3, v56, v73
	ds_load_2addr_b32 v[55:56], v2 offset0:41 offset1:42
	s_waitcnt lgkmcnt(3)
	v_fmac_f32_e32 v3, v57, v74
	s_delay_alu instid0(VALU_DEP_1) | instskip(SKIP_1) | instid1(VALU_DEP_1)
	v_fmac_f32_e32 v3, v58, v75
	s_waitcnt lgkmcnt(2)
	v_fmac_f32_e32 v3, v59, v76
	s_waitcnt vmcnt(2)
	s_delay_alu instid0(VALU_DEP_1)
	v_fmac_f32_e32 v3, v60, v77
	ds_load_2addr_b32 v[57:58], v2 offset0:43 offset1:44
	ds_load_2addr_b32 v[59:60], v2 offset0:45 offset1:46
	s_waitcnt lgkmcnt(3)
	v_fmac_f32_e32 v3, v61, v53
	ds_load_b32 v53, v2 offset:188
	v_fmac_f32_e32 v3, v62, v54
	s_waitcnt lgkmcnt(3)
	s_delay_alu instid0(VALU_DEP_1) | instskip(SKIP_1) | instid1(VALU_DEP_1)
	v_fmac_f32_e32 v3, v63, v55
	s_waitcnt vmcnt(1)
	v_fmac_f32_e32 v3, v64, v56
	s_waitcnt lgkmcnt(2)
	s_delay_alu instid0(VALU_DEP_1) | instskip(NEXT) | instid1(VALU_DEP_1)
	v_fmac_f32_e32 v3, v65, v57
	v_fmac_f32_e32 v3, v66, v58
	s_waitcnt lgkmcnt(1)
	s_delay_alu instid0(VALU_DEP_1) | instskip(SKIP_1) | instid1(VALU_DEP_1)
	v_fmac_f32_e32 v3, v67, v59
	s_waitcnt vmcnt(0)
	v_fmac_f32_e32 v3, v68, v60
	s_waitcnt lgkmcnt(0)
	s_delay_alu instid0(VALU_DEP_1) | instskip(NEXT) | instid1(VALU_DEP_1)
	v_fmac_f32_e32 v3, v69, v53
	v_sub_f32_e32 v3, v52, v3
	scratch_store_b32 off, v3, off offset:24
	v_cmpx_lt_u32_e32 5, v0
	s_cbranch_execz .LBB23_141
; %bb.140:
	scratch_load_b32 v3, off, off offset:20
	scratch_store_b32 off, v2, off offset:20
	s_waitcnt vmcnt(0)
	ds_store_b32 v1, v3
.LBB23_141:
	s_or_b32 exec_lo, exec_lo, s0
	s_waitcnt lgkmcnt(0)
	s_waitcnt_vscnt null, 0x0
	s_barrier
	buffer_gl0_inv
	s_clause 0x4
	scratch_load_b128 v[52:55], off, off offset:20
	scratch_load_b128 v[56:59], off, off offset:36
	;; [unrolled: 1-line block ×4, first 2 shown]
	scratch_load_b96 v[76:78], off, off offset:84
	ds_load_2addr_b64 v[68:71], v2 offset0:15 offset1:16
	ds_load_2addr_b64 v[72:75], v2 offset0:17 offset1:18
	s_mov_b32 s0, exec_lo
	s_waitcnt vmcnt(4) lgkmcnt(1)
	v_fma_f32 v68, v53, v68, 0
	s_delay_alu instid0(VALU_DEP_1) | instskip(NEXT) | instid1(VALU_DEP_1)
	v_fmac_f32_e32 v68, v54, v69
	v_fmac_f32_e32 v68, v55, v70
	s_waitcnt vmcnt(3)
	s_delay_alu instid0(VALU_DEP_1) | instskip(SKIP_3) | instid1(VALU_DEP_1)
	v_fmac_f32_e32 v68, v56, v71
	ds_load_2addr_b64 v[53:56], v2 offset0:19 offset1:20
	s_waitcnt lgkmcnt(1)
	v_fmac_f32_e32 v68, v57, v72
	v_fmac_f32_e32 v68, v58, v73
	s_delay_alu instid0(VALU_DEP_1) | instskip(SKIP_1) | instid1(VALU_DEP_1)
	v_fmac_f32_e32 v68, v59, v74
	s_waitcnt vmcnt(2)
	v_fmac_f32_e32 v68, v60, v75
	ds_load_2addr_b64 v[57:60], v2 offset0:21 offset1:22
	ds_load_b64 v[2:3], v2 offset:184
	s_waitcnt lgkmcnt(2)
	v_fmac_f32_e32 v68, v61, v53
	s_delay_alu instid0(VALU_DEP_1) | instskip(NEXT) | instid1(VALU_DEP_1)
	v_fmac_f32_e32 v68, v62, v54
	v_fmac_f32_e32 v68, v63, v55
	s_waitcnt vmcnt(1)
	s_delay_alu instid0(VALU_DEP_1) | instskip(SKIP_1) | instid1(VALU_DEP_1)
	v_fmac_f32_e32 v68, v64, v56
	s_waitcnt lgkmcnt(1)
	v_fmac_f32_e32 v68, v65, v57
	s_delay_alu instid0(VALU_DEP_1) | instskip(NEXT) | instid1(VALU_DEP_1)
	v_fmac_f32_e32 v68, v66, v58
	v_fmac_f32_e32 v68, v67, v59
	s_waitcnt vmcnt(0)
	s_delay_alu instid0(VALU_DEP_1) | instskip(SKIP_1) | instid1(VALU_DEP_1)
	v_fmac_f32_e32 v68, v76, v60
	s_waitcnt lgkmcnt(0)
	v_fmac_f32_e32 v68, v77, v2
	s_delay_alu instid0(VALU_DEP_1) | instskip(NEXT) | instid1(VALU_DEP_1)
	v_fmac_f32_e32 v68, v78, v3
	v_sub_f32_e32 v2, v52, v68
	scratch_store_b32 off, v2, off offset:20
	v_cmpx_lt_u32_e32 4, v0
	s_cbranch_execz .LBB23_143
; %bb.142:
	scratch_load_b32 v2, off, off offset:16
	v_mov_b32_e32 v3, 0
	scratch_store_b32 off, v3, off offset:16
	s_waitcnt vmcnt(0)
	ds_store_b32 v1, v2
.LBB23_143:
	s_or_b32 exec_lo, exec_lo, s0
	s_waitcnt lgkmcnt(0)
	s_waitcnt_vscnt null, 0x0
	s_barrier
	buffer_gl0_inv
	s_clause 0x4
	scratch_load_b128 v[52:55], off, off offset:16
	scratch_load_b128 v[56:59], off, off offset:32
	;; [unrolled: 1-line block ×5, first 2 shown]
	v_mov_b32_e32 v2, 0
	ds_load_2addr_b32 v[72:73], v2 offset0:29 offset1:30
	ds_load_2addr_b32 v[74:75], v2 offset0:31 offset1:32
	ds_load_2addr_b32 v[76:77], v2 offset0:33 offset1:34
	ds_load_2addr_b32 v[78:79], v2 offset0:35 offset1:36
	s_mov_b32 s0, exec_lo
	s_waitcnt vmcnt(4) lgkmcnt(3)
	v_fma_f32 v3, v53, v72, 0
	s_delay_alu instid0(VALU_DEP_1) | instskip(SKIP_4) | instid1(VALU_DEP_1)
	v_fmac_f32_e32 v3, v54, v73
	ds_load_2addr_b32 v[53:54], v2 offset0:37 offset1:38
	s_waitcnt lgkmcnt(3)
	v_fmac_f32_e32 v3, v55, v74
	s_waitcnt vmcnt(3)
	v_fmac_f32_e32 v3, v56, v75
	ds_load_2addr_b32 v[55:56], v2 offset0:39 offset1:40
	s_waitcnt lgkmcnt(3)
	v_fmac_f32_e32 v3, v57, v76
	s_delay_alu instid0(VALU_DEP_1) | instskip(SKIP_1) | instid1(VALU_DEP_1)
	v_fmac_f32_e32 v3, v58, v77
	s_waitcnt lgkmcnt(2)
	v_fmac_f32_e32 v3, v59, v78
	s_waitcnt vmcnt(2)
	s_delay_alu instid0(VALU_DEP_1) | instskip(SKIP_4) | instid1(VALU_DEP_1)
	v_fmac_f32_e32 v3, v60, v79
	ds_load_2addr_b32 v[57:58], v2 offset0:41 offset1:42
	ds_load_2addr_b32 v[59:60], v2 offset0:43 offset1:44
	s_waitcnt lgkmcnt(3)
	v_fmac_f32_e32 v3, v61, v53
	v_fmac_f32_e32 v3, v62, v54
	ds_load_2addr_b32 v[53:54], v2 offset0:45 offset1:46
	s_waitcnt lgkmcnt(3)
	v_fmac_f32_e32 v3, v63, v55
	ds_load_b32 v55, v2 offset:188
	s_waitcnt vmcnt(1)
	v_fmac_f32_e32 v3, v64, v56
	s_waitcnt lgkmcnt(3)
	s_delay_alu instid0(VALU_DEP_1) | instskip(NEXT) | instid1(VALU_DEP_1)
	v_fmac_f32_e32 v3, v65, v57
	v_fmac_f32_e32 v3, v66, v58
	s_waitcnt lgkmcnt(2)
	s_delay_alu instid0(VALU_DEP_1) | instskip(SKIP_1) | instid1(VALU_DEP_1)
	v_fmac_f32_e32 v3, v67, v59
	s_waitcnt vmcnt(0)
	v_fmac_f32_e32 v3, v68, v60
	s_waitcnt lgkmcnt(1)
	s_delay_alu instid0(VALU_DEP_1) | instskip(NEXT) | instid1(VALU_DEP_1)
	v_fmac_f32_e32 v3, v69, v53
	v_fmac_f32_e32 v3, v70, v54
	s_waitcnt lgkmcnt(0)
	s_delay_alu instid0(VALU_DEP_1) | instskip(NEXT) | instid1(VALU_DEP_1)
	v_fmac_f32_e32 v3, v71, v55
	v_sub_f32_e32 v3, v52, v3
	scratch_store_b32 off, v3, off offset:16
	v_cmpx_lt_u32_e32 3, v0
	s_cbranch_execz .LBB23_145
; %bb.144:
	scratch_load_b32 v3, off, off offset:12
	scratch_store_b32 off, v2, off offset:12
	s_waitcnt vmcnt(0)
	ds_store_b32 v1, v3
.LBB23_145:
	s_or_b32 exec_lo, exec_lo, s0
	s_waitcnt lgkmcnt(0)
	s_waitcnt_vscnt null, 0x0
	s_barrier
	buffer_gl0_inv
	s_clause 0x5
	scratch_load_b128 v[52:55], off, off offset:12
	scratch_load_b128 v[56:59], off, off offset:28
	;; [unrolled: 1-line block ×5, first 2 shown]
	scratch_load_b32 v3, off, off offset:92
	ds_load_b128 v[72:75], v2 offset:112
	ds_load_b128 v[76:79], v2 offset:128
	s_mov_b32 s0, exec_lo
	s_waitcnt vmcnt(5) lgkmcnt(1)
	v_fma_f32 v72, v53, v72, 0
	s_delay_alu instid0(VALU_DEP_1) | instskip(NEXT) | instid1(VALU_DEP_1)
	v_fmac_f32_e32 v72, v54, v73
	v_fmac_f32_e32 v72, v55, v74
	s_waitcnt vmcnt(4)
	s_delay_alu instid0(VALU_DEP_1) | instskip(SKIP_3) | instid1(VALU_DEP_1)
	v_fmac_f32_e32 v72, v56, v75
	ds_load_b128 v[53:56], v2 offset:144
	s_waitcnt lgkmcnt(1)
	v_fmac_f32_e32 v72, v57, v76
	v_fmac_f32_e32 v72, v58, v77
	s_delay_alu instid0(VALU_DEP_1) | instskip(SKIP_1) | instid1(VALU_DEP_1)
	v_fmac_f32_e32 v72, v59, v78
	s_waitcnt vmcnt(3)
	v_fmac_f32_e32 v72, v60, v79
	ds_load_b128 v[57:60], v2 offset:160
	s_waitcnt lgkmcnt(1)
	v_fmac_f32_e32 v72, v61, v53
	s_delay_alu instid0(VALU_DEP_1) | instskip(NEXT) | instid1(VALU_DEP_1)
	v_fmac_f32_e32 v72, v62, v54
	v_fmac_f32_e32 v72, v63, v55
	s_waitcnt vmcnt(2)
	s_delay_alu instid0(VALU_DEP_1) | instskip(SKIP_3) | instid1(VALU_DEP_1)
	v_fmac_f32_e32 v72, v64, v56
	ds_load_b128 v[53:56], v2 offset:176
	s_waitcnt lgkmcnt(1)
	v_fmac_f32_e32 v72, v65, v57
	v_fmac_f32_e32 v72, v66, v58
	s_delay_alu instid0(VALU_DEP_1) | instskip(SKIP_1) | instid1(VALU_DEP_1)
	v_fmac_f32_e32 v72, v67, v59
	s_waitcnt vmcnt(1)
	v_fmac_f32_e32 v72, v68, v60
	s_waitcnt lgkmcnt(0)
	s_delay_alu instid0(VALU_DEP_1) | instskip(NEXT) | instid1(VALU_DEP_1)
	v_fmac_f32_e32 v72, v69, v53
	v_fmac_f32_e32 v72, v70, v54
	s_delay_alu instid0(VALU_DEP_1) | instskip(SKIP_1) | instid1(VALU_DEP_1)
	v_fmac_f32_e32 v72, v71, v55
	s_waitcnt vmcnt(0)
	v_fmac_f32_e32 v72, v3, v56
	s_delay_alu instid0(VALU_DEP_1)
	v_sub_f32_e32 v2, v52, v72
	scratch_store_b32 off, v2, off offset:12
	v_cmpx_lt_u32_e32 2, v0
	s_cbranch_execz .LBB23_147
; %bb.146:
	scratch_load_b32 v2, off, off offset:8
	v_mov_b32_e32 v3, 0
	scratch_store_b32 off, v3, off offset:8
	s_waitcnt vmcnt(0)
	ds_store_b32 v1, v2
.LBB23_147:
	s_or_b32 exec_lo, exec_lo, s0
	s_waitcnt lgkmcnt(0)
	s_waitcnt_vscnt null, 0x0
	s_barrier
	buffer_gl0_inv
	s_clause 0x5
	scratch_load_b128 v[52:55], off, off offset:8
	scratch_load_b128 v[56:59], off, off offset:24
	;; [unrolled: 1-line block ×5, first 2 shown]
	scratch_load_b64 v[72:73], off, off offset:88
	v_mov_b32_e32 v2, 0
	ds_load_2addr_b32 v[74:75], v2 offset0:27 offset1:28
	ds_load_2addr_b32 v[76:77], v2 offset0:29 offset1:30
	;; [unrolled: 1-line block ×4, first 2 shown]
	s_mov_b32 s0, exec_lo
	s_waitcnt vmcnt(5) lgkmcnt(3)
	v_fma_f32 v3, v53, v74, 0
	s_delay_alu instid0(VALU_DEP_1) | instskip(SKIP_4) | instid1(VALU_DEP_1)
	v_fmac_f32_e32 v3, v54, v75
	ds_load_2addr_b32 v[53:54], v2 offset0:35 offset1:36
	s_waitcnt lgkmcnt(3)
	v_fmac_f32_e32 v3, v55, v76
	s_waitcnt vmcnt(4)
	v_fmac_f32_e32 v3, v56, v77
	ds_load_2addr_b32 v[55:56], v2 offset0:37 offset1:38
	s_waitcnt lgkmcnt(3)
	v_fmac_f32_e32 v3, v57, v78
	s_delay_alu instid0(VALU_DEP_1) | instskip(SKIP_1) | instid1(VALU_DEP_1)
	v_fmac_f32_e32 v3, v58, v79
	s_waitcnt lgkmcnt(2)
	v_fmac_f32_e32 v3, v59, v80
	s_waitcnt vmcnt(3)
	s_delay_alu instid0(VALU_DEP_1) | instskip(SKIP_4) | instid1(VALU_DEP_1)
	v_fmac_f32_e32 v3, v60, v81
	ds_load_2addr_b32 v[57:58], v2 offset0:39 offset1:40
	ds_load_2addr_b32 v[59:60], v2 offset0:41 offset1:42
	s_waitcnt lgkmcnt(3)
	v_fmac_f32_e32 v3, v61, v53
	v_fmac_f32_e32 v3, v62, v54
	ds_load_2addr_b32 v[53:54], v2 offset0:43 offset1:44
	s_waitcnt lgkmcnt(3)
	v_fmac_f32_e32 v3, v63, v55
	s_waitcnt vmcnt(2)
	s_delay_alu instid0(VALU_DEP_1)
	v_fmac_f32_e32 v3, v64, v56
	ds_load_2addr_b32 v[55:56], v2 offset0:45 offset1:46
	s_waitcnt lgkmcnt(3)
	v_fmac_f32_e32 v3, v65, v57
	ds_load_b32 v57, v2 offset:188
	v_fmac_f32_e32 v3, v66, v58
	s_waitcnt lgkmcnt(3)
	s_delay_alu instid0(VALU_DEP_1) | instskip(SKIP_1) | instid1(VALU_DEP_1)
	v_fmac_f32_e32 v3, v67, v59
	s_waitcnt vmcnt(1)
	v_fmac_f32_e32 v3, v68, v60
	s_waitcnt lgkmcnt(2)
	s_delay_alu instid0(VALU_DEP_1) | instskip(NEXT) | instid1(VALU_DEP_1)
	v_fmac_f32_e32 v3, v69, v53
	v_fmac_f32_e32 v3, v70, v54
	s_waitcnt lgkmcnt(1)
	s_delay_alu instid0(VALU_DEP_1) | instskip(SKIP_1) | instid1(VALU_DEP_1)
	v_fmac_f32_e32 v3, v71, v55
	s_waitcnt vmcnt(0)
	v_fmac_f32_e32 v3, v72, v56
	s_waitcnt lgkmcnt(0)
	s_delay_alu instid0(VALU_DEP_1) | instskip(NEXT) | instid1(VALU_DEP_1)
	v_fmac_f32_e32 v3, v73, v57
	v_sub_f32_e32 v3, v52, v3
	scratch_store_b32 off, v3, off offset:8
	v_cmpx_lt_u32_e32 1, v0
	s_cbranch_execz .LBB23_149
; %bb.148:
	scratch_load_b32 v3, off, off offset:4
	scratch_store_b32 off, v2, off offset:4
	s_waitcnt vmcnt(0)
	ds_store_b32 v1, v3
.LBB23_149:
	s_or_b32 exec_lo, exec_lo, s0
	s_waitcnt lgkmcnt(0)
	s_waitcnt_vscnt null, 0x0
	s_barrier
	buffer_gl0_inv
	s_clause 0x5
	scratch_load_b128 v[52:55], off, off offset:4
	scratch_load_b128 v[56:59], off, off offset:20
	;; [unrolled: 1-line block ×5, first 2 shown]
	scratch_load_b96 v[80:82], off, off offset:84
	ds_load_2addr_b64 v[72:75], v2 offset0:13 offset1:14
	ds_load_2addr_b64 v[76:79], v2 offset0:15 offset1:16
	s_mov_b32 s0, exec_lo
	s_waitcnt vmcnt(5) lgkmcnt(1)
	v_fma_f32 v72, v53, v72, 0
	s_delay_alu instid0(VALU_DEP_1) | instskip(NEXT) | instid1(VALU_DEP_1)
	v_fmac_f32_e32 v72, v54, v73
	v_fmac_f32_e32 v72, v55, v74
	s_waitcnt vmcnt(4)
	s_delay_alu instid0(VALU_DEP_1) | instskip(SKIP_3) | instid1(VALU_DEP_1)
	v_fmac_f32_e32 v72, v56, v75
	ds_load_2addr_b64 v[53:56], v2 offset0:17 offset1:18
	s_waitcnt lgkmcnt(1)
	v_fmac_f32_e32 v72, v57, v76
	v_fmac_f32_e32 v72, v58, v77
	s_delay_alu instid0(VALU_DEP_1) | instskip(SKIP_1) | instid1(VALU_DEP_1)
	v_fmac_f32_e32 v72, v59, v78
	s_waitcnt vmcnt(3)
	v_fmac_f32_e32 v72, v60, v79
	ds_load_2addr_b64 v[57:60], v2 offset0:19 offset1:20
	s_waitcnt lgkmcnt(1)
	v_fmac_f32_e32 v72, v61, v53
	s_delay_alu instid0(VALU_DEP_1) | instskip(NEXT) | instid1(VALU_DEP_1)
	v_fmac_f32_e32 v72, v62, v54
	v_fmac_f32_e32 v72, v63, v55
	s_waitcnt vmcnt(2)
	s_delay_alu instid0(VALU_DEP_1) | instskip(SKIP_4) | instid1(VALU_DEP_1)
	v_fmac_f32_e32 v72, v64, v56
	ds_load_2addr_b64 v[53:56], v2 offset0:21 offset1:22
	ds_load_b64 v[2:3], v2 offset:184
	s_waitcnt lgkmcnt(2)
	v_fmac_f32_e32 v72, v65, v57
	v_fmac_f32_e32 v72, v66, v58
	s_delay_alu instid0(VALU_DEP_1) | instskip(SKIP_1) | instid1(VALU_DEP_1)
	v_fmac_f32_e32 v72, v67, v59
	s_waitcnt vmcnt(1)
	v_fmac_f32_e32 v72, v68, v60
	s_waitcnt lgkmcnt(1)
	s_delay_alu instid0(VALU_DEP_1) | instskip(NEXT) | instid1(VALU_DEP_1)
	v_fmac_f32_e32 v72, v69, v53
	v_fmac_f32_e32 v72, v70, v54
	s_delay_alu instid0(VALU_DEP_1) | instskip(SKIP_1) | instid1(VALU_DEP_1)
	v_fmac_f32_e32 v72, v71, v55
	s_waitcnt vmcnt(0)
	v_fmac_f32_e32 v72, v80, v56
	s_waitcnt lgkmcnt(0)
	s_delay_alu instid0(VALU_DEP_1) | instskip(NEXT) | instid1(VALU_DEP_1)
	v_fmac_f32_e32 v72, v81, v2
	v_fmac_f32_e32 v72, v82, v3
	s_delay_alu instid0(VALU_DEP_1)
	v_sub_f32_e32 v2, v52, v72
	scratch_store_b32 off, v2, off offset:4
	v_cmpx_ne_u32_e32 0, v0
	s_cbranch_execz .LBB23_151
; %bb.150:
	scratch_load_b32 v0, off, off
	v_mov_b32_e32 v2, 0
	scratch_store_b32 off, v2, off
	s_waitcnt vmcnt(0)
	ds_store_b32 v1, v0
.LBB23_151:
	s_or_b32 exec_lo, exec_lo, s0
	s_waitcnt lgkmcnt(0)
	s_waitcnt_vscnt null, 0x0
	s_barrier
	buffer_gl0_inv
	s_clause 0x5
	scratch_load_b128 v[52:55], off, off
	scratch_load_b128 v[56:59], off, off offset:16
	scratch_load_b128 v[60:63], off, off offset:32
	;; [unrolled: 1-line block ×5, first 2 shown]
	v_mov_b32_e32 v80, 0
	ds_load_2addr_b32 v[72:73], v80 offset0:25 offset1:26
	ds_load_2addr_b32 v[74:75], v80 offset0:27 offset1:28
	;; [unrolled: 1-line block ×4, first 2 shown]
	s_and_b32 vcc_lo, exec_lo, s16
	s_waitcnt vmcnt(5) lgkmcnt(3)
	v_fma_f32 v72, v53, v72, 0
	s_delay_alu instid0(VALU_DEP_1) | instskip(SKIP_4) | instid1(VALU_DEP_1)
	v_fmac_f32_e32 v72, v54, v73
	ds_load_2addr_b32 v[53:54], v80 offset0:33 offset1:34
	s_waitcnt lgkmcnt(3)
	v_fmac_f32_e32 v72, v55, v74
	s_waitcnt vmcnt(4)
	v_fmac_f32_e32 v72, v56, v75
	ds_load_2addr_b32 v[55:56], v80 offset0:35 offset1:36
	s_waitcnt lgkmcnt(3)
	v_fmac_f32_e32 v72, v57, v76
	s_delay_alu instid0(VALU_DEP_1) | instskip(SKIP_1) | instid1(VALU_DEP_1)
	v_fmac_f32_e32 v72, v58, v77
	s_waitcnt lgkmcnt(2)
	v_fmac_f32_e32 v72, v59, v78
	s_waitcnt vmcnt(3)
	s_delay_alu instid0(VALU_DEP_1) | instskip(SKIP_4) | instid1(VALU_DEP_1)
	v_fmac_f32_e32 v72, v60, v79
	ds_load_2addr_b32 v[57:58], v80 offset0:37 offset1:38
	ds_load_2addr_b32 v[59:60], v80 offset0:39 offset1:40
	s_waitcnt lgkmcnt(3)
	v_fmac_f32_e32 v72, v61, v53
	v_fmac_f32_e32 v72, v62, v54
	ds_load_2addr_b32 v[53:54], v80 offset0:41 offset1:42
	s_waitcnt lgkmcnt(3)
	v_fmac_f32_e32 v72, v63, v55
	s_waitcnt vmcnt(2)
	s_delay_alu instid0(VALU_DEP_1) | instskip(SKIP_3) | instid1(VALU_DEP_1)
	v_fmac_f32_e32 v72, v64, v56
	ds_load_2addr_b32 v[55:56], v80 offset0:43 offset1:44
	s_waitcnt lgkmcnt(3)
	v_fmac_f32_e32 v72, v65, v57
	v_fmac_f32_e32 v72, v66, v58
	s_waitcnt lgkmcnt(2)
	s_delay_alu instid0(VALU_DEP_1)
	v_fmac_f32_e32 v72, v67, v59
	ds_load_2addr_b32 v[57:58], v80 offset0:45 offset1:46
	ds_load_b32 v59, v80 offset:188
	s_waitcnt vmcnt(1)
	v_fmac_f32_e32 v72, v68, v60
	s_waitcnt lgkmcnt(3)
	s_delay_alu instid0(VALU_DEP_1) | instskip(NEXT) | instid1(VALU_DEP_1)
	v_fmac_f32_e32 v72, v69, v53
	v_fmac_f32_e32 v72, v70, v54
	s_waitcnt lgkmcnt(2)
	s_delay_alu instid0(VALU_DEP_1) | instskip(SKIP_1) | instid1(VALU_DEP_1)
	v_fmac_f32_e32 v72, v71, v55
	s_waitcnt vmcnt(0)
	v_fmac_f32_e32 v72, v0, v56
	s_waitcnt lgkmcnt(1)
	s_delay_alu instid0(VALU_DEP_1) | instskip(NEXT) | instid1(VALU_DEP_1)
	v_fmac_f32_e32 v72, v1, v57
	v_fmac_f32_e32 v72, v2, v58
	s_waitcnt lgkmcnt(0)
	s_delay_alu instid0(VALU_DEP_1) | instskip(NEXT) | instid1(VALU_DEP_1)
	v_fmac_f32_e32 v72, v3, v59
	v_sub_f32_e32 v0, v52, v72
	scratch_store_b32 off, v0, off
	s_cbranch_vccz .LBB23_199
; %bb.152:
	v_dual_mov_b32 v0, s12 :: v_dual_mov_b32 v1, s13
	s_mov_b32 s0, exec_lo
	flat_load_b32 v0, v[0:1] offset:88
	s_waitcnt vmcnt(0) lgkmcnt(0)
	v_cmpx_ne_u32_e32 23, v0
	s_cbranch_execz .LBB23_154
; %bb.153:
	v_lshl_add_u32 v0, v0, 2, 0
	scratch_load_b32 v1, v0, off offset:-4
	s_waitcnt vmcnt(0)
	scratch_store_b32 off, v1, off offset:88
	scratch_store_b32 v0, v2, off offset:-4
.LBB23_154:
	s_or_b32 exec_lo, exec_lo, s0
	v_dual_mov_b32 v0, s12 :: v_dual_mov_b32 v1, s13
	s_mov_b32 s0, exec_lo
	flat_load_b32 v0, v[0:1] offset:84
	s_waitcnt vmcnt(0) lgkmcnt(0)
	v_cmpx_ne_u32_e32 22, v0
	s_cbranch_execz .LBB23_156
; %bb.155:
	v_lshl_add_u32 v0, v0, 2, 0
	scratch_load_b32 v1, v0, off offset:-4
	scratch_load_b32 v2, off, off offset:84
	s_waitcnt vmcnt(1)
	scratch_store_b32 off, v1, off offset:84
	s_waitcnt vmcnt(0)
	scratch_store_b32 v0, v2, off offset:-4
.LBB23_156:
	s_or_b32 exec_lo, exec_lo, s0
	v_dual_mov_b32 v0, s12 :: v_dual_mov_b32 v1, s13
	s_mov_b32 s0, exec_lo
	flat_load_b32 v0, v[0:1] offset:80
	s_waitcnt vmcnt(0) lgkmcnt(0)
	v_cmpx_ne_u32_e32 21, v0
	s_cbranch_execz .LBB23_158
; %bb.157:
	v_lshl_add_u32 v0, v0, 2, 0
	scratch_load_b32 v1, v0, off offset:-4
	scratch_load_b32 v2, off, off offset:80
	s_waitcnt vmcnt(1)
	scratch_store_b32 off, v1, off offset:80
	s_waitcnt vmcnt(0)
	scratch_store_b32 v0, v2, off offset:-4
.LBB23_158:
	;; [unrolled: 16-line block ×21, first 2 shown]
	s_or_b32 exec_lo, exec_lo, s0
	v_dual_mov_b32 v0, s12 :: v_dual_mov_b32 v1, s13
	s_mov_b32 s0, exec_lo
	flat_load_b32 v1, v[0:1]
	scratch_load_b32 v0, off, off
	s_waitcnt vmcnt(1) lgkmcnt(0)
	v_cmpx_ne_u32_e32 1, v1
	s_cbranch_execz .LBB23_198
; %bb.197:
	v_lshl_add_u32 v1, v1, 2, 0
	scratch_load_b32 v2, v1, off offset:-4
	s_waitcnt vmcnt(0)
	scratch_store_b32 off, v2, off
	scratch_store_b32 v1, v0, off offset:-4
	scratch_load_b32 v0, off, off
.LBB23_198:
	s_or_b32 exec_lo, exec_lo, s0
.LBB23_199:
	s_clause 0x5
	scratch_load_b128 v[52:55], off, off offset:4
	scratch_load_b128 v[56:59], off, off offset:20
	;; [unrolled: 1-line block ×5, first 2 shown]
	scratch_load_b96 v[1:3], off, off offset:84
	s_waitcnt vmcnt(6)
	global_store_b32 v[4:5], v0, off
	s_waitcnt vmcnt(5)
	s_clause 0x3
	global_store_b32 v[6:7], v52, off
	global_store_b32 v[8:9], v53, off
	global_store_b32 v[10:11], v54, off
	global_store_b32 v[12:13], v55, off
	s_waitcnt vmcnt(4)
	s_clause 0x3
	global_store_b32 v[14:15], v56, off
	global_store_b32 v[16:17], v57, off
	global_store_b32 v[18:19], v58, off
	;; [unrolled: 6-line block ×6, first 2 shown]
	s_endpgm
	.section	.rodata,"a",@progbits
	.p2align	6, 0x0
	.amdhsa_kernel _ZN9rocsolver6v33100L18getri_kernel_smallILi24EfPfEEvT1_iilPiilS4_bb
		.amdhsa_group_segment_fixed_size 196
		.amdhsa_private_segment_fixed_size 112
		.amdhsa_kernarg_size 60
		.amdhsa_user_sgpr_count 15
		.amdhsa_user_sgpr_dispatch_ptr 0
		.amdhsa_user_sgpr_queue_ptr 0
		.amdhsa_user_sgpr_kernarg_segment_ptr 1
		.amdhsa_user_sgpr_dispatch_id 0
		.amdhsa_user_sgpr_private_segment_size 0
		.amdhsa_wavefront_size32 1
		.amdhsa_uses_dynamic_stack 0
		.amdhsa_enable_private_segment 1
		.amdhsa_system_sgpr_workgroup_id_x 1
		.amdhsa_system_sgpr_workgroup_id_y 0
		.amdhsa_system_sgpr_workgroup_id_z 0
		.amdhsa_system_sgpr_workgroup_info 0
		.amdhsa_system_vgpr_workitem_id 0
		.amdhsa_next_free_vgpr 83
		.amdhsa_next_free_sgpr 18
		.amdhsa_reserve_vcc 1
		.amdhsa_float_round_mode_32 0
		.amdhsa_float_round_mode_16_64 0
		.amdhsa_float_denorm_mode_32 3
		.amdhsa_float_denorm_mode_16_64 3
		.amdhsa_dx10_clamp 1
		.amdhsa_ieee_mode 1
		.amdhsa_fp16_overflow 0
		.amdhsa_workgroup_processor_mode 1
		.amdhsa_memory_ordered 1
		.amdhsa_forward_progress 0
		.amdhsa_shared_vgpr_count 0
		.amdhsa_exception_fp_ieee_invalid_op 0
		.amdhsa_exception_fp_denorm_src 0
		.amdhsa_exception_fp_ieee_div_zero 0
		.amdhsa_exception_fp_ieee_overflow 0
		.amdhsa_exception_fp_ieee_underflow 0
		.amdhsa_exception_fp_ieee_inexact 0
		.amdhsa_exception_int_div_zero 0
	.end_amdhsa_kernel
	.section	.text._ZN9rocsolver6v33100L18getri_kernel_smallILi24EfPfEEvT1_iilPiilS4_bb,"axG",@progbits,_ZN9rocsolver6v33100L18getri_kernel_smallILi24EfPfEEvT1_iilPiilS4_bb,comdat
.Lfunc_end23:
	.size	_ZN9rocsolver6v33100L18getri_kernel_smallILi24EfPfEEvT1_iilPiilS4_bb, .Lfunc_end23-_ZN9rocsolver6v33100L18getri_kernel_smallILi24EfPfEEvT1_iilPiilS4_bb
                                        ; -- End function
	.section	.AMDGPU.csdata,"",@progbits
; Kernel info:
; codeLenInByte = 13832
; NumSgprs: 20
; NumVgprs: 83
; ScratchSize: 112
; MemoryBound: 0
; FloatMode: 240
; IeeeMode: 1
; LDSByteSize: 196 bytes/workgroup (compile time only)
; SGPRBlocks: 2
; VGPRBlocks: 10
; NumSGPRsForWavesPerEU: 20
; NumVGPRsForWavesPerEU: 83
; Occupancy: 16
; WaveLimiterHint : 1
; COMPUTE_PGM_RSRC2:SCRATCH_EN: 1
; COMPUTE_PGM_RSRC2:USER_SGPR: 15
; COMPUTE_PGM_RSRC2:TRAP_HANDLER: 0
; COMPUTE_PGM_RSRC2:TGID_X_EN: 1
; COMPUTE_PGM_RSRC2:TGID_Y_EN: 0
; COMPUTE_PGM_RSRC2:TGID_Z_EN: 0
; COMPUTE_PGM_RSRC2:TIDIG_COMP_CNT: 0
	.section	.text._ZN9rocsolver6v33100L18getri_kernel_smallILi25EfPfEEvT1_iilPiilS4_bb,"axG",@progbits,_ZN9rocsolver6v33100L18getri_kernel_smallILi25EfPfEEvT1_iilPiilS4_bb,comdat
	.globl	_ZN9rocsolver6v33100L18getri_kernel_smallILi25EfPfEEvT1_iilPiilS4_bb ; -- Begin function _ZN9rocsolver6v33100L18getri_kernel_smallILi25EfPfEEvT1_iilPiilS4_bb
	.p2align	8
	.type	_ZN9rocsolver6v33100L18getri_kernel_smallILi25EfPfEEvT1_iilPiilS4_bb,@function
_ZN9rocsolver6v33100L18getri_kernel_smallILi25EfPfEEvT1_iilPiilS4_bb: ; @_ZN9rocsolver6v33100L18getri_kernel_smallILi25EfPfEEvT1_iilPiilS4_bb
; %bb.0:
	s_mov_b32 s2, exec_lo
	v_cmpx_gt_u32_e32 25, v0
	s_cbranch_execz .LBB24_108
; %bb.1:
	s_clause 0x2
	s_load_b32 s17, s[0:1], 0x38
	s_load_b128 s[8:11], s[0:1], 0x10
	s_load_b128 s[4:7], s[0:1], 0x28
	s_mov_b32 s14, s15
                                        ; implicit-def: $sgpr12_sgpr13
	s_waitcnt lgkmcnt(0)
	s_bitcmp1_b32 s17, 8
	s_cselect_b32 s16, -1, 0
	s_bfe_u32 s2, s17, 0x10008
	s_ashr_i32 s15, s15, 31
	s_cmp_eq_u32 s2, 0
	s_cbranch_scc1 .LBB24_3
; %bb.2:
	s_load_b32 s2, s[0:1], 0x20
	s_mul_i32 s3, s14, s5
	s_mul_hi_u32 s5, s14, s4
	s_mul_i32 s12, s15, s4
	s_add_i32 s3, s5, s3
	s_mul_i32 s4, s14, s4
	s_add_i32 s5, s3, s12
	s_delay_alu instid0(SALU_CYCLE_1)
	s_lshl_b64 s[4:5], s[4:5], 2
	s_waitcnt lgkmcnt(0)
	s_ashr_i32 s3, s2, 31
	s_add_u32 s4, s10, s4
	s_addc_u32 s5, s11, s5
	s_lshl_b64 s[2:3], s[2:3], 2
	s_delay_alu instid0(SALU_CYCLE_1)
	s_add_u32 s12, s4, s2
	s_addc_u32 s13, s5, s3
.LBB24_3:
	s_load_b128 s[0:3], s[0:1], 0x0
	s_mul_i32 s4, s14, s9
	s_mul_hi_u32 s5, s14, s8
	s_mul_i32 s9, s15, s8
	s_add_i32 s5, s5, s4
	s_mul_i32 s4, s14, s8
	s_add_i32 s5, s5, s9
	v_lshlrev_b32_e32 v1, 2, v0
	s_lshl_b64 s[4:5], s[4:5], 2
	s_waitcnt lgkmcnt(0)
	v_add3_u32 v2, s3, s3, v0
	s_ashr_i32 s9, s2, 31
	s_mov_b32 s8, s2
	s_add_u32 s2, s0, s4
	s_addc_u32 s5, s1, s5
	v_add_nc_u32_e32 v8, s3, v2
	s_lshl_b64 s[0:1], s[8:9], 2
	v_ashrrev_i32_e32 v3, 31, v2
	s_add_u32 s0, s2, s0
	s_addc_u32 s1, s5, s1
	v_add_nc_u32_e32 v10, s3, v8
	v_add_co_u32 v4, s2, s0, v1
	s_mov_b32 s4, s3
	s_ashr_i32 s5, s3, 31
	s_delay_alu instid0(VALU_DEP_2) | instskip(SKIP_3) | instid1(VALU_DEP_4)
	v_add_nc_u32_e32 v14, s3, v10
	v_add_co_ci_u32_e64 v5, null, s1, 0, s2
	v_lshlrev_b64 v[2:3], 2, v[2:3]
	v_ashrrev_i32_e32 v9, 31, v8
	v_add_nc_u32_e32 v16, s3, v14
	s_lshl_b64 s[4:5], s[4:5], 2
	v_ashrrev_i32_e32 v11, 31, v10
	v_add_co_u32 v6, vcc_lo, v4, s4
	s_delay_alu instid0(VALU_DEP_3)
	v_add_nc_u32_e32 v18, s3, v16
	v_add_co_ci_u32_e32 v7, vcc_lo, s5, v5, vcc_lo
	v_lshlrev_b64 v[12:13], 2, v[8:9]
	v_add_co_u32 v8, vcc_lo, s0, v2
	v_add_co_ci_u32_e32 v9, vcc_lo, s1, v3, vcc_lo
	v_lshlrev_b64 v[2:3], 2, v[10:11]
	v_ashrrev_i32_e32 v15, 31, v14
	v_add_nc_u32_e32 v20, s3, v18
	v_add_co_u32 v10, vcc_lo, s0, v12
	v_ashrrev_i32_e32 v17, 31, v16
	v_add_co_ci_u32_e32 v11, vcc_lo, s1, v13, vcc_lo
	v_lshlrev_b64 v[14:15], 2, v[14:15]
	v_add_co_u32 v12, vcc_lo, s0, v2
	v_add_nc_u32_e32 v22, s3, v20
	v_add_co_ci_u32_e32 v13, vcc_lo, s1, v3, vcc_lo
	v_lshlrev_b64 v[2:3], 2, v[16:17]
	v_ashrrev_i32_e32 v19, 31, v18
	v_add_co_u32 v14, vcc_lo, s0, v14
	v_ashrrev_i32_e32 v21, 31, v20
	v_add_nc_u32_e32 v24, s3, v22
	v_add_co_ci_u32_e32 v15, vcc_lo, s1, v15, vcc_lo
	v_lshlrev_b64 v[18:19], 2, v[18:19]
	v_add_co_u32 v16, vcc_lo, s0, v2
	v_add_co_ci_u32_e32 v17, vcc_lo, s1, v3, vcc_lo
	v_lshlrev_b64 v[2:3], 2, v[20:21]
	v_add_nc_u32_e32 v26, s3, v24
	v_add_co_u32 v18, vcc_lo, s0, v18
	v_ashrrev_i32_e32 v23, 31, v22
	v_add_co_ci_u32_e32 v19, vcc_lo, s1, v19, vcc_lo
	s_delay_alu instid0(VALU_DEP_4)
	v_add_nc_u32_e32 v28, s3, v26
	v_add_co_u32 v20, vcc_lo, s0, v2
	v_add_co_ci_u32_e32 v21, vcc_lo, s1, v3, vcc_lo
	v_lshlrev_b64 v[2:3], 2, v[22:23]
	v_ashrrev_i32_e32 v25, 31, v24
	v_add_nc_u32_e32 v30, s3, v28
	v_ashrrev_i32_e32 v27, 31, v26
	v_ashrrev_i32_e32 v29, 31, v28
	global_load_b32 v54, v1, s[0:1]
	v_lshlrev_b64 v[24:25], 2, v[24:25]
	v_add_co_u32 v22, vcc_lo, s0, v2
	v_add_nc_u32_e32 v32, s3, v30
	v_add_co_ci_u32_e32 v23, vcc_lo, s1, v3, vcc_lo
	v_lshlrev_b64 v[2:3], 2, v[26:27]
	v_add_co_u32 v24, vcc_lo, s0, v24
	v_ashrrev_i32_e32 v31, 31, v30
	v_add_nc_u32_e32 v34, s3, v32
	v_add_co_ci_u32_e32 v25, vcc_lo, s1, v25, vcc_lo
	v_lshlrev_b64 v[28:29], 2, v[28:29]
	v_add_co_u32 v26, vcc_lo, s0, v2
	v_add_co_ci_u32_e32 v27, vcc_lo, s1, v3, vcc_lo
	v_lshlrev_b64 v[2:3], 2, v[30:31]
	v_ashrrev_i32_e32 v33, 31, v32
	v_add_nc_u32_e32 v36, s3, v34
	v_add_co_u32 v28, vcc_lo, s0, v28
	v_ashrrev_i32_e32 v35, 31, v34
	v_add_co_ci_u32_e32 v29, vcc_lo, s1, v29, vcc_lo
	v_lshlrev_b64 v[32:33], 2, v[32:33]
	v_add_co_u32 v30, vcc_lo, s0, v2
	v_ashrrev_i32_e32 v37, 31, v36
	v_add_co_ci_u32_e32 v31, vcc_lo, s1, v3, vcc_lo
	v_lshlrev_b64 v[2:3], 2, v[34:35]
	v_add_nc_u32_e32 v39, s3, v36
	v_add_co_u32 v32, vcc_lo, s0, v32
	v_lshlrev_b64 v[37:38], 2, v[36:37]
	v_add_co_ci_u32_e32 v33, vcc_lo, s1, v33, vcc_lo
	v_add_co_u32 v34, vcc_lo, s0, v2
	v_ashrrev_i32_e32 v40, 31, v39
	v_add_nc_u32_e32 v2, s3, v39
	v_add_co_ci_u32_e32 v35, vcc_lo, s1, v3, vcc_lo
	v_add_co_u32 v36, vcc_lo, s0, v37
	v_add_co_ci_u32_e32 v37, vcc_lo, s1, v38, vcc_lo
	v_lshlrev_b64 v[38:39], 2, v[39:40]
	v_add_nc_u32_e32 v40, s3, v2
	v_ashrrev_i32_e32 v3, 31, v2
	s_clause 0xf
	global_load_b32 v55, v[6:7], off
	global_load_b32 v56, v[8:9], off
	;; [unrolled: 1-line block ×16, first 2 shown]
	s_bitcmp0_b32 s17, 0
	v_add_nc_u32_e32 v42, s3, v40
	v_lshlrev_b64 v[2:3], 2, v[2:3]
	v_ashrrev_i32_e32 v41, 31, v40
	v_add_co_u32 v38, vcc_lo, s0, v38
	s_delay_alu instid0(VALU_DEP_4) | instskip(SKIP_3) | instid1(VALU_DEP_4)
	v_add_nc_u32_e32 v46, s3, v42
	v_ashrrev_i32_e32 v43, 31, v42
	v_add_co_ci_u32_e32 v39, vcc_lo, s1, v39, vcc_lo
	v_lshlrev_b64 v[44:45], 2, v[40:41]
	v_add_nc_u32_e32 v48, s3, v46
	v_add_co_u32 v40, vcc_lo, s0, v2
	v_add_co_ci_u32_e32 v41, vcc_lo, s1, v3, vcc_lo
	v_lshlrev_b64 v[2:3], 2, v[42:43]
	v_ashrrev_i32_e32 v47, 31, v46
	v_add_nc_u32_e32 v50, s3, v48
	v_add_co_u32 v42, vcc_lo, s0, v44
	v_ashrrev_i32_e32 v49, 31, v48
	v_add_co_ci_u32_e32 v43, vcc_lo, s1, v45, vcc_lo
	v_lshlrev_b64 v[46:47], 2, v[46:47]
	v_add_co_u32 v44, vcc_lo, s0, v2
	v_add_nc_u32_e32 v52, s3, v50
	v_add_co_ci_u32_e32 v45, vcc_lo, s1, v3, vcc_lo
	v_lshlrev_b64 v[2:3], 2, v[48:49]
	v_ashrrev_i32_e32 v51, 31, v50
	v_add_co_u32 v46, vcc_lo, s0, v46
	v_ashrrev_i32_e32 v53, 31, v52
	v_add_co_ci_u32_e32 v47, vcc_lo, s1, v47, vcc_lo
	s_delay_alu instid0(VALU_DEP_4) | instskip(SKIP_3) | instid1(VALU_DEP_4)
	v_lshlrev_b64 v[50:51], 2, v[50:51]
	v_add_co_u32 v48, vcc_lo, s0, v2
	v_add_co_ci_u32_e32 v49, vcc_lo, s1, v3, vcc_lo
	v_lshlrev_b64 v[2:3], 2, v[52:53]
	v_add_co_u32 v50, vcc_lo, s0, v50
	v_add_co_ci_u32_e32 v51, vcc_lo, s1, v51, vcc_lo
	s_delay_alu instid0(VALU_DEP_3) | instskip(NEXT) | instid1(VALU_DEP_4)
	v_add_co_u32 v52, vcc_lo, s0, v2
	v_add_co_ci_u32_e32 v53, vcc_lo, s1, v3, vcc_lo
	s_clause 0x7
	global_load_b32 v71, v[38:39], off
	global_load_b32 v72, v[40:41], off
	;; [unrolled: 1-line block ×8, first 2 shown]
	s_mov_b32 s1, -1
	s_waitcnt vmcnt(21)
	scratch_store_b128 off, v[54:57], off
	s_waitcnt vmcnt(17)
	scratch_store_b128 off, v[58:61], off offset:16
	s_waitcnt vmcnt(13)
	scratch_store_b128 off, v[62:65], off offset:32
	;; [unrolled: 2-line block ×5, first 2 shown]
	s_waitcnt vmcnt(0)
	scratch_store_b32 off, v2, off offset:96
	s_cbranch_scc1 .LBB24_106
; %bb.4:
	v_cmp_eq_u32_e64 s0, 0, v0
	s_delay_alu instid0(VALU_DEP_1)
	s_and_saveexec_b32 s1, s0
	s_cbranch_execz .LBB24_6
; %bb.5:
	v_mov_b32_e32 v2, 0
	ds_store_b32 v2, v2 offset:100
.LBB24_6:
	s_or_b32 exec_lo, exec_lo, s1
	s_waitcnt lgkmcnt(0)
	s_waitcnt_vscnt null, 0x0
	s_barrier
	buffer_gl0_inv
	scratch_load_b32 v2, v1, off
	s_mov_b32 s2, exec_lo
	s_waitcnt vmcnt(0)
	v_cmpx_eq_f32_e32 0, v2
	s_cbranch_execz .LBB24_10
; %bb.7:
	v_mov_b32_e32 v2, 0
	s_mov_b32 s3, 0
	ds_load_b32 v3, v2 offset:100
	s_waitcnt lgkmcnt(0)
	v_readfirstlane_b32 s1, v3
	v_add_nc_u32_e32 v3, 1, v0
	s_delay_alu instid0(VALU_DEP_2) | instskip(NEXT) | instid1(VALU_DEP_1)
	s_cmp_eq_u32 s1, 0
	v_cmp_gt_i32_e32 vcc_lo, s1, v3
	s_cselect_b32 s4, -1, 0
	s_delay_alu instid0(SALU_CYCLE_1) | instskip(NEXT) | instid1(SALU_CYCLE_1)
	s_or_b32 s4, s4, vcc_lo
	s_and_b32 exec_lo, exec_lo, s4
	s_cbranch_execz .LBB24_10
; %bb.8:
	v_mov_b32_e32 v54, s1
.LBB24_9:                               ; =>This Inner Loop Header: Depth=1
	ds_cmpstore_rtn_b32 v54, v2, v3, v54 offset:100
	s_waitcnt lgkmcnt(0)
	v_cmp_ne_u32_e32 vcc_lo, 0, v54
	v_cmp_le_i32_e64 s1, v54, v3
	s_delay_alu instid0(VALU_DEP_1) | instskip(NEXT) | instid1(SALU_CYCLE_1)
	s_and_b32 s1, vcc_lo, s1
	s_and_b32 s1, exec_lo, s1
	s_delay_alu instid0(SALU_CYCLE_1) | instskip(NEXT) | instid1(SALU_CYCLE_1)
	s_or_b32 s3, s1, s3
	s_and_not1_b32 exec_lo, exec_lo, s3
	s_cbranch_execnz .LBB24_9
.LBB24_10:
	s_or_b32 exec_lo, exec_lo, s2
	v_mov_b32_e32 v2, 0
	s_barrier
	buffer_gl0_inv
	ds_load_b32 v3, v2 offset:100
	s_and_saveexec_b32 s1, s0
	s_cbranch_execz .LBB24_12
; %bb.11:
	s_lshl_b64 s[2:3], s[14:15], 2
	s_delay_alu instid0(SALU_CYCLE_1)
	s_add_u32 s2, s6, s2
	s_addc_u32 s3, s7, s3
	s_waitcnt lgkmcnt(0)
	global_store_b32 v2, v3, s[2:3]
.LBB24_12:
	s_or_b32 exec_lo, exec_lo, s1
	s_waitcnt lgkmcnt(0)
	v_cmp_ne_u32_e32 vcc_lo, 0, v3
	s_mov_b32 s1, 0
	s_cbranch_vccnz .LBB24_106
; %bb.13:
	v_add_nc_u32_e32 v2, 0, v1
	scratch_load_b32 v3, v2, off
	s_waitcnt vmcnt(0)
	v_div_scale_f32 v54, null, v3, v3, 1.0
	v_div_scale_f32 v57, vcc_lo, 1.0, v3, 1.0
	s_delay_alu instid0(VALU_DEP_2) | instskip(SKIP_2) | instid1(VALU_DEP_1)
	v_rcp_f32_e32 v55, v54
	s_waitcnt_depctr 0xfff
	v_fma_f32 v56, -v54, v55, 1.0
	v_fmac_f32_e32 v55, v56, v55
	s_delay_alu instid0(VALU_DEP_1) | instskip(NEXT) | instid1(VALU_DEP_1)
	v_mul_f32_e32 v56, v57, v55
	v_fma_f32 v58, -v54, v56, v57
	s_delay_alu instid0(VALU_DEP_1) | instskip(NEXT) | instid1(VALU_DEP_1)
	v_fmac_f32_e32 v56, v58, v55
	v_fma_f32 v54, -v54, v56, v57
	s_delay_alu instid0(VALU_DEP_1) | instskip(NEXT) | instid1(VALU_DEP_1)
	v_div_fmas_f32 v54, v54, v55, v56
	v_div_fixup_f32 v3, v54, v3, 1.0
	scratch_store_b32 v2, v3, off
	scratch_load_b32 v54, off, off offset:4
	v_xor_b32_e32 v55, 0x80000000, v3
	v_add_nc_u32_e32 v3, 0x70, v1
	s_waitcnt vmcnt(0)
	ds_store_2addr_b32 v1, v55, v54 offset1:28
	s_waitcnt lgkmcnt(0)
	s_waitcnt_vscnt null, 0x0
	s_barrier
	buffer_gl0_inv
	s_and_saveexec_b32 s1, s0
	s_cbranch_execz .LBB24_15
; %bb.14:
	scratch_load_b32 v54, v2, off
	ds_load_b32 v55, v3
	v_mov_b32_e32 v56, 0
	ds_load_b32 v56, v56 offset:4
	s_waitcnt vmcnt(0) lgkmcnt(1)
	v_fma_f32 v54, v54, v55, 0
	s_waitcnt lgkmcnt(0)
	s_delay_alu instid0(VALU_DEP_1)
	v_mul_f32_e32 v54, v54, v56
	scratch_store_b32 off, v54, off offset:4
.LBB24_15:
	s_or_b32 exec_lo, exec_lo, s1
	s_waitcnt_vscnt null, 0x0
	s_barrier
	buffer_gl0_inv
	scratch_load_b32 v54, off, off offset:8
	s_mov_b32 s1, exec_lo
	s_waitcnt vmcnt(0)
	ds_store_b32 v3, v54
	s_waitcnt lgkmcnt(0)
	s_barrier
	buffer_gl0_inv
	v_cmpx_gt_u32_e32 2, v0
	s_cbranch_execz .LBB24_17
; %bb.16:
	scratch_load_b32 v56, v2, off
	scratch_load_b32 v57, off, off offset:4
	ds_load_b32 v58, v3
	v_mov_b32_e32 v54, 0
	ds_load_2addr_b32 v[54:55], v54 offset0:2 offset1:29
	s_waitcnt vmcnt(1) lgkmcnt(1)
	v_fma_f32 v56, v56, v58, 0
	s_waitcnt vmcnt(0) lgkmcnt(0)
	s_delay_alu instid0(VALU_DEP_1) | instskip(NEXT) | instid1(VALU_DEP_1)
	v_fma_f32 v55, v57, v55, v56
	v_cndmask_b32_e64 v55, v56, v55, s0
	s_delay_alu instid0(VALU_DEP_1)
	v_mul_f32_e32 v54, v55, v54
	scratch_store_b32 off, v54, off offset:8
.LBB24_17:
	s_or_b32 exec_lo, exec_lo, s1
	s_waitcnt_vscnt null, 0x0
	s_barrier
	buffer_gl0_inv
	scratch_load_b32 v55, off, off offset:12
	v_add_nc_u32_e32 v54, -1, v0
	s_mov_b32 s0, exec_lo
	s_waitcnt vmcnt(0)
	ds_store_b32 v3, v55
	s_waitcnt lgkmcnt(0)
	s_barrier
	buffer_gl0_inv
	v_cmpx_gt_u32_e32 3, v0
	s_cbranch_execz .LBB24_21
; %bb.18:
	v_dual_mov_b32 v55, 0 :: v_dual_add_nc_u32 v56, -1, v0
	v_add_nc_u32_e32 v57, 0x70, v1
	v_add_nc_u32_e32 v58, 0, v1
	s_mov_b32 s1, 0
.LBB24_19:                              ; =>This Inner Loop Header: Depth=1
	scratch_load_b32 v59, v58, off
	ds_load_b32 v60, v57
	v_add_nc_u32_e32 v56, 1, v56
	v_add_nc_u32_e32 v57, 4, v57
	v_add_nc_u32_e32 v58, 4, v58
	s_delay_alu instid0(VALU_DEP_3)
	v_cmp_lt_u32_e32 vcc_lo, 1, v56
	s_or_b32 s1, vcc_lo, s1
	s_waitcnt vmcnt(0) lgkmcnt(0)
	v_fmac_f32_e32 v55, v59, v60
	s_and_not1_b32 exec_lo, exec_lo, s1
	s_cbranch_execnz .LBB24_19
; %bb.20:
	s_or_b32 exec_lo, exec_lo, s1
	v_mov_b32_e32 v56, 0
	ds_load_b32 v56, v56 offset:12
	s_waitcnt lgkmcnt(0)
	v_mul_f32_e32 v55, v55, v56
	scratch_store_b32 off, v55, off offset:12
.LBB24_21:
	s_or_b32 exec_lo, exec_lo, s0
	s_waitcnt_vscnt null, 0x0
	s_barrier
	buffer_gl0_inv
	scratch_load_b32 v55, off, off offset:16
	s_mov_b32 s0, exec_lo
	s_waitcnt vmcnt(0)
	ds_store_b32 v3, v55
	s_waitcnt lgkmcnt(0)
	s_barrier
	buffer_gl0_inv
	v_cmpx_gt_u32_e32 4, v0
	s_cbranch_execz .LBB24_25
; %bb.22:
	v_dual_mov_b32 v55, 0 :: v_dual_add_nc_u32 v56, -1, v0
	v_add_nc_u32_e32 v57, 0x70, v1
	v_add_nc_u32_e32 v58, 0, v1
	s_mov_b32 s1, 0
.LBB24_23:                              ; =>This Inner Loop Header: Depth=1
	scratch_load_b32 v59, v58, off
	ds_load_b32 v60, v57
	v_add_nc_u32_e32 v56, 1, v56
	v_add_nc_u32_e32 v57, 4, v57
	v_add_nc_u32_e32 v58, 4, v58
	s_delay_alu instid0(VALU_DEP_3)
	v_cmp_lt_u32_e32 vcc_lo, 2, v56
	s_or_b32 s1, vcc_lo, s1
	s_waitcnt vmcnt(0) lgkmcnt(0)
	v_fmac_f32_e32 v55, v59, v60
	s_and_not1_b32 exec_lo, exec_lo, s1
	s_cbranch_execnz .LBB24_23
; %bb.24:
	s_or_b32 exec_lo, exec_lo, s1
	v_mov_b32_e32 v56, 0
	ds_load_b32 v56, v56 offset:16
	s_waitcnt lgkmcnt(0)
	v_mul_f32_e32 v55, v55, v56
	scratch_store_b32 off, v55, off offset:16
.LBB24_25:
	s_or_b32 exec_lo, exec_lo, s0
	s_waitcnt_vscnt null, 0x0
	s_barrier
	buffer_gl0_inv
	scratch_load_b32 v55, off, off offset:20
	;; [unrolled: 39-line block ×20, first 2 shown]
	s_mov_b32 s0, exec_lo
	s_waitcnt vmcnt(0)
	ds_store_b32 v3, v55
	s_waitcnt lgkmcnt(0)
	s_barrier
	buffer_gl0_inv
	v_cmpx_gt_u32_e32 23, v0
	s_cbranch_execz .LBB24_101
; %bb.98:
	v_add_nc_u32_e32 v55, -1, v0
	v_add_nc_u32_e32 v56, 0x70, v1
	v_add_nc_u32_e32 v57, 0, v1
	v_mov_b32_e32 v1, 0
	s_mov_b32 s1, 0
.LBB24_99:                              ; =>This Inner Loop Header: Depth=1
	scratch_load_b32 v58, v57, off
	ds_load_b32 v59, v56
	v_add_nc_u32_e32 v55, 1, v55
	v_add_nc_u32_e32 v56, 4, v56
	;; [unrolled: 1-line block ×3, first 2 shown]
	s_delay_alu instid0(VALU_DEP_3)
	v_cmp_lt_u32_e32 vcc_lo, 21, v55
	s_or_b32 s1, vcc_lo, s1
	s_waitcnt vmcnt(0) lgkmcnt(0)
	v_fmac_f32_e32 v1, v58, v59
	s_and_not1_b32 exec_lo, exec_lo, s1
	s_cbranch_execnz .LBB24_99
; %bb.100:
	s_or_b32 exec_lo, exec_lo, s1
	v_mov_b32_e32 v55, 0
	ds_load_b32 v55, v55 offset:92
	s_waitcnt lgkmcnt(0)
	v_mul_f32_e32 v1, v1, v55
	scratch_store_b32 off, v1, off offset:92
.LBB24_101:
	s_or_b32 exec_lo, exec_lo, s0
	s_waitcnt_vscnt null, 0x0
	s_barrier
	buffer_gl0_inv
	scratch_load_b32 v1, off, off offset:96
	s_mov_b32 s0, exec_lo
	s_waitcnt vmcnt(0)
	ds_store_b32 v3, v1
	s_waitcnt lgkmcnt(0)
	s_barrier
	buffer_gl0_inv
	v_cmpx_ne_u32_e32 24, v0
	s_cbranch_execz .LBB24_105
; %bb.102:
	v_mov_b32_e32 v1, 0
	s_mov_b32 s1, 0
.LBB24_103:                             ; =>This Inner Loop Header: Depth=1
	scratch_load_b32 v55, v2, off
	ds_load_b32 v56, v3
	v_add_nc_u32_e32 v54, 1, v54
	v_add_nc_u32_e32 v3, 4, v3
	s_waitcnt vmcnt(0) lgkmcnt(0)
	v_dual_fmac_f32 v1, v55, v56 :: v_dual_add_nc_u32 v2, 4, v2
	s_delay_alu instid0(VALU_DEP_3) | instskip(SKIP_1) | instid1(SALU_CYCLE_1)
	v_cmp_lt_u32_e32 vcc_lo, 22, v54
	s_or_b32 s1, vcc_lo, s1
	s_and_not1_b32 exec_lo, exec_lo, s1
	s_cbranch_execnz .LBB24_103
; %bb.104:
	s_or_b32 exec_lo, exec_lo, s1
	v_mov_b32_e32 v2, 0
	ds_load_b32 v2, v2 offset:96
	s_waitcnt lgkmcnt(0)
	v_mul_f32_e32 v1, v1, v2
	scratch_store_b32 off, v1, off offset:96
.LBB24_105:
	s_or_b32 exec_lo, exec_lo, s0
	s_mov_b32 s1, -1
	s_waitcnt_vscnt null, 0x0
	s_barrier
	buffer_gl0_inv
.LBB24_106:
	s_and_b32 vcc_lo, exec_lo, s1
	s_cbranch_vccz .LBB24_108
; %bb.107:
	s_lshl_b64 s[0:1], s[14:15], 2
	v_mov_b32_e32 v1, 0
	s_add_u32 s0, s6, s0
	s_addc_u32 s1, s7, s1
	global_load_b32 v1, v1, s[0:1]
	s_waitcnt vmcnt(0)
	v_cmp_ne_u32_e32 vcc_lo, 0, v1
	s_cbranch_vccz .LBB24_109
.LBB24_108:
	s_endpgm
.LBB24_109:
	v_lshl_add_u32 v1, v0, 2, 0x70
	s_mov_b32 s0, exec_lo
	v_cmpx_eq_u32_e32 24, v0
	s_cbranch_execz .LBB24_111
; %bb.110:
	scratch_load_b32 v2, off, off offset:92
	v_mov_b32_e32 v3, 0
	scratch_store_b32 off, v3, off offset:92
	s_waitcnt vmcnt(0)
	ds_store_b32 v1, v2
.LBB24_111:
	s_or_b32 exec_lo, exec_lo, s0
	s_waitcnt lgkmcnt(0)
	s_waitcnt_vscnt null, 0x0
	s_barrier
	buffer_gl0_inv
	scratch_load_b64 v[54:55], off, off offset:92
	v_mov_b32_e32 v2, 0
	s_mov_b32 s0, exec_lo
	ds_load_b32 v3, v2 offset:208
	s_waitcnt vmcnt(0) lgkmcnt(0)
	v_fma_f32 v3, v55, v3, 0
	s_delay_alu instid0(VALU_DEP_1)
	v_sub_f32_e32 v3, v54, v3
	scratch_store_b32 off, v3, off offset:92
	v_cmpx_lt_u32_e32 22, v0
	s_cbranch_execz .LBB24_113
; %bb.112:
	scratch_load_b32 v3, off, off offset:88
	scratch_store_b32 off, v2, off offset:88
	s_waitcnt vmcnt(0)
	ds_store_b32 v1, v3
.LBB24_113:
	s_or_b32 exec_lo, exec_lo, s0
	s_waitcnt lgkmcnt(0)
	s_waitcnt_vscnt null, 0x0
	s_barrier
	buffer_gl0_inv
	scratch_load_b96 v[54:56], off, off offset:88
	ds_load_2addr_b32 v[2:3], v2 offset0:51 offset1:52
	s_mov_b32 s0, exec_lo
	s_waitcnt vmcnt(0) lgkmcnt(0)
	v_fma_f32 v2, v55, v2, 0
	s_delay_alu instid0(VALU_DEP_1) | instskip(NEXT) | instid1(VALU_DEP_1)
	v_fmac_f32_e32 v2, v56, v3
	v_sub_f32_e32 v2, v54, v2
	scratch_store_b32 off, v2, off offset:88
	v_cmpx_lt_u32_e32 21, v0
	s_cbranch_execz .LBB24_115
; %bb.114:
	scratch_load_b32 v2, off, off offset:84
	v_mov_b32_e32 v3, 0
	scratch_store_b32 off, v3, off offset:84
	s_waitcnt vmcnt(0)
	ds_store_b32 v1, v2
.LBB24_115:
	s_or_b32 exec_lo, exec_lo, s0
	s_waitcnt lgkmcnt(0)
	s_waitcnt_vscnt null, 0x0
	s_barrier
	buffer_gl0_inv
	scratch_load_b128 v[54:57], off, off offset:84
	v_mov_b32_e32 v2, 0
	ds_load_b64 v[58:59], v2 offset:200
	ds_load_b32 v3, v2 offset:208
	s_mov_b32 s0, exec_lo
	s_waitcnt vmcnt(0) lgkmcnt(1)
	v_fma_f32 v55, v55, v58, 0
	s_delay_alu instid0(VALU_DEP_1) | instskip(SKIP_1) | instid1(VALU_DEP_1)
	v_fmac_f32_e32 v55, v56, v59
	s_waitcnt lgkmcnt(0)
	v_fmac_f32_e32 v55, v57, v3
	s_delay_alu instid0(VALU_DEP_1)
	v_sub_f32_e32 v3, v54, v55
	scratch_store_b32 off, v3, off offset:84
	v_cmpx_lt_u32_e32 20, v0
	s_cbranch_execz .LBB24_117
; %bb.116:
	scratch_load_b32 v3, off, off offset:80
	scratch_store_b32 off, v2, off offset:80
	s_waitcnt vmcnt(0)
	ds_store_b32 v1, v3
.LBB24_117:
	s_or_b32 exec_lo, exec_lo, s0
	s_waitcnt lgkmcnt(0)
	s_waitcnt_vscnt null, 0x0
	s_barrier
	buffer_gl0_inv
	s_clause 0x1
	scratch_load_b128 v[54:57], off, off offset:80
	scratch_load_b32 v60, off, off offset:96
	ds_load_2addr_b32 v[58:59], v2 offset0:49 offset1:50
	ds_load_2addr_b32 v[2:3], v2 offset0:51 offset1:52
	s_mov_b32 s0, exec_lo
	s_waitcnt vmcnt(1) lgkmcnt(1)
	v_fma_f32 v55, v55, v58, 0
	s_delay_alu instid0(VALU_DEP_1) | instskip(SKIP_1) | instid1(VALU_DEP_1)
	v_fmac_f32_e32 v55, v56, v59
	s_waitcnt lgkmcnt(0)
	v_fmac_f32_e32 v55, v57, v2
	s_waitcnt vmcnt(0)
	s_delay_alu instid0(VALU_DEP_1) | instskip(NEXT) | instid1(VALU_DEP_1)
	v_fmac_f32_e32 v55, v60, v3
	v_sub_f32_e32 v2, v54, v55
	scratch_store_b32 off, v2, off offset:80
	v_cmpx_lt_u32_e32 19, v0
	s_cbranch_execz .LBB24_119
; %bb.118:
	scratch_load_b32 v2, off, off offset:76
	v_mov_b32_e32 v3, 0
	scratch_store_b32 off, v3, off offset:76
	s_waitcnt vmcnt(0)
	ds_store_b32 v1, v2
.LBB24_119:
	s_or_b32 exec_lo, exec_lo, s0
	s_waitcnt lgkmcnt(0)
	s_waitcnt_vscnt null, 0x0
	s_barrier
	buffer_gl0_inv
	s_clause 0x1
	scratch_load_b128 v[54:57], off, off offset:76
	scratch_load_b64 v[62:63], off, off offset:92
	v_mov_b32_e32 v2, 0
	ds_load_b128 v[58:61], v2 offset:192
	ds_load_b32 v3, v2 offset:208
	s_mov_b32 s0, exec_lo
	s_waitcnt vmcnt(1) lgkmcnt(1)
	v_fma_f32 v55, v55, v58, 0
	s_delay_alu instid0(VALU_DEP_1) | instskip(NEXT) | instid1(VALU_DEP_1)
	v_fmac_f32_e32 v55, v56, v59
	v_fmac_f32_e32 v55, v57, v60
	s_waitcnt vmcnt(0)
	s_delay_alu instid0(VALU_DEP_1) | instskip(SKIP_1) | instid1(VALU_DEP_1)
	v_fmac_f32_e32 v55, v62, v61
	s_waitcnt lgkmcnt(0)
	v_fmac_f32_e32 v55, v63, v3
	s_delay_alu instid0(VALU_DEP_1)
	v_sub_f32_e32 v3, v54, v55
	scratch_store_b32 off, v3, off offset:76
	v_cmpx_lt_u32_e32 18, v0
	s_cbranch_execz .LBB24_121
; %bb.120:
	scratch_load_b32 v3, off, off offset:72
	scratch_store_b32 off, v2, off offset:72
	s_waitcnt vmcnt(0)
	ds_store_b32 v1, v3
.LBB24_121:
	s_or_b32 exec_lo, exec_lo, s0
	s_waitcnt lgkmcnt(0)
	s_waitcnt_vscnt null, 0x0
	s_barrier
	buffer_gl0_inv
	s_clause 0x1
	scratch_load_b128 v[54:57], off, off offset:72
	scratch_load_b96 v[58:60], off, off offset:88
	ds_load_2addr_b32 v[61:62], v2 offset0:47 offset1:48
	ds_load_2addr_b32 v[63:64], v2 offset0:49 offset1:50
	;; [unrolled: 1-line block ×3, first 2 shown]
	s_mov_b32 s0, exec_lo
	s_waitcnt vmcnt(1) lgkmcnt(2)
	v_fma_f32 v55, v55, v61, 0
	s_delay_alu instid0(VALU_DEP_1) | instskip(SKIP_1) | instid1(VALU_DEP_1)
	v_fmac_f32_e32 v55, v56, v62
	s_waitcnt lgkmcnt(1)
	v_fmac_f32_e32 v55, v57, v63
	s_waitcnt vmcnt(0)
	s_delay_alu instid0(VALU_DEP_1) | instskip(SKIP_1) | instid1(VALU_DEP_1)
	v_fmac_f32_e32 v55, v58, v64
	s_waitcnt lgkmcnt(0)
	v_fmac_f32_e32 v55, v59, v2
	s_delay_alu instid0(VALU_DEP_1) | instskip(NEXT) | instid1(VALU_DEP_1)
	v_fmac_f32_e32 v55, v60, v3
	v_sub_f32_e32 v2, v54, v55
	scratch_store_b32 off, v2, off offset:72
	v_cmpx_lt_u32_e32 17, v0
	s_cbranch_execz .LBB24_123
; %bb.122:
	scratch_load_b32 v2, off, off offset:68
	v_mov_b32_e32 v3, 0
	scratch_store_b32 off, v3, off offset:68
	s_waitcnt vmcnt(0)
	ds_store_b32 v1, v2
.LBB24_123:
	s_or_b32 exec_lo, exec_lo, s0
	s_waitcnt lgkmcnt(0)
	s_waitcnt_vscnt null, 0x0
	s_barrier
	buffer_gl0_inv
	s_clause 0x1
	scratch_load_b128 v[54:57], off, off offset:68
	scratch_load_b128 v[58:61], off, off offset:84
	v_mov_b32_e32 v2, 0
	ds_load_2addr_b64 v[62:65], v2 offset0:23 offset1:24
	ds_load_b64 v[66:67], v2 offset:200
	s_mov_b32 s0, exec_lo
	s_waitcnt vmcnt(1) lgkmcnt(1)
	v_fma_f32 v3, v55, v62, 0
	s_delay_alu instid0(VALU_DEP_1) | instskip(SKIP_3) | instid1(VALU_DEP_1)
	v_fmac_f32_e32 v3, v56, v63
	ds_load_b32 v55, v2 offset:208
	v_fmac_f32_e32 v3, v57, v64
	s_waitcnt vmcnt(0)
	v_fmac_f32_e32 v3, v58, v65
	s_waitcnt lgkmcnt(1)
	s_delay_alu instid0(VALU_DEP_1) | instskip(NEXT) | instid1(VALU_DEP_1)
	v_fmac_f32_e32 v3, v59, v66
	v_fmac_f32_e32 v3, v60, v67
	s_waitcnt lgkmcnt(0)
	s_delay_alu instid0(VALU_DEP_1) | instskip(NEXT) | instid1(VALU_DEP_1)
	v_fmac_f32_e32 v3, v61, v55
	v_sub_f32_e32 v3, v54, v3
	scratch_store_b32 off, v3, off offset:68
	v_cmpx_lt_u32_e32 16, v0
	s_cbranch_execz .LBB24_125
; %bb.124:
	scratch_load_b32 v3, off, off offset:64
	scratch_store_b32 off, v2, off offset:64
	s_waitcnt vmcnt(0)
	ds_store_b32 v1, v3
.LBB24_125:
	s_or_b32 exec_lo, exec_lo, s0
	s_waitcnt lgkmcnt(0)
	s_waitcnt_vscnt null, 0x0
	s_barrier
	buffer_gl0_inv
	s_clause 0x2
	scratch_load_b128 v[54:57], off, off offset:64
	scratch_load_b128 v[58:61], off, off offset:80
	scratch_load_b32 v68, off, off offset:96
	ds_load_2addr_b32 v[62:63], v2 offset0:45 offset1:46
	ds_load_2addr_b32 v[64:65], v2 offset0:47 offset1:48
	;; [unrolled: 1-line block ×4, first 2 shown]
	s_mov_b32 s0, exec_lo
	s_waitcnt vmcnt(2) lgkmcnt(3)
	v_fma_f32 v55, v55, v62, 0
	s_delay_alu instid0(VALU_DEP_1) | instskip(SKIP_1) | instid1(VALU_DEP_1)
	v_fmac_f32_e32 v55, v56, v63
	s_waitcnt lgkmcnt(2)
	v_fmac_f32_e32 v55, v57, v64
	s_waitcnt vmcnt(1)
	s_delay_alu instid0(VALU_DEP_1) | instskip(SKIP_1) | instid1(VALU_DEP_1)
	v_fmac_f32_e32 v55, v58, v65
	s_waitcnt lgkmcnt(1)
	v_fmac_f32_e32 v55, v59, v66
	s_delay_alu instid0(VALU_DEP_1) | instskip(SKIP_1) | instid1(VALU_DEP_1)
	v_fmac_f32_e32 v55, v60, v67
	s_waitcnt lgkmcnt(0)
	v_fmac_f32_e32 v55, v61, v2
	s_waitcnt vmcnt(0)
	s_delay_alu instid0(VALU_DEP_1) | instskip(NEXT) | instid1(VALU_DEP_1)
	v_fmac_f32_e32 v55, v68, v3
	v_sub_f32_e32 v2, v54, v55
	scratch_store_b32 off, v2, off offset:64
	v_cmpx_lt_u32_e32 15, v0
	s_cbranch_execz .LBB24_127
; %bb.126:
	scratch_load_b32 v2, off, off offset:60
	v_mov_b32_e32 v3, 0
	scratch_store_b32 off, v3, off offset:60
	s_waitcnt vmcnt(0)
	ds_store_b32 v1, v2
.LBB24_127:
	s_or_b32 exec_lo, exec_lo, s0
	s_waitcnt lgkmcnt(0)
	s_waitcnt_vscnt null, 0x0
	s_barrier
	buffer_gl0_inv
	s_clause 0x2
	scratch_load_b128 v[54:57], off, off offset:60
	scratch_load_b128 v[58:61], off, off offset:76
	scratch_load_b64 v[70:71], off, off offset:92
	v_mov_b32_e32 v2, 0
	ds_load_b128 v[62:65], v2 offset:176
	ds_load_b128 v[66:69], v2 offset:192
	s_mov_b32 s0, exec_lo
	s_waitcnt vmcnt(2) lgkmcnt(1)
	v_fma_f32 v3, v55, v62, 0
	s_delay_alu instid0(VALU_DEP_1) | instskip(SKIP_3) | instid1(VALU_DEP_1)
	v_fmac_f32_e32 v3, v56, v63
	ds_load_b32 v55, v2 offset:208
	v_fmac_f32_e32 v3, v57, v64
	s_waitcnt vmcnt(1)
	v_fmac_f32_e32 v3, v58, v65
	s_waitcnt lgkmcnt(1)
	s_delay_alu instid0(VALU_DEP_1) | instskip(NEXT) | instid1(VALU_DEP_1)
	v_fmac_f32_e32 v3, v59, v66
	v_fmac_f32_e32 v3, v60, v67
	s_delay_alu instid0(VALU_DEP_1) | instskip(SKIP_1) | instid1(VALU_DEP_1)
	v_fmac_f32_e32 v3, v61, v68
	s_waitcnt vmcnt(0)
	v_fmac_f32_e32 v3, v70, v69
	s_waitcnt lgkmcnt(0)
	s_delay_alu instid0(VALU_DEP_1) | instskip(NEXT) | instid1(VALU_DEP_1)
	v_fmac_f32_e32 v3, v71, v55
	v_sub_f32_e32 v3, v54, v3
	scratch_store_b32 off, v3, off offset:60
	v_cmpx_lt_u32_e32 14, v0
	s_cbranch_execz .LBB24_129
; %bb.128:
	scratch_load_b32 v3, off, off offset:56
	scratch_store_b32 off, v2, off offset:56
	s_waitcnt vmcnt(0)
	ds_store_b32 v1, v3
.LBB24_129:
	s_or_b32 exec_lo, exec_lo, s0
	s_waitcnt lgkmcnt(0)
	s_waitcnt_vscnt null, 0x0
	s_barrier
	buffer_gl0_inv
	s_clause 0x2
	scratch_load_b128 v[54:57], off, off offset:56
	scratch_load_b128 v[58:61], off, off offset:72
	scratch_load_b96 v[62:64], off, off offset:88
	ds_load_2addr_b32 v[65:66], v2 offset0:43 offset1:44
	ds_load_2addr_b32 v[67:68], v2 offset0:45 offset1:46
	ds_load_2addr_b32 v[69:70], v2 offset0:47 offset1:48
	ds_load_2addr_b32 v[71:72], v2 offset0:49 offset1:50
	ds_load_2addr_b32 v[2:3], v2 offset0:51 offset1:52
	s_mov_b32 s0, exec_lo
	s_waitcnt vmcnt(2) lgkmcnt(4)
	v_fma_f32 v55, v55, v65, 0
	s_delay_alu instid0(VALU_DEP_1) | instskip(SKIP_1) | instid1(VALU_DEP_1)
	v_fmac_f32_e32 v55, v56, v66
	s_waitcnt lgkmcnt(3)
	v_fmac_f32_e32 v55, v57, v67
	s_waitcnt vmcnt(1)
	s_delay_alu instid0(VALU_DEP_1) | instskip(SKIP_1) | instid1(VALU_DEP_1)
	v_fmac_f32_e32 v55, v58, v68
	s_waitcnt lgkmcnt(2)
	v_fmac_f32_e32 v55, v59, v69
	s_delay_alu instid0(VALU_DEP_1) | instskip(SKIP_1) | instid1(VALU_DEP_1)
	v_fmac_f32_e32 v55, v60, v70
	s_waitcnt lgkmcnt(1)
	v_fmac_f32_e32 v55, v61, v71
	s_waitcnt vmcnt(0)
	s_delay_alu instid0(VALU_DEP_1) | instskip(SKIP_1) | instid1(VALU_DEP_1)
	v_fmac_f32_e32 v55, v62, v72
	s_waitcnt lgkmcnt(0)
	v_fmac_f32_e32 v55, v63, v2
	s_delay_alu instid0(VALU_DEP_1) | instskip(NEXT) | instid1(VALU_DEP_1)
	v_fmac_f32_e32 v55, v64, v3
	v_sub_f32_e32 v2, v54, v55
	scratch_store_b32 off, v2, off offset:56
	v_cmpx_lt_u32_e32 13, v0
	s_cbranch_execz .LBB24_131
; %bb.130:
	scratch_load_b32 v2, off, off offset:52
	v_mov_b32_e32 v3, 0
	scratch_store_b32 off, v3, off offset:52
	s_waitcnt vmcnt(0)
	ds_store_b32 v1, v2
.LBB24_131:
	s_or_b32 exec_lo, exec_lo, s0
	s_waitcnt lgkmcnt(0)
	s_waitcnt_vscnt null, 0x0
	s_barrier
	buffer_gl0_inv
	s_clause 0x2
	scratch_load_b128 v[54:57], off, off offset:52
	scratch_load_b128 v[58:61], off, off offset:68
	;; [unrolled: 1-line block ×3, first 2 shown]
	v_mov_b32_e32 v2, 0
	ds_load_2addr_b64 v[66:69], v2 offset0:21 offset1:22
	ds_load_2addr_b64 v[70:73], v2 offset0:23 offset1:24
	s_mov_b32 s0, exec_lo
	s_waitcnt vmcnt(2) lgkmcnt(1)
	v_fma_f32 v3, v55, v66, 0
	s_delay_alu instid0(VALU_DEP_1)
	v_fmac_f32_e32 v3, v56, v67
	ds_load_b64 v[55:56], v2 offset:200
	v_fmac_f32_e32 v3, v57, v68
	ds_load_b32 v57, v2 offset:208
	s_waitcnt vmcnt(1)
	v_fmac_f32_e32 v3, v58, v69
	s_waitcnt lgkmcnt(2)
	s_delay_alu instid0(VALU_DEP_1) | instskip(NEXT) | instid1(VALU_DEP_1)
	v_fmac_f32_e32 v3, v59, v70
	v_fmac_f32_e32 v3, v60, v71
	s_delay_alu instid0(VALU_DEP_1) | instskip(SKIP_1) | instid1(VALU_DEP_1)
	v_fmac_f32_e32 v3, v61, v72
	s_waitcnt vmcnt(0)
	v_fmac_f32_e32 v3, v62, v73
	s_waitcnt lgkmcnt(1)
	s_delay_alu instid0(VALU_DEP_1) | instskip(NEXT) | instid1(VALU_DEP_1)
	v_fmac_f32_e32 v3, v63, v55
	v_fmac_f32_e32 v3, v64, v56
	s_waitcnt lgkmcnt(0)
	s_delay_alu instid0(VALU_DEP_1) | instskip(NEXT) | instid1(VALU_DEP_1)
	v_fmac_f32_e32 v3, v65, v57
	v_sub_f32_e32 v3, v54, v3
	scratch_store_b32 off, v3, off offset:52
	v_cmpx_lt_u32_e32 12, v0
	s_cbranch_execz .LBB24_133
; %bb.132:
	scratch_load_b32 v3, off, off offset:48
	scratch_store_b32 off, v2, off offset:48
	s_waitcnt vmcnt(0)
	ds_store_b32 v1, v3
.LBB24_133:
	s_or_b32 exec_lo, exec_lo, s0
	s_waitcnt lgkmcnt(0)
	s_waitcnt_vscnt null, 0x0
	s_barrier
	buffer_gl0_inv
	s_clause 0x3
	scratch_load_b128 v[54:57], off, off offset:48
	scratch_load_b128 v[58:61], off, off offset:64
	;; [unrolled: 1-line block ×3, first 2 shown]
	scratch_load_b32 v74, off, off offset:96
	ds_load_2addr_b32 v[66:67], v2 offset0:41 offset1:42
	ds_load_2addr_b32 v[68:69], v2 offset0:43 offset1:44
	;; [unrolled: 1-line block ×4, first 2 shown]
	s_mov_b32 s0, exec_lo
	s_waitcnt vmcnt(3) lgkmcnt(3)
	v_fma_f32 v66, v55, v66, 0
	s_delay_alu instid0(VALU_DEP_1)
	v_fmac_f32_e32 v66, v56, v67
	ds_load_2addr_b32 v[55:56], v2 offset0:49 offset1:50
	ds_load_2addr_b32 v[2:3], v2 offset0:51 offset1:52
	s_waitcnt lgkmcnt(4)
	v_fmac_f32_e32 v66, v57, v68
	s_waitcnt vmcnt(2)
	s_delay_alu instid0(VALU_DEP_1) | instskip(SKIP_1) | instid1(VALU_DEP_1)
	v_fmac_f32_e32 v66, v58, v69
	s_waitcnt lgkmcnt(3)
	v_fmac_f32_e32 v66, v59, v70
	s_delay_alu instid0(VALU_DEP_1) | instskip(SKIP_1) | instid1(VALU_DEP_1)
	v_fmac_f32_e32 v66, v60, v71
	s_waitcnt lgkmcnt(2)
	v_fmac_f32_e32 v66, v61, v72
	s_waitcnt vmcnt(1)
	s_delay_alu instid0(VALU_DEP_1) | instskip(SKIP_1) | instid1(VALU_DEP_1)
	v_fmac_f32_e32 v66, v62, v73
	s_waitcnt lgkmcnt(1)
	v_fmac_f32_e32 v66, v63, v55
	s_delay_alu instid0(VALU_DEP_1) | instskip(SKIP_1) | instid1(VALU_DEP_1)
	v_fmac_f32_e32 v66, v64, v56
	s_waitcnt lgkmcnt(0)
	v_fmac_f32_e32 v66, v65, v2
	s_waitcnt vmcnt(0)
	s_delay_alu instid0(VALU_DEP_1) | instskip(NEXT) | instid1(VALU_DEP_1)
	v_fmac_f32_e32 v66, v74, v3
	v_sub_f32_e32 v2, v54, v66
	scratch_store_b32 off, v2, off offset:48
	v_cmpx_lt_u32_e32 11, v0
	s_cbranch_execz .LBB24_135
; %bb.134:
	scratch_load_b32 v2, off, off offset:44
	v_mov_b32_e32 v3, 0
	scratch_store_b32 off, v3, off offset:44
	s_waitcnt vmcnt(0)
	ds_store_b32 v1, v2
.LBB24_135:
	s_or_b32 exec_lo, exec_lo, s0
	s_waitcnt lgkmcnt(0)
	s_waitcnt_vscnt null, 0x0
	s_barrier
	buffer_gl0_inv
	s_clause 0x3
	scratch_load_b128 v[54:57], off, off offset:44
	scratch_load_b128 v[58:61], off, off offset:60
	scratch_load_b128 v[62:65], off, off offset:76
	scratch_load_b64 v[74:75], off, off offset:92
	v_mov_b32_e32 v2, 0
	ds_load_b128 v[66:69], v2 offset:160
	ds_load_b128 v[70:73], v2 offset:176
	s_mov_b32 s0, exec_lo
	s_waitcnt vmcnt(3) lgkmcnt(1)
	v_fma_f32 v3, v55, v66, 0
	s_delay_alu instid0(VALU_DEP_1) | instskip(NEXT) | instid1(VALU_DEP_1)
	v_fmac_f32_e32 v3, v56, v67
	v_fmac_f32_e32 v3, v57, v68
	s_waitcnt vmcnt(2)
	s_delay_alu instid0(VALU_DEP_1)
	v_fmac_f32_e32 v3, v58, v69
	ds_load_b128 v[55:58], v2 offset:192
	s_waitcnt lgkmcnt(1)
	v_fmac_f32_e32 v3, v59, v70
	ds_load_b32 v59, v2 offset:208
	v_fmac_f32_e32 v3, v60, v71
	s_delay_alu instid0(VALU_DEP_1) | instskip(SKIP_1) | instid1(VALU_DEP_1)
	v_fmac_f32_e32 v3, v61, v72
	s_waitcnt vmcnt(1)
	v_fmac_f32_e32 v3, v62, v73
	s_waitcnt lgkmcnt(1)
	s_delay_alu instid0(VALU_DEP_1) | instskip(NEXT) | instid1(VALU_DEP_1)
	v_fmac_f32_e32 v3, v63, v55
	v_fmac_f32_e32 v3, v64, v56
	s_delay_alu instid0(VALU_DEP_1) | instskip(SKIP_1) | instid1(VALU_DEP_1)
	v_fmac_f32_e32 v3, v65, v57
	s_waitcnt vmcnt(0)
	v_fmac_f32_e32 v3, v74, v58
	s_waitcnt lgkmcnt(0)
	s_delay_alu instid0(VALU_DEP_1) | instskip(NEXT) | instid1(VALU_DEP_1)
	v_fmac_f32_e32 v3, v75, v59
	v_sub_f32_e32 v3, v54, v3
	scratch_store_b32 off, v3, off offset:44
	v_cmpx_lt_u32_e32 10, v0
	s_cbranch_execz .LBB24_137
; %bb.136:
	scratch_load_b32 v3, off, off offset:40
	scratch_store_b32 off, v2, off offset:40
	s_waitcnt vmcnt(0)
	ds_store_b32 v1, v3
.LBB24_137:
	s_or_b32 exec_lo, exec_lo, s0
	s_waitcnt lgkmcnt(0)
	s_waitcnt_vscnt null, 0x0
	s_barrier
	buffer_gl0_inv
	s_clause 0x3
	scratch_load_b128 v[54:57], off, off offset:40
	scratch_load_b128 v[58:61], off, off offset:56
	;; [unrolled: 1-line block ×3, first 2 shown]
	scratch_load_b96 v[66:68], off, off offset:88
	ds_load_2addr_b32 v[69:70], v2 offset0:39 offset1:40
	ds_load_2addr_b32 v[71:72], v2 offset0:41 offset1:42
	;; [unrolled: 1-line block ×4, first 2 shown]
	s_mov_b32 s0, exec_lo
	s_waitcnt vmcnt(3) lgkmcnt(3)
	v_fma_f32 v69, v55, v69, 0
	s_delay_alu instid0(VALU_DEP_1) | instskip(SKIP_4) | instid1(VALU_DEP_1)
	v_fmac_f32_e32 v69, v56, v70
	ds_load_2addr_b32 v[55:56], v2 offset0:47 offset1:48
	s_waitcnt lgkmcnt(3)
	v_fmac_f32_e32 v69, v57, v71
	s_waitcnt vmcnt(2)
	v_fmac_f32_e32 v69, v58, v72
	ds_load_2addr_b32 v[57:58], v2 offset0:49 offset1:50
	ds_load_2addr_b32 v[2:3], v2 offset0:51 offset1:52
	s_waitcnt lgkmcnt(4)
	v_fmac_f32_e32 v69, v59, v73
	s_delay_alu instid0(VALU_DEP_1) | instskip(SKIP_1) | instid1(VALU_DEP_1)
	v_fmac_f32_e32 v69, v60, v74
	s_waitcnt lgkmcnt(3)
	v_fmac_f32_e32 v69, v61, v75
	s_waitcnt vmcnt(1)
	s_delay_alu instid0(VALU_DEP_1) | instskip(SKIP_1) | instid1(VALU_DEP_1)
	v_fmac_f32_e32 v69, v62, v76
	s_waitcnt lgkmcnt(2)
	v_fmac_f32_e32 v69, v63, v55
	s_delay_alu instid0(VALU_DEP_1) | instskip(SKIP_1) | instid1(VALU_DEP_1)
	v_fmac_f32_e32 v69, v64, v56
	s_waitcnt lgkmcnt(1)
	v_fmac_f32_e32 v69, v65, v57
	s_waitcnt vmcnt(0)
	s_delay_alu instid0(VALU_DEP_1) | instskip(SKIP_1) | instid1(VALU_DEP_1)
	v_fmac_f32_e32 v69, v66, v58
	s_waitcnt lgkmcnt(0)
	v_fmac_f32_e32 v69, v67, v2
	s_delay_alu instid0(VALU_DEP_1) | instskip(NEXT) | instid1(VALU_DEP_1)
	v_fmac_f32_e32 v69, v68, v3
	v_sub_f32_e32 v2, v54, v69
	scratch_store_b32 off, v2, off offset:40
	v_cmpx_lt_u32_e32 9, v0
	s_cbranch_execz .LBB24_139
; %bb.138:
	scratch_load_b32 v2, off, off offset:36
	v_mov_b32_e32 v3, 0
	scratch_store_b32 off, v3, off offset:36
	s_waitcnt vmcnt(0)
	ds_store_b32 v1, v2
.LBB24_139:
	s_or_b32 exec_lo, exec_lo, s0
	s_waitcnt lgkmcnt(0)
	s_waitcnt_vscnt null, 0x0
	s_barrier
	buffer_gl0_inv
	s_clause 0x3
	scratch_load_b128 v[54:57], off, off offset:36
	scratch_load_b128 v[58:61], off, off offset:52
	;; [unrolled: 1-line block ×4, first 2 shown]
	v_mov_b32_e32 v2, 0
	ds_load_2addr_b64 v[70:73], v2 offset0:19 offset1:20
	ds_load_2addr_b64 v[74:77], v2 offset0:21 offset1:22
	s_mov_b32 s0, exec_lo
	s_waitcnt vmcnt(3) lgkmcnt(1)
	v_fma_f32 v3, v55, v70, 0
	s_delay_alu instid0(VALU_DEP_1) | instskip(NEXT) | instid1(VALU_DEP_1)
	v_fmac_f32_e32 v3, v56, v71
	v_fmac_f32_e32 v3, v57, v72
	s_waitcnt vmcnt(2)
	s_delay_alu instid0(VALU_DEP_1) | instskip(SKIP_3) | instid1(VALU_DEP_1)
	v_fmac_f32_e32 v3, v58, v73
	ds_load_2addr_b64 v[55:58], v2 offset0:23 offset1:24
	s_waitcnt lgkmcnt(1)
	v_fmac_f32_e32 v3, v59, v74
	v_fmac_f32_e32 v3, v60, v75
	ds_load_b64 v[59:60], v2 offset:200
	v_fmac_f32_e32 v3, v61, v76
	s_waitcnt vmcnt(1)
	s_delay_alu instid0(VALU_DEP_1) | instskip(SKIP_1) | instid1(VALU_DEP_1)
	v_fmac_f32_e32 v3, v62, v77
	s_waitcnt lgkmcnt(1)
	v_fmac_f32_e32 v3, v63, v55
	ds_load_b32 v55, v2 offset:208
	v_fmac_f32_e32 v3, v64, v56
	s_delay_alu instid0(VALU_DEP_1) | instskip(SKIP_1) | instid1(VALU_DEP_1)
	v_fmac_f32_e32 v3, v65, v57
	s_waitcnt vmcnt(0)
	v_fmac_f32_e32 v3, v66, v58
	s_waitcnt lgkmcnt(1)
	s_delay_alu instid0(VALU_DEP_1) | instskip(NEXT) | instid1(VALU_DEP_1)
	v_fmac_f32_e32 v3, v67, v59
	v_fmac_f32_e32 v3, v68, v60
	s_waitcnt lgkmcnt(0)
	s_delay_alu instid0(VALU_DEP_1) | instskip(NEXT) | instid1(VALU_DEP_1)
	v_fmac_f32_e32 v3, v69, v55
	v_sub_f32_e32 v3, v54, v3
	scratch_store_b32 off, v3, off offset:36
	v_cmpx_lt_u32_e32 8, v0
	s_cbranch_execz .LBB24_141
; %bb.140:
	scratch_load_b32 v3, off, off offset:32
	scratch_store_b32 off, v2, off offset:32
	s_waitcnt vmcnt(0)
	ds_store_b32 v1, v3
.LBB24_141:
	s_or_b32 exec_lo, exec_lo, s0
	s_waitcnt lgkmcnt(0)
	s_waitcnt_vscnt null, 0x0
	s_barrier
	buffer_gl0_inv
	s_clause 0x4
	scratch_load_b128 v[54:57], off, off offset:32
	scratch_load_b128 v[58:61], off, off offset:48
	;; [unrolled: 1-line block ×4, first 2 shown]
	scratch_load_b32 v78, off, off offset:96
	ds_load_2addr_b32 v[70:71], v2 offset0:37 offset1:38
	ds_load_2addr_b32 v[72:73], v2 offset0:39 offset1:40
	ds_load_2addr_b32 v[74:75], v2 offset0:41 offset1:42
	ds_load_2addr_b32 v[76:77], v2 offset0:43 offset1:44
	s_mov_b32 s0, exec_lo
	s_waitcnt vmcnt(4) lgkmcnt(3)
	v_fma_f32 v70, v55, v70, 0
	s_delay_alu instid0(VALU_DEP_1) | instskip(SKIP_4) | instid1(VALU_DEP_1)
	v_fmac_f32_e32 v70, v56, v71
	ds_load_2addr_b32 v[55:56], v2 offset0:45 offset1:46
	s_waitcnt lgkmcnt(3)
	v_fmac_f32_e32 v70, v57, v72
	s_waitcnt vmcnt(3)
	v_fmac_f32_e32 v70, v58, v73
	ds_load_2addr_b32 v[57:58], v2 offset0:47 offset1:48
	s_waitcnt lgkmcnt(3)
	v_fmac_f32_e32 v70, v59, v74
	s_delay_alu instid0(VALU_DEP_1)
	v_fmac_f32_e32 v70, v60, v75
	ds_load_2addr_b32 v[59:60], v2 offset0:49 offset1:50
	ds_load_2addr_b32 v[2:3], v2 offset0:51 offset1:52
	s_waitcnt lgkmcnt(4)
	v_fmac_f32_e32 v70, v61, v76
	s_waitcnt vmcnt(2)
	s_delay_alu instid0(VALU_DEP_1) | instskip(SKIP_1) | instid1(VALU_DEP_1)
	v_fmac_f32_e32 v70, v62, v77
	s_waitcnt lgkmcnt(3)
	v_fmac_f32_e32 v70, v63, v55
	s_delay_alu instid0(VALU_DEP_1) | instskip(SKIP_1) | instid1(VALU_DEP_1)
	v_fmac_f32_e32 v70, v64, v56
	s_waitcnt lgkmcnt(2)
	v_fmac_f32_e32 v70, v65, v57
	s_waitcnt vmcnt(1)
	s_delay_alu instid0(VALU_DEP_1) | instskip(SKIP_1) | instid1(VALU_DEP_1)
	v_fmac_f32_e32 v70, v66, v58
	s_waitcnt lgkmcnt(1)
	v_fmac_f32_e32 v70, v67, v59
	s_delay_alu instid0(VALU_DEP_1) | instskip(SKIP_1) | instid1(VALU_DEP_1)
	v_fmac_f32_e32 v70, v68, v60
	s_waitcnt lgkmcnt(0)
	v_fmac_f32_e32 v70, v69, v2
	s_waitcnt vmcnt(0)
	s_delay_alu instid0(VALU_DEP_1) | instskip(NEXT) | instid1(VALU_DEP_1)
	v_fmac_f32_e32 v70, v78, v3
	v_sub_f32_e32 v2, v54, v70
	scratch_store_b32 off, v2, off offset:32
	v_cmpx_lt_u32_e32 7, v0
	s_cbranch_execz .LBB24_143
; %bb.142:
	scratch_load_b32 v2, off, off offset:28
	v_mov_b32_e32 v3, 0
	scratch_store_b32 off, v3, off offset:28
	s_waitcnt vmcnt(0)
	ds_store_b32 v1, v2
.LBB24_143:
	s_or_b32 exec_lo, exec_lo, s0
	s_waitcnt lgkmcnt(0)
	s_waitcnt_vscnt null, 0x0
	s_barrier
	buffer_gl0_inv
	s_clause 0x4
	scratch_load_b128 v[54:57], off, off offset:28
	scratch_load_b128 v[58:61], off, off offset:44
	scratch_load_b128 v[62:65], off, off offset:60
	scratch_load_b128 v[66:69], off, off offset:76
	scratch_load_b64 v[78:79], off, off offset:92
	v_mov_b32_e32 v2, 0
	ds_load_b128 v[70:73], v2 offset:144
	ds_load_b128 v[74:77], v2 offset:160
	s_mov_b32 s0, exec_lo
	s_waitcnt vmcnt(4) lgkmcnt(1)
	v_fma_f32 v3, v55, v70, 0
	s_delay_alu instid0(VALU_DEP_1) | instskip(NEXT) | instid1(VALU_DEP_1)
	v_fmac_f32_e32 v3, v56, v71
	v_fmac_f32_e32 v3, v57, v72
	s_waitcnt vmcnt(3)
	s_delay_alu instid0(VALU_DEP_1) | instskip(SKIP_3) | instid1(VALU_DEP_1)
	v_fmac_f32_e32 v3, v58, v73
	ds_load_b128 v[55:58], v2 offset:176
	s_waitcnt lgkmcnt(1)
	v_fmac_f32_e32 v3, v59, v74
	v_fmac_f32_e32 v3, v60, v75
	s_delay_alu instid0(VALU_DEP_1) | instskip(SKIP_1) | instid1(VALU_DEP_1)
	v_fmac_f32_e32 v3, v61, v76
	s_waitcnt vmcnt(2)
	v_fmac_f32_e32 v3, v62, v77
	ds_load_b128 v[59:62], v2 offset:192
	s_waitcnt lgkmcnt(1)
	v_fmac_f32_e32 v3, v63, v55
	ds_load_b32 v55, v2 offset:208
	v_fmac_f32_e32 v3, v64, v56
	s_delay_alu instid0(VALU_DEP_1) | instskip(SKIP_1) | instid1(VALU_DEP_1)
	v_fmac_f32_e32 v3, v65, v57
	s_waitcnt vmcnt(1)
	v_fmac_f32_e32 v3, v66, v58
	s_waitcnt lgkmcnt(1)
	s_delay_alu instid0(VALU_DEP_1) | instskip(NEXT) | instid1(VALU_DEP_1)
	v_fmac_f32_e32 v3, v67, v59
	v_fmac_f32_e32 v3, v68, v60
	s_delay_alu instid0(VALU_DEP_1) | instskip(SKIP_1) | instid1(VALU_DEP_1)
	v_fmac_f32_e32 v3, v69, v61
	s_waitcnt vmcnt(0)
	v_fmac_f32_e32 v3, v78, v62
	s_waitcnt lgkmcnt(0)
	s_delay_alu instid0(VALU_DEP_1) | instskip(NEXT) | instid1(VALU_DEP_1)
	v_fmac_f32_e32 v3, v79, v55
	v_sub_f32_e32 v3, v54, v3
	scratch_store_b32 off, v3, off offset:28
	v_cmpx_lt_u32_e32 6, v0
	s_cbranch_execz .LBB24_145
; %bb.144:
	scratch_load_b32 v3, off, off offset:24
	scratch_store_b32 off, v2, off offset:24
	s_waitcnt vmcnt(0)
	ds_store_b32 v1, v3
.LBB24_145:
	s_or_b32 exec_lo, exec_lo, s0
	s_waitcnt lgkmcnt(0)
	s_waitcnt_vscnt null, 0x0
	s_barrier
	buffer_gl0_inv
	s_clause 0x4
	scratch_load_b128 v[54:57], off, off offset:24
	scratch_load_b128 v[58:61], off, off offset:40
	;; [unrolled: 1-line block ×4, first 2 shown]
	scratch_load_b96 v[70:72], off, off offset:88
	ds_load_2addr_b32 v[73:74], v2 offset0:35 offset1:36
	ds_load_2addr_b32 v[75:76], v2 offset0:37 offset1:38
	;; [unrolled: 1-line block ×4, first 2 shown]
	s_mov_b32 s0, exec_lo
	s_waitcnt vmcnt(4) lgkmcnt(3)
	v_fma_f32 v73, v55, v73, 0
	s_delay_alu instid0(VALU_DEP_1) | instskip(SKIP_4) | instid1(VALU_DEP_1)
	v_fmac_f32_e32 v73, v56, v74
	ds_load_2addr_b32 v[55:56], v2 offset0:43 offset1:44
	s_waitcnt lgkmcnt(3)
	v_fmac_f32_e32 v73, v57, v75
	s_waitcnt vmcnt(3)
	v_fmac_f32_e32 v73, v58, v76
	ds_load_2addr_b32 v[57:58], v2 offset0:45 offset1:46
	s_waitcnt lgkmcnt(3)
	v_fmac_f32_e32 v73, v59, v77
	s_delay_alu instid0(VALU_DEP_1) | instskip(SKIP_1) | instid1(VALU_DEP_1)
	v_fmac_f32_e32 v73, v60, v78
	s_waitcnt lgkmcnt(2)
	v_fmac_f32_e32 v73, v61, v79
	s_waitcnt vmcnt(2)
	s_delay_alu instid0(VALU_DEP_1)
	v_fmac_f32_e32 v73, v62, v80
	ds_load_2addr_b32 v[59:60], v2 offset0:47 offset1:48
	ds_load_2addr_b32 v[61:62], v2 offset0:49 offset1:50
	;; [unrolled: 1-line block ×3, first 2 shown]
	s_waitcnt lgkmcnt(4)
	v_fmac_f32_e32 v73, v63, v55
	s_delay_alu instid0(VALU_DEP_1) | instskip(SKIP_1) | instid1(VALU_DEP_1)
	v_fmac_f32_e32 v73, v64, v56
	s_waitcnt lgkmcnt(3)
	v_fmac_f32_e32 v73, v65, v57
	s_waitcnt vmcnt(1)
	s_delay_alu instid0(VALU_DEP_1) | instskip(SKIP_1) | instid1(VALU_DEP_1)
	v_fmac_f32_e32 v73, v66, v58
	s_waitcnt lgkmcnt(2)
	v_fmac_f32_e32 v73, v67, v59
	s_delay_alu instid0(VALU_DEP_1) | instskip(SKIP_1) | instid1(VALU_DEP_1)
	v_fmac_f32_e32 v73, v68, v60
	s_waitcnt lgkmcnt(1)
	v_fmac_f32_e32 v73, v69, v61
	s_waitcnt vmcnt(0)
	s_delay_alu instid0(VALU_DEP_1) | instskip(SKIP_1) | instid1(VALU_DEP_1)
	v_fmac_f32_e32 v73, v70, v62
	s_waitcnt lgkmcnt(0)
	v_fmac_f32_e32 v73, v71, v2
	s_delay_alu instid0(VALU_DEP_1) | instskip(NEXT) | instid1(VALU_DEP_1)
	v_fmac_f32_e32 v73, v72, v3
	v_sub_f32_e32 v2, v54, v73
	scratch_store_b32 off, v2, off offset:24
	v_cmpx_lt_u32_e32 5, v0
	s_cbranch_execz .LBB24_147
; %bb.146:
	scratch_load_b32 v2, off, off offset:20
	v_mov_b32_e32 v3, 0
	scratch_store_b32 off, v3, off offset:20
	s_waitcnt vmcnt(0)
	ds_store_b32 v1, v2
.LBB24_147:
	s_or_b32 exec_lo, exec_lo, s0
	s_waitcnt lgkmcnt(0)
	s_waitcnt_vscnt null, 0x0
	s_barrier
	buffer_gl0_inv
	s_clause 0x4
	scratch_load_b128 v[54:57], off, off offset:20
	scratch_load_b128 v[58:61], off, off offset:36
	;; [unrolled: 1-line block ×5, first 2 shown]
	v_mov_b32_e32 v2, 0
	ds_load_2addr_b64 v[74:77], v2 offset0:17 offset1:18
	ds_load_2addr_b64 v[78:81], v2 offset0:19 offset1:20
	s_mov_b32 s0, exec_lo
	s_waitcnt vmcnt(4) lgkmcnt(1)
	v_fma_f32 v3, v55, v74, 0
	s_delay_alu instid0(VALU_DEP_1) | instskip(NEXT) | instid1(VALU_DEP_1)
	v_fmac_f32_e32 v3, v56, v75
	v_fmac_f32_e32 v3, v57, v76
	s_waitcnt vmcnt(3)
	s_delay_alu instid0(VALU_DEP_1) | instskip(SKIP_3) | instid1(VALU_DEP_1)
	v_fmac_f32_e32 v3, v58, v77
	ds_load_2addr_b64 v[55:58], v2 offset0:21 offset1:22
	s_waitcnt lgkmcnt(1)
	v_fmac_f32_e32 v3, v59, v78
	v_fmac_f32_e32 v3, v60, v79
	s_delay_alu instid0(VALU_DEP_1) | instskip(SKIP_1) | instid1(VALU_DEP_1)
	v_fmac_f32_e32 v3, v61, v80
	s_waitcnt vmcnt(2)
	v_fmac_f32_e32 v3, v62, v81
	ds_load_2addr_b64 v[59:62], v2 offset0:23 offset1:24
	s_waitcnt lgkmcnt(1)
	v_fmac_f32_e32 v3, v63, v55
	s_delay_alu instid0(VALU_DEP_1)
	v_fmac_f32_e32 v3, v64, v56
	ds_load_b64 v[55:56], v2 offset:200
	v_fmac_f32_e32 v3, v65, v57
	ds_load_b32 v57, v2 offset:208
	s_waitcnt vmcnt(1)
	v_fmac_f32_e32 v3, v66, v58
	s_waitcnt lgkmcnt(2)
	s_delay_alu instid0(VALU_DEP_1) | instskip(NEXT) | instid1(VALU_DEP_1)
	v_fmac_f32_e32 v3, v67, v59
	v_fmac_f32_e32 v3, v68, v60
	s_delay_alu instid0(VALU_DEP_1) | instskip(SKIP_1) | instid1(VALU_DEP_1)
	v_fmac_f32_e32 v3, v69, v61
	s_waitcnt vmcnt(0)
	v_fmac_f32_e32 v3, v70, v62
	s_waitcnt lgkmcnt(1)
	s_delay_alu instid0(VALU_DEP_1) | instskip(NEXT) | instid1(VALU_DEP_1)
	v_fmac_f32_e32 v3, v71, v55
	v_fmac_f32_e32 v3, v72, v56
	s_waitcnt lgkmcnt(0)
	s_delay_alu instid0(VALU_DEP_1) | instskip(NEXT) | instid1(VALU_DEP_1)
	v_fmac_f32_e32 v3, v73, v57
	v_sub_f32_e32 v3, v54, v3
	scratch_store_b32 off, v3, off offset:20
	v_cmpx_lt_u32_e32 4, v0
	s_cbranch_execz .LBB24_149
; %bb.148:
	scratch_load_b32 v3, off, off offset:16
	scratch_store_b32 off, v2, off offset:16
	s_waitcnt vmcnt(0)
	ds_store_b32 v1, v3
.LBB24_149:
	s_or_b32 exec_lo, exec_lo, s0
	s_waitcnt lgkmcnt(0)
	s_waitcnt_vscnt null, 0x0
	s_barrier
	buffer_gl0_inv
	s_clause 0x5
	scratch_load_b128 v[54:57], off, off offset:16
	scratch_load_b128 v[58:61], off, off offset:32
	;; [unrolled: 1-line block ×5, first 2 shown]
	scratch_load_b32 v82, off, off offset:96
	ds_load_2addr_b32 v[74:75], v2 offset0:33 offset1:34
	ds_load_2addr_b32 v[76:77], v2 offset0:35 offset1:36
	;; [unrolled: 1-line block ×4, first 2 shown]
	s_mov_b32 s0, exec_lo
	s_waitcnt vmcnt(5) lgkmcnt(3)
	v_fma_f32 v74, v55, v74, 0
	s_delay_alu instid0(VALU_DEP_1) | instskip(SKIP_4) | instid1(VALU_DEP_1)
	v_fmac_f32_e32 v74, v56, v75
	ds_load_2addr_b32 v[55:56], v2 offset0:41 offset1:42
	s_waitcnt lgkmcnt(3)
	v_fmac_f32_e32 v74, v57, v76
	s_waitcnt vmcnt(4)
	v_fmac_f32_e32 v74, v58, v77
	ds_load_2addr_b32 v[57:58], v2 offset0:43 offset1:44
	s_waitcnt lgkmcnt(3)
	v_fmac_f32_e32 v74, v59, v78
	s_delay_alu instid0(VALU_DEP_1) | instskip(SKIP_1) | instid1(VALU_DEP_1)
	v_fmac_f32_e32 v74, v60, v79
	s_waitcnt lgkmcnt(2)
	v_fmac_f32_e32 v74, v61, v80
	s_waitcnt vmcnt(3)
	s_delay_alu instid0(VALU_DEP_1) | instskip(SKIP_4) | instid1(VALU_DEP_1)
	v_fmac_f32_e32 v74, v62, v81
	ds_load_2addr_b32 v[59:60], v2 offset0:45 offset1:46
	ds_load_2addr_b32 v[61:62], v2 offset0:47 offset1:48
	s_waitcnt lgkmcnt(3)
	v_fmac_f32_e32 v74, v63, v55
	v_fmac_f32_e32 v74, v64, v56
	ds_load_2addr_b32 v[55:56], v2 offset0:49 offset1:50
	ds_load_2addr_b32 v[2:3], v2 offset0:51 offset1:52
	s_waitcnt lgkmcnt(4)
	v_fmac_f32_e32 v74, v65, v57
	s_waitcnt vmcnt(2)
	s_delay_alu instid0(VALU_DEP_1) | instskip(SKIP_1) | instid1(VALU_DEP_1)
	v_fmac_f32_e32 v74, v66, v58
	s_waitcnt lgkmcnt(3)
	v_fmac_f32_e32 v74, v67, v59
	s_delay_alu instid0(VALU_DEP_1) | instskip(SKIP_1) | instid1(VALU_DEP_1)
	v_fmac_f32_e32 v74, v68, v60
	s_waitcnt lgkmcnt(2)
	v_fmac_f32_e32 v74, v69, v61
	s_waitcnt vmcnt(1)
	s_delay_alu instid0(VALU_DEP_1) | instskip(SKIP_1) | instid1(VALU_DEP_1)
	v_fmac_f32_e32 v74, v70, v62
	s_waitcnt lgkmcnt(1)
	v_fmac_f32_e32 v74, v71, v55
	s_delay_alu instid0(VALU_DEP_1) | instskip(SKIP_1) | instid1(VALU_DEP_1)
	v_fmac_f32_e32 v74, v72, v56
	s_waitcnt lgkmcnt(0)
	v_fmac_f32_e32 v74, v73, v2
	s_waitcnt vmcnt(0)
	s_delay_alu instid0(VALU_DEP_1) | instskip(NEXT) | instid1(VALU_DEP_1)
	v_fmac_f32_e32 v74, v82, v3
	v_sub_f32_e32 v2, v54, v74
	scratch_store_b32 off, v2, off offset:16
	v_cmpx_lt_u32_e32 3, v0
	s_cbranch_execz .LBB24_151
; %bb.150:
	scratch_load_b32 v2, off, off offset:12
	v_mov_b32_e32 v3, 0
	scratch_store_b32 off, v3, off offset:12
	s_waitcnt vmcnt(0)
	ds_store_b32 v1, v2
.LBB24_151:
	s_or_b32 exec_lo, exec_lo, s0
	s_waitcnt lgkmcnt(0)
	s_waitcnt_vscnt null, 0x0
	s_barrier
	buffer_gl0_inv
	s_clause 0x5
	scratch_load_b128 v[54:57], off, off offset:12
	scratch_load_b128 v[58:61], off, off offset:28
	;; [unrolled: 1-line block ×5, first 2 shown]
	scratch_load_b64 v[82:83], off, off offset:92
	v_mov_b32_e32 v2, 0
	ds_load_b128 v[74:77], v2 offset:128
	ds_load_b128 v[78:81], v2 offset:144
	s_mov_b32 s0, exec_lo
	s_waitcnt vmcnt(5) lgkmcnt(1)
	v_fma_f32 v3, v55, v74, 0
	s_delay_alu instid0(VALU_DEP_1) | instskip(NEXT) | instid1(VALU_DEP_1)
	v_fmac_f32_e32 v3, v56, v75
	v_fmac_f32_e32 v3, v57, v76
	s_waitcnt vmcnt(4)
	s_delay_alu instid0(VALU_DEP_1) | instskip(SKIP_3) | instid1(VALU_DEP_1)
	v_fmac_f32_e32 v3, v58, v77
	ds_load_b128 v[55:58], v2 offset:160
	s_waitcnt lgkmcnt(1)
	v_fmac_f32_e32 v3, v59, v78
	v_fmac_f32_e32 v3, v60, v79
	s_delay_alu instid0(VALU_DEP_1) | instskip(SKIP_1) | instid1(VALU_DEP_1)
	v_fmac_f32_e32 v3, v61, v80
	s_waitcnt vmcnt(3)
	v_fmac_f32_e32 v3, v62, v81
	ds_load_b128 v[59:62], v2 offset:176
	s_waitcnt lgkmcnt(1)
	v_fmac_f32_e32 v3, v63, v55
	s_delay_alu instid0(VALU_DEP_1) | instskip(NEXT) | instid1(VALU_DEP_1)
	v_fmac_f32_e32 v3, v64, v56
	v_fmac_f32_e32 v3, v65, v57
	s_waitcnt vmcnt(2)
	s_delay_alu instid0(VALU_DEP_1)
	v_fmac_f32_e32 v3, v66, v58
	ds_load_b128 v[55:58], v2 offset:192
	s_waitcnt lgkmcnt(1)
	v_fmac_f32_e32 v3, v67, v59
	ds_load_b32 v59, v2 offset:208
	v_fmac_f32_e32 v3, v68, v60
	s_delay_alu instid0(VALU_DEP_1) | instskip(SKIP_1) | instid1(VALU_DEP_1)
	v_fmac_f32_e32 v3, v69, v61
	s_waitcnt vmcnt(1)
	v_fmac_f32_e32 v3, v70, v62
	s_waitcnt lgkmcnt(1)
	s_delay_alu instid0(VALU_DEP_1) | instskip(NEXT) | instid1(VALU_DEP_1)
	v_fmac_f32_e32 v3, v71, v55
	v_fmac_f32_e32 v3, v72, v56
	s_delay_alu instid0(VALU_DEP_1) | instskip(SKIP_1) | instid1(VALU_DEP_1)
	v_fmac_f32_e32 v3, v73, v57
	s_waitcnt vmcnt(0)
	v_fmac_f32_e32 v3, v82, v58
	s_waitcnt lgkmcnt(0)
	s_delay_alu instid0(VALU_DEP_1) | instskip(NEXT) | instid1(VALU_DEP_1)
	v_fmac_f32_e32 v3, v83, v59
	v_sub_f32_e32 v3, v54, v3
	scratch_store_b32 off, v3, off offset:12
	v_cmpx_lt_u32_e32 2, v0
	s_cbranch_execz .LBB24_153
; %bb.152:
	scratch_load_b32 v3, off, off offset:8
	scratch_store_b32 off, v2, off offset:8
	s_waitcnt vmcnt(0)
	ds_store_b32 v1, v3
.LBB24_153:
	s_or_b32 exec_lo, exec_lo, s0
	s_waitcnt lgkmcnt(0)
	s_waitcnt_vscnt null, 0x0
	s_barrier
	buffer_gl0_inv
	s_clause 0x5
	scratch_load_b128 v[54:57], off, off offset:8
	scratch_load_b128 v[58:61], off, off offset:24
	;; [unrolled: 1-line block ×5, first 2 shown]
	scratch_load_b96 v[74:76], off, off offset:88
	ds_load_2addr_b32 v[77:78], v2 offset0:31 offset1:32
	ds_load_2addr_b32 v[79:80], v2 offset0:33 offset1:34
	;; [unrolled: 1-line block ×4, first 2 shown]
	s_mov_b32 s0, exec_lo
	s_waitcnt vmcnt(5) lgkmcnt(3)
	v_fma_f32 v77, v55, v77, 0
	s_delay_alu instid0(VALU_DEP_1) | instskip(SKIP_4) | instid1(VALU_DEP_1)
	v_fmac_f32_e32 v77, v56, v78
	ds_load_2addr_b32 v[55:56], v2 offset0:39 offset1:40
	s_waitcnt lgkmcnt(3)
	v_fmac_f32_e32 v77, v57, v79
	s_waitcnt vmcnt(4)
	v_fmac_f32_e32 v77, v58, v80
	ds_load_2addr_b32 v[57:58], v2 offset0:41 offset1:42
	s_waitcnt lgkmcnt(3)
	v_fmac_f32_e32 v77, v59, v81
	s_delay_alu instid0(VALU_DEP_1) | instskip(SKIP_1) | instid1(VALU_DEP_1)
	v_fmac_f32_e32 v77, v60, v82
	s_waitcnt lgkmcnt(2)
	v_fmac_f32_e32 v77, v61, v83
	s_waitcnt vmcnt(3)
	s_delay_alu instid0(VALU_DEP_1) | instskip(SKIP_4) | instid1(VALU_DEP_1)
	v_fmac_f32_e32 v77, v62, v84
	ds_load_2addr_b32 v[59:60], v2 offset0:43 offset1:44
	ds_load_2addr_b32 v[61:62], v2 offset0:45 offset1:46
	s_waitcnt lgkmcnt(3)
	v_fmac_f32_e32 v77, v63, v55
	v_fmac_f32_e32 v77, v64, v56
	ds_load_2addr_b32 v[55:56], v2 offset0:47 offset1:48
	s_waitcnt lgkmcnt(3)
	v_fmac_f32_e32 v77, v65, v57
	s_waitcnt vmcnt(2)
	s_delay_alu instid0(VALU_DEP_1) | instskip(SKIP_4) | instid1(VALU_DEP_1)
	v_fmac_f32_e32 v77, v66, v58
	ds_load_2addr_b32 v[57:58], v2 offset0:49 offset1:50
	ds_load_2addr_b32 v[2:3], v2 offset0:51 offset1:52
	s_waitcnt lgkmcnt(4)
	v_fmac_f32_e32 v77, v67, v59
	v_fmac_f32_e32 v77, v68, v60
	s_waitcnt lgkmcnt(3)
	s_delay_alu instid0(VALU_DEP_1) | instskip(SKIP_1) | instid1(VALU_DEP_1)
	v_fmac_f32_e32 v77, v69, v61
	s_waitcnt vmcnt(1)
	v_fmac_f32_e32 v77, v70, v62
	s_waitcnt lgkmcnt(2)
	s_delay_alu instid0(VALU_DEP_1) | instskip(NEXT) | instid1(VALU_DEP_1)
	v_fmac_f32_e32 v77, v71, v55
	v_fmac_f32_e32 v77, v72, v56
	s_waitcnt lgkmcnt(1)
	s_delay_alu instid0(VALU_DEP_1) | instskip(SKIP_1) | instid1(VALU_DEP_1)
	v_fmac_f32_e32 v77, v73, v57
	s_waitcnt vmcnt(0)
	v_fmac_f32_e32 v77, v74, v58
	s_waitcnt lgkmcnt(0)
	s_delay_alu instid0(VALU_DEP_1) | instskip(NEXT) | instid1(VALU_DEP_1)
	v_fmac_f32_e32 v77, v75, v2
	v_fmac_f32_e32 v77, v76, v3
	s_delay_alu instid0(VALU_DEP_1)
	v_sub_f32_e32 v2, v54, v77
	scratch_store_b32 off, v2, off offset:8
	v_cmpx_lt_u32_e32 1, v0
	s_cbranch_execz .LBB24_155
; %bb.154:
	scratch_load_b32 v2, off, off offset:4
	v_mov_b32_e32 v3, 0
	scratch_store_b32 off, v3, off offset:4
	s_waitcnt vmcnt(0)
	ds_store_b32 v1, v2
.LBB24_155:
	s_or_b32 exec_lo, exec_lo, s0
	s_waitcnt lgkmcnt(0)
	s_waitcnt_vscnt null, 0x0
	s_barrier
	buffer_gl0_inv
	s_clause 0x5
	scratch_load_b128 v[55:58], off, off offset:4
	scratch_load_b128 v[59:62], off, off offset:20
	;; [unrolled: 1-line block ×6, first 2 shown]
	v_mov_b32_e32 v54, 0
	ds_load_2addr_b64 v[79:82], v54 offset0:15 offset1:16
	ds_load_2addr_b64 v[83:86], v54 offset0:17 offset1:18
	s_mov_b32 s0, exec_lo
	s_waitcnt vmcnt(5) lgkmcnt(1)
	v_fma_f32 v79, v56, v79, 0
	s_delay_alu instid0(VALU_DEP_1) | instskip(SKIP_3) | instid1(VALU_DEP_1)
	v_fmac_f32_e32 v79, v57, v80
	ds_load_b64 v[2:3], v54 offset:200
	v_fmac_f32_e32 v79, v58, v81
	s_waitcnt vmcnt(4)
	v_fmac_f32_e32 v79, v59, v82
	ds_load_2addr_b64 v[56:59], v54 offset0:19 offset1:20
	s_waitcnt lgkmcnt(2)
	v_fmac_f32_e32 v79, v60, v83
	s_delay_alu instid0(VALU_DEP_1) | instskip(NEXT) | instid1(VALU_DEP_1)
	v_fmac_f32_e32 v79, v61, v84
	v_fmac_f32_e32 v79, v62, v85
	s_waitcnt vmcnt(3)
	s_delay_alu instid0(VALU_DEP_1) | instskip(SKIP_3) | instid1(VALU_DEP_1)
	v_fmac_f32_e32 v79, v63, v86
	ds_load_2addr_b64 v[60:63], v54 offset0:21 offset1:22
	s_waitcnt lgkmcnt(1)
	v_fmac_f32_e32 v79, v64, v56
	v_fmac_f32_e32 v79, v65, v57
	s_delay_alu instid0(VALU_DEP_1) | instskip(SKIP_1) | instid1(VALU_DEP_1)
	v_fmac_f32_e32 v79, v66, v58
	s_waitcnt vmcnt(2)
	v_fmac_f32_e32 v79, v67, v59
	ds_load_2addr_b64 v[56:59], v54 offset0:23 offset1:24
	s_waitcnt lgkmcnt(1)
	v_fmac_f32_e32 v79, v68, v60
	s_delay_alu instid0(VALU_DEP_1) | instskip(NEXT) | instid1(VALU_DEP_1)
	v_fmac_f32_e32 v79, v69, v61
	v_fmac_f32_e32 v79, v70, v62
	s_waitcnt vmcnt(1)
	s_delay_alu instid0(VALU_DEP_1) | instskip(SKIP_1) | instid1(VALU_DEP_1)
	v_fmac_f32_e32 v79, v71, v63
	s_waitcnt lgkmcnt(0)
	v_fmac_f32_e32 v79, v72, v56
	ds_load_b32 v56, v54 offset:208
	v_fmac_f32_e32 v79, v73, v57
	s_delay_alu instid0(VALU_DEP_1) | instskip(SKIP_1) | instid1(VALU_DEP_1)
	v_fmac_f32_e32 v79, v74, v58
	s_waitcnt vmcnt(0)
	v_fmac_f32_e32 v79, v75, v59
	s_delay_alu instid0(VALU_DEP_1) | instskip(NEXT) | instid1(VALU_DEP_1)
	v_fmac_f32_e32 v79, v76, v2
	v_fmac_f32_e32 v79, v77, v3
	s_waitcnt lgkmcnt(0)
	s_delay_alu instid0(VALU_DEP_1) | instskip(NEXT) | instid1(VALU_DEP_1)
	v_fmac_f32_e32 v79, v78, v56
	v_sub_f32_e32 v2, v55, v79
	scratch_store_b32 off, v2, off offset:4
	v_cmpx_ne_u32_e32 0, v0
	s_cbranch_execz .LBB24_157
; %bb.156:
	scratch_load_b32 v0, off, off
	scratch_store_b32 off, v54, off
	s_waitcnt vmcnt(0)
	ds_store_b32 v1, v0
.LBB24_157:
	s_or_b32 exec_lo, exec_lo, s0
	s_waitcnt lgkmcnt(0)
	s_waitcnt_vscnt null, 0x0
	s_barrier
	buffer_gl0_inv
	s_clause 0x6
	scratch_load_b128 v[55:58], off, off
	scratch_load_b128 v[59:62], off, off offset:16
	scratch_load_b128 v[63:66], off, off offset:32
	;; [unrolled: 1-line block ×5, first 2 shown]
	scratch_load_b32 v83, off, off offset:96
	ds_load_2addr_b32 v[75:76], v54 offset0:29 offset1:30
	ds_load_2addr_b32 v[77:78], v54 offset0:31 offset1:32
	;; [unrolled: 1-line block ×4, first 2 shown]
	s_and_b32 vcc_lo, exec_lo, s16
	s_waitcnt vmcnt(6) lgkmcnt(3)
	v_fma_f32 v75, v56, v75, 0
	s_delay_alu instid0(VALU_DEP_1) | instskip(SKIP_4) | instid1(VALU_DEP_1)
	v_fmac_f32_e32 v75, v57, v76
	ds_load_2addr_b32 v[56:57], v54 offset0:37 offset1:38
	s_waitcnt lgkmcnt(3)
	v_fmac_f32_e32 v75, v58, v77
	s_waitcnt vmcnt(5)
	v_fmac_f32_e32 v75, v59, v78
	ds_load_2addr_b32 v[58:59], v54 offset0:39 offset1:40
	s_waitcnt lgkmcnt(3)
	v_fmac_f32_e32 v75, v60, v79
	s_delay_alu instid0(VALU_DEP_1) | instskip(SKIP_1) | instid1(VALU_DEP_1)
	v_fmac_f32_e32 v75, v61, v80
	s_waitcnt lgkmcnt(2)
	v_fmac_f32_e32 v75, v62, v81
	s_waitcnt vmcnt(4)
	s_delay_alu instid0(VALU_DEP_1) | instskip(SKIP_4) | instid1(VALU_DEP_1)
	v_fmac_f32_e32 v75, v63, v82
	ds_load_2addr_b32 v[60:61], v54 offset0:41 offset1:42
	ds_load_2addr_b32 v[62:63], v54 offset0:43 offset1:44
	s_waitcnt lgkmcnt(3)
	v_fmac_f32_e32 v75, v64, v56
	v_fmac_f32_e32 v75, v65, v57
	ds_load_2addr_b32 v[56:57], v54 offset0:45 offset1:46
	s_waitcnt lgkmcnt(3)
	v_fmac_f32_e32 v75, v66, v58
	s_waitcnt vmcnt(3)
	s_delay_alu instid0(VALU_DEP_1) | instskip(SKIP_3) | instid1(VALU_DEP_1)
	v_fmac_f32_e32 v75, v67, v59
	ds_load_2addr_b32 v[58:59], v54 offset0:47 offset1:48
	s_waitcnt lgkmcnt(3)
	v_fmac_f32_e32 v75, v68, v60
	v_fmac_f32_e32 v75, v69, v61
	s_waitcnt lgkmcnt(2)
	s_delay_alu instid0(VALU_DEP_1) | instskip(SKIP_1) | instid1(VALU_DEP_1)
	v_fmac_f32_e32 v75, v70, v62
	s_waitcnt vmcnt(2)
	v_fmac_f32_e32 v75, v71, v63
	ds_load_2addr_b32 v[60:61], v54 offset0:49 offset1:50
	ds_load_2addr_b32 v[62:63], v54 offset0:51 offset1:52
	s_waitcnt lgkmcnt(3)
	v_fmac_f32_e32 v75, v72, v56
	s_delay_alu instid0(VALU_DEP_1) | instskip(SKIP_1) | instid1(VALU_DEP_1)
	v_fmac_f32_e32 v75, v73, v57
	s_waitcnt lgkmcnt(2)
	v_fmac_f32_e32 v75, v74, v58
	s_waitcnt vmcnt(1)
	s_delay_alu instid0(VALU_DEP_1) | instskip(SKIP_1) | instid1(VALU_DEP_1)
	v_fmac_f32_e32 v75, v0, v59
	s_waitcnt lgkmcnt(1)
	v_fmac_f32_e32 v75, v1, v60
	s_delay_alu instid0(VALU_DEP_1) | instskip(SKIP_1) | instid1(VALU_DEP_1)
	v_fmac_f32_e32 v75, v2, v61
	s_waitcnt lgkmcnt(0)
	v_fmac_f32_e32 v75, v3, v62
	s_waitcnt vmcnt(0)
	s_delay_alu instid0(VALU_DEP_1) | instskip(NEXT) | instid1(VALU_DEP_1)
	v_fmac_f32_e32 v75, v83, v63
	v_sub_f32_e32 v0, v55, v75
	scratch_store_b32 off, v0, off
	s_cbranch_vccz .LBB24_207
; %bb.158:
	v_dual_mov_b32 v0, s12 :: v_dual_mov_b32 v1, s13
	s_mov_b32 s0, exec_lo
	flat_load_b32 v0, v[0:1] offset:92
	s_waitcnt vmcnt(0) lgkmcnt(0)
	v_cmpx_ne_u32_e32 24, v0
	s_cbranch_execz .LBB24_160
; %bb.159:
	v_lshl_add_u32 v0, v0, 2, 0
	scratch_load_b32 v1, v0, off offset:-4
	s_waitcnt vmcnt(0)
	scratch_store_b32 off, v1, off offset:92
	scratch_store_b32 v0, v3, off offset:-4
.LBB24_160:
	s_or_b32 exec_lo, exec_lo, s0
	v_dual_mov_b32 v0, s12 :: v_dual_mov_b32 v1, s13
	s_mov_b32 s0, exec_lo
	flat_load_b32 v0, v[0:1] offset:88
	s_waitcnt vmcnt(0) lgkmcnt(0)
	v_cmpx_ne_u32_e32 23, v0
	s_cbranch_execz .LBB24_162
; %bb.161:
	v_lshl_add_u32 v0, v0, 2, 0
	scratch_load_b32 v1, v0, off offset:-4
	scratch_load_b32 v2, off, off offset:88
	s_waitcnt vmcnt(1)
	scratch_store_b32 off, v1, off offset:88
	s_waitcnt vmcnt(0)
	scratch_store_b32 v0, v2, off offset:-4
.LBB24_162:
	s_or_b32 exec_lo, exec_lo, s0
	v_dual_mov_b32 v0, s12 :: v_dual_mov_b32 v1, s13
	s_mov_b32 s0, exec_lo
	flat_load_b32 v0, v[0:1] offset:84
	s_waitcnt vmcnt(0) lgkmcnt(0)
	v_cmpx_ne_u32_e32 22, v0
	s_cbranch_execz .LBB24_164
; %bb.163:
	v_lshl_add_u32 v0, v0, 2, 0
	scratch_load_b32 v1, v0, off offset:-4
	scratch_load_b32 v2, off, off offset:84
	s_waitcnt vmcnt(1)
	scratch_store_b32 off, v1, off offset:84
	s_waitcnt vmcnt(0)
	scratch_store_b32 v0, v2, off offset:-4
.LBB24_164:
	;; [unrolled: 16-line block ×22, first 2 shown]
	s_or_b32 exec_lo, exec_lo, s0
	v_dual_mov_b32 v0, s12 :: v_dual_mov_b32 v1, s13
	s_mov_b32 s0, exec_lo
	flat_load_b32 v1, v[0:1]
	scratch_load_b32 v0, off, off
	s_waitcnt vmcnt(1) lgkmcnt(0)
	v_cmpx_ne_u32_e32 1, v1
	s_cbranch_execz .LBB24_206
; %bb.205:
	v_lshl_add_u32 v1, v1, 2, 0
	scratch_load_b32 v2, v1, off offset:-4
	s_waitcnt vmcnt(0)
	scratch_store_b32 off, v2, off
	scratch_store_b32 v1, v0, off offset:-4
	scratch_load_b32 v0, off, off
.LBB24_206:
	s_or_b32 exec_lo, exec_lo, s0
.LBB24_207:
	s_clause 0x5
	scratch_load_b128 v[54:57], off, off offset:4
	scratch_load_b128 v[58:61], off, off offset:20
	;; [unrolled: 1-line block ×6, first 2 shown]
	s_waitcnt vmcnt(6)
	global_store_b32 v[4:5], v0, off
	s_waitcnt vmcnt(5)
	s_clause 0x3
	global_store_b32 v[6:7], v54, off
	global_store_b32 v[8:9], v55, off
	global_store_b32 v[10:11], v56, off
	global_store_b32 v[12:13], v57, off
	s_waitcnt vmcnt(4)
	s_clause 0x3
	global_store_b32 v[14:15], v58, off
	global_store_b32 v[16:17], v59, off
	global_store_b32 v[18:19], v60, off
	;; [unrolled: 6-line block ×6, first 2 shown]
	global_store_b32 v[52:53], v77, off
	s_endpgm
	.section	.rodata,"a",@progbits
	.p2align	6, 0x0
	.amdhsa_kernel _ZN9rocsolver6v33100L18getri_kernel_smallILi25EfPfEEvT1_iilPiilS4_bb
		.amdhsa_group_segment_fixed_size 212
		.amdhsa_private_segment_fixed_size 112
		.amdhsa_kernarg_size 60
		.amdhsa_user_sgpr_count 15
		.amdhsa_user_sgpr_dispatch_ptr 0
		.amdhsa_user_sgpr_queue_ptr 0
		.amdhsa_user_sgpr_kernarg_segment_ptr 1
		.amdhsa_user_sgpr_dispatch_id 0
		.amdhsa_user_sgpr_private_segment_size 0
		.amdhsa_wavefront_size32 1
		.amdhsa_uses_dynamic_stack 0
		.amdhsa_enable_private_segment 1
		.amdhsa_system_sgpr_workgroup_id_x 1
		.amdhsa_system_sgpr_workgroup_id_y 0
		.amdhsa_system_sgpr_workgroup_id_z 0
		.amdhsa_system_sgpr_workgroup_info 0
		.amdhsa_system_vgpr_workitem_id 0
		.amdhsa_next_free_vgpr 87
		.amdhsa_next_free_sgpr 18
		.amdhsa_reserve_vcc 1
		.amdhsa_float_round_mode_32 0
		.amdhsa_float_round_mode_16_64 0
		.amdhsa_float_denorm_mode_32 3
		.amdhsa_float_denorm_mode_16_64 3
		.amdhsa_dx10_clamp 1
		.amdhsa_ieee_mode 1
		.amdhsa_fp16_overflow 0
		.amdhsa_workgroup_processor_mode 1
		.amdhsa_memory_ordered 1
		.amdhsa_forward_progress 0
		.amdhsa_shared_vgpr_count 0
		.amdhsa_exception_fp_ieee_invalid_op 0
		.amdhsa_exception_fp_denorm_src 0
		.amdhsa_exception_fp_ieee_div_zero 0
		.amdhsa_exception_fp_ieee_overflow 0
		.amdhsa_exception_fp_ieee_underflow 0
		.amdhsa_exception_fp_ieee_inexact 0
		.amdhsa_exception_int_div_zero 0
	.end_amdhsa_kernel
	.section	.text._ZN9rocsolver6v33100L18getri_kernel_smallILi25EfPfEEvT1_iilPiilS4_bb,"axG",@progbits,_ZN9rocsolver6v33100L18getri_kernel_smallILi25EfPfEEvT1_iilPiilS4_bb,comdat
.Lfunc_end24:
	.size	_ZN9rocsolver6v33100L18getri_kernel_smallILi25EfPfEEvT1_iilPiilS4_bb, .Lfunc_end24-_ZN9rocsolver6v33100L18getri_kernel_smallILi25EfPfEEvT1_iilPiilS4_bb
                                        ; -- End function
	.section	.AMDGPU.csdata,"",@progbits
; Kernel info:
; codeLenInByte = 14584
; NumSgprs: 20
; NumVgprs: 87
; ScratchSize: 112
; MemoryBound: 0
; FloatMode: 240
; IeeeMode: 1
; LDSByteSize: 212 bytes/workgroup (compile time only)
; SGPRBlocks: 2
; VGPRBlocks: 10
; NumSGPRsForWavesPerEU: 20
; NumVGPRsForWavesPerEU: 87
; Occupancy: 16
; WaveLimiterHint : 1
; COMPUTE_PGM_RSRC2:SCRATCH_EN: 1
; COMPUTE_PGM_RSRC2:USER_SGPR: 15
; COMPUTE_PGM_RSRC2:TRAP_HANDLER: 0
; COMPUTE_PGM_RSRC2:TGID_X_EN: 1
; COMPUTE_PGM_RSRC2:TGID_Y_EN: 0
; COMPUTE_PGM_RSRC2:TGID_Z_EN: 0
; COMPUTE_PGM_RSRC2:TIDIG_COMP_CNT: 0
	.section	.text._ZN9rocsolver6v33100L18getri_kernel_smallILi26EfPfEEvT1_iilPiilS4_bb,"axG",@progbits,_ZN9rocsolver6v33100L18getri_kernel_smallILi26EfPfEEvT1_iilPiilS4_bb,comdat
	.globl	_ZN9rocsolver6v33100L18getri_kernel_smallILi26EfPfEEvT1_iilPiilS4_bb ; -- Begin function _ZN9rocsolver6v33100L18getri_kernel_smallILi26EfPfEEvT1_iilPiilS4_bb
	.p2align	8
	.type	_ZN9rocsolver6v33100L18getri_kernel_smallILi26EfPfEEvT1_iilPiilS4_bb,@function
_ZN9rocsolver6v33100L18getri_kernel_smallILi26EfPfEEvT1_iilPiilS4_bb: ; @_ZN9rocsolver6v33100L18getri_kernel_smallILi26EfPfEEvT1_iilPiilS4_bb
; %bb.0:
	s_mov_b32 s2, exec_lo
	v_cmpx_gt_u32_e32 26, v0
	s_cbranch_execz .LBB25_112
; %bb.1:
	s_clause 0x2
	s_load_b32 s17, s[0:1], 0x38
	s_load_b128 s[8:11], s[0:1], 0x10
	s_load_b128 s[4:7], s[0:1], 0x28
	s_mov_b32 s14, s15
                                        ; implicit-def: $sgpr12_sgpr13
	s_waitcnt lgkmcnt(0)
	s_bitcmp1_b32 s17, 8
	s_cselect_b32 s16, -1, 0
	s_bfe_u32 s2, s17, 0x10008
	s_ashr_i32 s15, s15, 31
	s_cmp_eq_u32 s2, 0
	s_cbranch_scc1 .LBB25_3
; %bb.2:
	s_load_b32 s2, s[0:1], 0x20
	s_mul_i32 s3, s14, s5
	s_mul_hi_u32 s5, s14, s4
	s_mul_i32 s12, s15, s4
	s_add_i32 s3, s5, s3
	s_mul_i32 s4, s14, s4
	s_add_i32 s5, s3, s12
	s_delay_alu instid0(SALU_CYCLE_1)
	s_lshl_b64 s[4:5], s[4:5], 2
	s_waitcnt lgkmcnt(0)
	s_ashr_i32 s3, s2, 31
	s_add_u32 s4, s10, s4
	s_addc_u32 s5, s11, s5
	s_lshl_b64 s[2:3], s[2:3], 2
	s_delay_alu instid0(SALU_CYCLE_1)
	s_add_u32 s12, s4, s2
	s_addc_u32 s13, s5, s3
.LBB25_3:
	s_load_b128 s[0:3], s[0:1], 0x0
	s_mul_i32 s4, s14, s9
	s_mul_hi_u32 s5, s14, s8
	s_mul_i32 s9, s15, s8
	s_add_i32 s5, s5, s4
	s_mul_i32 s4, s14, s8
	s_add_i32 s5, s5, s9
	v_lshlrev_b32_e32 v53, 2, v0
	s_lshl_b64 s[4:5], s[4:5], 2
	s_waitcnt lgkmcnt(0)
	v_add3_u32 v3, s3, s3, v0
	s_ashr_i32 s9, s2, 31
	s_mov_b32 s8, s2
	s_add_u32 s2, s0, s4
	s_addc_u32 s5, s1, s5
	v_add_nc_u32_e32 v5, s3, v3
	s_lshl_b64 s[0:1], s[8:9], 2
	v_ashrrev_i32_e32 v4, 31, v3
	s_add_u32 s0, s2, s0
	s_addc_u32 s1, s5, s1
	v_add_nc_u32_e32 v9, s3, v5
	v_add_co_u32 v1, s2, s0, v53
	v_ashrrev_i32_e32 v6, 31, v5
	s_mov_b32 s4, s3
	s_ashr_i32 s5, s3, 31
	v_add_co_ci_u32_e64 v2, null, s1, 0, s2
	v_lshlrev_b64 v[7:8], 2, v[3:4]
	s_lshl_b64 s[4:5], s[4:5], 2
	v_add_nc_u32_e32 v13, s3, v9
	v_add_co_u32 v3, vcc_lo, v1, s4
	v_lshlrev_b64 v[11:12], 2, v[5:6]
	v_add_co_ci_u32_e32 v4, vcc_lo, s5, v2, vcc_lo
	v_add_co_u32 v5, vcc_lo, s0, v7
	v_ashrrev_i32_e32 v14, 31, v13
	v_add_nc_u32_e32 v15, s3, v13
	v_add_co_ci_u32_e32 v6, vcc_lo, s1, v8, vcc_lo
	v_ashrrev_i32_e32 v10, 31, v9
	v_add_co_u32 v7, vcc_lo, s0, v11
	v_add_co_ci_u32_e32 v8, vcc_lo, s1, v12, vcc_lo
	v_lshlrev_b64 v[11:12], 2, v[13:14]
	v_add_nc_u32_e32 v13, s3, v15
	v_lshlrev_b64 v[9:10], 2, v[9:10]
	v_ashrrev_i32_e32 v16, 31, v15
	global_load_b32 v54, v53, s[0:1]
	s_bitcmp0_b32 s17, 0
	v_add_nc_u32_e32 v17, s3, v13
	v_ashrrev_i32_e32 v14, 31, v13
	v_add_co_u32 v9, vcc_lo, s0, v9
	v_lshlrev_b64 v[15:16], 2, v[15:16]
	s_delay_alu instid0(VALU_DEP_4)
	v_ashrrev_i32_e32 v18, 31, v17
	v_add_co_ci_u32_e32 v10, vcc_lo, s1, v10, vcc_lo
	v_add_co_u32 v11, vcc_lo, s0, v11
	v_lshlrev_b64 v[19:20], 2, v[13:14]
	v_add_nc_u32_e32 v23, s3, v17
	v_add_co_ci_u32_e32 v12, vcc_lo, s1, v12, vcc_lo
	v_add_co_u32 v13, vcc_lo, s0, v15
	v_lshlrev_b64 v[21:22], 2, v[17:18]
	v_add_co_ci_u32_e32 v14, vcc_lo, s1, v16, vcc_lo
	v_add_co_u32 v15, vcc_lo, s0, v19
	v_ashrrev_i32_e32 v24, 31, v23
	v_add_nc_u32_e32 v19, s3, v23
	v_add_co_ci_u32_e32 v16, vcc_lo, s1, v20, vcc_lo
	v_add_co_u32 v17, vcc_lo, s0, v21
	v_add_co_ci_u32_e32 v18, vcc_lo, s1, v22, vcc_lo
	v_lshlrev_b64 v[21:22], 2, v[23:24]
	v_add_nc_u32_e32 v23, s3, v19
	v_ashrrev_i32_e32 v20, 31, v19
	s_clause 0x7
	global_load_b32 v55, v[3:4], off
	global_load_b32 v56, v[5:6], off
	;; [unrolled: 1-line block ×8, first 2 shown]
	v_add_nc_u32_e32 v27, s3, v23
	v_lshlrev_b64 v[25:26], 2, v[19:20]
	v_add_co_u32 v19, vcc_lo, s0, v21
	v_add_co_ci_u32_e32 v20, vcc_lo, s1, v22, vcc_lo
	s_delay_alu instid0(VALU_DEP_4)
	v_ashrrev_i32_e32 v28, 31, v27
	v_add_nc_u32_e32 v29, s3, v27
	v_ashrrev_i32_e32 v24, 31, v23
	v_add_co_u32 v21, vcc_lo, s0, v25
	v_add_co_ci_u32_e32 v22, vcc_lo, s1, v26, vcc_lo
	v_lshlrev_b64 v[25:26], 2, v[27:28]
	v_add_nc_u32_e32 v27, s3, v29
	v_lshlrev_b64 v[23:24], 2, v[23:24]
	v_ashrrev_i32_e32 v30, 31, v29
	s_delay_alu instid0(VALU_DEP_3) | instskip(SKIP_1) | instid1(VALU_DEP_4)
	v_add_nc_u32_e32 v31, s3, v27
	v_ashrrev_i32_e32 v28, 31, v27
	v_add_co_u32 v23, vcc_lo, s0, v23
	s_delay_alu instid0(VALU_DEP_4) | instskip(NEXT) | instid1(VALU_DEP_4)
	v_lshlrev_b64 v[29:30], 2, v[29:30]
	v_add_nc_u32_e32 v35, s3, v31
	v_add_co_ci_u32_e32 v24, vcc_lo, s1, v24, vcc_lo
	v_add_co_u32 v25, vcc_lo, s0, v25
	v_lshlrev_b64 v[33:34], 2, v[27:28]
	v_add_co_ci_u32_e32 v26, vcc_lo, s1, v26, vcc_lo
	v_add_co_u32 v27, vcc_lo, s0, v29
	v_ashrrev_i32_e32 v36, 31, v35
	v_add_co_ci_u32_e32 v28, vcc_lo, s1, v30, vcc_lo
	v_add_co_u32 v29, vcc_lo, s0, v33
	v_add_co_ci_u32_e32 v30, vcc_lo, s1, v34, vcc_lo
	s_delay_alu instid0(VALU_DEP_4) | instskip(SKIP_2) | instid1(VALU_DEP_2)
	v_lshlrev_b64 v[33:34], 2, v[35:36]
	v_add_nc_u32_e32 v35, s3, v35
	v_ashrrev_i32_e32 v32, 31, v31
	v_add_nc_u32_e32 v37, s3, v35
	s_delay_alu instid0(VALU_DEP_2) | instskip(SKIP_1) | instid1(VALU_DEP_3)
	v_lshlrev_b64 v[31:32], 2, v[31:32]
	v_ashrrev_i32_e32 v36, 31, v35
	v_add_nc_u32_e32 v39, s3, v37
	v_ashrrev_i32_e32 v38, 31, v37
	s_delay_alu instid0(VALU_DEP_4) | instskip(NEXT) | instid1(VALU_DEP_4)
	v_add_co_u32 v31, vcc_lo, s0, v31
	v_lshlrev_b64 v[35:36], 2, v[35:36]
	s_delay_alu instid0(VALU_DEP_4) | instskip(SKIP_3) | instid1(VALU_DEP_4)
	v_add_nc_u32_e32 v41, s3, v39
	v_ashrrev_i32_e32 v40, 31, v39
	v_add_co_ci_u32_e32 v32, vcc_lo, s1, v32, vcc_lo
	v_add_co_u32 v33, vcc_lo, s0, v33
	v_add_nc_u32_e32 v43, s3, v41
	v_lshlrev_b64 v[37:38], 2, v[37:38]
	v_ashrrev_i32_e32 v42, 31, v41
	v_add_co_ci_u32_e32 v34, vcc_lo, s1, v34, vcc_lo
	s_delay_alu instid0(VALU_DEP_4) | instskip(SKIP_3) | instid1(VALU_DEP_4)
	v_add_nc_u32_e32 v45, s3, v43
	v_add_co_u32 v35, vcc_lo, s0, v35
	v_lshlrev_b64 v[39:40], 2, v[39:40]
	v_ashrrev_i32_e32 v44, 31, v43
	v_add_nc_u32_e32 v47, s3, v45
	v_add_co_ci_u32_e32 v36, vcc_lo, s1, v36, vcc_lo
	v_add_co_u32 v37, vcc_lo, s0, v37
	v_lshlrev_b64 v[41:42], 2, v[41:42]
	s_delay_alu instid0(VALU_DEP_4)
	v_add_nc_u32_e32 v49, s3, v47
	v_ashrrev_i32_e32 v46, 31, v45
	v_add_co_ci_u32_e32 v38, vcc_lo, s1, v38, vcc_lo
	v_add_co_u32 v39, vcc_lo, s0, v39
	v_lshlrev_b64 v[43:44], 2, v[43:44]
	v_ashrrev_i32_e32 v48, 31, v47
	v_add_co_ci_u32_e32 v40, vcc_lo, s1, v40, vcc_lo
	v_add_nc_u32_e32 v51, s3, v49
	v_add_co_u32 v41, vcc_lo, s0, v41
	v_lshlrev_b64 v[45:46], 2, v[45:46]
	v_ashrrev_i32_e32 v50, 31, v49
	v_add_co_ci_u32_e32 v42, vcc_lo, s1, v42, vcc_lo
	v_add_co_u32 v43, vcc_lo, s0, v43
	v_lshlrev_b64 v[47:48], 2, v[47:48]
	v_ashrrev_i32_e32 v52, 31, v51
	v_add_co_ci_u32_e32 v44, vcc_lo, s1, v44, vcc_lo
	v_add_co_u32 v45, vcc_lo, s0, v45
	v_lshlrev_b64 v[49:50], 2, v[49:50]
	v_add_co_ci_u32_e32 v46, vcc_lo, s1, v46, vcc_lo
	v_add_co_u32 v47, vcc_lo, s0, v47
	v_lshlrev_b64 v[51:52], 2, v[51:52]
	v_add_co_ci_u32_e32 v48, vcc_lo, s1, v48, vcc_lo
	v_add_co_u32 v49, vcc_lo, s0, v49
	v_add_co_ci_u32_e32 v50, vcc_lo, s1, v50, vcc_lo
	s_delay_alu instid0(VALU_DEP_4)
	v_add_co_u32 v51, vcc_lo, s0, v51
	s_clause 0x7
	global_load_b32 v63, v[19:20], off
	global_load_b32 v64, v[21:22], off
	;; [unrolled: 1-line block ×8, first 2 shown]
	v_add_co_ci_u32_e32 v52, vcc_lo, s1, v52, vcc_lo
	s_clause 0x8
	global_load_b32 v71, v[35:36], off
	global_load_b32 v72, v[37:38], off
	global_load_b32 v73, v[39:40], off
	global_load_b32 v74, v[41:42], off
	global_load_b32 v75, v[43:44], off
	global_load_b32 v76, v[45:46], off
	global_load_b32 v77, v[47:48], off
	global_load_b32 v78, v[49:50], off
	global_load_b32 v79, v[51:52], off
	s_mov_b32 s1, -1
	s_waitcnt vmcnt(22)
	scratch_store_b128 off, v[54:57], off
	s_waitcnt vmcnt(18)
	scratch_store_b128 off, v[58:61], off offset:16
	s_waitcnt vmcnt(14)
	scratch_store_b128 off, v[62:65], off offset:32
	;; [unrolled: 2-line block ×5, first 2 shown]
	s_waitcnt vmcnt(0)
	scratch_store_b64 off, v[78:79], off offset:96
	s_cbranch_scc1 .LBB25_110
; %bb.4:
	v_cmp_eq_u32_e64 s0, 0, v0
	s_delay_alu instid0(VALU_DEP_1)
	s_and_saveexec_b32 s1, s0
	s_cbranch_execz .LBB25_6
; %bb.5:
	v_mov_b32_e32 v54, 0
	ds_store_b32 v54, v54 offset:104
.LBB25_6:
	s_or_b32 exec_lo, exec_lo, s1
	s_waitcnt lgkmcnt(0)
	s_waitcnt_vscnt null, 0x0
	s_barrier
	buffer_gl0_inv
	scratch_load_b32 v54, v53, off
	s_mov_b32 s2, exec_lo
	s_waitcnt vmcnt(0)
	v_cmpx_eq_f32_e32 0, v54
	s_cbranch_execz .LBB25_10
; %bb.7:
	v_mov_b32_e32 v54, 0
	s_mov_b32 s3, 0
	ds_load_b32 v55, v54 offset:104
	s_waitcnt lgkmcnt(0)
	v_readfirstlane_b32 s1, v55
	v_add_nc_u32_e32 v55, 1, v0
	s_delay_alu instid0(VALU_DEP_2) | instskip(NEXT) | instid1(VALU_DEP_1)
	s_cmp_eq_u32 s1, 0
	v_cmp_gt_i32_e32 vcc_lo, s1, v55
	s_cselect_b32 s4, -1, 0
	s_delay_alu instid0(SALU_CYCLE_1) | instskip(NEXT) | instid1(SALU_CYCLE_1)
	s_or_b32 s4, s4, vcc_lo
	s_and_b32 exec_lo, exec_lo, s4
	s_cbranch_execz .LBB25_10
; %bb.8:
	v_mov_b32_e32 v56, s1
.LBB25_9:                               ; =>This Inner Loop Header: Depth=1
	ds_cmpstore_rtn_b32 v56, v54, v55, v56 offset:104
	s_waitcnt lgkmcnt(0)
	v_cmp_ne_u32_e32 vcc_lo, 0, v56
	v_cmp_le_i32_e64 s1, v56, v55
	s_delay_alu instid0(VALU_DEP_1) | instskip(NEXT) | instid1(SALU_CYCLE_1)
	s_and_b32 s1, vcc_lo, s1
	s_and_b32 s1, exec_lo, s1
	s_delay_alu instid0(SALU_CYCLE_1) | instskip(NEXT) | instid1(SALU_CYCLE_1)
	s_or_b32 s3, s1, s3
	s_and_not1_b32 exec_lo, exec_lo, s3
	s_cbranch_execnz .LBB25_9
.LBB25_10:
	s_or_b32 exec_lo, exec_lo, s2
	v_mov_b32_e32 v54, 0
	s_barrier
	buffer_gl0_inv
	ds_load_b32 v55, v54 offset:104
	s_and_saveexec_b32 s1, s0
	s_cbranch_execz .LBB25_12
; %bb.11:
	s_lshl_b64 s[2:3], s[14:15], 2
	s_delay_alu instid0(SALU_CYCLE_1)
	s_add_u32 s2, s6, s2
	s_addc_u32 s3, s7, s3
	s_waitcnt lgkmcnt(0)
	global_store_b32 v54, v55, s[2:3]
.LBB25_12:
	s_or_b32 exec_lo, exec_lo, s1
	s_waitcnt lgkmcnt(0)
	v_cmp_ne_u32_e32 vcc_lo, 0, v55
	s_mov_b32 s1, 0
	s_cbranch_vccnz .LBB25_110
; %bb.13:
	v_add_nc_u32_e32 v54, 0, v53
	scratch_load_b32 v55, v54, off
	s_waitcnt vmcnt(0)
	v_div_scale_f32 v56, null, v55, v55, 1.0
	v_div_scale_f32 v59, vcc_lo, 1.0, v55, 1.0
	s_delay_alu instid0(VALU_DEP_2) | instskip(SKIP_2) | instid1(VALU_DEP_1)
	v_rcp_f32_e32 v57, v56
	s_waitcnt_depctr 0xfff
	v_fma_f32 v58, -v56, v57, 1.0
	v_fmac_f32_e32 v57, v58, v57
	s_delay_alu instid0(VALU_DEP_1) | instskip(NEXT) | instid1(VALU_DEP_1)
	v_mul_f32_e32 v58, v59, v57
	v_fma_f32 v60, -v56, v58, v59
	s_delay_alu instid0(VALU_DEP_1) | instskip(NEXT) | instid1(VALU_DEP_1)
	v_fmac_f32_e32 v58, v60, v57
	v_fma_f32 v56, -v56, v58, v59
	s_delay_alu instid0(VALU_DEP_1) | instskip(NEXT) | instid1(VALU_DEP_1)
	v_div_fmas_f32 v56, v56, v57, v58
	v_div_fixup_f32 v55, v56, v55, 1.0
	scratch_store_b32 v54, v55, off
	scratch_load_b32 v56, off, off offset:4
	v_xor_b32_e32 v57, 0x80000000, v55
	v_add_nc_u32_e32 v55, 0x70, v53
	s_waitcnt vmcnt(0)
	ds_store_2addr_b32 v53, v57, v56 offset1:28
	s_waitcnt lgkmcnt(0)
	s_waitcnt_vscnt null, 0x0
	s_barrier
	buffer_gl0_inv
	s_and_saveexec_b32 s1, s0
	s_cbranch_execz .LBB25_15
; %bb.14:
	scratch_load_b32 v56, v54, off
	ds_load_b32 v57, v55
	v_mov_b32_e32 v58, 0
	ds_load_b32 v58, v58 offset:4
	s_waitcnt vmcnt(0) lgkmcnt(1)
	v_fma_f32 v56, v56, v57, 0
	s_waitcnt lgkmcnt(0)
	s_delay_alu instid0(VALU_DEP_1)
	v_mul_f32_e32 v56, v56, v58
	scratch_store_b32 off, v56, off offset:4
.LBB25_15:
	s_or_b32 exec_lo, exec_lo, s1
	s_waitcnt_vscnt null, 0x0
	s_barrier
	buffer_gl0_inv
	scratch_load_b32 v56, off, off offset:8
	s_mov_b32 s1, exec_lo
	s_waitcnt vmcnt(0)
	ds_store_b32 v55, v56
	s_waitcnt lgkmcnt(0)
	s_barrier
	buffer_gl0_inv
	v_cmpx_gt_u32_e32 2, v0
	s_cbranch_execz .LBB25_17
; %bb.16:
	scratch_load_b32 v58, v54, off
	scratch_load_b32 v59, off, off offset:4
	ds_load_b32 v60, v55
	v_mov_b32_e32 v56, 0
	ds_load_2addr_b32 v[56:57], v56 offset0:2 offset1:29
	s_waitcnt vmcnt(1) lgkmcnt(1)
	v_fma_f32 v58, v58, v60, 0
	s_waitcnt vmcnt(0) lgkmcnt(0)
	s_delay_alu instid0(VALU_DEP_1) | instskip(NEXT) | instid1(VALU_DEP_1)
	v_fma_f32 v57, v59, v57, v58
	v_cndmask_b32_e64 v57, v58, v57, s0
	s_delay_alu instid0(VALU_DEP_1)
	v_mul_f32_e32 v56, v57, v56
	scratch_store_b32 off, v56, off offset:8
.LBB25_17:
	s_or_b32 exec_lo, exec_lo, s1
	s_waitcnt_vscnt null, 0x0
	s_barrier
	buffer_gl0_inv
	scratch_load_b32 v57, off, off offset:12
	v_add_nc_u32_e32 v56, -1, v0
	s_mov_b32 s0, exec_lo
	s_waitcnt vmcnt(0)
	ds_store_b32 v55, v57
	s_waitcnt lgkmcnt(0)
	s_barrier
	buffer_gl0_inv
	v_cmpx_gt_u32_e32 3, v0
	s_cbranch_execz .LBB25_21
; %bb.18:
	v_dual_mov_b32 v57, 0 :: v_dual_add_nc_u32 v58, -1, v0
	v_add_nc_u32_e32 v59, 0x70, v53
	v_add_nc_u32_e32 v60, 0, v53
	s_mov_b32 s1, 0
.LBB25_19:                              ; =>This Inner Loop Header: Depth=1
	scratch_load_b32 v61, v60, off
	ds_load_b32 v62, v59
	v_add_nc_u32_e32 v58, 1, v58
	v_add_nc_u32_e32 v59, 4, v59
	v_add_nc_u32_e32 v60, 4, v60
	s_delay_alu instid0(VALU_DEP_3)
	v_cmp_lt_u32_e32 vcc_lo, 1, v58
	s_or_b32 s1, vcc_lo, s1
	s_waitcnt vmcnt(0) lgkmcnt(0)
	v_fmac_f32_e32 v57, v61, v62
	s_and_not1_b32 exec_lo, exec_lo, s1
	s_cbranch_execnz .LBB25_19
; %bb.20:
	s_or_b32 exec_lo, exec_lo, s1
	v_mov_b32_e32 v58, 0
	ds_load_b32 v58, v58 offset:12
	s_waitcnt lgkmcnt(0)
	v_mul_f32_e32 v57, v57, v58
	scratch_store_b32 off, v57, off offset:12
.LBB25_21:
	s_or_b32 exec_lo, exec_lo, s0
	s_waitcnt_vscnt null, 0x0
	s_barrier
	buffer_gl0_inv
	scratch_load_b32 v57, off, off offset:16
	s_mov_b32 s0, exec_lo
	s_waitcnt vmcnt(0)
	ds_store_b32 v55, v57
	s_waitcnt lgkmcnt(0)
	s_barrier
	buffer_gl0_inv
	v_cmpx_gt_u32_e32 4, v0
	s_cbranch_execz .LBB25_25
; %bb.22:
	v_dual_mov_b32 v57, 0 :: v_dual_add_nc_u32 v58, -1, v0
	v_add_nc_u32_e32 v59, 0x70, v53
	v_add_nc_u32_e32 v60, 0, v53
	s_mov_b32 s1, 0
.LBB25_23:                              ; =>This Inner Loop Header: Depth=1
	scratch_load_b32 v61, v60, off
	ds_load_b32 v62, v59
	v_add_nc_u32_e32 v58, 1, v58
	v_add_nc_u32_e32 v59, 4, v59
	v_add_nc_u32_e32 v60, 4, v60
	s_delay_alu instid0(VALU_DEP_3)
	v_cmp_lt_u32_e32 vcc_lo, 2, v58
	s_or_b32 s1, vcc_lo, s1
	s_waitcnt vmcnt(0) lgkmcnt(0)
	v_fmac_f32_e32 v57, v61, v62
	s_and_not1_b32 exec_lo, exec_lo, s1
	s_cbranch_execnz .LBB25_23
; %bb.24:
	s_or_b32 exec_lo, exec_lo, s1
	v_mov_b32_e32 v58, 0
	ds_load_b32 v58, v58 offset:16
	s_waitcnt lgkmcnt(0)
	v_mul_f32_e32 v57, v57, v58
	scratch_store_b32 off, v57, off offset:16
.LBB25_25:
	s_or_b32 exec_lo, exec_lo, s0
	s_waitcnt_vscnt null, 0x0
	s_barrier
	buffer_gl0_inv
	scratch_load_b32 v57, off, off offset:20
	;; [unrolled: 39-line block ×21, first 2 shown]
	s_mov_b32 s0, exec_lo
	s_waitcnt vmcnt(0)
	ds_store_b32 v55, v57
	s_waitcnt lgkmcnt(0)
	s_barrier
	buffer_gl0_inv
	v_cmpx_gt_u32_e32 24, v0
	s_cbranch_execz .LBB25_105
; %bb.102:
	v_add_nc_u32_e32 v57, -1, v0
	v_add_nc_u32_e32 v58, 0x70, v53
	v_add_nc_u32_e32 v59, 0, v53
	v_mov_b32_e32 v53, 0
	s_mov_b32 s1, 0
.LBB25_103:                             ; =>This Inner Loop Header: Depth=1
	scratch_load_b32 v60, v59, off
	ds_load_b32 v61, v58
	v_add_nc_u32_e32 v57, 1, v57
	v_add_nc_u32_e32 v58, 4, v58
	;; [unrolled: 1-line block ×3, first 2 shown]
	s_delay_alu instid0(VALU_DEP_3)
	v_cmp_lt_u32_e32 vcc_lo, 22, v57
	s_or_b32 s1, vcc_lo, s1
	s_waitcnt vmcnt(0) lgkmcnt(0)
	v_fmac_f32_e32 v53, v60, v61
	s_and_not1_b32 exec_lo, exec_lo, s1
	s_cbranch_execnz .LBB25_103
; %bb.104:
	s_or_b32 exec_lo, exec_lo, s1
	v_mov_b32_e32 v57, 0
	ds_load_b32 v57, v57 offset:96
	s_waitcnt lgkmcnt(0)
	v_mul_f32_e32 v53, v53, v57
	scratch_store_b32 off, v53, off offset:96
.LBB25_105:
	s_or_b32 exec_lo, exec_lo, s0
	s_waitcnt_vscnt null, 0x0
	s_barrier
	buffer_gl0_inv
	scratch_load_b32 v53, off, off offset:100
	s_mov_b32 s0, exec_lo
	s_waitcnt vmcnt(0)
	ds_store_b32 v55, v53
	s_waitcnt lgkmcnt(0)
	s_barrier
	buffer_gl0_inv
	v_cmpx_ne_u32_e32 25, v0
	s_cbranch_execz .LBB25_109
; %bb.106:
	v_mov_b32_e32 v53, 0
	s_mov_b32 s1, 0
.LBB25_107:                             ; =>This Inner Loop Header: Depth=1
	scratch_load_b32 v57, v54, off
	ds_load_b32 v58, v55
	v_add_nc_u32_e32 v56, 1, v56
	v_add_nc_u32_e32 v55, 4, v55
	;; [unrolled: 1-line block ×3, first 2 shown]
	s_waitcnt vmcnt(0) lgkmcnt(0)
	v_fmac_f32_e32 v53, v57, v58
	v_cmp_lt_u32_e32 vcc_lo, 23, v56
	s_or_b32 s1, vcc_lo, s1
	s_delay_alu instid0(SALU_CYCLE_1)
	s_and_not1_b32 exec_lo, exec_lo, s1
	s_cbranch_execnz .LBB25_107
; %bb.108:
	s_or_b32 exec_lo, exec_lo, s1
	v_mov_b32_e32 v54, 0
	ds_load_b32 v54, v54 offset:100
	s_waitcnt lgkmcnt(0)
	v_mul_f32_e32 v53, v53, v54
	scratch_store_b32 off, v53, off offset:100
.LBB25_109:
	s_or_b32 exec_lo, exec_lo, s0
	s_mov_b32 s1, -1
	s_waitcnt_vscnt null, 0x0
	s_barrier
	buffer_gl0_inv
.LBB25_110:
	s_and_b32 vcc_lo, exec_lo, s1
	s_cbranch_vccz .LBB25_112
; %bb.111:
	s_lshl_b64 s[0:1], s[14:15], 2
	v_mov_b32_e32 v53, 0
	s_add_u32 s0, s6, s0
	s_addc_u32 s1, s7, s1
	global_load_b32 v53, v53, s[0:1]
	s_waitcnt vmcnt(0)
	v_cmp_ne_u32_e32 vcc_lo, 0, v53
	s_cbranch_vccz .LBB25_113
.LBB25_112:
	s_endpgm
.LBB25_113:
	v_lshl_add_u32 v53, v0, 2, 0x70
	s_mov_b32 s0, exec_lo
	v_cmpx_eq_u32_e32 25, v0
	s_cbranch_execz .LBB25_115
; %bb.114:
	scratch_load_b32 v54, off, off offset:96
	v_mov_b32_e32 v55, 0
	scratch_store_b32 off, v55, off offset:96
	s_waitcnt vmcnt(0)
	ds_store_b32 v53, v54
.LBB25_115:
	s_or_b32 exec_lo, exec_lo, s0
	s_waitcnt lgkmcnt(0)
	s_waitcnt_vscnt null, 0x0
	s_barrier
	buffer_gl0_inv
	scratch_load_b64 v[55:56], off, off offset:96
	v_mov_b32_e32 v54, 0
	s_mov_b32 s0, exec_lo
	ds_load_b32 v57, v54 offset:212
	s_waitcnt vmcnt(0) lgkmcnt(0)
	v_fma_f32 v56, v56, v57, 0
	s_delay_alu instid0(VALU_DEP_1)
	v_sub_f32_e32 v55, v55, v56
	scratch_store_b32 off, v55, off offset:96
	v_cmpx_lt_u32_e32 23, v0
	s_cbranch_execz .LBB25_117
; %bb.116:
	scratch_load_b32 v55, off, off offset:92
	scratch_store_b32 off, v54, off offset:92
	s_waitcnt vmcnt(0)
	ds_store_b32 v53, v55
.LBB25_117:
	s_or_b32 exec_lo, exec_lo, s0
	s_waitcnt lgkmcnt(0)
	s_waitcnt_vscnt null, 0x0
	s_barrier
	buffer_gl0_inv
	scratch_load_b96 v[55:57], off, off offset:92
	ds_load_b64 v[58:59], v54 offset:208
	s_mov_b32 s0, exec_lo
	s_waitcnt vmcnt(0) lgkmcnt(0)
	v_fma_f32 v54, v56, v58, 0
	s_delay_alu instid0(VALU_DEP_1) | instskip(NEXT) | instid1(VALU_DEP_1)
	v_fmac_f32_e32 v54, v57, v59
	v_sub_f32_e32 v54, v55, v54
	scratch_store_b32 off, v54, off offset:92
	v_cmpx_lt_u32_e32 22, v0
	s_cbranch_execz .LBB25_119
; %bb.118:
	scratch_load_b32 v54, off, off offset:88
	v_mov_b32_e32 v55, 0
	scratch_store_b32 off, v55, off offset:88
	s_waitcnt vmcnt(0)
	ds_store_b32 v53, v54
.LBB25_119:
	s_or_b32 exec_lo, exec_lo, s0
	s_waitcnt lgkmcnt(0)
	s_waitcnt_vscnt null, 0x0
	s_barrier
	buffer_gl0_inv
	scratch_load_b128 v[55:58], off, off offset:88
	v_mov_b32_e32 v54, 0
	ds_load_2addr_b32 v[59:60], v54 offset0:51 offset1:52
	ds_load_b32 v61, v54 offset:212
	s_mov_b32 s0, exec_lo
	s_waitcnt vmcnt(0) lgkmcnt(1)
	v_fma_f32 v56, v56, v59, 0
	s_delay_alu instid0(VALU_DEP_1) | instskip(SKIP_1) | instid1(VALU_DEP_1)
	v_fmac_f32_e32 v56, v57, v60
	s_waitcnt lgkmcnt(0)
	v_fmac_f32_e32 v56, v58, v61
	s_delay_alu instid0(VALU_DEP_1)
	v_sub_f32_e32 v55, v55, v56
	scratch_store_b32 off, v55, off offset:88
	v_cmpx_lt_u32_e32 21, v0
	s_cbranch_execz .LBB25_121
; %bb.120:
	scratch_load_b32 v55, off, off offset:84
	scratch_store_b32 off, v54, off offset:84
	s_waitcnt vmcnt(0)
	ds_store_b32 v53, v55
.LBB25_121:
	s_or_b32 exec_lo, exec_lo, s0
	s_waitcnt lgkmcnt(0)
	s_waitcnt_vscnt null, 0x0
	s_barrier
	buffer_gl0_inv
	s_clause 0x1
	scratch_load_b128 v[55:58], off, off offset:84
	scratch_load_b32 v63, off, off offset:100
	ds_load_2addr_b64 v[59:62], v54 offset0:25 offset1:26
	s_mov_b32 s0, exec_lo
	s_waitcnt vmcnt(1) lgkmcnt(0)
	v_fma_f32 v54, v56, v59, 0
	s_delay_alu instid0(VALU_DEP_1) | instskip(NEXT) | instid1(VALU_DEP_1)
	v_fmac_f32_e32 v54, v57, v60
	v_fmac_f32_e32 v54, v58, v61
	s_waitcnt vmcnt(0)
	s_delay_alu instid0(VALU_DEP_1) | instskip(NEXT) | instid1(VALU_DEP_1)
	v_fmac_f32_e32 v54, v63, v62
	v_sub_f32_e32 v54, v55, v54
	scratch_store_b32 off, v54, off offset:84
	v_cmpx_lt_u32_e32 20, v0
	s_cbranch_execz .LBB25_123
; %bb.122:
	scratch_load_b32 v54, off, off offset:80
	v_mov_b32_e32 v55, 0
	scratch_store_b32 off, v55, off offset:80
	s_waitcnt vmcnt(0)
	ds_store_b32 v53, v54
.LBB25_123:
	s_or_b32 exec_lo, exec_lo, s0
	s_waitcnt lgkmcnt(0)
	s_waitcnt_vscnt null, 0x0
	s_barrier
	buffer_gl0_inv
	s_clause 0x1
	scratch_load_b128 v[55:58], off, off offset:80
	scratch_load_b64 v[59:60], off, off offset:96
	v_mov_b32_e32 v54, 0
	ds_load_2addr_b32 v[61:62], v54 offset0:49 offset1:50
	ds_load_2addr_b32 v[63:64], v54 offset0:51 offset1:52
	ds_load_b32 v65, v54 offset:212
	s_mov_b32 s0, exec_lo
	s_waitcnt vmcnt(1) lgkmcnt(2)
	v_fma_f32 v56, v56, v61, 0
	s_delay_alu instid0(VALU_DEP_1) | instskip(SKIP_1) | instid1(VALU_DEP_1)
	v_fmac_f32_e32 v56, v57, v62
	s_waitcnt lgkmcnt(1)
	v_fmac_f32_e32 v56, v58, v63
	s_waitcnt vmcnt(0)
	s_delay_alu instid0(VALU_DEP_1) | instskip(SKIP_1) | instid1(VALU_DEP_1)
	v_fmac_f32_e32 v56, v59, v64
	s_waitcnt lgkmcnt(0)
	v_fmac_f32_e32 v56, v60, v65
	s_delay_alu instid0(VALU_DEP_1)
	v_sub_f32_e32 v55, v55, v56
	scratch_store_b32 off, v55, off offset:80
	v_cmpx_lt_u32_e32 19, v0
	s_cbranch_execz .LBB25_125
; %bb.124:
	scratch_load_b32 v55, off, off offset:76
	scratch_store_b32 off, v54, off offset:76
	s_waitcnt vmcnt(0)
	ds_store_b32 v53, v55
.LBB25_125:
	s_or_b32 exec_lo, exec_lo, s0
	s_waitcnt lgkmcnt(0)
	s_waitcnt_vscnt null, 0x0
	s_barrier
	buffer_gl0_inv
	s_clause 0x1
	scratch_load_b128 v[55:58], off, off offset:76
	scratch_load_b96 v[63:65], off, off offset:92
	ds_load_b128 v[59:62], v54 offset:192
	ds_load_b64 v[66:67], v54 offset:208
	s_mov_b32 s0, exec_lo
	s_waitcnt vmcnt(1) lgkmcnt(1)
	v_fma_f32 v54, v56, v59, 0
	s_delay_alu instid0(VALU_DEP_1) | instskip(NEXT) | instid1(VALU_DEP_1)
	v_fmac_f32_e32 v54, v57, v60
	v_fmac_f32_e32 v54, v58, v61
	s_waitcnt vmcnt(0)
	s_delay_alu instid0(VALU_DEP_1) | instskip(SKIP_1) | instid1(VALU_DEP_1)
	v_fmac_f32_e32 v54, v63, v62
	s_waitcnt lgkmcnt(0)
	v_fmac_f32_e32 v54, v64, v66
	s_delay_alu instid0(VALU_DEP_1) | instskip(NEXT) | instid1(VALU_DEP_1)
	v_fmac_f32_e32 v54, v65, v67
	v_sub_f32_e32 v54, v55, v54
	scratch_store_b32 off, v54, off offset:76
	v_cmpx_lt_u32_e32 18, v0
	s_cbranch_execz .LBB25_127
; %bb.126:
	scratch_load_b32 v54, off, off offset:72
	v_mov_b32_e32 v55, 0
	scratch_store_b32 off, v55, off offset:72
	s_waitcnt vmcnt(0)
	ds_store_b32 v53, v54
.LBB25_127:
	s_or_b32 exec_lo, exec_lo, s0
	s_waitcnt lgkmcnt(0)
	s_waitcnt_vscnt null, 0x0
	s_barrier
	buffer_gl0_inv
	s_clause 0x1
	scratch_load_b128 v[55:58], off, off offset:72
	scratch_load_b128 v[59:62], off, off offset:88
	v_mov_b32_e32 v54, 0
	ds_load_2addr_b32 v[63:64], v54 offset0:47 offset1:48
	ds_load_2addr_b32 v[65:66], v54 offset0:49 offset1:50
	;; [unrolled: 1-line block ×3, first 2 shown]
	ds_load_b32 v69, v54 offset:212
	s_mov_b32 s0, exec_lo
	s_waitcnt vmcnt(1) lgkmcnt(3)
	v_fma_f32 v56, v56, v63, 0
	s_delay_alu instid0(VALU_DEP_1) | instskip(SKIP_1) | instid1(VALU_DEP_1)
	v_fmac_f32_e32 v56, v57, v64
	s_waitcnt lgkmcnt(2)
	v_fmac_f32_e32 v56, v58, v65
	s_waitcnt vmcnt(0)
	s_delay_alu instid0(VALU_DEP_1) | instskip(SKIP_1) | instid1(VALU_DEP_1)
	v_fmac_f32_e32 v56, v59, v66
	s_waitcnt lgkmcnt(1)
	v_fmac_f32_e32 v56, v60, v67
	s_delay_alu instid0(VALU_DEP_1) | instskip(SKIP_1) | instid1(VALU_DEP_1)
	v_fmac_f32_e32 v56, v61, v68
	s_waitcnt lgkmcnt(0)
	v_fmac_f32_e32 v56, v62, v69
	s_delay_alu instid0(VALU_DEP_1)
	v_sub_f32_e32 v55, v55, v56
	scratch_store_b32 off, v55, off offset:72
	v_cmpx_lt_u32_e32 17, v0
	s_cbranch_execz .LBB25_129
; %bb.128:
	scratch_load_b32 v55, off, off offset:68
	scratch_store_b32 off, v54, off offset:68
	s_waitcnt vmcnt(0)
	ds_store_b32 v53, v55
.LBB25_129:
	s_or_b32 exec_lo, exec_lo, s0
	s_waitcnt lgkmcnt(0)
	s_waitcnt_vscnt null, 0x0
	s_barrier
	buffer_gl0_inv
	s_clause 0x2
	scratch_load_b128 v[55:58], off, off offset:68
	scratch_load_b128 v[59:62], off, off offset:84
	scratch_load_b32 v71, off, off offset:100
	ds_load_2addr_b64 v[63:66], v54 offset0:23 offset1:24
	ds_load_2addr_b64 v[67:70], v54 offset0:25 offset1:26
	s_mov_b32 s0, exec_lo
	s_waitcnt vmcnt(2) lgkmcnt(1)
	v_fma_f32 v54, v56, v63, 0
	s_delay_alu instid0(VALU_DEP_1) | instskip(NEXT) | instid1(VALU_DEP_1)
	v_fmac_f32_e32 v54, v57, v64
	v_fmac_f32_e32 v54, v58, v65
	s_waitcnt vmcnt(1)
	s_delay_alu instid0(VALU_DEP_1) | instskip(SKIP_1) | instid1(VALU_DEP_1)
	v_fmac_f32_e32 v54, v59, v66
	s_waitcnt lgkmcnt(0)
	v_fmac_f32_e32 v54, v60, v67
	s_delay_alu instid0(VALU_DEP_1) | instskip(NEXT) | instid1(VALU_DEP_1)
	v_fmac_f32_e32 v54, v61, v68
	v_fmac_f32_e32 v54, v62, v69
	s_waitcnt vmcnt(0)
	s_delay_alu instid0(VALU_DEP_1) | instskip(NEXT) | instid1(VALU_DEP_1)
	v_fmac_f32_e32 v54, v71, v70
	v_sub_f32_e32 v54, v55, v54
	scratch_store_b32 off, v54, off offset:68
	v_cmpx_lt_u32_e32 16, v0
	s_cbranch_execz .LBB25_131
; %bb.130:
	scratch_load_b32 v54, off, off offset:64
	v_mov_b32_e32 v55, 0
	scratch_store_b32 off, v55, off offset:64
	s_waitcnt vmcnt(0)
	ds_store_b32 v53, v54
.LBB25_131:
	s_or_b32 exec_lo, exec_lo, s0
	s_waitcnt lgkmcnt(0)
	s_waitcnt_vscnt null, 0x0
	s_barrier
	buffer_gl0_inv
	s_clause 0x2
	scratch_load_b128 v[55:58], off, off offset:64
	scratch_load_b128 v[59:62], off, off offset:80
	scratch_load_b64 v[63:64], off, off offset:96
	v_mov_b32_e32 v54, 0
	ds_load_2addr_b32 v[65:66], v54 offset0:45 offset1:46
	ds_load_2addr_b32 v[67:68], v54 offset0:47 offset1:48
	;; [unrolled: 1-line block ×4, first 2 shown]
	s_mov_b32 s0, exec_lo
	s_waitcnt vmcnt(2) lgkmcnt(3)
	v_fma_f32 v56, v56, v65, 0
	s_delay_alu instid0(VALU_DEP_1) | instskip(SKIP_4) | instid1(VALU_DEP_1)
	v_fmac_f32_e32 v56, v57, v66
	ds_load_b32 v57, v54 offset:212
	s_waitcnt lgkmcnt(3)
	v_fmac_f32_e32 v56, v58, v67
	s_waitcnt vmcnt(1)
	v_fmac_f32_e32 v56, v59, v68
	s_waitcnt lgkmcnt(2)
	s_delay_alu instid0(VALU_DEP_1) | instskip(NEXT) | instid1(VALU_DEP_1)
	v_fmac_f32_e32 v56, v60, v69
	v_fmac_f32_e32 v56, v61, v70
	s_waitcnt lgkmcnt(1)
	s_delay_alu instid0(VALU_DEP_1) | instskip(SKIP_1) | instid1(VALU_DEP_1)
	v_fmac_f32_e32 v56, v62, v71
	s_waitcnt vmcnt(0)
	v_fmac_f32_e32 v56, v63, v72
	s_waitcnt lgkmcnt(0)
	s_delay_alu instid0(VALU_DEP_1) | instskip(NEXT) | instid1(VALU_DEP_1)
	v_fmac_f32_e32 v56, v64, v57
	v_sub_f32_e32 v55, v55, v56
	scratch_store_b32 off, v55, off offset:64
	v_cmpx_lt_u32_e32 15, v0
	s_cbranch_execz .LBB25_133
; %bb.132:
	scratch_load_b32 v55, off, off offset:60
	scratch_store_b32 off, v54, off offset:60
	s_waitcnt vmcnt(0)
	ds_store_b32 v53, v55
.LBB25_133:
	s_or_b32 exec_lo, exec_lo, s0
	s_waitcnt lgkmcnt(0)
	s_waitcnt_vscnt null, 0x0
	s_barrier
	buffer_gl0_inv
	s_clause 0x2
	scratch_load_b128 v[55:58], off, off offset:60
	scratch_load_b128 v[59:62], off, off offset:76
	scratch_load_b96 v[71:73], off, off offset:92
	ds_load_b128 v[63:66], v54 offset:176
	ds_load_b128 v[67:70], v54 offset:192
	s_mov_b32 s0, exec_lo
	s_waitcnt vmcnt(2) lgkmcnt(1)
	v_fma_f32 v63, v56, v63, 0
	s_delay_alu instid0(VALU_DEP_1) | instskip(SKIP_3) | instid1(VALU_DEP_1)
	v_fmac_f32_e32 v63, v57, v64
	ds_load_b64 v[56:57], v54 offset:208
	v_fmac_f32_e32 v63, v58, v65
	s_waitcnt vmcnt(1)
	v_fmac_f32_e32 v63, v59, v66
	s_waitcnt lgkmcnt(1)
	s_delay_alu instid0(VALU_DEP_1) | instskip(NEXT) | instid1(VALU_DEP_1)
	v_fmac_f32_e32 v63, v60, v67
	v_fmac_f32_e32 v63, v61, v68
	s_delay_alu instid0(VALU_DEP_1) | instskip(SKIP_1) | instid1(VALU_DEP_1)
	v_fmac_f32_e32 v63, v62, v69
	s_waitcnt vmcnt(0)
	v_fmac_f32_e32 v63, v71, v70
	s_waitcnt lgkmcnt(0)
	s_delay_alu instid0(VALU_DEP_1) | instskip(NEXT) | instid1(VALU_DEP_1)
	v_fmac_f32_e32 v63, v72, v56
	v_fmac_f32_e32 v63, v73, v57
	s_delay_alu instid0(VALU_DEP_1)
	v_sub_f32_e32 v54, v55, v63
	scratch_store_b32 off, v54, off offset:60
	v_cmpx_lt_u32_e32 14, v0
	s_cbranch_execz .LBB25_135
; %bb.134:
	scratch_load_b32 v54, off, off offset:56
	v_mov_b32_e32 v55, 0
	scratch_store_b32 off, v55, off offset:56
	s_waitcnt vmcnt(0)
	ds_store_b32 v53, v54
.LBB25_135:
	s_or_b32 exec_lo, exec_lo, s0
	s_waitcnt lgkmcnt(0)
	s_waitcnt_vscnt null, 0x0
	s_barrier
	buffer_gl0_inv
	s_clause 0x2
	scratch_load_b128 v[55:58], off, off offset:56
	scratch_load_b128 v[59:62], off, off offset:72
	scratch_load_b128 v[63:66], off, off offset:88
	v_mov_b32_e32 v54, 0
	ds_load_2addr_b32 v[67:68], v54 offset0:43 offset1:44
	ds_load_2addr_b32 v[69:70], v54 offset0:45 offset1:46
	;; [unrolled: 1-line block ×4, first 2 shown]
	s_mov_b32 s0, exec_lo
	s_waitcnt vmcnt(2) lgkmcnt(3)
	v_fma_f32 v67, v56, v67, 0
	s_delay_alu instid0(VALU_DEP_1)
	v_fmac_f32_e32 v67, v57, v68
	ds_load_2addr_b32 v[56:57], v54 offset0:51 offset1:52
	s_waitcnt lgkmcnt(3)
	v_fmac_f32_e32 v67, v58, v69
	ds_load_b32 v58, v54 offset:212
	s_waitcnt vmcnt(1)
	v_fmac_f32_e32 v67, v59, v70
	s_waitcnt lgkmcnt(3)
	s_delay_alu instid0(VALU_DEP_1) | instskip(NEXT) | instid1(VALU_DEP_1)
	v_fmac_f32_e32 v67, v60, v71
	v_fmac_f32_e32 v67, v61, v72
	s_waitcnt lgkmcnt(2)
	s_delay_alu instid0(VALU_DEP_1) | instskip(SKIP_1) | instid1(VALU_DEP_1)
	v_fmac_f32_e32 v67, v62, v73
	s_waitcnt vmcnt(0)
	v_fmac_f32_e32 v67, v63, v74
	s_waitcnt lgkmcnt(1)
	s_delay_alu instid0(VALU_DEP_1) | instskip(NEXT) | instid1(VALU_DEP_1)
	v_fmac_f32_e32 v67, v64, v56
	v_fmac_f32_e32 v67, v65, v57
	s_waitcnt lgkmcnt(0)
	s_delay_alu instid0(VALU_DEP_1) | instskip(NEXT) | instid1(VALU_DEP_1)
	v_fmac_f32_e32 v67, v66, v58
	v_sub_f32_e32 v55, v55, v67
	scratch_store_b32 off, v55, off offset:56
	v_cmpx_lt_u32_e32 13, v0
	s_cbranch_execz .LBB25_137
; %bb.136:
	scratch_load_b32 v55, off, off offset:52
	scratch_store_b32 off, v54, off offset:52
	s_waitcnt vmcnt(0)
	ds_store_b32 v53, v55
.LBB25_137:
	s_or_b32 exec_lo, exec_lo, s0
	s_waitcnt lgkmcnt(0)
	s_waitcnt_vscnt null, 0x0
	s_barrier
	buffer_gl0_inv
	s_clause 0x3
	scratch_load_b128 v[55:58], off, off offset:52
	scratch_load_b128 v[59:62], off, off offset:68
	;; [unrolled: 1-line block ×3, first 2 shown]
	scratch_load_b32 v75, off, off offset:100
	ds_load_2addr_b64 v[67:70], v54 offset0:21 offset1:22
	ds_load_2addr_b64 v[71:74], v54 offset0:23 offset1:24
	s_mov_b32 s0, exec_lo
	s_waitcnt vmcnt(3) lgkmcnt(1)
	v_fma_f32 v67, v56, v67, 0
	s_delay_alu instid0(VALU_DEP_1) | instskip(NEXT) | instid1(VALU_DEP_1)
	v_fmac_f32_e32 v67, v57, v68
	v_fmac_f32_e32 v67, v58, v69
	s_waitcnt vmcnt(2)
	s_delay_alu instid0(VALU_DEP_1) | instskip(SKIP_3) | instid1(VALU_DEP_1)
	v_fmac_f32_e32 v67, v59, v70
	ds_load_2addr_b64 v[56:59], v54 offset0:25 offset1:26
	s_waitcnt lgkmcnt(1)
	v_fmac_f32_e32 v67, v60, v71
	v_fmac_f32_e32 v67, v61, v72
	s_delay_alu instid0(VALU_DEP_1) | instskip(SKIP_1) | instid1(VALU_DEP_1)
	v_fmac_f32_e32 v67, v62, v73
	s_waitcnt vmcnt(1)
	v_fmac_f32_e32 v67, v63, v74
	s_waitcnt lgkmcnt(0)
	s_delay_alu instid0(VALU_DEP_1) | instskip(NEXT) | instid1(VALU_DEP_1)
	v_fmac_f32_e32 v67, v64, v56
	v_fmac_f32_e32 v67, v65, v57
	s_delay_alu instid0(VALU_DEP_1) | instskip(SKIP_1) | instid1(VALU_DEP_1)
	v_fmac_f32_e32 v67, v66, v58
	s_waitcnt vmcnt(0)
	v_fmac_f32_e32 v67, v75, v59
	s_delay_alu instid0(VALU_DEP_1)
	v_sub_f32_e32 v54, v55, v67
	scratch_store_b32 off, v54, off offset:52
	v_cmpx_lt_u32_e32 12, v0
	s_cbranch_execz .LBB25_139
; %bb.138:
	scratch_load_b32 v54, off, off offset:48
	v_mov_b32_e32 v55, 0
	scratch_store_b32 off, v55, off offset:48
	s_waitcnt vmcnt(0)
	ds_store_b32 v53, v54
.LBB25_139:
	s_or_b32 exec_lo, exec_lo, s0
	s_waitcnt lgkmcnt(0)
	s_waitcnt_vscnt null, 0x0
	s_barrier
	buffer_gl0_inv
	s_clause 0x3
	scratch_load_b128 v[55:58], off, off offset:48
	scratch_load_b128 v[59:62], off, off offset:64
	;; [unrolled: 1-line block ×3, first 2 shown]
	scratch_load_b64 v[67:68], off, off offset:96
	v_mov_b32_e32 v54, 0
	ds_load_2addr_b32 v[69:70], v54 offset0:41 offset1:42
	ds_load_2addr_b32 v[71:72], v54 offset0:43 offset1:44
	;; [unrolled: 1-line block ×4, first 2 shown]
	s_mov_b32 s0, exec_lo
	s_waitcnt vmcnt(3) lgkmcnt(3)
	v_fma_f32 v69, v56, v69, 0
	s_delay_alu instid0(VALU_DEP_1) | instskip(SKIP_4) | instid1(VALU_DEP_1)
	v_fmac_f32_e32 v69, v57, v70
	ds_load_2addr_b32 v[56:57], v54 offset0:49 offset1:50
	s_waitcnt lgkmcnt(3)
	v_fmac_f32_e32 v69, v58, v71
	s_waitcnt vmcnt(2)
	v_fmac_f32_e32 v69, v59, v72
	ds_load_2addr_b32 v[58:59], v54 offset0:51 offset1:52
	s_waitcnt lgkmcnt(3)
	v_fmac_f32_e32 v69, v60, v73
	ds_load_b32 v60, v54 offset:212
	v_fmac_f32_e32 v69, v61, v74
	s_waitcnt lgkmcnt(3)
	s_delay_alu instid0(VALU_DEP_1) | instskip(SKIP_1) | instid1(VALU_DEP_1)
	v_fmac_f32_e32 v69, v62, v75
	s_waitcnt vmcnt(1)
	v_fmac_f32_e32 v69, v63, v76
	s_waitcnt lgkmcnt(2)
	s_delay_alu instid0(VALU_DEP_1) | instskip(NEXT) | instid1(VALU_DEP_1)
	v_fmac_f32_e32 v69, v64, v56
	v_fmac_f32_e32 v69, v65, v57
	s_waitcnt lgkmcnt(1)
	s_delay_alu instid0(VALU_DEP_1) | instskip(SKIP_1) | instid1(VALU_DEP_1)
	v_fmac_f32_e32 v69, v66, v58
	s_waitcnt vmcnt(0)
	v_fmac_f32_e32 v69, v67, v59
	s_waitcnt lgkmcnt(0)
	s_delay_alu instid0(VALU_DEP_1) | instskip(NEXT) | instid1(VALU_DEP_1)
	v_fmac_f32_e32 v69, v68, v60
	v_sub_f32_e32 v55, v55, v69
	scratch_store_b32 off, v55, off offset:48
	v_cmpx_lt_u32_e32 11, v0
	s_cbranch_execz .LBB25_141
; %bb.140:
	scratch_load_b32 v55, off, off offset:44
	scratch_store_b32 off, v54, off offset:44
	s_waitcnt vmcnt(0)
	ds_store_b32 v53, v55
.LBB25_141:
	s_or_b32 exec_lo, exec_lo, s0
	s_waitcnt lgkmcnt(0)
	s_waitcnt_vscnt null, 0x0
	s_barrier
	buffer_gl0_inv
	s_clause 0x3
	scratch_load_b128 v[55:58], off, off offset:44
	scratch_load_b128 v[59:62], off, off offset:60
	;; [unrolled: 1-line block ×3, first 2 shown]
	scratch_load_b96 v[75:77], off, off offset:92
	ds_load_b128 v[67:70], v54 offset:160
	ds_load_b128 v[71:74], v54 offset:176
	s_mov_b32 s0, exec_lo
	s_waitcnt vmcnt(3) lgkmcnt(1)
	v_fma_f32 v67, v56, v67, 0
	s_delay_alu instid0(VALU_DEP_1) | instskip(NEXT) | instid1(VALU_DEP_1)
	v_fmac_f32_e32 v67, v57, v68
	v_fmac_f32_e32 v67, v58, v69
	s_waitcnt vmcnt(2)
	s_delay_alu instid0(VALU_DEP_1) | instskip(SKIP_3) | instid1(VALU_DEP_1)
	v_fmac_f32_e32 v67, v59, v70
	ds_load_b128 v[56:59], v54 offset:192
	s_waitcnt lgkmcnt(1)
	v_fmac_f32_e32 v67, v60, v71
	v_fmac_f32_e32 v67, v61, v72
	ds_load_b64 v[60:61], v54 offset:208
	v_fmac_f32_e32 v67, v62, v73
	s_waitcnt vmcnt(1)
	s_delay_alu instid0(VALU_DEP_1) | instskip(SKIP_1) | instid1(VALU_DEP_1)
	v_fmac_f32_e32 v67, v63, v74
	s_waitcnt lgkmcnt(1)
	v_fmac_f32_e32 v67, v64, v56
	s_delay_alu instid0(VALU_DEP_1) | instskip(NEXT) | instid1(VALU_DEP_1)
	v_fmac_f32_e32 v67, v65, v57
	v_fmac_f32_e32 v67, v66, v58
	s_waitcnt vmcnt(0)
	s_delay_alu instid0(VALU_DEP_1) | instskip(SKIP_1) | instid1(VALU_DEP_1)
	v_fmac_f32_e32 v67, v75, v59
	s_waitcnt lgkmcnt(0)
	v_fmac_f32_e32 v67, v76, v60
	s_delay_alu instid0(VALU_DEP_1) | instskip(NEXT) | instid1(VALU_DEP_1)
	v_fmac_f32_e32 v67, v77, v61
	v_sub_f32_e32 v54, v55, v67
	scratch_store_b32 off, v54, off offset:44
	v_cmpx_lt_u32_e32 10, v0
	s_cbranch_execz .LBB25_143
; %bb.142:
	scratch_load_b32 v54, off, off offset:40
	v_mov_b32_e32 v55, 0
	scratch_store_b32 off, v55, off offset:40
	s_waitcnt vmcnt(0)
	ds_store_b32 v53, v54
.LBB25_143:
	s_or_b32 exec_lo, exec_lo, s0
	s_waitcnt lgkmcnt(0)
	s_waitcnt_vscnt null, 0x0
	s_barrier
	buffer_gl0_inv
	s_clause 0x3
	scratch_load_b128 v[55:58], off, off offset:40
	scratch_load_b128 v[59:62], off, off offset:56
	;; [unrolled: 1-line block ×4, first 2 shown]
	v_mov_b32_e32 v54, 0
	ds_load_2addr_b32 v[71:72], v54 offset0:39 offset1:40
	ds_load_2addr_b32 v[73:74], v54 offset0:41 offset1:42
	;; [unrolled: 1-line block ×4, first 2 shown]
	s_mov_b32 s0, exec_lo
	s_waitcnt vmcnt(3) lgkmcnt(3)
	v_fma_f32 v71, v56, v71, 0
	s_delay_alu instid0(VALU_DEP_1) | instskip(SKIP_4) | instid1(VALU_DEP_1)
	v_fmac_f32_e32 v71, v57, v72
	ds_load_2addr_b32 v[56:57], v54 offset0:47 offset1:48
	s_waitcnt lgkmcnt(3)
	v_fmac_f32_e32 v71, v58, v73
	s_waitcnt vmcnt(2)
	v_fmac_f32_e32 v71, v59, v74
	ds_load_2addr_b32 v[58:59], v54 offset0:49 offset1:50
	s_waitcnt lgkmcnt(3)
	v_fmac_f32_e32 v71, v60, v75
	s_delay_alu instid0(VALU_DEP_1) | instskip(SKIP_1) | instid1(VALU_DEP_1)
	v_fmac_f32_e32 v71, v61, v76
	s_waitcnt lgkmcnt(2)
	v_fmac_f32_e32 v71, v62, v77
	ds_load_2addr_b32 v[60:61], v54 offset0:51 offset1:52
	ds_load_b32 v62, v54 offset:212
	s_waitcnt vmcnt(1)
	v_fmac_f32_e32 v71, v63, v78
	s_waitcnt lgkmcnt(3)
	s_delay_alu instid0(VALU_DEP_1) | instskip(NEXT) | instid1(VALU_DEP_1)
	v_fmac_f32_e32 v71, v64, v56
	v_fmac_f32_e32 v71, v65, v57
	s_waitcnt lgkmcnt(2)
	s_delay_alu instid0(VALU_DEP_1) | instskip(SKIP_1) | instid1(VALU_DEP_1)
	v_fmac_f32_e32 v71, v66, v58
	s_waitcnt vmcnt(0)
	v_fmac_f32_e32 v71, v67, v59
	s_waitcnt lgkmcnt(1)
	s_delay_alu instid0(VALU_DEP_1) | instskip(NEXT) | instid1(VALU_DEP_1)
	v_fmac_f32_e32 v71, v68, v60
	v_fmac_f32_e32 v71, v69, v61
	s_waitcnt lgkmcnt(0)
	s_delay_alu instid0(VALU_DEP_1) | instskip(NEXT) | instid1(VALU_DEP_1)
	v_fmac_f32_e32 v71, v70, v62
	v_sub_f32_e32 v55, v55, v71
	scratch_store_b32 off, v55, off offset:40
	v_cmpx_lt_u32_e32 9, v0
	s_cbranch_execz .LBB25_145
; %bb.144:
	scratch_load_b32 v55, off, off offset:36
	scratch_store_b32 off, v54, off offset:36
	s_waitcnt vmcnt(0)
	ds_store_b32 v53, v55
.LBB25_145:
	s_or_b32 exec_lo, exec_lo, s0
	s_waitcnt lgkmcnt(0)
	s_waitcnt_vscnt null, 0x0
	s_barrier
	buffer_gl0_inv
	s_clause 0x4
	scratch_load_b128 v[55:58], off, off offset:36
	scratch_load_b128 v[59:62], off, off offset:52
	;; [unrolled: 1-line block ×4, first 2 shown]
	scratch_load_b32 v79, off, off offset:100
	ds_load_2addr_b64 v[71:74], v54 offset0:19 offset1:20
	ds_load_2addr_b64 v[75:78], v54 offset0:21 offset1:22
	s_mov_b32 s0, exec_lo
	s_waitcnt vmcnt(4) lgkmcnt(1)
	v_fma_f32 v71, v56, v71, 0
	s_delay_alu instid0(VALU_DEP_1) | instskip(NEXT) | instid1(VALU_DEP_1)
	v_fmac_f32_e32 v71, v57, v72
	v_fmac_f32_e32 v71, v58, v73
	s_waitcnt vmcnt(3)
	s_delay_alu instid0(VALU_DEP_1) | instskip(SKIP_3) | instid1(VALU_DEP_1)
	v_fmac_f32_e32 v71, v59, v74
	ds_load_2addr_b64 v[56:59], v54 offset0:23 offset1:24
	s_waitcnt lgkmcnt(1)
	v_fmac_f32_e32 v71, v60, v75
	v_fmac_f32_e32 v71, v61, v76
	s_delay_alu instid0(VALU_DEP_1) | instskip(SKIP_1) | instid1(VALU_DEP_1)
	v_fmac_f32_e32 v71, v62, v77
	s_waitcnt vmcnt(2)
	v_fmac_f32_e32 v71, v63, v78
	ds_load_2addr_b64 v[60:63], v54 offset0:25 offset1:26
	s_waitcnt lgkmcnt(1)
	v_fmac_f32_e32 v71, v64, v56
	s_delay_alu instid0(VALU_DEP_1) | instskip(NEXT) | instid1(VALU_DEP_1)
	v_fmac_f32_e32 v71, v65, v57
	v_fmac_f32_e32 v71, v66, v58
	s_waitcnt vmcnt(1)
	s_delay_alu instid0(VALU_DEP_1) | instskip(SKIP_1) | instid1(VALU_DEP_1)
	v_fmac_f32_e32 v71, v67, v59
	s_waitcnt lgkmcnt(0)
	v_fmac_f32_e32 v71, v68, v60
	s_delay_alu instid0(VALU_DEP_1) | instskip(NEXT) | instid1(VALU_DEP_1)
	v_fmac_f32_e32 v71, v69, v61
	v_fmac_f32_e32 v71, v70, v62
	s_waitcnt vmcnt(0)
	s_delay_alu instid0(VALU_DEP_1) | instskip(NEXT) | instid1(VALU_DEP_1)
	v_fmac_f32_e32 v71, v79, v63
	v_sub_f32_e32 v54, v55, v71
	scratch_store_b32 off, v54, off offset:36
	v_cmpx_lt_u32_e32 8, v0
	s_cbranch_execz .LBB25_147
; %bb.146:
	scratch_load_b32 v54, off, off offset:32
	v_mov_b32_e32 v55, 0
	scratch_store_b32 off, v55, off offset:32
	s_waitcnt vmcnt(0)
	ds_store_b32 v53, v54
.LBB25_147:
	s_or_b32 exec_lo, exec_lo, s0
	s_waitcnt lgkmcnt(0)
	s_waitcnt_vscnt null, 0x0
	s_barrier
	buffer_gl0_inv
	s_clause 0x4
	scratch_load_b128 v[55:58], off, off offset:32
	scratch_load_b128 v[59:62], off, off offset:48
	;; [unrolled: 1-line block ×4, first 2 shown]
	scratch_load_b64 v[71:72], off, off offset:96
	v_mov_b32_e32 v54, 0
	ds_load_2addr_b32 v[73:74], v54 offset0:37 offset1:38
	ds_load_2addr_b32 v[75:76], v54 offset0:39 offset1:40
	;; [unrolled: 1-line block ×4, first 2 shown]
	s_mov_b32 s0, exec_lo
	s_waitcnt vmcnt(4) lgkmcnt(3)
	v_fma_f32 v73, v56, v73, 0
	s_delay_alu instid0(VALU_DEP_1) | instskip(SKIP_4) | instid1(VALU_DEP_1)
	v_fmac_f32_e32 v73, v57, v74
	ds_load_2addr_b32 v[56:57], v54 offset0:45 offset1:46
	s_waitcnt lgkmcnt(3)
	v_fmac_f32_e32 v73, v58, v75
	s_waitcnt vmcnt(3)
	v_fmac_f32_e32 v73, v59, v76
	ds_load_2addr_b32 v[58:59], v54 offset0:47 offset1:48
	s_waitcnt lgkmcnt(3)
	v_fmac_f32_e32 v73, v60, v77
	s_delay_alu instid0(VALU_DEP_1) | instskip(SKIP_1) | instid1(VALU_DEP_1)
	v_fmac_f32_e32 v73, v61, v78
	s_waitcnt lgkmcnt(2)
	v_fmac_f32_e32 v73, v62, v79
	s_waitcnt vmcnt(2)
	s_delay_alu instid0(VALU_DEP_1)
	v_fmac_f32_e32 v73, v63, v80
	ds_load_2addr_b32 v[60:61], v54 offset0:49 offset1:50
	ds_load_2addr_b32 v[62:63], v54 offset0:51 offset1:52
	s_waitcnt lgkmcnt(3)
	v_fmac_f32_e32 v73, v64, v56
	ds_load_b32 v56, v54 offset:212
	v_fmac_f32_e32 v73, v65, v57
	s_waitcnt lgkmcnt(3)
	s_delay_alu instid0(VALU_DEP_1) | instskip(SKIP_1) | instid1(VALU_DEP_1)
	v_fmac_f32_e32 v73, v66, v58
	s_waitcnt vmcnt(1)
	v_fmac_f32_e32 v73, v67, v59
	s_waitcnt lgkmcnt(2)
	s_delay_alu instid0(VALU_DEP_1) | instskip(NEXT) | instid1(VALU_DEP_1)
	v_fmac_f32_e32 v73, v68, v60
	v_fmac_f32_e32 v73, v69, v61
	s_waitcnt lgkmcnt(1)
	s_delay_alu instid0(VALU_DEP_1) | instskip(SKIP_1) | instid1(VALU_DEP_1)
	v_fmac_f32_e32 v73, v70, v62
	s_waitcnt vmcnt(0)
	v_fmac_f32_e32 v73, v71, v63
	s_waitcnt lgkmcnt(0)
	s_delay_alu instid0(VALU_DEP_1) | instskip(NEXT) | instid1(VALU_DEP_1)
	v_fmac_f32_e32 v73, v72, v56
	v_sub_f32_e32 v55, v55, v73
	scratch_store_b32 off, v55, off offset:32
	v_cmpx_lt_u32_e32 7, v0
	s_cbranch_execz .LBB25_149
; %bb.148:
	scratch_load_b32 v55, off, off offset:28
	scratch_store_b32 off, v54, off offset:28
	s_waitcnt vmcnt(0)
	ds_store_b32 v53, v55
.LBB25_149:
	s_or_b32 exec_lo, exec_lo, s0
	s_waitcnt lgkmcnt(0)
	s_waitcnt_vscnt null, 0x0
	s_barrier
	buffer_gl0_inv
	s_clause 0x4
	scratch_load_b128 v[55:58], off, off offset:28
	scratch_load_b128 v[59:62], off, off offset:44
	;; [unrolled: 1-line block ×4, first 2 shown]
	scratch_load_b96 v[79:81], off, off offset:92
	ds_load_b128 v[71:74], v54 offset:144
	ds_load_b128 v[75:78], v54 offset:160
	s_mov_b32 s0, exec_lo
	s_waitcnt vmcnt(4) lgkmcnt(1)
	v_fma_f32 v71, v56, v71, 0
	s_delay_alu instid0(VALU_DEP_1) | instskip(NEXT) | instid1(VALU_DEP_1)
	v_fmac_f32_e32 v71, v57, v72
	v_fmac_f32_e32 v71, v58, v73
	s_waitcnt vmcnt(3)
	s_delay_alu instid0(VALU_DEP_1) | instskip(SKIP_3) | instid1(VALU_DEP_1)
	v_fmac_f32_e32 v71, v59, v74
	ds_load_b128 v[56:59], v54 offset:176
	s_waitcnt lgkmcnt(1)
	v_fmac_f32_e32 v71, v60, v75
	v_fmac_f32_e32 v71, v61, v76
	s_delay_alu instid0(VALU_DEP_1) | instskip(SKIP_1) | instid1(VALU_DEP_1)
	v_fmac_f32_e32 v71, v62, v77
	s_waitcnt vmcnt(2)
	v_fmac_f32_e32 v71, v63, v78
	ds_load_b128 v[60:63], v54 offset:192
	s_waitcnt lgkmcnt(1)
	v_fmac_f32_e32 v71, v64, v56
	s_delay_alu instid0(VALU_DEP_1) | instskip(SKIP_3) | instid1(VALU_DEP_1)
	v_fmac_f32_e32 v71, v65, v57
	ds_load_b64 v[56:57], v54 offset:208
	v_fmac_f32_e32 v71, v66, v58
	s_waitcnt vmcnt(1)
	v_fmac_f32_e32 v71, v67, v59
	s_waitcnt lgkmcnt(1)
	s_delay_alu instid0(VALU_DEP_1) | instskip(NEXT) | instid1(VALU_DEP_1)
	v_fmac_f32_e32 v71, v68, v60
	v_fmac_f32_e32 v71, v69, v61
	s_delay_alu instid0(VALU_DEP_1) | instskip(SKIP_1) | instid1(VALU_DEP_1)
	v_fmac_f32_e32 v71, v70, v62
	s_waitcnt vmcnt(0)
	v_fmac_f32_e32 v71, v79, v63
	s_waitcnt lgkmcnt(0)
	s_delay_alu instid0(VALU_DEP_1) | instskip(NEXT) | instid1(VALU_DEP_1)
	v_fmac_f32_e32 v71, v80, v56
	v_fmac_f32_e32 v71, v81, v57
	s_delay_alu instid0(VALU_DEP_1)
	v_sub_f32_e32 v54, v55, v71
	scratch_store_b32 off, v54, off offset:28
	v_cmpx_lt_u32_e32 6, v0
	s_cbranch_execz .LBB25_151
; %bb.150:
	scratch_load_b32 v54, off, off offset:24
	v_mov_b32_e32 v55, 0
	scratch_store_b32 off, v55, off offset:24
	s_waitcnt vmcnt(0)
	ds_store_b32 v53, v54
.LBB25_151:
	s_or_b32 exec_lo, exec_lo, s0
	s_waitcnt lgkmcnt(0)
	s_waitcnt_vscnt null, 0x0
	s_barrier
	buffer_gl0_inv
	s_clause 0x4
	scratch_load_b128 v[55:58], off, off offset:24
	scratch_load_b128 v[59:62], off, off offset:40
	;; [unrolled: 1-line block ×5, first 2 shown]
	v_mov_b32_e32 v54, 0
	ds_load_2addr_b32 v[75:76], v54 offset0:35 offset1:36
	ds_load_2addr_b32 v[77:78], v54 offset0:37 offset1:38
	;; [unrolled: 1-line block ×4, first 2 shown]
	s_mov_b32 s0, exec_lo
	s_waitcnt vmcnt(4) lgkmcnt(3)
	v_fma_f32 v75, v56, v75, 0
	s_delay_alu instid0(VALU_DEP_1) | instskip(SKIP_4) | instid1(VALU_DEP_1)
	v_fmac_f32_e32 v75, v57, v76
	ds_load_2addr_b32 v[56:57], v54 offset0:43 offset1:44
	s_waitcnt lgkmcnt(3)
	v_fmac_f32_e32 v75, v58, v77
	s_waitcnt vmcnt(3)
	v_fmac_f32_e32 v75, v59, v78
	ds_load_2addr_b32 v[58:59], v54 offset0:45 offset1:46
	s_waitcnt lgkmcnt(3)
	v_fmac_f32_e32 v75, v60, v79
	s_delay_alu instid0(VALU_DEP_1) | instskip(SKIP_1) | instid1(VALU_DEP_1)
	v_fmac_f32_e32 v75, v61, v80
	s_waitcnt lgkmcnt(2)
	v_fmac_f32_e32 v75, v62, v81
	s_waitcnt vmcnt(2)
	s_delay_alu instid0(VALU_DEP_1) | instskip(SKIP_4) | instid1(VALU_DEP_1)
	v_fmac_f32_e32 v75, v63, v82
	ds_load_2addr_b32 v[60:61], v54 offset0:47 offset1:48
	ds_load_2addr_b32 v[62:63], v54 offset0:49 offset1:50
	s_waitcnt lgkmcnt(3)
	v_fmac_f32_e32 v75, v64, v56
	v_fmac_f32_e32 v75, v65, v57
	ds_load_2addr_b32 v[56:57], v54 offset0:51 offset1:52
	s_waitcnt lgkmcnt(3)
	v_fmac_f32_e32 v75, v66, v58
	ds_load_b32 v58, v54 offset:212
	s_waitcnt vmcnt(1)
	v_fmac_f32_e32 v75, v67, v59
	s_waitcnt lgkmcnt(3)
	s_delay_alu instid0(VALU_DEP_1) | instskip(NEXT) | instid1(VALU_DEP_1)
	v_fmac_f32_e32 v75, v68, v60
	v_fmac_f32_e32 v75, v69, v61
	s_waitcnt lgkmcnt(2)
	s_delay_alu instid0(VALU_DEP_1) | instskip(SKIP_1) | instid1(VALU_DEP_1)
	v_fmac_f32_e32 v75, v70, v62
	s_waitcnt vmcnt(0)
	v_fmac_f32_e32 v75, v71, v63
	s_waitcnt lgkmcnt(1)
	s_delay_alu instid0(VALU_DEP_1) | instskip(NEXT) | instid1(VALU_DEP_1)
	v_fmac_f32_e32 v75, v72, v56
	v_fmac_f32_e32 v75, v73, v57
	s_waitcnt lgkmcnt(0)
	s_delay_alu instid0(VALU_DEP_1) | instskip(NEXT) | instid1(VALU_DEP_1)
	v_fmac_f32_e32 v75, v74, v58
	v_sub_f32_e32 v55, v55, v75
	scratch_store_b32 off, v55, off offset:24
	v_cmpx_lt_u32_e32 5, v0
	s_cbranch_execz .LBB25_153
; %bb.152:
	scratch_load_b32 v55, off, off offset:20
	scratch_store_b32 off, v54, off offset:20
	s_waitcnt vmcnt(0)
	ds_store_b32 v53, v55
.LBB25_153:
	s_or_b32 exec_lo, exec_lo, s0
	s_waitcnt lgkmcnt(0)
	s_waitcnt_vscnt null, 0x0
	s_barrier
	buffer_gl0_inv
	s_clause 0x5
	scratch_load_b128 v[55:58], off, off offset:20
	scratch_load_b128 v[59:62], off, off offset:36
	;; [unrolled: 1-line block ×5, first 2 shown]
	scratch_load_b32 v83, off, off offset:100
	ds_load_2addr_b64 v[75:78], v54 offset0:17 offset1:18
	ds_load_2addr_b64 v[79:82], v54 offset0:19 offset1:20
	s_mov_b32 s0, exec_lo
	s_waitcnt vmcnt(5) lgkmcnt(1)
	v_fma_f32 v75, v56, v75, 0
	s_delay_alu instid0(VALU_DEP_1) | instskip(NEXT) | instid1(VALU_DEP_1)
	v_fmac_f32_e32 v75, v57, v76
	v_fmac_f32_e32 v75, v58, v77
	s_waitcnt vmcnt(4)
	s_delay_alu instid0(VALU_DEP_1) | instskip(SKIP_3) | instid1(VALU_DEP_1)
	v_fmac_f32_e32 v75, v59, v78
	ds_load_2addr_b64 v[56:59], v54 offset0:21 offset1:22
	s_waitcnt lgkmcnt(1)
	v_fmac_f32_e32 v75, v60, v79
	v_fmac_f32_e32 v75, v61, v80
	s_delay_alu instid0(VALU_DEP_1) | instskip(SKIP_1) | instid1(VALU_DEP_1)
	v_fmac_f32_e32 v75, v62, v81
	s_waitcnt vmcnt(3)
	v_fmac_f32_e32 v75, v63, v82
	ds_load_2addr_b64 v[60:63], v54 offset0:23 offset1:24
	s_waitcnt lgkmcnt(1)
	v_fmac_f32_e32 v75, v64, v56
	s_delay_alu instid0(VALU_DEP_1) | instskip(NEXT) | instid1(VALU_DEP_1)
	v_fmac_f32_e32 v75, v65, v57
	v_fmac_f32_e32 v75, v66, v58
	s_waitcnt vmcnt(2)
	s_delay_alu instid0(VALU_DEP_1) | instskip(SKIP_3) | instid1(VALU_DEP_1)
	v_fmac_f32_e32 v75, v67, v59
	ds_load_2addr_b64 v[56:59], v54 offset0:25 offset1:26
	s_waitcnt lgkmcnt(1)
	v_fmac_f32_e32 v75, v68, v60
	v_fmac_f32_e32 v75, v69, v61
	s_delay_alu instid0(VALU_DEP_1) | instskip(SKIP_1) | instid1(VALU_DEP_1)
	v_fmac_f32_e32 v75, v70, v62
	s_waitcnt vmcnt(1)
	v_fmac_f32_e32 v75, v71, v63
	s_waitcnt lgkmcnt(0)
	s_delay_alu instid0(VALU_DEP_1) | instskip(NEXT) | instid1(VALU_DEP_1)
	v_fmac_f32_e32 v75, v72, v56
	v_fmac_f32_e32 v75, v73, v57
	s_delay_alu instid0(VALU_DEP_1) | instskip(SKIP_1) | instid1(VALU_DEP_1)
	v_fmac_f32_e32 v75, v74, v58
	s_waitcnt vmcnt(0)
	v_fmac_f32_e32 v75, v83, v59
	s_delay_alu instid0(VALU_DEP_1)
	v_sub_f32_e32 v54, v55, v75
	scratch_store_b32 off, v54, off offset:20
	v_cmpx_lt_u32_e32 4, v0
	s_cbranch_execz .LBB25_155
; %bb.154:
	scratch_load_b32 v54, off, off offset:16
	v_mov_b32_e32 v55, 0
	scratch_store_b32 off, v55, off offset:16
	s_waitcnt vmcnt(0)
	ds_store_b32 v53, v54
.LBB25_155:
	s_or_b32 exec_lo, exec_lo, s0
	s_waitcnt lgkmcnt(0)
	s_waitcnt_vscnt null, 0x0
	s_barrier
	buffer_gl0_inv
	s_clause 0x5
	scratch_load_b128 v[55:58], off, off offset:16
	scratch_load_b128 v[59:62], off, off offset:32
	;; [unrolled: 1-line block ×5, first 2 shown]
	scratch_load_b64 v[75:76], off, off offset:96
	v_mov_b32_e32 v54, 0
	ds_load_2addr_b32 v[77:78], v54 offset0:33 offset1:34
	ds_load_2addr_b32 v[79:80], v54 offset0:35 offset1:36
	;; [unrolled: 1-line block ×4, first 2 shown]
	s_mov_b32 s0, exec_lo
	s_waitcnt vmcnt(5) lgkmcnt(3)
	v_fma_f32 v77, v56, v77, 0
	s_delay_alu instid0(VALU_DEP_1) | instskip(SKIP_4) | instid1(VALU_DEP_1)
	v_fmac_f32_e32 v77, v57, v78
	ds_load_2addr_b32 v[56:57], v54 offset0:41 offset1:42
	s_waitcnt lgkmcnt(3)
	v_fmac_f32_e32 v77, v58, v79
	s_waitcnt vmcnt(4)
	v_fmac_f32_e32 v77, v59, v80
	ds_load_2addr_b32 v[58:59], v54 offset0:43 offset1:44
	s_waitcnt lgkmcnt(3)
	v_fmac_f32_e32 v77, v60, v81
	s_delay_alu instid0(VALU_DEP_1) | instskip(SKIP_1) | instid1(VALU_DEP_1)
	v_fmac_f32_e32 v77, v61, v82
	s_waitcnt lgkmcnt(2)
	v_fmac_f32_e32 v77, v62, v83
	s_waitcnt vmcnt(3)
	s_delay_alu instid0(VALU_DEP_1) | instskip(SKIP_4) | instid1(VALU_DEP_1)
	v_fmac_f32_e32 v77, v63, v84
	ds_load_2addr_b32 v[60:61], v54 offset0:45 offset1:46
	ds_load_2addr_b32 v[62:63], v54 offset0:47 offset1:48
	s_waitcnt lgkmcnt(3)
	v_fmac_f32_e32 v77, v64, v56
	v_fmac_f32_e32 v77, v65, v57
	ds_load_2addr_b32 v[56:57], v54 offset0:49 offset1:50
	s_waitcnt lgkmcnt(3)
	v_fmac_f32_e32 v77, v66, v58
	s_waitcnt vmcnt(2)
	s_delay_alu instid0(VALU_DEP_1)
	v_fmac_f32_e32 v77, v67, v59
	ds_load_2addr_b32 v[58:59], v54 offset0:51 offset1:52
	s_waitcnt lgkmcnt(3)
	v_fmac_f32_e32 v77, v68, v60
	ds_load_b32 v60, v54 offset:212
	v_fmac_f32_e32 v77, v69, v61
	s_waitcnt lgkmcnt(3)
	s_delay_alu instid0(VALU_DEP_1) | instskip(SKIP_1) | instid1(VALU_DEP_1)
	v_fmac_f32_e32 v77, v70, v62
	s_waitcnt vmcnt(1)
	v_fmac_f32_e32 v77, v71, v63
	s_waitcnt lgkmcnt(2)
	s_delay_alu instid0(VALU_DEP_1) | instskip(NEXT) | instid1(VALU_DEP_1)
	v_fmac_f32_e32 v77, v72, v56
	v_fmac_f32_e32 v77, v73, v57
	s_waitcnt lgkmcnt(1)
	s_delay_alu instid0(VALU_DEP_1) | instskip(SKIP_1) | instid1(VALU_DEP_1)
	v_fmac_f32_e32 v77, v74, v58
	s_waitcnt vmcnt(0)
	v_fmac_f32_e32 v77, v75, v59
	s_waitcnt lgkmcnt(0)
	s_delay_alu instid0(VALU_DEP_1) | instskip(NEXT) | instid1(VALU_DEP_1)
	v_fmac_f32_e32 v77, v76, v60
	v_sub_f32_e32 v55, v55, v77
	scratch_store_b32 off, v55, off offset:16
	v_cmpx_lt_u32_e32 3, v0
	s_cbranch_execz .LBB25_157
; %bb.156:
	scratch_load_b32 v55, off, off offset:12
	scratch_store_b32 off, v54, off offset:12
	s_waitcnt vmcnt(0)
	ds_store_b32 v53, v55
.LBB25_157:
	s_or_b32 exec_lo, exec_lo, s0
	s_waitcnt lgkmcnt(0)
	s_waitcnt_vscnt null, 0x0
	s_barrier
	buffer_gl0_inv
	s_clause 0x5
	scratch_load_b128 v[55:58], off, off offset:12
	scratch_load_b128 v[59:62], off, off offset:28
	;; [unrolled: 1-line block ×5, first 2 shown]
	scratch_load_b96 v[83:85], off, off offset:92
	ds_load_b128 v[75:78], v54 offset:128
	ds_load_b128 v[79:82], v54 offset:144
	s_mov_b32 s0, exec_lo
	s_waitcnt vmcnt(5) lgkmcnt(1)
	v_fma_f32 v75, v56, v75, 0
	s_delay_alu instid0(VALU_DEP_1) | instskip(NEXT) | instid1(VALU_DEP_1)
	v_fmac_f32_e32 v75, v57, v76
	v_fmac_f32_e32 v75, v58, v77
	s_waitcnt vmcnt(4)
	s_delay_alu instid0(VALU_DEP_1) | instskip(SKIP_3) | instid1(VALU_DEP_1)
	v_fmac_f32_e32 v75, v59, v78
	ds_load_b128 v[56:59], v54 offset:160
	s_waitcnt lgkmcnt(1)
	v_fmac_f32_e32 v75, v60, v79
	v_fmac_f32_e32 v75, v61, v80
	s_delay_alu instid0(VALU_DEP_1) | instskip(SKIP_1) | instid1(VALU_DEP_1)
	v_fmac_f32_e32 v75, v62, v81
	s_waitcnt vmcnt(3)
	v_fmac_f32_e32 v75, v63, v82
	ds_load_b128 v[60:63], v54 offset:176
	s_waitcnt lgkmcnt(1)
	v_fmac_f32_e32 v75, v64, v56
	s_delay_alu instid0(VALU_DEP_1) | instskip(NEXT) | instid1(VALU_DEP_1)
	v_fmac_f32_e32 v75, v65, v57
	v_fmac_f32_e32 v75, v66, v58
	s_waitcnt vmcnt(2)
	s_delay_alu instid0(VALU_DEP_1) | instskip(SKIP_3) | instid1(VALU_DEP_1)
	v_fmac_f32_e32 v75, v67, v59
	ds_load_b128 v[56:59], v54 offset:192
	s_waitcnt lgkmcnt(1)
	v_fmac_f32_e32 v75, v68, v60
	v_fmac_f32_e32 v75, v69, v61
	ds_load_b64 v[60:61], v54 offset:208
	v_fmac_f32_e32 v75, v70, v62
	s_waitcnt vmcnt(1)
	s_delay_alu instid0(VALU_DEP_1) | instskip(SKIP_1) | instid1(VALU_DEP_1)
	v_fmac_f32_e32 v75, v71, v63
	s_waitcnt lgkmcnt(1)
	v_fmac_f32_e32 v75, v72, v56
	s_delay_alu instid0(VALU_DEP_1) | instskip(NEXT) | instid1(VALU_DEP_1)
	v_fmac_f32_e32 v75, v73, v57
	v_fmac_f32_e32 v75, v74, v58
	s_waitcnt vmcnt(0)
	s_delay_alu instid0(VALU_DEP_1) | instskip(SKIP_1) | instid1(VALU_DEP_1)
	v_fmac_f32_e32 v75, v83, v59
	s_waitcnt lgkmcnt(0)
	v_fmac_f32_e32 v75, v84, v60
	s_delay_alu instid0(VALU_DEP_1) | instskip(NEXT) | instid1(VALU_DEP_1)
	v_fmac_f32_e32 v75, v85, v61
	v_sub_f32_e32 v54, v55, v75
	scratch_store_b32 off, v54, off offset:12
	v_cmpx_lt_u32_e32 2, v0
	s_cbranch_execz .LBB25_159
; %bb.158:
	scratch_load_b32 v54, off, off offset:8
	v_mov_b32_e32 v55, 0
	scratch_store_b32 off, v55, off offset:8
	s_waitcnt vmcnt(0)
	ds_store_b32 v53, v54
.LBB25_159:
	s_or_b32 exec_lo, exec_lo, s0
	s_waitcnt lgkmcnt(0)
	s_waitcnt_vscnt null, 0x0
	s_barrier
	buffer_gl0_inv
	s_clause 0x5
	scratch_load_b128 v[55:58], off, off offset:8
	scratch_load_b128 v[59:62], off, off offset:24
	;; [unrolled: 1-line block ×6, first 2 shown]
	v_mov_b32_e32 v54, 0
	ds_load_2addr_b32 v[79:80], v54 offset0:31 offset1:32
	ds_load_2addr_b32 v[81:82], v54 offset0:33 offset1:34
	;; [unrolled: 1-line block ×4, first 2 shown]
	s_mov_b32 s0, exec_lo
	s_waitcnt vmcnt(5) lgkmcnt(3)
	v_fma_f32 v79, v56, v79, 0
	s_delay_alu instid0(VALU_DEP_1) | instskip(SKIP_4) | instid1(VALU_DEP_1)
	v_fmac_f32_e32 v79, v57, v80
	ds_load_2addr_b32 v[56:57], v54 offset0:39 offset1:40
	s_waitcnt lgkmcnt(3)
	v_fmac_f32_e32 v79, v58, v81
	s_waitcnt vmcnt(4)
	v_fmac_f32_e32 v79, v59, v82
	ds_load_2addr_b32 v[58:59], v54 offset0:41 offset1:42
	s_waitcnt lgkmcnt(3)
	v_fmac_f32_e32 v79, v60, v83
	s_delay_alu instid0(VALU_DEP_1) | instskip(SKIP_1) | instid1(VALU_DEP_1)
	v_fmac_f32_e32 v79, v61, v84
	s_waitcnt lgkmcnt(2)
	v_fmac_f32_e32 v79, v62, v85
	s_waitcnt vmcnt(3)
	s_delay_alu instid0(VALU_DEP_1) | instskip(SKIP_4) | instid1(VALU_DEP_1)
	v_fmac_f32_e32 v79, v63, v86
	ds_load_2addr_b32 v[60:61], v54 offset0:43 offset1:44
	ds_load_2addr_b32 v[62:63], v54 offset0:45 offset1:46
	s_waitcnt lgkmcnt(3)
	v_fmac_f32_e32 v79, v64, v56
	v_fmac_f32_e32 v79, v65, v57
	ds_load_2addr_b32 v[56:57], v54 offset0:47 offset1:48
	s_waitcnt lgkmcnt(3)
	v_fmac_f32_e32 v79, v66, v58
	s_waitcnt vmcnt(2)
	s_delay_alu instid0(VALU_DEP_1) | instskip(SKIP_3) | instid1(VALU_DEP_1)
	v_fmac_f32_e32 v79, v67, v59
	ds_load_2addr_b32 v[58:59], v54 offset0:49 offset1:50
	s_waitcnt lgkmcnt(3)
	v_fmac_f32_e32 v79, v68, v60
	v_fmac_f32_e32 v79, v69, v61
	s_waitcnt lgkmcnt(2)
	s_delay_alu instid0(VALU_DEP_1)
	v_fmac_f32_e32 v79, v70, v62
	ds_load_2addr_b32 v[60:61], v54 offset0:51 offset1:52
	ds_load_b32 v62, v54 offset:212
	s_waitcnt vmcnt(1)
	v_fmac_f32_e32 v79, v71, v63
	s_waitcnt lgkmcnt(3)
	s_delay_alu instid0(VALU_DEP_1) | instskip(NEXT) | instid1(VALU_DEP_1)
	v_fmac_f32_e32 v79, v72, v56
	v_fmac_f32_e32 v79, v73, v57
	s_waitcnt lgkmcnt(2)
	s_delay_alu instid0(VALU_DEP_1) | instskip(SKIP_1) | instid1(VALU_DEP_1)
	v_fmac_f32_e32 v79, v74, v58
	s_waitcnt vmcnt(0)
	v_fmac_f32_e32 v79, v75, v59
	s_waitcnt lgkmcnt(1)
	s_delay_alu instid0(VALU_DEP_1) | instskip(NEXT) | instid1(VALU_DEP_1)
	v_fmac_f32_e32 v79, v76, v60
	v_fmac_f32_e32 v79, v77, v61
	s_waitcnt lgkmcnt(0)
	s_delay_alu instid0(VALU_DEP_1) | instskip(NEXT) | instid1(VALU_DEP_1)
	v_fmac_f32_e32 v79, v78, v62
	v_sub_f32_e32 v55, v55, v79
	scratch_store_b32 off, v55, off offset:8
	v_cmpx_lt_u32_e32 1, v0
	s_cbranch_execz .LBB25_161
; %bb.160:
	scratch_load_b32 v55, off, off offset:4
	scratch_store_b32 off, v54, off offset:4
	s_waitcnt vmcnt(0)
	ds_store_b32 v53, v55
.LBB25_161:
	s_or_b32 exec_lo, exec_lo, s0
	s_waitcnt lgkmcnt(0)
	s_waitcnt_vscnt null, 0x0
	s_barrier
	buffer_gl0_inv
	s_clause 0x6
	scratch_load_b128 v[55:58], off, off offset:4
	scratch_load_b128 v[59:62], off, off offset:20
	;; [unrolled: 1-line block ×6, first 2 shown]
	scratch_load_b32 v87, off, off offset:100
	ds_load_2addr_b64 v[79:82], v54 offset0:15 offset1:16
	ds_load_2addr_b64 v[83:86], v54 offset0:17 offset1:18
	s_mov_b32 s0, exec_lo
	s_waitcnt vmcnt(6) lgkmcnt(1)
	v_fma_f32 v79, v56, v79, 0
	s_delay_alu instid0(VALU_DEP_1) | instskip(NEXT) | instid1(VALU_DEP_1)
	v_fmac_f32_e32 v79, v57, v80
	v_fmac_f32_e32 v79, v58, v81
	s_waitcnt vmcnt(5)
	s_delay_alu instid0(VALU_DEP_1) | instskip(SKIP_3) | instid1(VALU_DEP_1)
	v_fmac_f32_e32 v79, v59, v82
	ds_load_2addr_b64 v[56:59], v54 offset0:19 offset1:20
	s_waitcnt lgkmcnt(1)
	v_fmac_f32_e32 v79, v60, v83
	v_fmac_f32_e32 v79, v61, v84
	s_delay_alu instid0(VALU_DEP_1) | instskip(SKIP_1) | instid1(VALU_DEP_1)
	v_fmac_f32_e32 v79, v62, v85
	s_waitcnt vmcnt(4)
	v_fmac_f32_e32 v79, v63, v86
	ds_load_2addr_b64 v[60:63], v54 offset0:21 offset1:22
	s_waitcnt lgkmcnt(1)
	v_fmac_f32_e32 v79, v64, v56
	s_delay_alu instid0(VALU_DEP_1) | instskip(NEXT) | instid1(VALU_DEP_1)
	v_fmac_f32_e32 v79, v65, v57
	v_fmac_f32_e32 v79, v66, v58
	s_waitcnt vmcnt(3)
	s_delay_alu instid0(VALU_DEP_1) | instskip(SKIP_3) | instid1(VALU_DEP_1)
	v_fmac_f32_e32 v79, v67, v59
	ds_load_2addr_b64 v[56:59], v54 offset0:23 offset1:24
	s_waitcnt lgkmcnt(1)
	v_fmac_f32_e32 v79, v68, v60
	v_fmac_f32_e32 v79, v69, v61
	s_delay_alu instid0(VALU_DEP_1) | instskip(SKIP_1) | instid1(VALU_DEP_1)
	v_fmac_f32_e32 v79, v70, v62
	s_waitcnt vmcnt(2)
	v_fmac_f32_e32 v79, v71, v63
	ds_load_2addr_b64 v[60:63], v54 offset0:25 offset1:26
	s_waitcnt lgkmcnt(1)
	v_fmac_f32_e32 v79, v72, v56
	s_delay_alu instid0(VALU_DEP_1) | instskip(NEXT) | instid1(VALU_DEP_1)
	v_fmac_f32_e32 v79, v73, v57
	v_fmac_f32_e32 v79, v74, v58
	s_waitcnt vmcnt(1)
	s_delay_alu instid0(VALU_DEP_1) | instskip(SKIP_1) | instid1(VALU_DEP_1)
	v_fmac_f32_e32 v79, v75, v59
	s_waitcnt lgkmcnt(0)
	v_fmac_f32_e32 v79, v76, v60
	s_delay_alu instid0(VALU_DEP_1) | instskip(NEXT) | instid1(VALU_DEP_1)
	v_fmac_f32_e32 v79, v77, v61
	v_fmac_f32_e32 v79, v78, v62
	s_waitcnt vmcnt(0)
	s_delay_alu instid0(VALU_DEP_1) | instskip(NEXT) | instid1(VALU_DEP_1)
	v_fmac_f32_e32 v79, v87, v63
	v_sub_f32_e32 v54, v55, v79
	scratch_store_b32 off, v54, off offset:4
	v_cmpx_ne_u32_e32 0, v0
	s_cbranch_execz .LBB25_163
; %bb.162:
	scratch_load_b32 v0, off, off
	v_mov_b32_e32 v54, 0
	scratch_store_b32 off, v54, off
	s_waitcnt vmcnt(0)
	ds_store_b32 v53, v0
.LBB25_163:
	s_or_b32 exec_lo, exec_lo, s0
	s_waitcnt lgkmcnt(0)
	s_waitcnt_vscnt null, 0x0
	s_barrier
	buffer_gl0_inv
	s_clause 0x6
	scratch_load_b128 v[55:58], off, off
	scratch_load_b128 v[59:62], off, off offset:16
	scratch_load_b128 v[63:66], off, off offset:32
	;; [unrolled: 1-line block ×5, first 2 shown]
	scratch_load_b64 v[53:54], off, off offset:96
	v_mov_b32_e32 v0, 0
	ds_load_2addr_b32 v[79:80], v0 offset0:29 offset1:30
	ds_load_2addr_b32 v[81:82], v0 offset0:31 offset1:32
	;; [unrolled: 1-line block ×4, first 2 shown]
	s_and_b32 vcc_lo, exec_lo, s16
	s_waitcnt vmcnt(6) lgkmcnt(3)
	v_fma_f32 v79, v56, v79, 0
	s_delay_alu instid0(VALU_DEP_1) | instskip(SKIP_4) | instid1(VALU_DEP_1)
	v_fmac_f32_e32 v79, v57, v80
	ds_load_2addr_b32 v[56:57], v0 offset0:37 offset1:38
	s_waitcnt lgkmcnt(3)
	v_fmac_f32_e32 v79, v58, v81
	s_waitcnt vmcnt(5)
	v_fmac_f32_e32 v79, v59, v82
	ds_load_2addr_b32 v[58:59], v0 offset0:39 offset1:40
	s_waitcnt lgkmcnt(3)
	v_fmac_f32_e32 v79, v60, v83
	s_delay_alu instid0(VALU_DEP_1) | instskip(SKIP_1) | instid1(VALU_DEP_1)
	v_fmac_f32_e32 v79, v61, v84
	s_waitcnt lgkmcnt(2)
	v_fmac_f32_e32 v79, v62, v85
	s_waitcnt vmcnt(4)
	s_delay_alu instid0(VALU_DEP_1) | instskip(SKIP_4) | instid1(VALU_DEP_1)
	v_fmac_f32_e32 v79, v63, v86
	ds_load_2addr_b32 v[60:61], v0 offset0:41 offset1:42
	ds_load_2addr_b32 v[62:63], v0 offset0:43 offset1:44
	s_waitcnt lgkmcnt(3)
	v_fmac_f32_e32 v79, v64, v56
	v_fmac_f32_e32 v79, v65, v57
	ds_load_2addr_b32 v[56:57], v0 offset0:45 offset1:46
	s_waitcnt lgkmcnt(3)
	v_fmac_f32_e32 v79, v66, v58
	s_waitcnt vmcnt(3)
	s_delay_alu instid0(VALU_DEP_1) | instskip(SKIP_3) | instid1(VALU_DEP_1)
	v_fmac_f32_e32 v79, v67, v59
	ds_load_2addr_b32 v[58:59], v0 offset0:47 offset1:48
	s_waitcnt lgkmcnt(3)
	v_fmac_f32_e32 v79, v68, v60
	v_fmac_f32_e32 v79, v69, v61
	s_waitcnt lgkmcnt(2)
	s_delay_alu instid0(VALU_DEP_1) | instskip(SKIP_1) | instid1(VALU_DEP_1)
	v_fmac_f32_e32 v79, v70, v62
	s_waitcnt vmcnt(2)
	v_fmac_f32_e32 v79, v71, v63
	ds_load_2addr_b32 v[60:61], v0 offset0:49 offset1:50
	ds_load_2addr_b32 v[62:63], v0 offset0:51 offset1:52
	ds_load_b32 v0, v0 offset:212
	s_waitcnt lgkmcnt(4)
	v_fmac_f32_e32 v79, v72, v56
	s_delay_alu instid0(VALU_DEP_1) | instskip(SKIP_1) | instid1(VALU_DEP_1)
	v_fmac_f32_e32 v79, v73, v57
	s_waitcnt lgkmcnt(3)
	v_fmac_f32_e32 v79, v74, v58
	s_waitcnt vmcnt(1)
	s_delay_alu instid0(VALU_DEP_1) | instskip(SKIP_1) | instid1(VALU_DEP_1)
	v_fmac_f32_e32 v79, v75, v59
	s_waitcnt lgkmcnt(2)
	v_fmac_f32_e32 v79, v76, v60
	s_delay_alu instid0(VALU_DEP_1) | instskip(SKIP_1) | instid1(VALU_DEP_1)
	v_fmac_f32_e32 v79, v77, v61
	s_waitcnt lgkmcnt(1)
	v_fmac_f32_e32 v79, v78, v62
	s_waitcnt vmcnt(0)
	s_delay_alu instid0(VALU_DEP_1) | instskip(SKIP_1) | instid1(VALU_DEP_1)
	v_fmac_f32_e32 v79, v53, v63
	s_waitcnt lgkmcnt(0)
	v_fmac_f32_e32 v79, v54, v0
	s_delay_alu instid0(VALU_DEP_1)
	v_sub_f32_e32 v0, v55, v79
	scratch_store_b32 off, v0, off
	s_cbranch_vccz .LBB25_215
; %bb.164:
	v_dual_mov_b32 v55, s13 :: v_dual_mov_b32 v54, s12
	s_mov_b32 s0, exec_lo
	flat_load_b32 v0, v[54:55] offset:96
	s_waitcnt vmcnt(0) lgkmcnt(0)
	v_cmpx_ne_u32_e32 25, v0
	s_cbranch_execz .LBB25_166
; %bb.165:
	v_lshl_add_u32 v0, v0, 2, 0
	scratch_load_b32 v54, v0, off offset:-4
	s_waitcnt vmcnt(0)
	scratch_store_b32 off, v54, off offset:96
	scratch_store_b32 v0, v53, off offset:-4
.LBB25_166:
	s_or_b32 exec_lo, exec_lo, s0
	v_dual_mov_b32 v54, s13 :: v_dual_mov_b32 v53, s12
	s_mov_b32 s0, exec_lo
	flat_load_b32 v0, v[53:54] offset:92
	s_waitcnt vmcnt(0) lgkmcnt(0)
	v_cmpx_ne_u32_e32 24, v0
	s_cbranch_execz .LBB25_168
; %bb.167:
	v_lshl_add_u32 v0, v0, 2, 0
	scratch_load_b32 v53, v0, off offset:-4
	scratch_load_b32 v54, off, off offset:92
	s_waitcnt vmcnt(1)
	scratch_store_b32 off, v53, off offset:92
	s_waitcnt vmcnt(0)
	scratch_store_b32 v0, v54, off offset:-4
.LBB25_168:
	s_or_b32 exec_lo, exec_lo, s0
	v_dual_mov_b32 v54, s13 :: v_dual_mov_b32 v53, s12
	s_mov_b32 s0, exec_lo
	flat_load_b32 v0, v[53:54] offset:88
	s_waitcnt vmcnt(0) lgkmcnt(0)
	v_cmpx_ne_u32_e32 23, v0
	s_cbranch_execz .LBB25_170
; %bb.169:
	v_lshl_add_u32 v0, v0, 2, 0
	scratch_load_b32 v53, v0, off offset:-4
	scratch_load_b32 v54, off, off offset:88
	s_waitcnt vmcnt(1)
	scratch_store_b32 off, v53, off offset:88
	s_waitcnt vmcnt(0)
	scratch_store_b32 v0, v54, off offset:-4
.LBB25_170:
	;; [unrolled: 16-line block ×23, first 2 shown]
	s_or_b32 exec_lo, exec_lo, s0
	v_dual_mov_b32 v54, s13 :: v_dual_mov_b32 v53, s12
	s_mov_b32 s0, exec_lo
	flat_load_b32 v53, v[53:54]
	scratch_load_b32 v0, off, off
	s_waitcnt vmcnt(1) lgkmcnt(0)
	v_cmpx_ne_u32_e32 1, v53
	s_cbranch_execz .LBB25_214
; %bb.213:
	v_lshl_add_u32 v53, v53, 2, 0
	scratch_load_b32 v54, v53, off offset:-4
	s_waitcnt vmcnt(0)
	scratch_store_b32 off, v54, off
	scratch_store_b32 v53, v0, off offset:-4
	scratch_load_b32 v0, off, off
.LBB25_214:
	s_or_b32 exec_lo, exec_lo, s0
.LBB25_215:
	s_clause 0x6
	scratch_load_b128 v[53:56], off, off offset:4
	scratch_load_b128 v[57:60], off, off offset:20
	;; [unrolled: 1-line block ×6, first 2 shown]
	scratch_load_b32 v77, off, off offset:100
	s_waitcnt vmcnt(7)
	global_store_b32 v[1:2], v0, off
	s_waitcnt vmcnt(6)
	s_clause 0x3
	global_store_b32 v[3:4], v53, off
	global_store_b32 v[5:6], v54, off
	global_store_b32 v[7:8], v55, off
	global_store_b32 v[9:10], v56, off
	s_waitcnt vmcnt(5)
	s_clause 0x3
	global_store_b32 v[11:12], v57, off
	global_store_b32 v[13:14], v58, off
	global_store_b32 v[15:16], v59, off
	;; [unrolled: 6-line block ×6, first 2 shown]
	global_store_b32 v[49:50], v76, off
	s_waitcnt vmcnt(0)
	global_store_b32 v[51:52], v77, off
	s_endpgm
	.section	.rodata,"a",@progbits
	.p2align	6, 0x0
	.amdhsa_kernel _ZN9rocsolver6v33100L18getri_kernel_smallILi26EfPfEEvT1_iilPiilS4_bb
		.amdhsa_group_segment_fixed_size 216
		.amdhsa_private_segment_fixed_size 112
		.amdhsa_kernarg_size 60
		.amdhsa_user_sgpr_count 15
		.amdhsa_user_sgpr_dispatch_ptr 0
		.amdhsa_user_sgpr_queue_ptr 0
		.amdhsa_user_sgpr_kernarg_segment_ptr 1
		.amdhsa_user_sgpr_dispatch_id 0
		.amdhsa_user_sgpr_private_segment_size 0
		.amdhsa_wavefront_size32 1
		.amdhsa_uses_dynamic_stack 0
		.amdhsa_enable_private_segment 1
		.amdhsa_system_sgpr_workgroup_id_x 1
		.amdhsa_system_sgpr_workgroup_id_y 0
		.amdhsa_system_sgpr_workgroup_id_z 0
		.amdhsa_system_sgpr_workgroup_info 0
		.amdhsa_system_vgpr_workitem_id 0
		.amdhsa_next_free_vgpr 88
		.amdhsa_next_free_sgpr 18
		.amdhsa_reserve_vcc 1
		.amdhsa_float_round_mode_32 0
		.amdhsa_float_round_mode_16_64 0
		.amdhsa_float_denorm_mode_32 3
		.amdhsa_float_denorm_mode_16_64 3
		.amdhsa_dx10_clamp 1
		.amdhsa_ieee_mode 1
		.amdhsa_fp16_overflow 0
		.amdhsa_workgroup_processor_mode 1
		.amdhsa_memory_ordered 1
		.amdhsa_forward_progress 0
		.amdhsa_shared_vgpr_count 0
		.amdhsa_exception_fp_ieee_invalid_op 0
		.amdhsa_exception_fp_denorm_src 0
		.amdhsa_exception_fp_ieee_div_zero 0
		.amdhsa_exception_fp_ieee_overflow 0
		.amdhsa_exception_fp_ieee_underflow 0
		.amdhsa_exception_fp_ieee_inexact 0
		.amdhsa_exception_int_div_zero 0
	.end_amdhsa_kernel
	.section	.text._ZN9rocsolver6v33100L18getri_kernel_smallILi26EfPfEEvT1_iilPiilS4_bb,"axG",@progbits,_ZN9rocsolver6v33100L18getri_kernel_smallILi26EfPfEEvT1_iilPiilS4_bb,comdat
.Lfunc_end25:
	.size	_ZN9rocsolver6v33100L18getri_kernel_smallILi26EfPfEEvT1_iilPiilS4_bb, .Lfunc_end25-_ZN9rocsolver6v33100L18getri_kernel_smallILi26EfPfEEvT1_iilPiilS4_bb
                                        ; -- End function
	.section	.AMDGPU.csdata,"",@progbits
; Kernel info:
; codeLenInByte = 15328
; NumSgprs: 20
; NumVgprs: 88
; ScratchSize: 112
; MemoryBound: 0
; FloatMode: 240
; IeeeMode: 1
; LDSByteSize: 216 bytes/workgroup (compile time only)
; SGPRBlocks: 2
; VGPRBlocks: 10
; NumSGPRsForWavesPerEU: 20
; NumVGPRsForWavesPerEU: 88
; Occupancy: 16
; WaveLimiterHint : 1
; COMPUTE_PGM_RSRC2:SCRATCH_EN: 1
; COMPUTE_PGM_RSRC2:USER_SGPR: 15
; COMPUTE_PGM_RSRC2:TRAP_HANDLER: 0
; COMPUTE_PGM_RSRC2:TGID_X_EN: 1
; COMPUTE_PGM_RSRC2:TGID_Y_EN: 0
; COMPUTE_PGM_RSRC2:TGID_Z_EN: 0
; COMPUTE_PGM_RSRC2:TIDIG_COMP_CNT: 0
	.section	.text._ZN9rocsolver6v33100L18getri_kernel_smallILi27EfPfEEvT1_iilPiilS4_bb,"axG",@progbits,_ZN9rocsolver6v33100L18getri_kernel_smallILi27EfPfEEvT1_iilPiilS4_bb,comdat
	.globl	_ZN9rocsolver6v33100L18getri_kernel_smallILi27EfPfEEvT1_iilPiilS4_bb ; -- Begin function _ZN9rocsolver6v33100L18getri_kernel_smallILi27EfPfEEvT1_iilPiilS4_bb
	.p2align	8
	.type	_ZN9rocsolver6v33100L18getri_kernel_smallILi27EfPfEEvT1_iilPiilS4_bb,@function
_ZN9rocsolver6v33100L18getri_kernel_smallILi27EfPfEEvT1_iilPiilS4_bb: ; @_ZN9rocsolver6v33100L18getri_kernel_smallILi27EfPfEEvT1_iilPiilS4_bb
; %bb.0:
	s_mov_b32 s2, exec_lo
	v_cmpx_gt_u32_e32 27, v0
	s_cbranch_execz .LBB26_116
; %bb.1:
	s_clause 0x2
	s_load_b32 s17, s[0:1], 0x38
	s_load_b128 s[8:11], s[0:1], 0x10
	s_load_b128 s[4:7], s[0:1], 0x28
	s_mov_b32 s14, s15
                                        ; implicit-def: $sgpr12_sgpr13
	s_waitcnt lgkmcnt(0)
	s_bitcmp1_b32 s17, 8
	s_cselect_b32 s16, -1, 0
	s_bfe_u32 s2, s17, 0x10008
	s_ashr_i32 s15, s15, 31
	s_cmp_eq_u32 s2, 0
	s_cbranch_scc1 .LBB26_3
; %bb.2:
	s_load_b32 s2, s[0:1], 0x20
	s_mul_i32 s3, s14, s5
	s_mul_hi_u32 s5, s14, s4
	s_mul_i32 s12, s15, s4
	s_add_i32 s3, s5, s3
	s_mul_i32 s4, s14, s4
	s_add_i32 s5, s3, s12
	s_delay_alu instid0(SALU_CYCLE_1)
	s_lshl_b64 s[4:5], s[4:5], 2
	s_waitcnt lgkmcnt(0)
	s_ashr_i32 s3, s2, 31
	s_add_u32 s4, s10, s4
	s_addc_u32 s5, s11, s5
	s_lshl_b64 s[2:3], s[2:3], 2
	s_delay_alu instid0(SALU_CYCLE_1)
	s_add_u32 s12, s4, s2
	s_addc_u32 s13, s5, s3
.LBB26_3:
	s_load_b128 s[0:3], s[0:1], 0x0
	s_mul_i32 s4, s14, s9
	s_mul_hi_u32 s5, s14, s8
	s_mul_i32 s9, s15, s8
	s_add_i32 s5, s5, s4
	s_mul_i32 s4, s14, s8
	s_add_i32 s5, s5, s9
	v_lshlrev_b32_e32 v1, 2, v0
	s_lshl_b64 s[4:5], s[4:5], 2
	s_waitcnt lgkmcnt(0)
	v_add3_u32 v5, s3, s3, v0
	s_ashr_i32 s9, s2, 31
	s_mov_b32 s8, s2
	s_add_u32 s2, s0, s4
	s_addc_u32 s5, s1, s5
	v_add_nc_u32_e32 v7, s3, v5
	s_lshl_b64 s[0:1], s[8:9], 2
	v_ashrrev_i32_e32 v6, 31, v5
	s_add_u32 s0, s2, s0
	s_addc_u32 s1, s5, s1
	v_add_nc_u32_e32 v11, s3, v7
	v_add_co_u32 v3, s2, s0, v1
	v_ashrrev_i32_e32 v8, 31, v7
	s_mov_b32 s4, s3
	s_ashr_i32 s5, s3, 31
	v_add_co_ci_u32_e64 v4, null, s1, 0, s2
	v_lshlrev_b64 v[9:10], 2, v[5:6]
	s_lshl_b64 s[4:5], s[4:5], 2
	v_add_nc_u32_e32 v15, s3, v11
	v_add_co_u32 v5, vcc_lo, v3, s4
	v_lshlrev_b64 v[13:14], 2, v[7:8]
	v_add_co_ci_u32_e32 v6, vcc_lo, s5, v4, vcc_lo
	v_add_co_u32 v7, vcc_lo, s0, v9
	v_ashrrev_i32_e32 v16, 31, v15
	v_add_nc_u32_e32 v17, s3, v15
	v_add_co_ci_u32_e32 v8, vcc_lo, s1, v10, vcc_lo
	v_ashrrev_i32_e32 v12, 31, v11
	v_add_co_u32 v9, vcc_lo, s0, v13
	v_add_co_ci_u32_e32 v10, vcc_lo, s1, v14, vcc_lo
	v_lshlrev_b64 v[13:14], 2, v[15:16]
	v_add_nc_u32_e32 v15, s3, v17
	v_lshlrev_b64 v[11:12], 2, v[11:12]
	v_ashrrev_i32_e32 v18, 31, v17
	global_load_b32 v57, v1, s[0:1]
	s_bitcmp0_b32 s17, 0
	v_add_nc_u32_e32 v19, s3, v15
	v_ashrrev_i32_e32 v16, 31, v15
	v_add_co_u32 v11, vcc_lo, s0, v11
	v_lshlrev_b64 v[17:18], 2, v[17:18]
	s_delay_alu instid0(VALU_DEP_4)
	v_ashrrev_i32_e32 v20, 31, v19
	v_add_co_ci_u32_e32 v12, vcc_lo, s1, v12, vcc_lo
	v_add_co_u32 v13, vcc_lo, s0, v13
	v_lshlrev_b64 v[21:22], 2, v[15:16]
	v_add_nc_u32_e32 v25, s3, v19
	v_add_co_ci_u32_e32 v14, vcc_lo, s1, v14, vcc_lo
	v_add_co_u32 v15, vcc_lo, s0, v17
	v_lshlrev_b64 v[23:24], 2, v[19:20]
	v_add_co_ci_u32_e32 v16, vcc_lo, s1, v18, vcc_lo
	v_add_co_u32 v17, vcc_lo, s0, v21
	v_ashrrev_i32_e32 v26, 31, v25
	v_add_nc_u32_e32 v21, s3, v25
	v_add_co_ci_u32_e32 v18, vcc_lo, s1, v22, vcc_lo
	v_add_co_u32 v19, vcc_lo, s0, v23
	v_add_co_ci_u32_e32 v20, vcc_lo, s1, v24, vcc_lo
	v_lshlrev_b64 v[23:24], 2, v[25:26]
	v_add_nc_u32_e32 v25, s3, v21
	v_ashrrev_i32_e32 v22, 31, v21
	s_clause 0x7
	global_load_b32 v58, v[5:6], off
	global_load_b32 v59, v[7:8], off
	;; [unrolled: 1-line block ×8, first 2 shown]
	v_add_nc_u32_e32 v29, s3, v25
	v_lshlrev_b64 v[27:28], 2, v[21:22]
	v_add_co_u32 v21, vcc_lo, s0, v23
	v_add_co_ci_u32_e32 v22, vcc_lo, s1, v24, vcc_lo
	s_delay_alu instid0(VALU_DEP_4)
	v_ashrrev_i32_e32 v30, 31, v29
	v_add_nc_u32_e32 v31, s3, v29
	v_ashrrev_i32_e32 v26, 31, v25
	v_add_co_u32 v23, vcc_lo, s0, v27
	v_add_co_ci_u32_e32 v24, vcc_lo, s1, v28, vcc_lo
	v_lshlrev_b64 v[27:28], 2, v[29:30]
	v_add_nc_u32_e32 v29, s3, v31
	v_lshlrev_b64 v[25:26], 2, v[25:26]
	v_ashrrev_i32_e32 v32, 31, v31
	s_delay_alu instid0(VALU_DEP_3) | instskip(SKIP_1) | instid1(VALU_DEP_4)
	v_add_nc_u32_e32 v33, s3, v29
	v_ashrrev_i32_e32 v30, 31, v29
	v_add_co_u32 v25, vcc_lo, s0, v25
	s_delay_alu instid0(VALU_DEP_4) | instskip(NEXT) | instid1(VALU_DEP_4)
	v_lshlrev_b64 v[31:32], 2, v[31:32]
	v_add_nc_u32_e32 v37, s3, v33
	v_add_co_ci_u32_e32 v26, vcc_lo, s1, v26, vcc_lo
	v_add_co_u32 v27, vcc_lo, s0, v27
	v_lshlrev_b64 v[35:36], 2, v[29:30]
	v_add_co_ci_u32_e32 v28, vcc_lo, s1, v28, vcc_lo
	v_add_co_u32 v29, vcc_lo, s0, v31
	v_ashrrev_i32_e32 v38, 31, v37
	v_add_co_ci_u32_e32 v30, vcc_lo, s1, v32, vcc_lo
	v_add_co_u32 v31, vcc_lo, s0, v35
	v_add_co_ci_u32_e32 v32, vcc_lo, s1, v36, vcc_lo
	s_delay_alu instid0(VALU_DEP_4) | instskip(SKIP_2) | instid1(VALU_DEP_2)
	v_lshlrev_b64 v[35:36], 2, v[37:38]
	v_add_nc_u32_e32 v37, s3, v37
	v_ashrrev_i32_e32 v34, 31, v33
	v_add_nc_u32_e32 v39, s3, v37
	s_delay_alu instid0(VALU_DEP_2) | instskip(SKIP_1) | instid1(VALU_DEP_3)
	v_lshlrev_b64 v[33:34], 2, v[33:34]
	v_ashrrev_i32_e32 v38, 31, v37
	v_add_nc_u32_e32 v41, s3, v39
	v_ashrrev_i32_e32 v40, 31, v39
	s_delay_alu instid0(VALU_DEP_4) | instskip(NEXT) | instid1(VALU_DEP_4)
	v_add_co_u32 v33, vcc_lo, s0, v33
	v_lshlrev_b64 v[37:38], 2, v[37:38]
	s_delay_alu instid0(VALU_DEP_4) | instskip(SKIP_3) | instid1(VALU_DEP_4)
	v_add_nc_u32_e32 v43, s3, v41
	v_ashrrev_i32_e32 v42, 31, v41
	v_add_co_ci_u32_e32 v34, vcc_lo, s1, v34, vcc_lo
	v_add_co_u32 v35, vcc_lo, s0, v35
	v_add_nc_u32_e32 v45, s3, v43
	v_lshlrev_b64 v[39:40], 2, v[39:40]
	v_ashrrev_i32_e32 v44, 31, v43
	v_add_co_ci_u32_e32 v36, vcc_lo, s1, v36, vcc_lo
	s_delay_alu instid0(VALU_DEP_4) | instskip(SKIP_3) | instid1(VALU_DEP_4)
	v_add_nc_u32_e32 v47, s3, v45
	v_add_co_u32 v37, vcc_lo, s0, v37
	v_lshlrev_b64 v[41:42], 2, v[41:42]
	v_ashrrev_i32_e32 v46, 31, v45
	v_add_nc_u32_e32 v49, s3, v47
	v_add_co_ci_u32_e32 v38, vcc_lo, s1, v38, vcc_lo
	v_add_co_u32 v39, vcc_lo, s0, v39
	s_delay_alu instid0(VALU_DEP_3)
	v_add_nc_u32_e32 v51, s3, v49
	v_lshlrev_b64 v[43:44], 2, v[43:44]
	v_ashrrev_i32_e32 v48, 31, v47
	v_add_co_ci_u32_e32 v40, vcc_lo, s1, v40, vcc_lo
	v_add_co_u32 v41, vcc_lo, s0, v41
	v_lshlrev_b64 v[45:46], 2, v[45:46]
	v_add_nc_u32_e32 v53, s3, v51
	v_ashrrev_i32_e32 v50, 31, v49
	v_add_co_ci_u32_e32 v42, vcc_lo, s1, v42, vcc_lo
	v_add_co_u32 v43, vcc_lo, s0, v43
	v_lshlrev_b64 v[47:48], 2, v[47:48]
	v_ashrrev_i32_e32 v52, 31, v51
	v_add_co_ci_u32_e32 v44, vcc_lo, s1, v44, vcc_lo
	v_add_nc_u32_e32 v55, s3, v53
	v_add_co_u32 v45, vcc_lo, s0, v45
	v_lshlrev_b64 v[49:50], 2, v[49:50]
	v_ashrrev_i32_e32 v54, 31, v53
	v_add_co_ci_u32_e32 v46, vcc_lo, s1, v46, vcc_lo
	v_add_co_u32 v47, vcc_lo, s0, v47
	v_lshlrev_b64 v[51:52], 2, v[51:52]
	v_ashrrev_i32_e32 v56, 31, v55
	v_add_co_ci_u32_e32 v48, vcc_lo, s1, v48, vcc_lo
	v_add_co_u32 v49, vcc_lo, s0, v49
	v_lshlrev_b64 v[53:54], 2, v[53:54]
	v_add_co_ci_u32_e32 v50, vcc_lo, s1, v50, vcc_lo
	v_add_co_u32 v51, vcc_lo, s0, v51
	v_lshlrev_b64 v[55:56], 2, v[55:56]
	v_add_co_ci_u32_e32 v52, vcc_lo, s1, v52, vcc_lo
	v_add_co_u32 v53, vcc_lo, s0, v53
	v_add_co_ci_u32_e32 v54, vcc_lo, s1, v54, vcc_lo
	s_delay_alu instid0(VALU_DEP_4)
	v_add_co_u32 v55, vcc_lo, s0, v55
	s_clause 0x7
	global_load_b32 v66, v[21:22], off
	global_load_b32 v67, v[23:24], off
	;; [unrolled: 1-line block ×8, first 2 shown]
	v_add_co_ci_u32_e32 v56, vcc_lo, s1, v56, vcc_lo
	s_clause 0x9
	global_load_b32 v74, v[37:38], off
	global_load_b32 v75, v[39:40], off
	;; [unrolled: 1-line block ×10, first 2 shown]
	s_mov_b32 s1, -1
	s_waitcnt vmcnt(23)
	scratch_store_b128 off, v[57:60], off
	s_waitcnt vmcnt(19)
	scratch_store_b128 off, v[61:64], off offset:16
	s_waitcnt vmcnt(15)
	scratch_store_b128 off, v[65:68], off offset:32
	;; [unrolled: 2-line block ×5, first 2 shown]
	s_waitcnt vmcnt(0)
	scratch_store_b96 off, v[81:83], off offset:96
	s_cbranch_scc1 .LBB26_114
; %bb.4:
	v_cmp_eq_u32_e64 s0, 0, v0
	s_delay_alu instid0(VALU_DEP_1)
	s_and_saveexec_b32 s1, s0
	s_cbranch_execz .LBB26_6
; %bb.5:
	v_mov_b32_e32 v2, 0
	ds_store_b32 v2, v2 offset:108
.LBB26_6:
	s_or_b32 exec_lo, exec_lo, s1
	s_waitcnt lgkmcnt(0)
	s_waitcnt_vscnt null, 0x0
	s_barrier
	buffer_gl0_inv
	scratch_load_b32 v2, v1, off
	s_mov_b32 s2, exec_lo
	s_waitcnt vmcnt(0)
	v_cmpx_eq_f32_e32 0, v2
	s_cbranch_execz .LBB26_10
; %bb.7:
	v_mov_b32_e32 v2, 0
	s_mov_b32 s3, 0
	ds_load_b32 v57, v2 offset:108
	s_waitcnt lgkmcnt(0)
	v_readfirstlane_b32 s1, v57
	v_add_nc_u32_e32 v57, 1, v0
	s_delay_alu instid0(VALU_DEP_2) | instskip(NEXT) | instid1(VALU_DEP_1)
	s_cmp_eq_u32 s1, 0
	v_cmp_gt_i32_e32 vcc_lo, s1, v57
	s_cselect_b32 s4, -1, 0
	s_delay_alu instid0(SALU_CYCLE_1) | instskip(NEXT) | instid1(SALU_CYCLE_1)
	s_or_b32 s4, s4, vcc_lo
	s_and_b32 exec_lo, exec_lo, s4
	s_cbranch_execz .LBB26_10
; %bb.8:
	v_mov_b32_e32 v58, s1
.LBB26_9:                               ; =>This Inner Loop Header: Depth=1
	ds_cmpstore_rtn_b32 v58, v2, v57, v58 offset:108
	s_waitcnt lgkmcnt(0)
	v_cmp_ne_u32_e32 vcc_lo, 0, v58
	v_cmp_le_i32_e64 s1, v58, v57
	s_delay_alu instid0(VALU_DEP_1) | instskip(NEXT) | instid1(SALU_CYCLE_1)
	s_and_b32 s1, vcc_lo, s1
	s_and_b32 s1, exec_lo, s1
	s_delay_alu instid0(SALU_CYCLE_1) | instskip(NEXT) | instid1(SALU_CYCLE_1)
	s_or_b32 s3, s1, s3
	s_and_not1_b32 exec_lo, exec_lo, s3
	s_cbranch_execnz .LBB26_9
.LBB26_10:
	s_or_b32 exec_lo, exec_lo, s2
	v_mov_b32_e32 v2, 0
	s_barrier
	buffer_gl0_inv
	ds_load_b32 v57, v2 offset:108
	s_and_saveexec_b32 s1, s0
	s_cbranch_execz .LBB26_12
; %bb.11:
	s_lshl_b64 s[2:3], s[14:15], 2
	s_delay_alu instid0(SALU_CYCLE_1)
	s_add_u32 s2, s6, s2
	s_addc_u32 s3, s7, s3
	s_waitcnt lgkmcnt(0)
	global_store_b32 v2, v57, s[2:3]
.LBB26_12:
	s_or_b32 exec_lo, exec_lo, s1
	s_waitcnt lgkmcnt(0)
	v_cmp_ne_u32_e32 vcc_lo, 0, v57
	s_mov_b32 s1, 0
	s_cbranch_vccnz .LBB26_114
; %bb.13:
	v_add_nc_u32_e32 v2, 0, v1
	scratch_load_b32 v57, v2, off
	s_waitcnt vmcnt(0)
	v_div_scale_f32 v58, null, v57, v57, 1.0
	v_div_scale_f32 v61, vcc_lo, 1.0, v57, 1.0
	s_delay_alu instid0(VALU_DEP_2) | instskip(SKIP_2) | instid1(VALU_DEP_1)
	v_rcp_f32_e32 v59, v58
	s_waitcnt_depctr 0xfff
	v_fma_f32 v60, -v58, v59, 1.0
	v_fmac_f32_e32 v59, v60, v59
	s_delay_alu instid0(VALU_DEP_1) | instskip(NEXT) | instid1(VALU_DEP_1)
	v_mul_f32_e32 v60, v61, v59
	v_fma_f32 v62, -v58, v60, v61
	s_delay_alu instid0(VALU_DEP_1) | instskip(NEXT) | instid1(VALU_DEP_1)
	v_fmac_f32_e32 v60, v62, v59
	v_fma_f32 v58, -v58, v60, v61
	s_delay_alu instid0(VALU_DEP_1) | instskip(NEXT) | instid1(VALU_DEP_1)
	v_div_fmas_f32 v58, v58, v59, v60
	v_div_fixup_f32 v57, v58, v57, 1.0
	scratch_store_b32 v2, v57, off
	scratch_load_b32 v58, off, off offset:4
	v_xor_b32_e32 v59, 0x80000000, v57
	v_add_nc_u32_e32 v57, 0x70, v1
	s_waitcnt vmcnt(0)
	ds_store_2addr_b32 v1, v59, v58 offset1:28
	s_waitcnt lgkmcnt(0)
	s_waitcnt_vscnt null, 0x0
	s_barrier
	buffer_gl0_inv
	s_and_saveexec_b32 s1, s0
	s_cbranch_execz .LBB26_15
; %bb.14:
	scratch_load_b32 v58, v2, off
	ds_load_b32 v59, v57
	v_mov_b32_e32 v60, 0
	ds_load_b32 v60, v60 offset:4
	s_waitcnt vmcnt(0) lgkmcnt(1)
	v_fma_f32 v58, v58, v59, 0
	s_waitcnt lgkmcnt(0)
	s_delay_alu instid0(VALU_DEP_1)
	v_mul_f32_e32 v58, v58, v60
	scratch_store_b32 off, v58, off offset:4
.LBB26_15:
	s_or_b32 exec_lo, exec_lo, s1
	s_waitcnt_vscnt null, 0x0
	s_barrier
	buffer_gl0_inv
	scratch_load_b32 v58, off, off offset:8
	s_mov_b32 s1, exec_lo
	s_waitcnt vmcnt(0)
	ds_store_b32 v57, v58
	s_waitcnt lgkmcnt(0)
	s_barrier
	buffer_gl0_inv
	v_cmpx_gt_u32_e32 2, v0
	s_cbranch_execz .LBB26_17
; %bb.16:
	scratch_load_b32 v60, v2, off
	scratch_load_b32 v61, off, off offset:4
	ds_load_b32 v62, v57
	v_mov_b32_e32 v58, 0
	ds_load_2addr_b32 v[58:59], v58 offset0:2 offset1:29
	s_waitcnt vmcnt(1) lgkmcnt(1)
	v_fma_f32 v60, v60, v62, 0
	s_waitcnt vmcnt(0) lgkmcnt(0)
	s_delay_alu instid0(VALU_DEP_1) | instskip(NEXT) | instid1(VALU_DEP_1)
	v_fma_f32 v59, v61, v59, v60
	v_cndmask_b32_e64 v59, v60, v59, s0
	s_delay_alu instid0(VALU_DEP_1)
	v_mul_f32_e32 v58, v59, v58
	scratch_store_b32 off, v58, off offset:8
.LBB26_17:
	s_or_b32 exec_lo, exec_lo, s1
	s_waitcnt_vscnt null, 0x0
	s_barrier
	buffer_gl0_inv
	scratch_load_b32 v59, off, off offset:12
	v_add_nc_u32_e32 v58, -1, v0
	s_mov_b32 s0, exec_lo
	s_waitcnt vmcnt(0)
	ds_store_b32 v57, v59
	s_waitcnt lgkmcnt(0)
	s_barrier
	buffer_gl0_inv
	v_cmpx_gt_u32_e32 3, v0
	s_cbranch_execz .LBB26_21
; %bb.18:
	v_dual_mov_b32 v59, 0 :: v_dual_add_nc_u32 v60, -1, v0
	v_add_nc_u32_e32 v61, 0x70, v1
	v_add_nc_u32_e32 v62, 0, v1
	s_mov_b32 s1, 0
.LBB26_19:                              ; =>This Inner Loop Header: Depth=1
	scratch_load_b32 v63, v62, off
	ds_load_b32 v64, v61
	v_add_nc_u32_e32 v60, 1, v60
	v_add_nc_u32_e32 v61, 4, v61
	v_add_nc_u32_e32 v62, 4, v62
	s_delay_alu instid0(VALU_DEP_3)
	v_cmp_lt_u32_e32 vcc_lo, 1, v60
	s_or_b32 s1, vcc_lo, s1
	s_waitcnt vmcnt(0) lgkmcnt(0)
	v_fmac_f32_e32 v59, v63, v64
	s_and_not1_b32 exec_lo, exec_lo, s1
	s_cbranch_execnz .LBB26_19
; %bb.20:
	s_or_b32 exec_lo, exec_lo, s1
	v_mov_b32_e32 v60, 0
	ds_load_b32 v60, v60 offset:12
	s_waitcnt lgkmcnt(0)
	v_mul_f32_e32 v59, v59, v60
	scratch_store_b32 off, v59, off offset:12
.LBB26_21:
	s_or_b32 exec_lo, exec_lo, s0
	s_waitcnt_vscnt null, 0x0
	s_barrier
	buffer_gl0_inv
	scratch_load_b32 v59, off, off offset:16
	s_mov_b32 s0, exec_lo
	s_waitcnt vmcnt(0)
	ds_store_b32 v57, v59
	s_waitcnt lgkmcnt(0)
	s_barrier
	buffer_gl0_inv
	v_cmpx_gt_u32_e32 4, v0
	s_cbranch_execz .LBB26_25
; %bb.22:
	v_dual_mov_b32 v59, 0 :: v_dual_add_nc_u32 v60, -1, v0
	v_add_nc_u32_e32 v61, 0x70, v1
	v_add_nc_u32_e32 v62, 0, v1
	s_mov_b32 s1, 0
.LBB26_23:                              ; =>This Inner Loop Header: Depth=1
	scratch_load_b32 v63, v62, off
	ds_load_b32 v64, v61
	v_add_nc_u32_e32 v60, 1, v60
	v_add_nc_u32_e32 v61, 4, v61
	v_add_nc_u32_e32 v62, 4, v62
	s_delay_alu instid0(VALU_DEP_3)
	v_cmp_lt_u32_e32 vcc_lo, 2, v60
	s_or_b32 s1, vcc_lo, s1
	s_waitcnt vmcnt(0) lgkmcnt(0)
	v_fmac_f32_e32 v59, v63, v64
	s_and_not1_b32 exec_lo, exec_lo, s1
	s_cbranch_execnz .LBB26_23
; %bb.24:
	s_or_b32 exec_lo, exec_lo, s1
	v_mov_b32_e32 v60, 0
	ds_load_b32 v60, v60 offset:16
	s_waitcnt lgkmcnt(0)
	v_mul_f32_e32 v59, v59, v60
	scratch_store_b32 off, v59, off offset:16
.LBB26_25:
	s_or_b32 exec_lo, exec_lo, s0
	s_waitcnt_vscnt null, 0x0
	s_barrier
	buffer_gl0_inv
	scratch_load_b32 v59, off, off offset:20
	;; [unrolled: 39-line block ×21, first 2 shown]
	s_mov_b32 s0, exec_lo
	s_waitcnt vmcnt(0)
	ds_store_b32 v57, v59
	s_waitcnt lgkmcnt(0)
	s_barrier
	buffer_gl0_inv
	v_cmpx_gt_u32_e32 24, v0
	s_cbranch_execz .LBB26_105
; %bb.102:
	v_dual_mov_b32 v59, 0 :: v_dual_add_nc_u32 v60, -1, v0
	v_add_nc_u32_e32 v61, 0x70, v1
	v_add_nc_u32_e32 v62, 0, v1
	s_mov_b32 s1, 0
.LBB26_103:                             ; =>This Inner Loop Header: Depth=1
	scratch_load_b32 v63, v62, off
	ds_load_b32 v64, v61
	v_add_nc_u32_e32 v60, 1, v60
	v_add_nc_u32_e32 v61, 4, v61
	;; [unrolled: 1-line block ×3, first 2 shown]
	s_delay_alu instid0(VALU_DEP_3)
	v_cmp_lt_u32_e32 vcc_lo, 22, v60
	s_or_b32 s1, vcc_lo, s1
	s_waitcnt vmcnt(0) lgkmcnt(0)
	v_fmac_f32_e32 v59, v63, v64
	s_and_not1_b32 exec_lo, exec_lo, s1
	s_cbranch_execnz .LBB26_103
; %bb.104:
	s_or_b32 exec_lo, exec_lo, s1
	v_mov_b32_e32 v60, 0
	ds_load_b32 v60, v60 offset:96
	s_waitcnt lgkmcnt(0)
	v_mul_f32_e32 v59, v59, v60
	scratch_store_b32 off, v59, off offset:96
.LBB26_105:
	s_or_b32 exec_lo, exec_lo, s0
	s_waitcnt_vscnt null, 0x0
	s_barrier
	buffer_gl0_inv
	scratch_load_b32 v59, off, off offset:100
	s_mov_b32 s0, exec_lo
	s_waitcnt vmcnt(0)
	ds_store_b32 v57, v59
	s_waitcnt lgkmcnt(0)
	s_barrier
	buffer_gl0_inv
	v_cmpx_gt_u32_e32 25, v0
	s_cbranch_execz .LBB26_109
; %bb.106:
	v_add_nc_u32_e32 v59, -1, v0
	v_add_nc_u32_e32 v60, 0x70, v1
	v_add_nc_u32_e32 v61, 0, v1
	v_mov_b32_e32 v1, 0
	s_mov_b32 s1, 0
.LBB26_107:                             ; =>This Inner Loop Header: Depth=1
	scratch_load_b32 v62, v61, off
	ds_load_b32 v63, v60
	v_add_nc_u32_e32 v59, 1, v59
	v_add_nc_u32_e32 v60, 4, v60
	;; [unrolled: 1-line block ×3, first 2 shown]
	s_delay_alu instid0(VALU_DEP_3)
	v_cmp_lt_u32_e32 vcc_lo, 23, v59
	s_or_b32 s1, vcc_lo, s1
	s_waitcnt vmcnt(0) lgkmcnt(0)
	v_fmac_f32_e32 v1, v62, v63
	s_and_not1_b32 exec_lo, exec_lo, s1
	s_cbranch_execnz .LBB26_107
; %bb.108:
	s_or_b32 exec_lo, exec_lo, s1
	v_mov_b32_e32 v59, 0
	ds_load_b32 v59, v59 offset:100
	s_waitcnt lgkmcnt(0)
	v_mul_f32_e32 v1, v1, v59
	scratch_store_b32 off, v1, off offset:100
.LBB26_109:
	s_or_b32 exec_lo, exec_lo, s0
	s_waitcnt_vscnt null, 0x0
	s_barrier
	buffer_gl0_inv
	scratch_load_b32 v1, off, off offset:104
	s_mov_b32 s0, exec_lo
	s_waitcnt vmcnt(0)
	ds_store_b32 v57, v1
	s_waitcnt lgkmcnt(0)
	s_barrier
	buffer_gl0_inv
	v_cmpx_ne_u32_e32 26, v0
	s_cbranch_execz .LBB26_113
; %bb.110:
	v_mov_b32_e32 v1, 0
	s_mov_b32 s1, 0
.LBB26_111:                             ; =>This Inner Loop Header: Depth=1
	scratch_load_b32 v59, v2, off
	ds_load_b32 v60, v57
	v_add_nc_u32_e32 v58, 1, v58
	v_add_nc_u32_e32 v57, 4, v57
	s_waitcnt vmcnt(0) lgkmcnt(0)
	v_dual_fmac_f32 v1, v59, v60 :: v_dual_add_nc_u32 v2, 4, v2
	s_delay_alu instid0(VALU_DEP_3) | instskip(SKIP_1) | instid1(SALU_CYCLE_1)
	v_cmp_lt_u32_e32 vcc_lo, 24, v58
	s_or_b32 s1, vcc_lo, s1
	s_and_not1_b32 exec_lo, exec_lo, s1
	s_cbranch_execnz .LBB26_111
; %bb.112:
	s_or_b32 exec_lo, exec_lo, s1
	v_mov_b32_e32 v2, 0
	ds_load_b32 v2, v2 offset:104
	s_waitcnt lgkmcnt(0)
	v_mul_f32_e32 v1, v1, v2
	scratch_store_b32 off, v1, off offset:104
.LBB26_113:
	s_or_b32 exec_lo, exec_lo, s0
	s_mov_b32 s1, -1
	s_waitcnt_vscnt null, 0x0
	s_barrier
	buffer_gl0_inv
.LBB26_114:
	s_and_b32 vcc_lo, exec_lo, s1
	s_cbranch_vccz .LBB26_116
; %bb.115:
	s_lshl_b64 s[0:1], s[14:15], 2
	v_mov_b32_e32 v1, 0
	s_add_u32 s0, s6, s0
	s_addc_u32 s1, s7, s1
	global_load_b32 v1, v1, s[0:1]
	s_waitcnt vmcnt(0)
	v_cmp_ne_u32_e32 vcc_lo, 0, v1
	s_cbranch_vccz .LBB26_117
.LBB26_116:
	s_endpgm
.LBB26_117:
	v_lshl_add_u32 v1, v0, 2, 0x70
	s_mov_b32 s0, exec_lo
	v_cmpx_eq_u32_e32 26, v0
	s_cbranch_execz .LBB26_119
; %bb.118:
	scratch_load_b32 v2, off, off offset:100
	v_mov_b32_e32 v57, 0
	scratch_store_b32 off, v57, off offset:100
	s_waitcnt vmcnt(0)
	ds_store_b32 v1, v2
.LBB26_119:
	s_or_b32 exec_lo, exec_lo, s0
	s_waitcnt lgkmcnt(0)
	s_waitcnt_vscnt null, 0x0
	s_barrier
	buffer_gl0_inv
	scratch_load_b64 v[57:58], off, off offset:100
	v_mov_b32_e32 v2, 0
	s_mov_b32 s0, exec_lo
	ds_load_b32 v59, v2 offset:216
	s_waitcnt vmcnt(0) lgkmcnt(0)
	v_fma_f32 v58, v58, v59, 0
	s_delay_alu instid0(VALU_DEP_1)
	v_sub_f32_e32 v57, v57, v58
	scratch_store_b32 off, v57, off offset:100
	v_cmpx_lt_u32_e32 24, v0
	s_cbranch_execz .LBB26_121
; %bb.120:
	scratch_load_b32 v57, off, off offset:96
	scratch_store_b32 off, v2, off offset:96
	s_waitcnt vmcnt(0)
	ds_store_b32 v1, v57
.LBB26_121:
	s_or_b32 exec_lo, exec_lo, s0
	s_waitcnt lgkmcnt(0)
	s_waitcnt_vscnt null, 0x0
	s_barrier
	buffer_gl0_inv
	scratch_load_b96 v[57:59], off, off offset:96
	ds_load_2addr_b32 v[60:61], v2 offset0:53 offset1:54
	s_mov_b32 s0, exec_lo
	s_waitcnt vmcnt(0) lgkmcnt(0)
	v_fma_f32 v2, v58, v60, 0
	s_delay_alu instid0(VALU_DEP_1) | instskip(NEXT) | instid1(VALU_DEP_1)
	v_fmac_f32_e32 v2, v59, v61
	v_sub_f32_e32 v2, v57, v2
	scratch_store_b32 off, v2, off offset:96
	v_cmpx_lt_u32_e32 23, v0
	s_cbranch_execz .LBB26_123
; %bb.122:
	scratch_load_b32 v2, off, off offset:92
	v_mov_b32_e32 v57, 0
	scratch_store_b32 off, v57, off offset:92
	s_waitcnt vmcnt(0)
	ds_store_b32 v1, v2
.LBB26_123:
	s_or_b32 exec_lo, exec_lo, s0
	s_waitcnt lgkmcnt(0)
	s_waitcnt_vscnt null, 0x0
	s_barrier
	buffer_gl0_inv
	scratch_load_b128 v[57:60], off, off offset:92
	v_mov_b32_e32 v2, 0
	s_mov_b32 s0, exec_lo
	ds_load_b96 v[61:63], v2 offset:208
	s_waitcnt vmcnt(0) lgkmcnt(0)
	v_fma_f32 v58, v58, v61, 0
	s_delay_alu instid0(VALU_DEP_1) | instskip(NEXT) | instid1(VALU_DEP_1)
	v_fmac_f32_e32 v58, v59, v62
	v_fmac_f32_e32 v58, v60, v63
	s_delay_alu instid0(VALU_DEP_1)
	v_sub_f32_e32 v57, v57, v58
	scratch_store_b32 off, v57, off offset:92
	v_cmpx_lt_u32_e32 22, v0
	s_cbranch_execz .LBB26_125
; %bb.124:
	scratch_load_b32 v57, off, off offset:88
	scratch_store_b32 off, v2, off offset:88
	s_waitcnt vmcnt(0)
	ds_store_b32 v1, v57
.LBB26_125:
	s_or_b32 exec_lo, exec_lo, s0
	s_waitcnt lgkmcnt(0)
	s_waitcnt_vscnt null, 0x0
	s_barrier
	buffer_gl0_inv
	s_clause 0x1
	scratch_load_b128 v[57:60], off, off offset:88
	scratch_load_b32 v65, off, off offset:104
	ds_load_2addr_b32 v[61:62], v2 offset0:51 offset1:52
	ds_load_2addr_b32 v[63:64], v2 offset0:53 offset1:54
	s_mov_b32 s0, exec_lo
	s_waitcnt vmcnt(1) lgkmcnt(1)
	v_fma_f32 v2, v58, v61, 0
	s_delay_alu instid0(VALU_DEP_1) | instskip(SKIP_1) | instid1(VALU_DEP_1)
	v_fmac_f32_e32 v2, v59, v62
	s_waitcnt lgkmcnt(0)
	v_fmac_f32_e32 v2, v60, v63
	s_waitcnt vmcnt(0)
	s_delay_alu instid0(VALU_DEP_1) | instskip(NEXT) | instid1(VALU_DEP_1)
	v_fmac_f32_e32 v2, v65, v64
	v_sub_f32_e32 v2, v57, v2
	scratch_store_b32 off, v2, off offset:88
	v_cmpx_lt_u32_e32 21, v0
	s_cbranch_execz .LBB26_127
; %bb.126:
	scratch_load_b32 v2, off, off offset:84
	v_mov_b32_e32 v57, 0
	scratch_store_b32 off, v57, off offset:84
	s_waitcnt vmcnt(0)
	ds_store_b32 v1, v2
.LBB26_127:
	s_or_b32 exec_lo, exec_lo, s0
	s_waitcnt lgkmcnt(0)
	s_waitcnt_vscnt null, 0x0
	s_barrier
	buffer_gl0_inv
	s_clause 0x1
	scratch_load_b128 v[57:60], off, off offset:84
	scratch_load_b64 v[65:66], off, off offset:100
	v_mov_b32_e32 v2, 0
	ds_load_2addr_b64 v[61:64], v2 offset0:25 offset1:26
	ds_load_b32 v67, v2 offset:216
	s_mov_b32 s0, exec_lo
	s_waitcnt vmcnt(1) lgkmcnt(1)
	v_fma_f32 v58, v58, v61, 0
	s_delay_alu instid0(VALU_DEP_1) | instskip(NEXT) | instid1(VALU_DEP_1)
	v_fmac_f32_e32 v58, v59, v62
	v_fmac_f32_e32 v58, v60, v63
	s_waitcnt vmcnt(0)
	s_delay_alu instid0(VALU_DEP_1) | instskip(SKIP_1) | instid1(VALU_DEP_1)
	v_fmac_f32_e32 v58, v65, v64
	s_waitcnt lgkmcnt(0)
	v_fmac_f32_e32 v58, v66, v67
	s_delay_alu instid0(VALU_DEP_1)
	v_sub_f32_e32 v57, v57, v58
	scratch_store_b32 off, v57, off offset:84
	v_cmpx_lt_u32_e32 20, v0
	s_cbranch_execz .LBB26_129
; %bb.128:
	scratch_load_b32 v57, off, off offset:80
	scratch_store_b32 off, v2, off offset:80
	s_waitcnt vmcnt(0)
	ds_store_b32 v1, v57
.LBB26_129:
	s_or_b32 exec_lo, exec_lo, s0
	s_waitcnt lgkmcnt(0)
	s_waitcnt_vscnt null, 0x0
	s_barrier
	buffer_gl0_inv
	s_clause 0x1
	scratch_load_b128 v[57:60], off, off offset:80
	scratch_load_b96 v[61:63], off, off offset:96
	ds_load_2addr_b32 v[64:65], v2 offset0:49 offset1:50
	ds_load_2addr_b32 v[66:67], v2 offset0:51 offset1:52
	;; [unrolled: 1-line block ×3, first 2 shown]
	s_mov_b32 s0, exec_lo
	s_waitcnt vmcnt(1) lgkmcnt(2)
	v_fma_f32 v2, v58, v64, 0
	s_delay_alu instid0(VALU_DEP_1) | instskip(SKIP_1) | instid1(VALU_DEP_1)
	v_fmac_f32_e32 v2, v59, v65
	s_waitcnt lgkmcnt(1)
	v_fmac_f32_e32 v2, v60, v66
	s_waitcnt vmcnt(0)
	s_delay_alu instid0(VALU_DEP_1) | instskip(SKIP_1) | instid1(VALU_DEP_1)
	v_fmac_f32_e32 v2, v61, v67
	s_waitcnt lgkmcnt(0)
	v_fmac_f32_e32 v2, v62, v68
	s_delay_alu instid0(VALU_DEP_1) | instskip(NEXT) | instid1(VALU_DEP_1)
	v_fmac_f32_e32 v2, v63, v69
	v_sub_f32_e32 v2, v57, v2
	scratch_store_b32 off, v2, off offset:80
	v_cmpx_lt_u32_e32 19, v0
	s_cbranch_execz .LBB26_131
; %bb.130:
	scratch_load_b32 v2, off, off offset:76
	v_mov_b32_e32 v57, 0
	scratch_store_b32 off, v57, off offset:76
	s_waitcnt vmcnt(0)
	ds_store_b32 v1, v2
.LBB26_131:
	s_or_b32 exec_lo, exec_lo, s0
	s_waitcnt lgkmcnt(0)
	s_waitcnt_vscnt null, 0x0
	s_barrier
	buffer_gl0_inv
	s_clause 0x1
	scratch_load_b128 v[57:60], off, off offset:76
	scratch_load_b128 v[61:64], off, off offset:92
	v_mov_b32_e32 v2, 0
	ds_load_b128 v[65:68], v2 offset:192
	ds_load_b96 v[69:71], v2 offset:208
	s_mov_b32 s0, exec_lo
	s_waitcnt vmcnt(1) lgkmcnt(1)
	v_fma_f32 v58, v58, v65, 0
	s_delay_alu instid0(VALU_DEP_1) | instskip(NEXT) | instid1(VALU_DEP_1)
	v_fmac_f32_e32 v58, v59, v66
	v_fmac_f32_e32 v58, v60, v67
	s_waitcnt vmcnt(0)
	s_delay_alu instid0(VALU_DEP_1) | instskip(SKIP_1) | instid1(VALU_DEP_1)
	v_fmac_f32_e32 v58, v61, v68
	s_waitcnt lgkmcnt(0)
	v_fmac_f32_e32 v58, v62, v69
	s_delay_alu instid0(VALU_DEP_1) | instskip(NEXT) | instid1(VALU_DEP_1)
	v_fmac_f32_e32 v58, v63, v70
	v_fmac_f32_e32 v58, v64, v71
	s_delay_alu instid0(VALU_DEP_1)
	v_sub_f32_e32 v57, v57, v58
	scratch_store_b32 off, v57, off offset:76
	v_cmpx_lt_u32_e32 18, v0
	s_cbranch_execz .LBB26_133
; %bb.132:
	scratch_load_b32 v57, off, off offset:72
	scratch_store_b32 off, v2, off offset:72
	s_waitcnt vmcnt(0)
	ds_store_b32 v1, v57
.LBB26_133:
	s_or_b32 exec_lo, exec_lo, s0
	s_waitcnt lgkmcnt(0)
	s_waitcnt_vscnt null, 0x0
	s_barrier
	buffer_gl0_inv
	s_clause 0x2
	scratch_load_b128 v[57:60], off, off offset:72
	scratch_load_b128 v[61:64], off, off offset:88
	scratch_load_b32 v73, off, off offset:104
	ds_load_2addr_b32 v[65:66], v2 offset0:47 offset1:48
	ds_load_2addr_b32 v[67:68], v2 offset0:49 offset1:50
	ds_load_2addr_b32 v[69:70], v2 offset0:51 offset1:52
	ds_load_2addr_b32 v[71:72], v2 offset0:53 offset1:54
	s_mov_b32 s0, exec_lo
	s_waitcnt vmcnt(2) lgkmcnt(3)
	v_fma_f32 v2, v58, v65, 0
	s_delay_alu instid0(VALU_DEP_1) | instskip(SKIP_1) | instid1(VALU_DEP_1)
	v_fmac_f32_e32 v2, v59, v66
	s_waitcnt lgkmcnt(2)
	v_fmac_f32_e32 v2, v60, v67
	s_waitcnt vmcnt(1)
	s_delay_alu instid0(VALU_DEP_1) | instskip(SKIP_1) | instid1(VALU_DEP_1)
	v_fmac_f32_e32 v2, v61, v68
	s_waitcnt lgkmcnt(1)
	v_fmac_f32_e32 v2, v62, v69
	s_delay_alu instid0(VALU_DEP_1) | instskip(SKIP_1) | instid1(VALU_DEP_1)
	v_fmac_f32_e32 v2, v63, v70
	s_waitcnt lgkmcnt(0)
	v_fmac_f32_e32 v2, v64, v71
	s_waitcnt vmcnt(0)
	s_delay_alu instid0(VALU_DEP_1) | instskip(NEXT) | instid1(VALU_DEP_1)
	v_fmac_f32_e32 v2, v73, v72
	v_sub_f32_e32 v2, v57, v2
	scratch_store_b32 off, v2, off offset:72
	v_cmpx_lt_u32_e32 17, v0
	s_cbranch_execz .LBB26_135
; %bb.134:
	scratch_load_b32 v2, off, off offset:68
	v_mov_b32_e32 v57, 0
	scratch_store_b32 off, v57, off offset:68
	s_waitcnt vmcnt(0)
	ds_store_b32 v1, v2
.LBB26_135:
	s_or_b32 exec_lo, exec_lo, s0
	s_waitcnt lgkmcnt(0)
	s_waitcnt_vscnt null, 0x0
	s_barrier
	buffer_gl0_inv
	s_clause 0x2
	scratch_load_b128 v[57:60], off, off offset:68
	scratch_load_b128 v[61:64], off, off offset:84
	scratch_load_b64 v[73:74], off, off offset:100
	v_mov_b32_e32 v2, 0
	ds_load_2addr_b64 v[65:68], v2 offset0:23 offset1:24
	ds_load_2addr_b64 v[69:72], v2 offset0:25 offset1:26
	s_mov_b32 s0, exec_lo
	s_waitcnt vmcnt(2) lgkmcnt(1)
	v_fma_f32 v58, v58, v65, 0
	s_delay_alu instid0(VALU_DEP_1) | instskip(SKIP_3) | instid1(VALU_DEP_1)
	v_fmac_f32_e32 v58, v59, v66
	ds_load_b32 v59, v2 offset:216
	v_fmac_f32_e32 v58, v60, v67
	s_waitcnt vmcnt(1)
	v_fmac_f32_e32 v58, v61, v68
	s_waitcnt lgkmcnt(1)
	s_delay_alu instid0(VALU_DEP_1) | instskip(NEXT) | instid1(VALU_DEP_1)
	v_fmac_f32_e32 v58, v62, v69
	v_fmac_f32_e32 v58, v63, v70
	s_delay_alu instid0(VALU_DEP_1) | instskip(SKIP_1) | instid1(VALU_DEP_1)
	v_fmac_f32_e32 v58, v64, v71
	s_waitcnt vmcnt(0)
	v_fmac_f32_e32 v58, v73, v72
	s_waitcnt lgkmcnt(0)
	s_delay_alu instid0(VALU_DEP_1) | instskip(NEXT) | instid1(VALU_DEP_1)
	v_fmac_f32_e32 v58, v74, v59
	v_sub_f32_e32 v57, v57, v58
	scratch_store_b32 off, v57, off offset:68
	v_cmpx_lt_u32_e32 16, v0
	s_cbranch_execz .LBB26_137
; %bb.136:
	scratch_load_b32 v57, off, off offset:64
	scratch_store_b32 off, v2, off offset:64
	s_waitcnt vmcnt(0)
	ds_store_b32 v1, v57
.LBB26_137:
	s_or_b32 exec_lo, exec_lo, s0
	s_waitcnt lgkmcnt(0)
	s_waitcnt_vscnt null, 0x0
	s_barrier
	buffer_gl0_inv
	s_clause 0x2
	scratch_load_b128 v[57:60], off, off offset:64
	scratch_load_b128 v[61:64], off, off offset:80
	scratch_load_b96 v[65:67], off, off offset:96
	ds_load_2addr_b32 v[68:69], v2 offset0:45 offset1:46
	ds_load_2addr_b32 v[70:71], v2 offset0:47 offset1:48
	;; [unrolled: 1-line block ×4, first 2 shown]
	s_mov_b32 s0, exec_lo
	s_waitcnt vmcnt(2) lgkmcnt(3)
	v_fma_f32 v68, v58, v68, 0
	s_delay_alu instid0(VALU_DEP_1) | instskip(SKIP_4) | instid1(VALU_DEP_1)
	v_fmac_f32_e32 v68, v59, v69
	ds_load_2addr_b32 v[58:59], v2 offset0:53 offset1:54
	s_waitcnt lgkmcnt(3)
	v_fmac_f32_e32 v68, v60, v70
	s_waitcnt vmcnt(1)
	v_fmac_f32_e32 v68, v61, v71
	s_waitcnt lgkmcnt(2)
	s_delay_alu instid0(VALU_DEP_1) | instskip(NEXT) | instid1(VALU_DEP_1)
	v_fmac_f32_e32 v68, v62, v72
	v_fmac_f32_e32 v68, v63, v73
	s_waitcnt lgkmcnt(1)
	s_delay_alu instid0(VALU_DEP_1) | instskip(SKIP_1) | instid1(VALU_DEP_1)
	v_fmac_f32_e32 v68, v64, v74
	s_waitcnt vmcnt(0)
	v_fmac_f32_e32 v68, v65, v75
	s_waitcnt lgkmcnt(0)
	s_delay_alu instid0(VALU_DEP_1) | instskip(NEXT) | instid1(VALU_DEP_1)
	v_fmac_f32_e32 v68, v66, v58
	v_fmac_f32_e32 v68, v67, v59
	s_delay_alu instid0(VALU_DEP_1)
	v_sub_f32_e32 v2, v57, v68
	scratch_store_b32 off, v2, off offset:64
	v_cmpx_lt_u32_e32 15, v0
	s_cbranch_execz .LBB26_139
; %bb.138:
	scratch_load_b32 v2, off, off offset:60
	v_mov_b32_e32 v57, 0
	scratch_store_b32 off, v57, off offset:60
	s_waitcnt vmcnt(0)
	ds_store_b32 v1, v2
.LBB26_139:
	s_or_b32 exec_lo, exec_lo, s0
	s_waitcnt lgkmcnt(0)
	s_waitcnt_vscnt null, 0x0
	s_barrier
	buffer_gl0_inv
	s_clause 0x2
	scratch_load_b128 v[57:60], off, off offset:60
	scratch_load_b128 v[61:64], off, off offset:76
	;; [unrolled: 1-line block ×3, first 2 shown]
	v_mov_b32_e32 v2, 0
	ds_load_b128 v[69:72], v2 offset:176
	ds_load_b128 v[73:76], v2 offset:192
	s_mov_b32 s0, exec_lo
	s_waitcnt vmcnt(2) lgkmcnt(1)
	v_fma_f32 v69, v58, v69, 0
	s_delay_alu instid0(VALU_DEP_1) | instskip(NEXT) | instid1(VALU_DEP_1)
	v_fmac_f32_e32 v69, v59, v70
	v_fmac_f32_e32 v69, v60, v71
	ds_load_b96 v[58:60], v2 offset:208
	s_waitcnt vmcnt(1)
	v_fmac_f32_e32 v69, v61, v72
	s_waitcnt lgkmcnt(1)
	s_delay_alu instid0(VALU_DEP_1) | instskip(NEXT) | instid1(VALU_DEP_1)
	v_fmac_f32_e32 v69, v62, v73
	v_fmac_f32_e32 v69, v63, v74
	s_delay_alu instid0(VALU_DEP_1) | instskip(SKIP_1) | instid1(VALU_DEP_1)
	v_fmac_f32_e32 v69, v64, v75
	s_waitcnt vmcnt(0)
	v_fmac_f32_e32 v69, v65, v76
	s_waitcnt lgkmcnt(0)
	s_delay_alu instid0(VALU_DEP_1) | instskip(NEXT) | instid1(VALU_DEP_1)
	v_fmac_f32_e32 v69, v66, v58
	v_fmac_f32_e32 v69, v67, v59
	s_delay_alu instid0(VALU_DEP_1) | instskip(NEXT) | instid1(VALU_DEP_1)
	v_fmac_f32_e32 v69, v68, v60
	v_sub_f32_e32 v57, v57, v69
	scratch_store_b32 off, v57, off offset:60
	v_cmpx_lt_u32_e32 14, v0
	s_cbranch_execz .LBB26_141
; %bb.140:
	scratch_load_b32 v57, off, off offset:56
	scratch_store_b32 off, v2, off offset:56
	s_waitcnt vmcnt(0)
	ds_store_b32 v1, v57
.LBB26_141:
	s_or_b32 exec_lo, exec_lo, s0
	s_waitcnt lgkmcnt(0)
	s_waitcnt_vscnt null, 0x0
	s_barrier
	buffer_gl0_inv
	s_clause 0x3
	scratch_load_b128 v[57:60], off, off offset:56
	scratch_load_b128 v[61:64], off, off offset:72
	;; [unrolled: 1-line block ×3, first 2 shown]
	scratch_load_b32 v77, off, off offset:104
	ds_load_2addr_b32 v[69:70], v2 offset0:43 offset1:44
	ds_load_2addr_b32 v[71:72], v2 offset0:45 offset1:46
	;; [unrolled: 1-line block ×4, first 2 shown]
	s_mov_b32 s0, exec_lo
	s_waitcnt vmcnt(3) lgkmcnt(3)
	v_fma_f32 v69, v58, v69, 0
	s_delay_alu instid0(VALU_DEP_1) | instskip(SKIP_4) | instid1(VALU_DEP_1)
	v_fmac_f32_e32 v69, v59, v70
	ds_load_2addr_b32 v[58:59], v2 offset0:51 offset1:52
	s_waitcnt lgkmcnt(3)
	v_fmac_f32_e32 v69, v60, v71
	s_waitcnt vmcnt(2)
	v_fmac_f32_e32 v69, v61, v72
	ds_load_2addr_b32 v[60:61], v2 offset0:53 offset1:54
	s_waitcnt lgkmcnt(3)
	v_fmac_f32_e32 v69, v62, v73
	s_delay_alu instid0(VALU_DEP_1) | instskip(SKIP_1) | instid1(VALU_DEP_1)
	v_fmac_f32_e32 v69, v63, v74
	s_waitcnt lgkmcnt(2)
	v_fmac_f32_e32 v69, v64, v75
	s_waitcnt vmcnt(1)
	s_delay_alu instid0(VALU_DEP_1) | instskip(SKIP_1) | instid1(VALU_DEP_1)
	v_fmac_f32_e32 v69, v65, v76
	s_waitcnt lgkmcnt(1)
	v_fmac_f32_e32 v69, v66, v58
	s_delay_alu instid0(VALU_DEP_1) | instskip(SKIP_1) | instid1(VALU_DEP_1)
	v_fmac_f32_e32 v69, v67, v59
	s_waitcnt lgkmcnt(0)
	v_fmac_f32_e32 v69, v68, v60
	s_waitcnt vmcnt(0)
	s_delay_alu instid0(VALU_DEP_1) | instskip(NEXT) | instid1(VALU_DEP_1)
	v_fmac_f32_e32 v69, v77, v61
	v_sub_f32_e32 v2, v57, v69
	scratch_store_b32 off, v2, off offset:56
	v_cmpx_lt_u32_e32 13, v0
	s_cbranch_execz .LBB26_143
; %bb.142:
	scratch_load_b32 v2, off, off offset:52
	v_mov_b32_e32 v57, 0
	scratch_store_b32 off, v57, off offset:52
	s_waitcnt vmcnt(0)
	ds_store_b32 v1, v2
.LBB26_143:
	s_or_b32 exec_lo, exec_lo, s0
	s_waitcnt lgkmcnt(0)
	s_waitcnt_vscnt null, 0x0
	s_barrier
	buffer_gl0_inv
	s_clause 0x3
	scratch_load_b128 v[57:60], off, off offset:52
	scratch_load_b128 v[61:64], off, off offset:68
	;; [unrolled: 1-line block ×3, first 2 shown]
	scratch_load_b64 v[77:78], off, off offset:100
	v_mov_b32_e32 v2, 0
	ds_load_2addr_b64 v[69:72], v2 offset0:21 offset1:22
	ds_load_2addr_b64 v[73:76], v2 offset0:23 offset1:24
	s_mov_b32 s0, exec_lo
	s_waitcnt vmcnt(3) lgkmcnt(1)
	v_fma_f32 v69, v58, v69, 0
	s_delay_alu instid0(VALU_DEP_1) | instskip(NEXT) | instid1(VALU_DEP_1)
	v_fmac_f32_e32 v69, v59, v70
	v_fmac_f32_e32 v69, v60, v71
	s_waitcnt vmcnt(2)
	s_delay_alu instid0(VALU_DEP_1)
	v_fmac_f32_e32 v69, v61, v72
	ds_load_2addr_b64 v[58:61], v2 offset0:25 offset1:26
	s_waitcnt lgkmcnt(1)
	v_fmac_f32_e32 v69, v62, v73
	ds_load_b32 v62, v2 offset:216
	v_fmac_f32_e32 v69, v63, v74
	s_delay_alu instid0(VALU_DEP_1) | instskip(SKIP_1) | instid1(VALU_DEP_1)
	v_fmac_f32_e32 v69, v64, v75
	s_waitcnt vmcnt(1)
	v_fmac_f32_e32 v69, v65, v76
	s_waitcnt lgkmcnt(1)
	s_delay_alu instid0(VALU_DEP_1) | instskip(NEXT) | instid1(VALU_DEP_1)
	v_fmac_f32_e32 v69, v66, v58
	v_fmac_f32_e32 v69, v67, v59
	s_delay_alu instid0(VALU_DEP_1) | instskip(SKIP_1) | instid1(VALU_DEP_1)
	v_fmac_f32_e32 v69, v68, v60
	s_waitcnt vmcnt(0)
	v_fmac_f32_e32 v69, v77, v61
	s_waitcnt lgkmcnt(0)
	s_delay_alu instid0(VALU_DEP_1) | instskip(NEXT) | instid1(VALU_DEP_1)
	v_fmac_f32_e32 v69, v78, v62
	v_sub_f32_e32 v57, v57, v69
	scratch_store_b32 off, v57, off offset:52
	v_cmpx_lt_u32_e32 12, v0
	s_cbranch_execz .LBB26_145
; %bb.144:
	scratch_load_b32 v57, off, off offset:48
	scratch_store_b32 off, v2, off offset:48
	s_waitcnt vmcnt(0)
	ds_store_b32 v1, v57
.LBB26_145:
	s_or_b32 exec_lo, exec_lo, s0
	s_waitcnt lgkmcnt(0)
	s_waitcnt_vscnt null, 0x0
	s_barrier
	buffer_gl0_inv
	s_clause 0x3
	scratch_load_b128 v[57:60], off, off offset:48
	scratch_load_b128 v[61:64], off, off offset:64
	;; [unrolled: 1-line block ×3, first 2 shown]
	scratch_load_b96 v[69:71], off, off offset:96
	ds_load_2addr_b32 v[72:73], v2 offset0:41 offset1:42
	ds_load_2addr_b32 v[74:75], v2 offset0:43 offset1:44
	;; [unrolled: 1-line block ×4, first 2 shown]
	s_mov_b32 s0, exec_lo
	s_waitcnt vmcnt(3) lgkmcnt(3)
	v_fma_f32 v72, v58, v72, 0
	s_delay_alu instid0(VALU_DEP_1) | instskip(SKIP_4) | instid1(VALU_DEP_1)
	v_fmac_f32_e32 v72, v59, v73
	ds_load_2addr_b32 v[58:59], v2 offset0:49 offset1:50
	s_waitcnt lgkmcnt(3)
	v_fmac_f32_e32 v72, v60, v74
	s_waitcnt vmcnt(2)
	v_fmac_f32_e32 v72, v61, v75
	ds_load_2addr_b32 v[60:61], v2 offset0:51 offset1:52
	s_waitcnt lgkmcnt(3)
	v_fmac_f32_e32 v72, v62, v76
	s_delay_alu instid0(VALU_DEP_1) | instskip(SKIP_4) | instid1(VALU_DEP_1)
	v_fmac_f32_e32 v72, v63, v77
	ds_load_2addr_b32 v[62:63], v2 offset0:53 offset1:54
	s_waitcnt lgkmcnt(3)
	v_fmac_f32_e32 v72, v64, v78
	s_waitcnt vmcnt(1)
	v_fmac_f32_e32 v72, v65, v79
	s_waitcnt lgkmcnt(2)
	s_delay_alu instid0(VALU_DEP_1) | instskip(NEXT) | instid1(VALU_DEP_1)
	v_fmac_f32_e32 v72, v66, v58
	v_fmac_f32_e32 v72, v67, v59
	s_waitcnt lgkmcnt(1)
	s_delay_alu instid0(VALU_DEP_1) | instskip(SKIP_1) | instid1(VALU_DEP_1)
	v_fmac_f32_e32 v72, v68, v60
	s_waitcnt vmcnt(0)
	v_fmac_f32_e32 v72, v69, v61
	s_waitcnt lgkmcnt(0)
	s_delay_alu instid0(VALU_DEP_1) | instskip(NEXT) | instid1(VALU_DEP_1)
	v_fmac_f32_e32 v72, v70, v62
	v_fmac_f32_e32 v72, v71, v63
	s_delay_alu instid0(VALU_DEP_1)
	v_sub_f32_e32 v2, v57, v72
	scratch_store_b32 off, v2, off offset:48
	v_cmpx_lt_u32_e32 11, v0
	s_cbranch_execz .LBB26_147
; %bb.146:
	scratch_load_b32 v2, off, off offset:44
	v_mov_b32_e32 v57, 0
	scratch_store_b32 off, v57, off offset:44
	s_waitcnt vmcnt(0)
	ds_store_b32 v1, v2
.LBB26_147:
	s_or_b32 exec_lo, exec_lo, s0
	s_waitcnt lgkmcnt(0)
	s_waitcnt_vscnt null, 0x0
	s_barrier
	buffer_gl0_inv
	s_clause 0x3
	scratch_load_b128 v[57:60], off, off offset:44
	scratch_load_b128 v[61:64], off, off offset:60
	;; [unrolled: 1-line block ×4, first 2 shown]
	v_mov_b32_e32 v2, 0
	ds_load_b128 v[73:76], v2 offset:160
	ds_load_b128 v[77:80], v2 offset:176
	s_mov_b32 s0, exec_lo
	s_waitcnt vmcnt(3) lgkmcnt(1)
	v_fma_f32 v73, v58, v73, 0
	s_delay_alu instid0(VALU_DEP_1) | instskip(NEXT) | instid1(VALU_DEP_1)
	v_fmac_f32_e32 v73, v59, v74
	v_fmac_f32_e32 v73, v60, v75
	s_waitcnt vmcnt(2)
	s_delay_alu instid0(VALU_DEP_1) | instskip(SKIP_3) | instid1(VALU_DEP_1)
	v_fmac_f32_e32 v73, v61, v76
	ds_load_b128 v[58:61], v2 offset:192
	s_waitcnt lgkmcnt(1)
	v_fmac_f32_e32 v73, v62, v77
	v_fmac_f32_e32 v73, v63, v78
	s_delay_alu instid0(VALU_DEP_1) | instskip(SKIP_4) | instid1(VALU_DEP_1)
	v_fmac_f32_e32 v73, v64, v79
	ds_load_b96 v[62:64], v2 offset:208
	s_waitcnt vmcnt(1)
	v_fmac_f32_e32 v73, v65, v80
	s_waitcnt lgkmcnt(1)
	v_fmac_f32_e32 v73, v66, v58
	s_delay_alu instid0(VALU_DEP_1) | instskip(NEXT) | instid1(VALU_DEP_1)
	v_fmac_f32_e32 v73, v67, v59
	v_fmac_f32_e32 v73, v68, v60
	s_waitcnt vmcnt(0)
	s_delay_alu instid0(VALU_DEP_1) | instskip(SKIP_1) | instid1(VALU_DEP_1)
	v_fmac_f32_e32 v73, v69, v61
	s_waitcnt lgkmcnt(0)
	v_fmac_f32_e32 v73, v70, v62
	s_delay_alu instid0(VALU_DEP_1) | instskip(NEXT) | instid1(VALU_DEP_1)
	v_fmac_f32_e32 v73, v71, v63
	v_fmac_f32_e32 v73, v72, v64
	s_delay_alu instid0(VALU_DEP_1)
	v_sub_f32_e32 v57, v57, v73
	scratch_store_b32 off, v57, off offset:44
	v_cmpx_lt_u32_e32 10, v0
	s_cbranch_execz .LBB26_149
; %bb.148:
	scratch_load_b32 v57, off, off offset:40
	scratch_store_b32 off, v2, off offset:40
	s_waitcnt vmcnt(0)
	ds_store_b32 v1, v57
.LBB26_149:
	s_or_b32 exec_lo, exec_lo, s0
	s_waitcnt lgkmcnt(0)
	s_waitcnt_vscnt null, 0x0
	s_barrier
	buffer_gl0_inv
	s_clause 0x4
	scratch_load_b128 v[57:60], off, off offset:40
	scratch_load_b128 v[61:64], off, off offset:56
	;; [unrolled: 1-line block ×4, first 2 shown]
	scratch_load_b32 v81, off, off offset:104
	ds_load_2addr_b32 v[73:74], v2 offset0:39 offset1:40
	ds_load_2addr_b32 v[75:76], v2 offset0:41 offset1:42
	;; [unrolled: 1-line block ×4, first 2 shown]
	s_mov_b32 s0, exec_lo
	s_waitcnt vmcnt(4) lgkmcnt(3)
	v_fma_f32 v73, v58, v73, 0
	s_delay_alu instid0(VALU_DEP_1) | instskip(SKIP_4) | instid1(VALU_DEP_1)
	v_fmac_f32_e32 v73, v59, v74
	ds_load_2addr_b32 v[58:59], v2 offset0:47 offset1:48
	s_waitcnt lgkmcnt(3)
	v_fmac_f32_e32 v73, v60, v75
	s_waitcnt vmcnt(3)
	v_fmac_f32_e32 v73, v61, v76
	ds_load_2addr_b32 v[60:61], v2 offset0:49 offset1:50
	s_waitcnt lgkmcnt(3)
	v_fmac_f32_e32 v73, v62, v77
	s_delay_alu instid0(VALU_DEP_1) | instskip(SKIP_1) | instid1(VALU_DEP_1)
	v_fmac_f32_e32 v73, v63, v78
	s_waitcnt lgkmcnt(2)
	v_fmac_f32_e32 v73, v64, v79
	s_waitcnt vmcnt(2)
	s_delay_alu instid0(VALU_DEP_1) | instskip(SKIP_4) | instid1(VALU_DEP_1)
	v_fmac_f32_e32 v73, v65, v80
	ds_load_2addr_b32 v[62:63], v2 offset0:51 offset1:52
	ds_load_2addr_b32 v[64:65], v2 offset0:53 offset1:54
	s_waitcnt lgkmcnt(3)
	v_fmac_f32_e32 v73, v66, v58
	v_fmac_f32_e32 v73, v67, v59
	s_waitcnt lgkmcnt(2)
	s_delay_alu instid0(VALU_DEP_1) | instskip(SKIP_1) | instid1(VALU_DEP_1)
	v_fmac_f32_e32 v73, v68, v60
	s_waitcnt vmcnt(1)
	v_fmac_f32_e32 v73, v69, v61
	s_waitcnt lgkmcnt(1)
	s_delay_alu instid0(VALU_DEP_1) | instskip(NEXT) | instid1(VALU_DEP_1)
	v_fmac_f32_e32 v73, v70, v62
	v_fmac_f32_e32 v73, v71, v63
	s_waitcnt lgkmcnt(0)
	s_delay_alu instid0(VALU_DEP_1) | instskip(SKIP_1) | instid1(VALU_DEP_1)
	v_fmac_f32_e32 v73, v72, v64
	s_waitcnt vmcnt(0)
	v_fmac_f32_e32 v73, v81, v65
	s_delay_alu instid0(VALU_DEP_1)
	v_sub_f32_e32 v2, v57, v73
	scratch_store_b32 off, v2, off offset:40
	v_cmpx_lt_u32_e32 9, v0
	s_cbranch_execz .LBB26_151
; %bb.150:
	scratch_load_b32 v2, off, off offset:36
	v_mov_b32_e32 v57, 0
	scratch_store_b32 off, v57, off offset:36
	s_waitcnt vmcnt(0)
	ds_store_b32 v1, v2
.LBB26_151:
	s_or_b32 exec_lo, exec_lo, s0
	s_waitcnt lgkmcnt(0)
	s_waitcnt_vscnt null, 0x0
	s_barrier
	buffer_gl0_inv
	s_clause 0x4
	scratch_load_b128 v[57:60], off, off offset:36
	scratch_load_b128 v[61:64], off, off offset:52
	;; [unrolled: 1-line block ×4, first 2 shown]
	scratch_load_b64 v[81:82], off, off offset:100
	v_mov_b32_e32 v2, 0
	ds_load_2addr_b64 v[73:76], v2 offset0:19 offset1:20
	ds_load_2addr_b64 v[77:80], v2 offset0:21 offset1:22
	s_mov_b32 s0, exec_lo
	s_waitcnt vmcnt(4) lgkmcnt(1)
	v_fma_f32 v73, v58, v73, 0
	s_delay_alu instid0(VALU_DEP_1) | instskip(NEXT) | instid1(VALU_DEP_1)
	v_fmac_f32_e32 v73, v59, v74
	v_fmac_f32_e32 v73, v60, v75
	s_waitcnt vmcnt(3)
	s_delay_alu instid0(VALU_DEP_1) | instskip(SKIP_3) | instid1(VALU_DEP_1)
	v_fmac_f32_e32 v73, v61, v76
	ds_load_2addr_b64 v[58:61], v2 offset0:23 offset1:24
	s_waitcnt lgkmcnt(1)
	v_fmac_f32_e32 v73, v62, v77
	v_fmac_f32_e32 v73, v63, v78
	s_delay_alu instid0(VALU_DEP_1) | instskip(SKIP_1) | instid1(VALU_DEP_1)
	v_fmac_f32_e32 v73, v64, v79
	s_waitcnt vmcnt(2)
	v_fmac_f32_e32 v73, v65, v80
	ds_load_2addr_b64 v[62:65], v2 offset0:25 offset1:26
	s_waitcnt lgkmcnt(1)
	v_fmac_f32_e32 v73, v66, v58
	ds_load_b32 v58, v2 offset:216
	v_fmac_f32_e32 v73, v67, v59
	s_delay_alu instid0(VALU_DEP_1) | instskip(SKIP_1) | instid1(VALU_DEP_1)
	v_fmac_f32_e32 v73, v68, v60
	s_waitcnt vmcnt(1)
	v_fmac_f32_e32 v73, v69, v61
	s_waitcnt lgkmcnt(1)
	s_delay_alu instid0(VALU_DEP_1) | instskip(NEXT) | instid1(VALU_DEP_1)
	v_fmac_f32_e32 v73, v70, v62
	v_fmac_f32_e32 v73, v71, v63
	s_delay_alu instid0(VALU_DEP_1) | instskip(SKIP_1) | instid1(VALU_DEP_1)
	v_fmac_f32_e32 v73, v72, v64
	s_waitcnt vmcnt(0)
	v_fmac_f32_e32 v73, v81, v65
	s_waitcnt lgkmcnt(0)
	s_delay_alu instid0(VALU_DEP_1) | instskip(NEXT) | instid1(VALU_DEP_1)
	v_fmac_f32_e32 v73, v82, v58
	v_sub_f32_e32 v57, v57, v73
	scratch_store_b32 off, v57, off offset:36
	v_cmpx_lt_u32_e32 8, v0
	s_cbranch_execz .LBB26_153
; %bb.152:
	scratch_load_b32 v57, off, off offset:32
	scratch_store_b32 off, v2, off offset:32
	s_waitcnt vmcnt(0)
	ds_store_b32 v1, v57
.LBB26_153:
	s_or_b32 exec_lo, exec_lo, s0
	s_waitcnt lgkmcnt(0)
	s_waitcnt_vscnt null, 0x0
	s_barrier
	buffer_gl0_inv
	s_clause 0x4
	scratch_load_b128 v[57:60], off, off offset:32
	scratch_load_b128 v[61:64], off, off offset:48
	;; [unrolled: 1-line block ×4, first 2 shown]
	scratch_load_b96 v[73:75], off, off offset:96
	ds_load_2addr_b32 v[76:77], v2 offset0:37 offset1:38
	ds_load_2addr_b32 v[78:79], v2 offset0:39 offset1:40
	;; [unrolled: 1-line block ×4, first 2 shown]
	s_mov_b32 s0, exec_lo
	s_waitcnt vmcnt(4) lgkmcnt(3)
	v_fma_f32 v76, v58, v76, 0
	s_delay_alu instid0(VALU_DEP_1) | instskip(SKIP_4) | instid1(VALU_DEP_1)
	v_fmac_f32_e32 v76, v59, v77
	ds_load_2addr_b32 v[58:59], v2 offset0:45 offset1:46
	s_waitcnt lgkmcnt(3)
	v_fmac_f32_e32 v76, v60, v78
	s_waitcnt vmcnt(3)
	v_fmac_f32_e32 v76, v61, v79
	ds_load_2addr_b32 v[60:61], v2 offset0:47 offset1:48
	s_waitcnt lgkmcnt(3)
	v_fmac_f32_e32 v76, v62, v80
	s_delay_alu instid0(VALU_DEP_1) | instskip(SKIP_1) | instid1(VALU_DEP_1)
	v_fmac_f32_e32 v76, v63, v81
	s_waitcnt lgkmcnt(2)
	v_fmac_f32_e32 v76, v64, v82
	s_waitcnt vmcnt(2)
	s_delay_alu instid0(VALU_DEP_1) | instskip(SKIP_4) | instid1(VALU_DEP_1)
	v_fmac_f32_e32 v76, v65, v83
	ds_load_2addr_b32 v[62:63], v2 offset0:49 offset1:50
	ds_load_2addr_b32 v[64:65], v2 offset0:51 offset1:52
	s_waitcnt lgkmcnt(3)
	v_fmac_f32_e32 v76, v66, v58
	v_fmac_f32_e32 v76, v67, v59
	ds_load_2addr_b32 v[58:59], v2 offset0:53 offset1:54
	s_waitcnt lgkmcnt(3)
	v_fmac_f32_e32 v76, v68, v60
	s_waitcnt vmcnt(1)
	s_delay_alu instid0(VALU_DEP_1) | instskip(SKIP_1) | instid1(VALU_DEP_1)
	v_fmac_f32_e32 v76, v69, v61
	s_waitcnt lgkmcnt(2)
	v_fmac_f32_e32 v76, v70, v62
	s_delay_alu instid0(VALU_DEP_1) | instskip(SKIP_1) | instid1(VALU_DEP_1)
	v_fmac_f32_e32 v76, v71, v63
	s_waitcnt lgkmcnt(1)
	v_fmac_f32_e32 v76, v72, v64
	s_waitcnt vmcnt(0)
	s_delay_alu instid0(VALU_DEP_1) | instskip(SKIP_1) | instid1(VALU_DEP_1)
	v_fmac_f32_e32 v76, v73, v65
	s_waitcnt lgkmcnt(0)
	v_fmac_f32_e32 v76, v74, v58
	s_delay_alu instid0(VALU_DEP_1) | instskip(NEXT) | instid1(VALU_DEP_1)
	v_fmac_f32_e32 v76, v75, v59
	v_sub_f32_e32 v2, v57, v76
	scratch_store_b32 off, v2, off offset:32
	v_cmpx_lt_u32_e32 7, v0
	s_cbranch_execz .LBB26_155
; %bb.154:
	scratch_load_b32 v2, off, off offset:28
	v_mov_b32_e32 v57, 0
	scratch_store_b32 off, v57, off offset:28
	s_waitcnt vmcnt(0)
	ds_store_b32 v1, v2
.LBB26_155:
	s_or_b32 exec_lo, exec_lo, s0
	s_waitcnt lgkmcnt(0)
	s_waitcnt_vscnt null, 0x0
	s_barrier
	buffer_gl0_inv
	s_clause 0x4
	scratch_load_b128 v[57:60], off, off offset:28
	scratch_load_b128 v[61:64], off, off offset:44
	;; [unrolled: 1-line block ×5, first 2 shown]
	v_mov_b32_e32 v2, 0
	ds_load_b128 v[77:80], v2 offset:144
	ds_load_b128 v[81:84], v2 offset:160
	s_mov_b32 s0, exec_lo
	s_waitcnt vmcnt(4) lgkmcnt(1)
	v_fma_f32 v77, v58, v77, 0
	s_delay_alu instid0(VALU_DEP_1) | instskip(NEXT) | instid1(VALU_DEP_1)
	v_fmac_f32_e32 v77, v59, v78
	v_fmac_f32_e32 v77, v60, v79
	s_waitcnt vmcnt(3)
	s_delay_alu instid0(VALU_DEP_1) | instskip(SKIP_3) | instid1(VALU_DEP_1)
	v_fmac_f32_e32 v77, v61, v80
	ds_load_b128 v[58:61], v2 offset:176
	s_waitcnt lgkmcnt(1)
	v_fmac_f32_e32 v77, v62, v81
	v_fmac_f32_e32 v77, v63, v82
	s_delay_alu instid0(VALU_DEP_1) | instskip(SKIP_1) | instid1(VALU_DEP_1)
	v_fmac_f32_e32 v77, v64, v83
	s_waitcnt vmcnt(2)
	v_fmac_f32_e32 v77, v65, v84
	ds_load_b128 v[62:65], v2 offset:192
	s_waitcnt lgkmcnt(1)
	v_fmac_f32_e32 v77, v66, v58
	s_delay_alu instid0(VALU_DEP_1) | instskip(NEXT) | instid1(VALU_DEP_1)
	v_fmac_f32_e32 v77, v67, v59
	v_fmac_f32_e32 v77, v68, v60
	ds_load_b96 v[58:60], v2 offset:208
	s_waitcnt vmcnt(1)
	v_fmac_f32_e32 v77, v69, v61
	s_waitcnt lgkmcnt(1)
	s_delay_alu instid0(VALU_DEP_1) | instskip(NEXT) | instid1(VALU_DEP_1)
	v_fmac_f32_e32 v77, v70, v62
	v_fmac_f32_e32 v77, v71, v63
	s_delay_alu instid0(VALU_DEP_1) | instskip(SKIP_1) | instid1(VALU_DEP_1)
	v_fmac_f32_e32 v77, v72, v64
	s_waitcnt vmcnt(0)
	v_fmac_f32_e32 v77, v73, v65
	s_waitcnt lgkmcnt(0)
	s_delay_alu instid0(VALU_DEP_1) | instskip(NEXT) | instid1(VALU_DEP_1)
	v_fmac_f32_e32 v77, v74, v58
	v_fmac_f32_e32 v77, v75, v59
	s_delay_alu instid0(VALU_DEP_1) | instskip(NEXT) | instid1(VALU_DEP_1)
	v_fmac_f32_e32 v77, v76, v60
	v_sub_f32_e32 v57, v57, v77
	scratch_store_b32 off, v57, off offset:28
	v_cmpx_lt_u32_e32 6, v0
	s_cbranch_execz .LBB26_157
; %bb.156:
	scratch_load_b32 v57, off, off offset:24
	scratch_store_b32 off, v2, off offset:24
	s_waitcnt vmcnt(0)
	ds_store_b32 v1, v57
.LBB26_157:
	s_or_b32 exec_lo, exec_lo, s0
	s_waitcnt lgkmcnt(0)
	s_waitcnt_vscnt null, 0x0
	s_barrier
	buffer_gl0_inv
	s_clause 0x5
	scratch_load_b128 v[57:60], off, off offset:24
	scratch_load_b128 v[61:64], off, off offset:40
	;; [unrolled: 1-line block ×5, first 2 shown]
	scratch_load_b32 v85, off, off offset:104
	ds_load_2addr_b32 v[77:78], v2 offset0:35 offset1:36
	ds_load_2addr_b32 v[79:80], v2 offset0:37 offset1:38
	;; [unrolled: 1-line block ×4, first 2 shown]
	s_mov_b32 s0, exec_lo
	s_waitcnt vmcnt(5) lgkmcnt(3)
	v_fma_f32 v77, v58, v77, 0
	s_delay_alu instid0(VALU_DEP_1) | instskip(SKIP_4) | instid1(VALU_DEP_1)
	v_fmac_f32_e32 v77, v59, v78
	ds_load_2addr_b32 v[58:59], v2 offset0:43 offset1:44
	s_waitcnt lgkmcnt(3)
	v_fmac_f32_e32 v77, v60, v79
	s_waitcnt vmcnt(4)
	v_fmac_f32_e32 v77, v61, v80
	ds_load_2addr_b32 v[60:61], v2 offset0:45 offset1:46
	s_waitcnt lgkmcnt(3)
	v_fmac_f32_e32 v77, v62, v81
	s_delay_alu instid0(VALU_DEP_1) | instskip(SKIP_1) | instid1(VALU_DEP_1)
	v_fmac_f32_e32 v77, v63, v82
	s_waitcnt lgkmcnt(2)
	v_fmac_f32_e32 v77, v64, v83
	s_waitcnt vmcnt(3)
	s_delay_alu instid0(VALU_DEP_1) | instskip(SKIP_4) | instid1(VALU_DEP_1)
	v_fmac_f32_e32 v77, v65, v84
	ds_load_2addr_b32 v[62:63], v2 offset0:47 offset1:48
	ds_load_2addr_b32 v[64:65], v2 offset0:49 offset1:50
	s_waitcnt lgkmcnt(3)
	v_fmac_f32_e32 v77, v66, v58
	v_fmac_f32_e32 v77, v67, v59
	ds_load_2addr_b32 v[58:59], v2 offset0:51 offset1:52
	s_waitcnt lgkmcnt(3)
	v_fmac_f32_e32 v77, v68, v60
	s_waitcnt vmcnt(2)
	s_delay_alu instid0(VALU_DEP_1) | instskip(SKIP_3) | instid1(VALU_DEP_1)
	v_fmac_f32_e32 v77, v69, v61
	ds_load_2addr_b32 v[60:61], v2 offset0:53 offset1:54
	s_waitcnt lgkmcnt(3)
	v_fmac_f32_e32 v77, v70, v62
	v_fmac_f32_e32 v77, v71, v63
	s_waitcnt lgkmcnt(2)
	s_delay_alu instid0(VALU_DEP_1) | instskip(SKIP_1) | instid1(VALU_DEP_1)
	v_fmac_f32_e32 v77, v72, v64
	s_waitcnt vmcnt(1)
	v_fmac_f32_e32 v77, v73, v65
	s_waitcnt lgkmcnt(1)
	s_delay_alu instid0(VALU_DEP_1) | instskip(NEXT) | instid1(VALU_DEP_1)
	v_fmac_f32_e32 v77, v74, v58
	v_fmac_f32_e32 v77, v75, v59
	s_waitcnt lgkmcnt(0)
	s_delay_alu instid0(VALU_DEP_1) | instskip(SKIP_1) | instid1(VALU_DEP_1)
	v_fmac_f32_e32 v77, v76, v60
	s_waitcnt vmcnt(0)
	v_fmac_f32_e32 v77, v85, v61
	s_delay_alu instid0(VALU_DEP_1)
	v_sub_f32_e32 v2, v57, v77
	scratch_store_b32 off, v2, off offset:24
	v_cmpx_lt_u32_e32 5, v0
	s_cbranch_execz .LBB26_159
; %bb.158:
	scratch_load_b32 v2, off, off offset:20
	v_mov_b32_e32 v57, 0
	scratch_store_b32 off, v57, off offset:20
	s_waitcnt vmcnt(0)
	ds_store_b32 v1, v2
.LBB26_159:
	s_or_b32 exec_lo, exec_lo, s0
	s_waitcnt lgkmcnt(0)
	s_waitcnt_vscnt null, 0x0
	s_barrier
	buffer_gl0_inv
	s_clause 0x5
	scratch_load_b128 v[57:60], off, off offset:20
	scratch_load_b128 v[61:64], off, off offset:36
	;; [unrolled: 1-line block ×5, first 2 shown]
	scratch_load_b64 v[85:86], off, off offset:100
	v_mov_b32_e32 v2, 0
	ds_load_2addr_b64 v[77:80], v2 offset0:17 offset1:18
	ds_load_2addr_b64 v[81:84], v2 offset0:19 offset1:20
	s_mov_b32 s0, exec_lo
	s_waitcnt vmcnt(5) lgkmcnt(1)
	v_fma_f32 v77, v58, v77, 0
	s_delay_alu instid0(VALU_DEP_1) | instskip(NEXT) | instid1(VALU_DEP_1)
	v_fmac_f32_e32 v77, v59, v78
	v_fmac_f32_e32 v77, v60, v79
	s_waitcnt vmcnt(4)
	s_delay_alu instid0(VALU_DEP_1) | instskip(SKIP_3) | instid1(VALU_DEP_1)
	v_fmac_f32_e32 v77, v61, v80
	ds_load_2addr_b64 v[58:61], v2 offset0:21 offset1:22
	s_waitcnt lgkmcnt(1)
	v_fmac_f32_e32 v77, v62, v81
	v_fmac_f32_e32 v77, v63, v82
	s_delay_alu instid0(VALU_DEP_1) | instskip(SKIP_1) | instid1(VALU_DEP_1)
	v_fmac_f32_e32 v77, v64, v83
	s_waitcnt vmcnt(3)
	v_fmac_f32_e32 v77, v65, v84
	ds_load_2addr_b64 v[62:65], v2 offset0:23 offset1:24
	s_waitcnt lgkmcnt(1)
	v_fmac_f32_e32 v77, v66, v58
	s_delay_alu instid0(VALU_DEP_1) | instskip(NEXT) | instid1(VALU_DEP_1)
	v_fmac_f32_e32 v77, v67, v59
	v_fmac_f32_e32 v77, v68, v60
	s_waitcnt vmcnt(2)
	s_delay_alu instid0(VALU_DEP_1)
	v_fmac_f32_e32 v77, v69, v61
	ds_load_2addr_b64 v[58:61], v2 offset0:25 offset1:26
	s_waitcnt lgkmcnt(1)
	v_fmac_f32_e32 v77, v70, v62
	ds_load_b32 v62, v2 offset:216
	v_fmac_f32_e32 v77, v71, v63
	s_delay_alu instid0(VALU_DEP_1) | instskip(SKIP_1) | instid1(VALU_DEP_1)
	v_fmac_f32_e32 v77, v72, v64
	s_waitcnt vmcnt(1)
	v_fmac_f32_e32 v77, v73, v65
	s_waitcnt lgkmcnt(1)
	s_delay_alu instid0(VALU_DEP_1) | instskip(NEXT) | instid1(VALU_DEP_1)
	v_fmac_f32_e32 v77, v74, v58
	v_fmac_f32_e32 v77, v75, v59
	s_delay_alu instid0(VALU_DEP_1) | instskip(SKIP_1) | instid1(VALU_DEP_1)
	v_fmac_f32_e32 v77, v76, v60
	s_waitcnt vmcnt(0)
	v_fmac_f32_e32 v77, v85, v61
	s_waitcnt lgkmcnt(0)
	s_delay_alu instid0(VALU_DEP_1) | instskip(NEXT) | instid1(VALU_DEP_1)
	v_fmac_f32_e32 v77, v86, v62
	v_sub_f32_e32 v57, v57, v77
	scratch_store_b32 off, v57, off offset:20
	v_cmpx_lt_u32_e32 4, v0
	s_cbranch_execz .LBB26_161
; %bb.160:
	scratch_load_b32 v57, off, off offset:16
	scratch_store_b32 off, v2, off offset:16
	s_waitcnt vmcnt(0)
	ds_store_b32 v1, v57
.LBB26_161:
	s_or_b32 exec_lo, exec_lo, s0
	s_waitcnt lgkmcnt(0)
	s_waitcnt_vscnt null, 0x0
	s_barrier
	buffer_gl0_inv
	s_clause 0x5
	scratch_load_b128 v[57:60], off, off offset:16
	scratch_load_b128 v[61:64], off, off offset:32
	;; [unrolled: 1-line block ×5, first 2 shown]
	scratch_load_b96 v[77:79], off, off offset:96
	ds_load_2addr_b32 v[80:81], v2 offset0:33 offset1:34
	ds_load_2addr_b32 v[82:83], v2 offset0:35 offset1:36
	;; [unrolled: 1-line block ×4, first 2 shown]
	s_mov_b32 s0, exec_lo
	s_waitcnt vmcnt(5) lgkmcnt(3)
	v_fma_f32 v80, v58, v80, 0
	s_delay_alu instid0(VALU_DEP_1) | instskip(SKIP_4) | instid1(VALU_DEP_1)
	v_fmac_f32_e32 v80, v59, v81
	ds_load_2addr_b32 v[58:59], v2 offset0:41 offset1:42
	s_waitcnt lgkmcnt(3)
	v_fmac_f32_e32 v80, v60, v82
	s_waitcnt vmcnt(4)
	v_fmac_f32_e32 v80, v61, v83
	ds_load_2addr_b32 v[60:61], v2 offset0:43 offset1:44
	s_waitcnt lgkmcnt(3)
	v_fmac_f32_e32 v80, v62, v84
	s_delay_alu instid0(VALU_DEP_1) | instskip(SKIP_1) | instid1(VALU_DEP_1)
	v_fmac_f32_e32 v80, v63, v85
	s_waitcnt lgkmcnt(2)
	v_fmac_f32_e32 v80, v64, v86
	s_waitcnt vmcnt(3)
	s_delay_alu instid0(VALU_DEP_1) | instskip(SKIP_4) | instid1(VALU_DEP_1)
	v_fmac_f32_e32 v80, v65, v87
	ds_load_2addr_b32 v[62:63], v2 offset0:45 offset1:46
	ds_load_2addr_b32 v[64:65], v2 offset0:47 offset1:48
	s_waitcnt lgkmcnt(3)
	v_fmac_f32_e32 v80, v66, v58
	v_fmac_f32_e32 v80, v67, v59
	ds_load_2addr_b32 v[58:59], v2 offset0:49 offset1:50
	s_waitcnt lgkmcnt(3)
	v_fmac_f32_e32 v80, v68, v60
	s_waitcnt vmcnt(2)
	s_delay_alu instid0(VALU_DEP_1) | instskip(SKIP_3) | instid1(VALU_DEP_1)
	v_fmac_f32_e32 v80, v69, v61
	ds_load_2addr_b32 v[60:61], v2 offset0:51 offset1:52
	s_waitcnt lgkmcnt(3)
	v_fmac_f32_e32 v80, v70, v62
	v_fmac_f32_e32 v80, v71, v63
	ds_load_2addr_b32 v[62:63], v2 offset0:53 offset1:54
	s_waitcnt lgkmcnt(3)
	v_fmac_f32_e32 v80, v72, v64
	s_waitcnt vmcnt(1)
	s_delay_alu instid0(VALU_DEP_1) | instskip(SKIP_1) | instid1(VALU_DEP_1)
	v_fmac_f32_e32 v80, v73, v65
	s_waitcnt lgkmcnt(2)
	v_fmac_f32_e32 v80, v74, v58
	s_delay_alu instid0(VALU_DEP_1) | instskip(SKIP_1) | instid1(VALU_DEP_1)
	v_fmac_f32_e32 v80, v75, v59
	s_waitcnt lgkmcnt(1)
	v_fmac_f32_e32 v80, v76, v60
	s_waitcnt vmcnt(0)
	s_delay_alu instid0(VALU_DEP_1) | instskip(SKIP_1) | instid1(VALU_DEP_1)
	v_fmac_f32_e32 v80, v77, v61
	s_waitcnt lgkmcnt(0)
	v_fmac_f32_e32 v80, v78, v62
	s_delay_alu instid0(VALU_DEP_1) | instskip(NEXT) | instid1(VALU_DEP_1)
	v_fmac_f32_e32 v80, v79, v63
	v_sub_f32_e32 v2, v57, v80
	scratch_store_b32 off, v2, off offset:16
	v_cmpx_lt_u32_e32 3, v0
	s_cbranch_execz .LBB26_163
; %bb.162:
	scratch_load_b32 v2, off, off offset:12
	v_mov_b32_e32 v57, 0
	scratch_store_b32 off, v57, off offset:12
	s_waitcnt vmcnt(0)
	ds_store_b32 v1, v2
.LBB26_163:
	s_or_b32 exec_lo, exec_lo, s0
	s_waitcnt lgkmcnt(0)
	s_waitcnt_vscnt null, 0x0
	s_barrier
	buffer_gl0_inv
	s_clause 0x5
	scratch_load_b128 v[57:60], off, off offset:12
	scratch_load_b128 v[61:64], off, off offset:28
	;; [unrolled: 1-line block ×6, first 2 shown]
	v_mov_b32_e32 v2, 0
	ds_load_b128 v[81:84], v2 offset:128
	ds_load_b128 v[85:88], v2 offset:144
	s_mov_b32 s0, exec_lo
	s_waitcnt vmcnt(5) lgkmcnt(1)
	v_fma_f32 v81, v58, v81, 0
	s_delay_alu instid0(VALU_DEP_1) | instskip(NEXT) | instid1(VALU_DEP_1)
	v_fmac_f32_e32 v81, v59, v82
	v_fmac_f32_e32 v81, v60, v83
	s_waitcnt vmcnt(4)
	s_delay_alu instid0(VALU_DEP_1) | instskip(SKIP_3) | instid1(VALU_DEP_1)
	v_fmac_f32_e32 v81, v61, v84
	ds_load_b128 v[58:61], v2 offset:160
	s_waitcnt lgkmcnt(1)
	v_fmac_f32_e32 v81, v62, v85
	v_fmac_f32_e32 v81, v63, v86
	s_delay_alu instid0(VALU_DEP_1) | instskip(SKIP_1) | instid1(VALU_DEP_1)
	v_fmac_f32_e32 v81, v64, v87
	s_waitcnt vmcnt(3)
	v_fmac_f32_e32 v81, v65, v88
	ds_load_b128 v[62:65], v2 offset:176
	s_waitcnt lgkmcnt(1)
	v_fmac_f32_e32 v81, v66, v58
	s_delay_alu instid0(VALU_DEP_1) | instskip(NEXT) | instid1(VALU_DEP_1)
	v_fmac_f32_e32 v81, v67, v59
	v_fmac_f32_e32 v81, v68, v60
	s_waitcnt vmcnt(2)
	s_delay_alu instid0(VALU_DEP_1) | instskip(SKIP_3) | instid1(VALU_DEP_1)
	v_fmac_f32_e32 v81, v69, v61
	ds_load_b128 v[58:61], v2 offset:192
	s_waitcnt lgkmcnt(1)
	v_fmac_f32_e32 v81, v70, v62
	v_fmac_f32_e32 v81, v71, v63
	s_delay_alu instid0(VALU_DEP_1) | instskip(SKIP_4) | instid1(VALU_DEP_1)
	v_fmac_f32_e32 v81, v72, v64
	ds_load_b96 v[62:64], v2 offset:208
	s_waitcnt vmcnt(1)
	v_fmac_f32_e32 v81, v73, v65
	s_waitcnt lgkmcnt(1)
	v_fmac_f32_e32 v81, v74, v58
	s_delay_alu instid0(VALU_DEP_1) | instskip(NEXT) | instid1(VALU_DEP_1)
	v_fmac_f32_e32 v81, v75, v59
	v_fmac_f32_e32 v81, v76, v60
	s_waitcnt vmcnt(0)
	s_delay_alu instid0(VALU_DEP_1) | instskip(SKIP_1) | instid1(VALU_DEP_1)
	v_fmac_f32_e32 v81, v77, v61
	s_waitcnt lgkmcnt(0)
	v_fmac_f32_e32 v81, v78, v62
	s_delay_alu instid0(VALU_DEP_1) | instskip(NEXT) | instid1(VALU_DEP_1)
	v_fmac_f32_e32 v81, v79, v63
	v_fmac_f32_e32 v81, v80, v64
	s_delay_alu instid0(VALU_DEP_1)
	v_sub_f32_e32 v57, v57, v81
	scratch_store_b32 off, v57, off offset:12
	v_cmpx_lt_u32_e32 2, v0
	s_cbranch_execz .LBB26_165
; %bb.164:
	scratch_load_b32 v57, off, off offset:8
	scratch_store_b32 off, v2, off offset:8
	s_waitcnt vmcnt(0)
	ds_store_b32 v1, v57
.LBB26_165:
	s_or_b32 exec_lo, exec_lo, s0
	s_waitcnt lgkmcnt(0)
	s_waitcnt_vscnt null, 0x0
	s_barrier
	buffer_gl0_inv
	s_clause 0x6
	scratch_load_b128 v[57:60], off, off offset:8
	scratch_load_b128 v[61:64], off, off offset:24
	;; [unrolled: 1-line block ×6, first 2 shown]
	scratch_load_b32 v89, off, off offset:104
	ds_load_2addr_b32 v[81:82], v2 offset0:31 offset1:32
	ds_load_2addr_b32 v[83:84], v2 offset0:33 offset1:34
	;; [unrolled: 1-line block ×4, first 2 shown]
	s_mov_b32 s0, exec_lo
	s_waitcnt vmcnt(6) lgkmcnt(3)
	v_fma_f32 v81, v58, v81, 0
	s_delay_alu instid0(VALU_DEP_1) | instskip(SKIP_4) | instid1(VALU_DEP_1)
	v_fmac_f32_e32 v81, v59, v82
	ds_load_2addr_b32 v[58:59], v2 offset0:39 offset1:40
	s_waitcnt lgkmcnt(3)
	v_fmac_f32_e32 v81, v60, v83
	s_waitcnt vmcnt(5)
	v_fmac_f32_e32 v81, v61, v84
	ds_load_2addr_b32 v[60:61], v2 offset0:41 offset1:42
	s_waitcnt lgkmcnt(3)
	v_fmac_f32_e32 v81, v62, v85
	s_delay_alu instid0(VALU_DEP_1) | instskip(SKIP_1) | instid1(VALU_DEP_1)
	v_fmac_f32_e32 v81, v63, v86
	s_waitcnt lgkmcnt(2)
	v_fmac_f32_e32 v81, v64, v87
	s_waitcnt vmcnt(4)
	s_delay_alu instid0(VALU_DEP_1) | instskip(SKIP_4) | instid1(VALU_DEP_1)
	v_fmac_f32_e32 v81, v65, v88
	ds_load_2addr_b32 v[62:63], v2 offset0:43 offset1:44
	ds_load_2addr_b32 v[64:65], v2 offset0:45 offset1:46
	s_waitcnt lgkmcnt(3)
	v_fmac_f32_e32 v81, v66, v58
	v_fmac_f32_e32 v81, v67, v59
	ds_load_2addr_b32 v[58:59], v2 offset0:47 offset1:48
	s_waitcnt lgkmcnt(3)
	v_fmac_f32_e32 v81, v68, v60
	s_waitcnt vmcnt(3)
	s_delay_alu instid0(VALU_DEP_1) | instskip(SKIP_3) | instid1(VALU_DEP_1)
	v_fmac_f32_e32 v81, v69, v61
	ds_load_2addr_b32 v[60:61], v2 offset0:49 offset1:50
	s_waitcnt lgkmcnt(3)
	v_fmac_f32_e32 v81, v70, v62
	v_fmac_f32_e32 v81, v71, v63
	s_waitcnt lgkmcnt(2)
	s_delay_alu instid0(VALU_DEP_1) | instskip(SKIP_1) | instid1(VALU_DEP_1)
	v_fmac_f32_e32 v81, v72, v64
	s_waitcnt vmcnt(2)
	v_fmac_f32_e32 v81, v73, v65
	ds_load_2addr_b32 v[62:63], v2 offset0:51 offset1:52
	ds_load_2addr_b32 v[64:65], v2 offset0:53 offset1:54
	s_waitcnt lgkmcnt(3)
	v_fmac_f32_e32 v81, v74, v58
	s_delay_alu instid0(VALU_DEP_1) | instskip(SKIP_1) | instid1(VALU_DEP_1)
	v_fmac_f32_e32 v81, v75, v59
	s_waitcnt lgkmcnt(2)
	v_fmac_f32_e32 v81, v76, v60
	s_waitcnt vmcnt(1)
	s_delay_alu instid0(VALU_DEP_1) | instskip(SKIP_1) | instid1(VALU_DEP_1)
	v_fmac_f32_e32 v81, v77, v61
	s_waitcnt lgkmcnt(1)
	v_fmac_f32_e32 v81, v78, v62
	s_delay_alu instid0(VALU_DEP_1) | instskip(SKIP_1) | instid1(VALU_DEP_1)
	v_fmac_f32_e32 v81, v79, v63
	s_waitcnt lgkmcnt(0)
	v_fmac_f32_e32 v81, v80, v64
	s_waitcnt vmcnt(0)
	s_delay_alu instid0(VALU_DEP_1) | instskip(NEXT) | instid1(VALU_DEP_1)
	v_fmac_f32_e32 v81, v89, v65
	v_sub_f32_e32 v2, v57, v81
	scratch_store_b32 off, v2, off offset:8
	v_cmpx_lt_u32_e32 1, v0
	s_cbranch_execz .LBB26_167
; %bb.166:
	scratch_load_b32 v2, off, off offset:4
	v_mov_b32_e32 v57, 0
	scratch_store_b32 off, v57, off offset:4
	s_waitcnt vmcnt(0)
	ds_store_b32 v1, v2
.LBB26_167:
	s_or_b32 exec_lo, exec_lo, s0
	s_waitcnt lgkmcnt(0)
	s_waitcnt_vscnt null, 0x0
	s_barrier
	buffer_gl0_inv
	s_clause 0x6
	scratch_load_b128 v[58:61], off, off offset:4
	scratch_load_b128 v[62:65], off, off offset:20
	;; [unrolled: 1-line block ×6, first 2 shown]
	scratch_load_b64 v[90:91], off, off offset:100
	v_mov_b32_e32 v57, 0
	ds_load_2addr_b64 v[82:85], v57 offset0:15 offset1:16
	ds_load_2addr_b64 v[86:89], v57 offset0:17 offset1:18
	s_mov_b32 s0, exec_lo
	s_waitcnt vmcnt(6) lgkmcnt(1)
	v_fma_f32 v2, v59, v82, 0
	s_delay_alu instid0(VALU_DEP_1) | instskip(NEXT) | instid1(VALU_DEP_1)
	v_fmac_f32_e32 v2, v60, v83
	v_fmac_f32_e32 v2, v61, v84
	s_waitcnt vmcnt(5)
	s_delay_alu instid0(VALU_DEP_1) | instskip(SKIP_3) | instid1(VALU_DEP_1)
	v_fmac_f32_e32 v2, v62, v85
	ds_load_2addr_b64 v[59:62], v57 offset0:19 offset1:20
	s_waitcnt lgkmcnt(1)
	v_fmac_f32_e32 v2, v63, v86
	v_fmac_f32_e32 v2, v64, v87
	s_delay_alu instid0(VALU_DEP_1) | instskip(SKIP_1) | instid1(VALU_DEP_1)
	v_fmac_f32_e32 v2, v65, v88
	s_waitcnt vmcnt(4)
	v_fmac_f32_e32 v2, v66, v89
	ds_load_2addr_b64 v[63:66], v57 offset0:21 offset1:22
	s_waitcnt lgkmcnt(1)
	v_fmac_f32_e32 v2, v67, v59
	s_delay_alu instid0(VALU_DEP_1) | instskip(NEXT) | instid1(VALU_DEP_1)
	v_fmac_f32_e32 v2, v68, v60
	v_fmac_f32_e32 v2, v69, v61
	s_waitcnt vmcnt(3)
	s_delay_alu instid0(VALU_DEP_1) | instskip(SKIP_3) | instid1(VALU_DEP_1)
	v_fmac_f32_e32 v2, v70, v62
	ds_load_2addr_b64 v[59:62], v57 offset0:23 offset1:24
	s_waitcnt lgkmcnt(1)
	v_fmac_f32_e32 v2, v71, v63
	v_fmac_f32_e32 v2, v72, v64
	s_delay_alu instid0(VALU_DEP_1) | instskip(SKIP_1) | instid1(VALU_DEP_1)
	v_fmac_f32_e32 v2, v73, v65
	s_waitcnt vmcnt(2)
	v_fmac_f32_e32 v2, v74, v66
	ds_load_2addr_b64 v[63:66], v57 offset0:25 offset1:26
	s_waitcnt lgkmcnt(1)
	v_fmac_f32_e32 v2, v75, v59
	ds_load_b32 v59, v57 offset:216
	v_fmac_f32_e32 v2, v76, v60
	s_delay_alu instid0(VALU_DEP_1) | instskip(SKIP_1) | instid1(VALU_DEP_1)
	v_fmac_f32_e32 v2, v77, v61
	s_waitcnt vmcnt(1)
	v_fmac_f32_e32 v2, v78, v62
	s_waitcnt lgkmcnt(1)
	s_delay_alu instid0(VALU_DEP_1) | instskip(NEXT) | instid1(VALU_DEP_1)
	v_fmac_f32_e32 v2, v79, v63
	v_fmac_f32_e32 v2, v80, v64
	s_delay_alu instid0(VALU_DEP_1) | instskip(SKIP_1) | instid1(VALU_DEP_1)
	v_fmac_f32_e32 v2, v81, v65
	s_waitcnt vmcnt(0)
	v_fmac_f32_e32 v2, v90, v66
	s_waitcnt lgkmcnt(0)
	s_delay_alu instid0(VALU_DEP_1) | instskip(NEXT) | instid1(VALU_DEP_1)
	v_fmac_f32_e32 v2, v91, v59
	v_sub_f32_e32 v2, v58, v2
	scratch_store_b32 off, v2, off offset:4
	v_cmpx_ne_u32_e32 0, v0
	s_cbranch_execz .LBB26_169
; %bb.168:
	scratch_load_b32 v0, off, off
	scratch_store_b32 off, v57, off
	s_waitcnt vmcnt(0)
	ds_store_b32 v1, v0
.LBB26_169:
	s_or_b32 exec_lo, exec_lo, s0
	s_waitcnt lgkmcnt(0)
	s_waitcnt_vscnt null, 0x0
	s_barrier
	buffer_gl0_inv
	s_clause 0x6
	scratch_load_b128 v[58:61], off, off
	scratch_load_b128 v[62:65], off, off offset:16
	scratch_load_b128 v[66:69], off, off offset:32
	;; [unrolled: 1-line block ×5, first 2 shown]
	scratch_load_b96 v[0:2], off, off offset:96
	ds_load_2addr_b32 v[82:83], v57 offset0:29 offset1:30
	ds_load_2addr_b32 v[84:85], v57 offset0:31 offset1:32
	;; [unrolled: 1-line block ×4, first 2 shown]
	s_and_b32 vcc_lo, exec_lo, s16
	s_waitcnt vmcnt(6) lgkmcnt(3)
	v_fma_f32 v82, v59, v82, 0
	s_delay_alu instid0(VALU_DEP_1) | instskip(SKIP_4) | instid1(VALU_DEP_1)
	v_fmac_f32_e32 v82, v60, v83
	ds_load_2addr_b32 v[59:60], v57 offset0:37 offset1:38
	s_waitcnt lgkmcnt(3)
	v_fmac_f32_e32 v82, v61, v84
	s_waitcnt vmcnt(5)
	v_fmac_f32_e32 v82, v62, v85
	ds_load_2addr_b32 v[61:62], v57 offset0:39 offset1:40
	s_waitcnt lgkmcnt(3)
	v_fmac_f32_e32 v82, v63, v86
	s_delay_alu instid0(VALU_DEP_1) | instskip(SKIP_1) | instid1(VALU_DEP_1)
	v_fmac_f32_e32 v82, v64, v87
	s_waitcnt lgkmcnt(2)
	v_fmac_f32_e32 v82, v65, v88
	s_waitcnt vmcnt(4)
	s_delay_alu instid0(VALU_DEP_1) | instskip(SKIP_4) | instid1(VALU_DEP_1)
	v_fmac_f32_e32 v82, v66, v89
	ds_load_2addr_b32 v[63:64], v57 offset0:41 offset1:42
	ds_load_2addr_b32 v[65:66], v57 offset0:43 offset1:44
	s_waitcnt lgkmcnt(3)
	v_fmac_f32_e32 v82, v67, v59
	v_fmac_f32_e32 v82, v68, v60
	ds_load_2addr_b32 v[59:60], v57 offset0:45 offset1:46
	s_waitcnt lgkmcnt(3)
	v_fmac_f32_e32 v82, v69, v61
	s_waitcnt vmcnt(3)
	s_delay_alu instid0(VALU_DEP_1) | instskip(SKIP_3) | instid1(VALU_DEP_1)
	v_fmac_f32_e32 v82, v70, v62
	ds_load_2addr_b32 v[61:62], v57 offset0:47 offset1:48
	s_waitcnt lgkmcnt(3)
	v_fmac_f32_e32 v82, v71, v63
	v_fmac_f32_e32 v82, v72, v64
	s_waitcnt lgkmcnt(2)
	s_delay_alu instid0(VALU_DEP_1) | instskip(SKIP_1) | instid1(VALU_DEP_1)
	v_fmac_f32_e32 v82, v73, v65
	s_waitcnt vmcnt(2)
	v_fmac_f32_e32 v82, v74, v66
	ds_load_2addr_b32 v[63:64], v57 offset0:49 offset1:50
	ds_load_2addr_b32 v[65:66], v57 offset0:51 offset1:52
	s_waitcnt lgkmcnt(3)
	v_fmac_f32_e32 v82, v75, v59
	s_delay_alu instid0(VALU_DEP_1) | instskip(SKIP_4) | instid1(VALU_DEP_1)
	v_fmac_f32_e32 v82, v76, v60
	ds_load_2addr_b32 v[59:60], v57 offset0:53 offset1:54
	s_waitcnt lgkmcnt(3)
	v_fmac_f32_e32 v82, v77, v61
	s_waitcnt vmcnt(1)
	v_fmac_f32_e32 v82, v78, v62
	s_waitcnt lgkmcnt(2)
	s_delay_alu instid0(VALU_DEP_1) | instskip(NEXT) | instid1(VALU_DEP_1)
	v_fmac_f32_e32 v82, v79, v63
	v_fmac_f32_e32 v82, v80, v64
	s_waitcnt lgkmcnt(1)
	s_delay_alu instid0(VALU_DEP_1) | instskip(SKIP_1) | instid1(VALU_DEP_1)
	v_fmac_f32_e32 v82, v81, v65
	s_waitcnt vmcnt(0)
	v_fmac_f32_e32 v82, v0, v66
	s_waitcnt lgkmcnt(0)
	s_delay_alu instid0(VALU_DEP_1) | instskip(NEXT) | instid1(VALU_DEP_1)
	v_fmac_f32_e32 v82, v1, v59
	v_fmac_f32_e32 v82, v2, v60
	s_delay_alu instid0(VALU_DEP_1)
	v_sub_f32_e32 v0, v58, v82
	scratch_store_b32 off, v0, off
	s_cbranch_vccz .LBB26_223
; %bb.170:
	v_dual_mov_b32 v58, s13 :: v_dual_mov_b32 v57, s12
	s_mov_b32 s0, exec_lo
	flat_load_b32 v0, v[57:58] offset:100
	s_waitcnt vmcnt(0) lgkmcnt(0)
	v_cmpx_ne_u32_e32 26, v0
	s_cbranch_execz .LBB26_172
; %bb.171:
	v_lshl_add_u32 v0, v0, 2, 0
	scratch_load_b32 v2, v0, off offset:-4
	s_waitcnt vmcnt(0)
	scratch_store_b32 off, v2, off offset:100
	scratch_store_b32 v0, v1, off offset:-4
.LBB26_172:
	s_or_b32 exec_lo, exec_lo, s0
	v_dual_mov_b32 v0, s12 :: v_dual_mov_b32 v1, s13
	s_mov_b32 s0, exec_lo
	flat_load_b32 v0, v[0:1] offset:96
	s_waitcnt vmcnt(0) lgkmcnt(0)
	v_cmpx_ne_u32_e32 25, v0
	s_cbranch_execz .LBB26_174
; %bb.173:
	v_lshl_add_u32 v0, v0, 2, 0
	scratch_load_b32 v1, v0, off offset:-4
	scratch_load_b32 v2, off, off offset:96
	s_waitcnt vmcnt(1)
	scratch_store_b32 off, v1, off offset:96
	s_waitcnt vmcnt(0)
	scratch_store_b32 v0, v2, off offset:-4
.LBB26_174:
	s_or_b32 exec_lo, exec_lo, s0
	v_dual_mov_b32 v0, s12 :: v_dual_mov_b32 v1, s13
	s_mov_b32 s0, exec_lo
	flat_load_b32 v0, v[0:1] offset:92
	s_waitcnt vmcnt(0) lgkmcnt(0)
	v_cmpx_ne_u32_e32 24, v0
	s_cbranch_execz .LBB26_176
; %bb.175:
	v_lshl_add_u32 v0, v0, 2, 0
	scratch_load_b32 v1, v0, off offset:-4
	scratch_load_b32 v2, off, off offset:92
	s_waitcnt vmcnt(1)
	scratch_store_b32 off, v1, off offset:92
	s_waitcnt vmcnt(0)
	scratch_store_b32 v0, v2, off offset:-4
.LBB26_176:
	;; [unrolled: 16-line block ×24, first 2 shown]
	s_or_b32 exec_lo, exec_lo, s0
	v_dual_mov_b32 v0, s12 :: v_dual_mov_b32 v1, s13
	s_mov_b32 s0, exec_lo
	flat_load_b32 v1, v[0:1]
	scratch_load_b32 v0, off, off
	s_waitcnt vmcnt(1) lgkmcnt(0)
	v_cmpx_ne_u32_e32 1, v1
	s_cbranch_execz .LBB26_222
; %bb.221:
	v_lshl_add_u32 v1, v1, 2, 0
	scratch_load_b32 v2, v1, off offset:-4
	s_waitcnt vmcnt(0)
	scratch_store_b32 off, v2, off
	scratch_store_b32 v1, v0, off offset:-4
	scratch_load_b32 v0, off, off
.LBB26_222:
	s_or_b32 exec_lo, exec_lo, s0
.LBB26_223:
	s_clause 0x6
	scratch_load_b128 v[57:60], off, off offset:4
	scratch_load_b128 v[61:64], off, off offset:20
	;; [unrolled: 1-line block ×6, first 2 shown]
	scratch_load_b64 v[1:2], off, off offset:100
	s_waitcnt vmcnt(7)
	global_store_b32 v[3:4], v0, off
	s_waitcnt vmcnt(6)
	s_clause 0x3
	global_store_b32 v[5:6], v57, off
	global_store_b32 v[7:8], v58, off
	global_store_b32 v[9:10], v59, off
	global_store_b32 v[11:12], v60, off
	s_waitcnt vmcnt(5)
	s_clause 0x3
	global_store_b32 v[13:14], v61, off
	global_store_b32 v[15:16], v62, off
	global_store_b32 v[17:18], v63, off
	;; [unrolled: 6-line block ×6, first 2 shown]
	global_store_b32 v[51:52], v80, off
	s_waitcnt vmcnt(0)
	s_clause 0x1
	global_store_b32 v[53:54], v1, off
	global_store_b32 v[55:56], v2, off
	s_endpgm
	.section	.rodata,"a",@progbits
	.p2align	6, 0x0
	.amdhsa_kernel _ZN9rocsolver6v33100L18getri_kernel_smallILi27EfPfEEvT1_iilPiilS4_bb
		.amdhsa_group_segment_fixed_size 220
		.amdhsa_private_segment_fixed_size 112
		.amdhsa_kernarg_size 60
		.amdhsa_user_sgpr_count 15
		.amdhsa_user_sgpr_dispatch_ptr 0
		.amdhsa_user_sgpr_queue_ptr 0
		.amdhsa_user_sgpr_kernarg_segment_ptr 1
		.amdhsa_user_sgpr_dispatch_id 0
		.amdhsa_user_sgpr_private_segment_size 0
		.amdhsa_wavefront_size32 1
		.amdhsa_uses_dynamic_stack 0
		.amdhsa_enable_private_segment 1
		.amdhsa_system_sgpr_workgroup_id_x 1
		.amdhsa_system_sgpr_workgroup_id_y 0
		.amdhsa_system_sgpr_workgroup_id_z 0
		.amdhsa_system_sgpr_workgroup_info 0
		.amdhsa_system_vgpr_workitem_id 0
		.amdhsa_next_free_vgpr 92
		.amdhsa_next_free_sgpr 18
		.amdhsa_reserve_vcc 1
		.amdhsa_float_round_mode_32 0
		.amdhsa_float_round_mode_16_64 0
		.amdhsa_float_denorm_mode_32 3
		.amdhsa_float_denorm_mode_16_64 3
		.amdhsa_dx10_clamp 1
		.amdhsa_ieee_mode 1
		.amdhsa_fp16_overflow 0
		.amdhsa_workgroup_processor_mode 1
		.amdhsa_memory_ordered 1
		.amdhsa_forward_progress 0
		.amdhsa_shared_vgpr_count 0
		.amdhsa_exception_fp_ieee_invalid_op 0
		.amdhsa_exception_fp_denorm_src 0
		.amdhsa_exception_fp_ieee_div_zero 0
		.amdhsa_exception_fp_ieee_overflow 0
		.amdhsa_exception_fp_ieee_underflow 0
		.amdhsa_exception_fp_ieee_inexact 0
		.amdhsa_exception_int_div_zero 0
	.end_amdhsa_kernel
	.section	.text._ZN9rocsolver6v33100L18getri_kernel_smallILi27EfPfEEvT1_iilPiilS4_bb,"axG",@progbits,_ZN9rocsolver6v33100L18getri_kernel_smallILi27EfPfEEvT1_iilPiilS4_bb,comdat
.Lfunc_end26:
	.size	_ZN9rocsolver6v33100L18getri_kernel_smallILi27EfPfEEvT1_iilPiilS4_bb, .Lfunc_end26-_ZN9rocsolver6v33100L18getri_kernel_smallILi27EfPfEEvT1_iilPiilS4_bb
                                        ; -- End function
	.section	.AMDGPU.csdata,"",@progbits
; Kernel info:
; codeLenInByte = 16032
; NumSgprs: 20
; NumVgprs: 92
; ScratchSize: 112
; MemoryBound: 0
; FloatMode: 240
; IeeeMode: 1
; LDSByteSize: 220 bytes/workgroup (compile time only)
; SGPRBlocks: 2
; VGPRBlocks: 11
; NumSGPRsForWavesPerEU: 20
; NumVGPRsForWavesPerEU: 92
; Occupancy: 16
; WaveLimiterHint : 1
; COMPUTE_PGM_RSRC2:SCRATCH_EN: 1
; COMPUTE_PGM_RSRC2:USER_SGPR: 15
; COMPUTE_PGM_RSRC2:TRAP_HANDLER: 0
; COMPUTE_PGM_RSRC2:TGID_X_EN: 1
; COMPUTE_PGM_RSRC2:TGID_Y_EN: 0
; COMPUTE_PGM_RSRC2:TGID_Z_EN: 0
; COMPUTE_PGM_RSRC2:TIDIG_COMP_CNT: 0
	.section	.text._ZN9rocsolver6v33100L18getri_kernel_smallILi28EfPfEEvT1_iilPiilS4_bb,"axG",@progbits,_ZN9rocsolver6v33100L18getri_kernel_smallILi28EfPfEEvT1_iilPiilS4_bb,comdat
	.globl	_ZN9rocsolver6v33100L18getri_kernel_smallILi28EfPfEEvT1_iilPiilS4_bb ; -- Begin function _ZN9rocsolver6v33100L18getri_kernel_smallILi28EfPfEEvT1_iilPiilS4_bb
	.p2align	8
	.type	_ZN9rocsolver6v33100L18getri_kernel_smallILi28EfPfEEvT1_iilPiilS4_bb,@function
_ZN9rocsolver6v33100L18getri_kernel_smallILi28EfPfEEvT1_iilPiilS4_bb: ; @_ZN9rocsolver6v33100L18getri_kernel_smallILi28EfPfEEvT1_iilPiilS4_bb
; %bb.0:
	s_mov_b32 s2, exec_lo
	v_cmpx_gt_u32_e32 28, v0
	s_cbranch_execz .LBB27_120
; %bb.1:
	s_clause 0x2
	s_load_b32 s17, s[0:1], 0x38
	s_load_b128 s[8:11], s[0:1], 0x10
	s_load_b128 s[4:7], s[0:1], 0x28
	s_mov_b32 s14, s15
                                        ; implicit-def: $sgpr12_sgpr13
	s_waitcnt lgkmcnt(0)
	s_bitcmp1_b32 s17, 8
	s_cselect_b32 s16, -1, 0
	s_bfe_u32 s2, s17, 0x10008
	s_ashr_i32 s15, s15, 31
	s_cmp_eq_u32 s2, 0
	s_cbranch_scc1 .LBB27_3
; %bb.2:
	s_load_b32 s2, s[0:1], 0x20
	s_mul_i32 s3, s14, s5
	s_mul_hi_u32 s5, s14, s4
	s_mul_i32 s12, s15, s4
	s_add_i32 s3, s5, s3
	s_mul_i32 s4, s14, s4
	s_add_i32 s5, s3, s12
	s_delay_alu instid0(SALU_CYCLE_1)
	s_lshl_b64 s[4:5], s[4:5], 2
	s_waitcnt lgkmcnt(0)
	s_ashr_i32 s3, s2, 31
	s_add_u32 s4, s10, s4
	s_addc_u32 s5, s11, s5
	s_lshl_b64 s[2:3], s[2:3], 2
	s_delay_alu instid0(SALU_CYCLE_1)
	s_add_u32 s12, s4, s2
	s_addc_u32 s13, s5, s3
.LBB27_3:
	s_load_b128 s[0:3], s[0:1], 0x0
	s_mul_i32 s4, s14, s9
	s_mul_hi_u32 s5, s14, s8
	s_mul_i32 s9, s15, s8
	s_add_i32 s5, s5, s4
	s_mul_i32 s4, s14, s8
	s_add_i32 s5, s5, s9
	v_lshlrev_b32_e32 v1, 2, v0
	s_lshl_b64 s[4:5], s[4:5], 2
	s_waitcnt lgkmcnt(0)
	v_add3_u32 v2, s3, s3, v0
	s_ashr_i32 s9, s2, 31
	s_mov_b32 s8, s2
	s_add_u32 s2, s0, s4
	s_addc_u32 s5, s1, s5
	v_add_nc_u32_e32 v8, s3, v2
	s_lshl_b64 s[0:1], s[8:9], 2
	v_ashrrev_i32_e32 v3, 31, v2
	s_add_u32 s0, s2, s0
	s_addc_u32 s1, s5, s1
	v_add_nc_u32_e32 v10, s3, v8
	v_add_co_u32 v4, s2, s0, v1
	s_mov_b32 s4, s3
	s_ashr_i32 s5, s3, 31
	s_delay_alu instid0(VALU_DEP_2) | instskip(SKIP_3) | instid1(VALU_DEP_4)
	v_add_nc_u32_e32 v14, s3, v10
	v_add_co_ci_u32_e64 v5, null, s1, 0, s2
	v_lshlrev_b64 v[2:3], 2, v[2:3]
	v_ashrrev_i32_e32 v9, 31, v8
	v_add_nc_u32_e32 v16, s3, v14
	s_lshl_b64 s[4:5], s[4:5], 2
	v_ashrrev_i32_e32 v11, 31, v10
	v_add_co_u32 v6, vcc_lo, v4, s4
	s_delay_alu instid0(VALU_DEP_3)
	v_add_nc_u32_e32 v18, s3, v16
	v_add_co_ci_u32_e32 v7, vcc_lo, s5, v5, vcc_lo
	v_lshlrev_b64 v[12:13], 2, v[8:9]
	v_add_co_u32 v8, vcc_lo, s0, v2
	v_add_co_ci_u32_e32 v9, vcc_lo, s1, v3, vcc_lo
	v_lshlrev_b64 v[2:3], 2, v[10:11]
	v_ashrrev_i32_e32 v15, 31, v14
	v_add_nc_u32_e32 v20, s3, v18
	v_add_co_u32 v10, vcc_lo, s0, v12
	v_ashrrev_i32_e32 v17, 31, v16
	v_add_co_ci_u32_e32 v11, vcc_lo, s1, v13, vcc_lo
	v_lshlrev_b64 v[14:15], 2, v[14:15]
	v_add_co_u32 v12, vcc_lo, s0, v2
	v_add_nc_u32_e32 v22, s3, v20
	v_add_co_ci_u32_e32 v13, vcc_lo, s1, v3, vcc_lo
	v_lshlrev_b64 v[2:3], 2, v[16:17]
	v_ashrrev_i32_e32 v19, 31, v18
	v_add_co_u32 v14, vcc_lo, s0, v14
	v_ashrrev_i32_e32 v21, 31, v20
	v_add_nc_u32_e32 v24, s3, v22
	v_add_co_ci_u32_e32 v15, vcc_lo, s1, v15, vcc_lo
	v_lshlrev_b64 v[18:19], 2, v[18:19]
	v_add_co_u32 v16, vcc_lo, s0, v2
	v_add_co_ci_u32_e32 v17, vcc_lo, s1, v3, vcc_lo
	v_lshlrev_b64 v[2:3], 2, v[20:21]
	v_add_nc_u32_e32 v26, s3, v24
	v_add_co_u32 v18, vcc_lo, s0, v18
	v_ashrrev_i32_e32 v23, 31, v22
	v_add_co_ci_u32_e32 v19, vcc_lo, s1, v19, vcc_lo
	s_delay_alu instid0(VALU_DEP_4)
	v_add_nc_u32_e32 v28, s3, v26
	v_add_co_u32 v20, vcc_lo, s0, v2
	v_add_co_ci_u32_e32 v21, vcc_lo, s1, v3, vcc_lo
	v_lshlrev_b64 v[2:3], 2, v[22:23]
	v_ashrrev_i32_e32 v25, 31, v24
	v_add_nc_u32_e32 v30, s3, v28
	v_ashrrev_i32_e32 v27, 31, v26
	v_ashrrev_i32_e32 v29, 31, v28
	global_load_b32 v60, v1, s[0:1]
	v_lshlrev_b64 v[24:25], 2, v[24:25]
	v_add_co_u32 v22, vcc_lo, s0, v2
	v_add_nc_u32_e32 v32, s3, v30
	v_add_co_ci_u32_e32 v23, vcc_lo, s1, v3, vcc_lo
	v_lshlrev_b64 v[2:3], 2, v[26:27]
	v_add_co_u32 v24, vcc_lo, s0, v24
	v_ashrrev_i32_e32 v31, 31, v30
	v_add_nc_u32_e32 v34, s3, v32
	v_add_co_ci_u32_e32 v25, vcc_lo, s1, v25, vcc_lo
	v_lshlrev_b64 v[28:29], 2, v[28:29]
	v_add_co_u32 v26, vcc_lo, s0, v2
	v_add_co_ci_u32_e32 v27, vcc_lo, s1, v3, vcc_lo
	v_lshlrev_b64 v[2:3], 2, v[30:31]
	v_ashrrev_i32_e32 v33, 31, v32
	v_add_nc_u32_e32 v36, s3, v34
	v_add_co_u32 v28, vcc_lo, s0, v28
	v_ashrrev_i32_e32 v35, 31, v34
	v_add_co_ci_u32_e32 v29, vcc_lo, s1, v29, vcc_lo
	v_lshlrev_b64 v[32:33], 2, v[32:33]
	v_add_co_u32 v30, vcc_lo, s0, v2
	v_ashrrev_i32_e32 v37, 31, v36
	v_add_co_ci_u32_e32 v31, vcc_lo, s1, v3, vcc_lo
	v_lshlrev_b64 v[2:3], 2, v[34:35]
	v_add_nc_u32_e32 v39, s3, v36
	v_add_co_u32 v32, vcc_lo, s0, v32
	v_lshlrev_b64 v[37:38], 2, v[36:37]
	v_add_co_ci_u32_e32 v33, vcc_lo, s1, v33, vcc_lo
	v_add_co_u32 v34, vcc_lo, s0, v2
	v_ashrrev_i32_e32 v40, 31, v39
	v_add_nc_u32_e32 v2, s3, v39
	v_add_co_ci_u32_e32 v35, vcc_lo, s1, v3, vcc_lo
	v_add_co_u32 v36, vcc_lo, s0, v37
	v_add_co_ci_u32_e32 v37, vcc_lo, s1, v38, vcc_lo
	v_lshlrev_b64 v[38:39], 2, v[39:40]
	v_add_nc_u32_e32 v40, s3, v2
	v_ashrrev_i32_e32 v3, 31, v2
	s_clause 0xf
	global_load_b32 v61, v[6:7], off
	global_load_b32 v62, v[8:9], off
	;; [unrolled: 1-line block ×16, first 2 shown]
	s_bitcmp0_b32 s17, 0
	v_add_nc_u32_e32 v42, s3, v40
	v_lshlrev_b64 v[2:3], 2, v[2:3]
	v_ashrrev_i32_e32 v41, 31, v40
	v_add_co_u32 v38, vcc_lo, s0, v38
	s_delay_alu instid0(VALU_DEP_4) | instskip(SKIP_3) | instid1(VALU_DEP_4)
	v_add_nc_u32_e32 v46, s3, v42
	v_ashrrev_i32_e32 v43, 31, v42
	v_add_co_ci_u32_e32 v39, vcc_lo, s1, v39, vcc_lo
	v_lshlrev_b64 v[44:45], 2, v[40:41]
	v_add_nc_u32_e32 v48, s3, v46
	v_add_co_u32 v40, vcc_lo, s0, v2
	v_add_co_ci_u32_e32 v41, vcc_lo, s1, v3, vcc_lo
	s_delay_alu instid0(VALU_DEP_3) | instskip(SKIP_3) | instid1(VALU_DEP_4)
	v_add_nc_u32_e32 v50, s3, v48
	v_lshlrev_b64 v[2:3], 2, v[42:43]
	v_ashrrev_i32_e32 v47, 31, v46
	v_add_co_u32 v42, vcc_lo, s0, v44
	v_add_nc_u32_e32 v52, s3, v50
	v_ashrrev_i32_e32 v49, 31, v48
	v_add_co_ci_u32_e32 v43, vcc_lo, s1, v45, vcc_lo
	v_lshlrev_b64 v[46:47], 2, v[46:47]
	v_add_co_u32 v44, vcc_lo, s0, v2
	v_add_nc_u32_e32 v54, s3, v52
	v_add_co_ci_u32_e32 v45, vcc_lo, s1, v3, vcc_lo
	v_lshlrev_b64 v[2:3], 2, v[48:49]
	v_ashrrev_i32_e32 v51, 31, v50
	v_add_co_u32 v46, vcc_lo, s0, v46
	v_ashrrev_i32_e32 v53, 31, v52
	v_add_nc_u32_e32 v56, s3, v54
	v_add_co_ci_u32_e32 v47, vcc_lo, s1, v47, vcc_lo
	v_lshlrev_b64 v[50:51], 2, v[50:51]
	v_add_co_u32 v48, vcc_lo, s0, v2
	v_add_co_ci_u32_e32 v49, vcc_lo, s1, v3, vcc_lo
	v_lshlrev_b64 v[2:3], 2, v[52:53]
	v_ashrrev_i32_e32 v55, 31, v54
	v_add_nc_u32_e32 v58, s3, v56
	v_add_co_u32 v50, vcc_lo, s0, v50
	v_ashrrev_i32_e32 v57, 31, v56
	v_add_co_ci_u32_e32 v51, vcc_lo, s1, v51, vcc_lo
	v_lshlrev_b64 v[54:55], 2, v[54:55]
	v_add_co_u32 v52, vcc_lo, s0, v2
	v_ashrrev_i32_e32 v59, 31, v58
	v_add_co_ci_u32_e32 v53, vcc_lo, s1, v3, vcc_lo
	v_lshlrev_b64 v[2:3], 2, v[56:57]
	v_add_co_u32 v54, vcc_lo, s0, v54
	s_delay_alu instid0(VALU_DEP_4) | instskip(SKIP_1) | instid1(VALU_DEP_4)
	v_lshlrev_b64 v[58:59], 2, v[58:59]
	v_add_co_ci_u32_e32 v55, vcc_lo, s1, v55, vcc_lo
	v_add_co_u32 v56, vcc_lo, s0, v2
	v_add_co_ci_u32_e32 v57, vcc_lo, s1, v3, vcc_lo
	s_delay_alu instid0(VALU_DEP_4)
	v_add_co_u32 v58, vcc_lo, s0, v58
	v_add_co_ci_u32_e32 v59, vcc_lo, s1, v59, vcc_lo
	s_clause 0xa
	global_load_b32 v77, v[38:39], off
	global_load_b32 v78, v[40:41], off
	;; [unrolled: 1-line block ×11, first 2 shown]
	s_mov_b32 s1, -1
	s_waitcnt vmcnt(24)
	scratch_store_b128 off, v[60:63], off
	s_waitcnt vmcnt(20)
	scratch_store_b128 off, v[64:67], off offset:16
	s_waitcnt vmcnt(16)
	scratch_store_b128 off, v[68:71], off offset:32
	;; [unrolled: 2-line block ×6, first 2 shown]
	s_cbranch_scc1 .LBB27_118
; %bb.4:
	v_cmp_eq_u32_e64 s0, 0, v0
	s_delay_alu instid0(VALU_DEP_1)
	s_and_saveexec_b32 s1, s0
	s_cbranch_execz .LBB27_6
; %bb.5:
	v_mov_b32_e32 v2, 0
	ds_store_b32 v2, v2 offset:224
.LBB27_6:
	s_or_b32 exec_lo, exec_lo, s1
	s_waitcnt lgkmcnt(0)
	s_waitcnt_vscnt null, 0x0
	s_barrier
	buffer_gl0_inv
	scratch_load_b32 v2, v1, off
	s_mov_b32 s2, exec_lo
	s_waitcnt vmcnt(0)
	v_cmpx_eq_f32_e32 0, v2
	s_cbranch_execz .LBB27_10
; %bb.7:
	v_mov_b32_e32 v2, 0
	s_mov_b32 s3, 0
	ds_load_b32 v3, v2 offset:224
	s_waitcnt lgkmcnt(0)
	v_readfirstlane_b32 s1, v3
	v_add_nc_u32_e32 v3, 1, v0
	s_delay_alu instid0(VALU_DEP_2) | instskip(NEXT) | instid1(VALU_DEP_1)
	s_cmp_eq_u32 s1, 0
	v_cmp_gt_i32_e32 vcc_lo, s1, v3
	s_cselect_b32 s4, -1, 0
	s_delay_alu instid0(SALU_CYCLE_1) | instskip(NEXT) | instid1(SALU_CYCLE_1)
	s_or_b32 s4, s4, vcc_lo
	s_and_b32 exec_lo, exec_lo, s4
	s_cbranch_execz .LBB27_10
; %bb.8:
	v_mov_b32_e32 v60, s1
.LBB27_9:                               ; =>This Inner Loop Header: Depth=1
	ds_cmpstore_rtn_b32 v60, v2, v3, v60 offset:224
	s_waitcnt lgkmcnt(0)
	v_cmp_ne_u32_e32 vcc_lo, 0, v60
	v_cmp_le_i32_e64 s1, v60, v3
	s_delay_alu instid0(VALU_DEP_1) | instskip(NEXT) | instid1(SALU_CYCLE_1)
	s_and_b32 s1, vcc_lo, s1
	s_and_b32 s1, exec_lo, s1
	s_delay_alu instid0(SALU_CYCLE_1) | instskip(NEXT) | instid1(SALU_CYCLE_1)
	s_or_b32 s3, s1, s3
	s_and_not1_b32 exec_lo, exec_lo, s3
	s_cbranch_execnz .LBB27_9
.LBB27_10:
	s_or_b32 exec_lo, exec_lo, s2
	v_mov_b32_e32 v2, 0
	s_barrier
	buffer_gl0_inv
	ds_load_b32 v3, v2 offset:224
	s_and_saveexec_b32 s1, s0
	s_cbranch_execz .LBB27_12
; %bb.11:
	s_lshl_b64 s[2:3], s[14:15], 2
	s_delay_alu instid0(SALU_CYCLE_1)
	s_add_u32 s2, s6, s2
	s_addc_u32 s3, s7, s3
	s_waitcnt lgkmcnt(0)
	global_store_b32 v2, v3, s[2:3]
.LBB27_12:
	s_or_b32 exec_lo, exec_lo, s1
	s_waitcnt lgkmcnt(0)
	v_cmp_ne_u32_e32 vcc_lo, 0, v3
	s_mov_b32 s1, 0
	s_cbranch_vccnz .LBB27_118
; %bb.13:
	v_add_nc_u32_e32 v2, 0, v1
	scratch_load_b32 v3, v2, off
	s_waitcnt vmcnt(0)
	v_div_scale_f32 v60, null, v3, v3, 1.0
	v_div_scale_f32 v63, vcc_lo, 1.0, v3, 1.0
	s_delay_alu instid0(VALU_DEP_2) | instskip(SKIP_2) | instid1(VALU_DEP_1)
	v_rcp_f32_e32 v61, v60
	s_waitcnt_depctr 0xfff
	v_fma_f32 v62, -v60, v61, 1.0
	v_fmac_f32_e32 v61, v62, v61
	s_delay_alu instid0(VALU_DEP_1) | instskip(NEXT) | instid1(VALU_DEP_1)
	v_mul_f32_e32 v62, v63, v61
	v_fma_f32 v64, -v60, v62, v63
	s_delay_alu instid0(VALU_DEP_1) | instskip(NEXT) | instid1(VALU_DEP_1)
	v_fmac_f32_e32 v62, v64, v61
	v_fma_f32 v60, -v60, v62, v63
	s_delay_alu instid0(VALU_DEP_1) | instskip(NEXT) | instid1(VALU_DEP_1)
	v_div_fmas_f32 v60, v60, v61, v62
	v_div_fixup_f32 v3, v60, v3, 1.0
	scratch_store_b32 v2, v3, off
	scratch_load_b32 v60, off, off offset:4
	v_xor_b32_e32 v61, 0x80000000, v3
	v_add_nc_u32_e32 v3, 0x70, v1
	s_waitcnt vmcnt(0)
	ds_store_2addr_b32 v1, v61, v60 offset1:28
	s_waitcnt lgkmcnt(0)
	s_waitcnt_vscnt null, 0x0
	s_barrier
	buffer_gl0_inv
	s_and_saveexec_b32 s1, s0
	s_cbranch_execz .LBB27_15
; %bb.14:
	scratch_load_b32 v60, v2, off
	ds_load_b32 v61, v3
	v_mov_b32_e32 v62, 0
	ds_load_b32 v62, v62 offset:4
	s_waitcnt vmcnt(0) lgkmcnt(1)
	v_fma_f32 v60, v60, v61, 0
	s_waitcnt lgkmcnt(0)
	s_delay_alu instid0(VALU_DEP_1)
	v_mul_f32_e32 v60, v60, v62
	scratch_store_b32 off, v60, off offset:4
.LBB27_15:
	s_or_b32 exec_lo, exec_lo, s1
	s_waitcnt_vscnt null, 0x0
	s_barrier
	buffer_gl0_inv
	scratch_load_b32 v60, off, off offset:8
	s_mov_b32 s1, exec_lo
	s_waitcnt vmcnt(0)
	ds_store_b32 v3, v60
	s_waitcnt lgkmcnt(0)
	s_barrier
	buffer_gl0_inv
	v_cmpx_gt_u32_e32 2, v0
	s_cbranch_execz .LBB27_17
; %bb.16:
	scratch_load_b32 v62, v2, off
	scratch_load_b32 v63, off, off offset:4
	ds_load_b32 v64, v3
	v_mov_b32_e32 v60, 0
	ds_load_2addr_b32 v[60:61], v60 offset0:2 offset1:29
	s_waitcnt vmcnt(1) lgkmcnt(1)
	v_fma_f32 v62, v62, v64, 0
	s_waitcnt vmcnt(0) lgkmcnt(0)
	s_delay_alu instid0(VALU_DEP_1) | instskip(NEXT) | instid1(VALU_DEP_1)
	v_fma_f32 v61, v63, v61, v62
	v_cndmask_b32_e64 v61, v62, v61, s0
	s_delay_alu instid0(VALU_DEP_1)
	v_mul_f32_e32 v60, v61, v60
	scratch_store_b32 off, v60, off offset:8
.LBB27_17:
	s_or_b32 exec_lo, exec_lo, s1
	s_waitcnt_vscnt null, 0x0
	s_barrier
	buffer_gl0_inv
	scratch_load_b32 v61, off, off offset:12
	v_add_nc_u32_e32 v60, -1, v0
	s_mov_b32 s0, exec_lo
	s_waitcnt vmcnt(0)
	ds_store_b32 v3, v61
	s_waitcnt lgkmcnt(0)
	s_barrier
	buffer_gl0_inv
	v_cmpx_gt_u32_e32 3, v0
	s_cbranch_execz .LBB27_21
; %bb.18:
	v_dual_mov_b32 v61, 0 :: v_dual_add_nc_u32 v62, -1, v0
	v_add_nc_u32_e32 v63, 0x70, v1
	v_add_nc_u32_e32 v64, 0, v1
	s_mov_b32 s1, 0
.LBB27_19:                              ; =>This Inner Loop Header: Depth=1
	scratch_load_b32 v65, v64, off
	ds_load_b32 v66, v63
	v_add_nc_u32_e32 v62, 1, v62
	v_add_nc_u32_e32 v63, 4, v63
	v_add_nc_u32_e32 v64, 4, v64
	s_delay_alu instid0(VALU_DEP_3)
	v_cmp_lt_u32_e32 vcc_lo, 1, v62
	s_or_b32 s1, vcc_lo, s1
	s_waitcnt vmcnt(0) lgkmcnt(0)
	v_fmac_f32_e32 v61, v65, v66
	s_and_not1_b32 exec_lo, exec_lo, s1
	s_cbranch_execnz .LBB27_19
; %bb.20:
	s_or_b32 exec_lo, exec_lo, s1
	v_mov_b32_e32 v62, 0
	ds_load_b32 v62, v62 offset:12
	s_waitcnt lgkmcnt(0)
	v_mul_f32_e32 v61, v61, v62
	scratch_store_b32 off, v61, off offset:12
.LBB27_21:
	s_or_b32 exec_lo, exec_lo, s0
	s_waitcnt_vscnt null, 0x0
	s_barrier
	buffer_gl0_inv
	scratch_load_b32 v61, off, off offset:16
	s_mov_b32 s0, exec_lo
	s_waitcnt vmcnt(0)
	ds_store_b32 v3, v61
	s_waitcnt lgkmcnt(0)
	s_barrier
	buffer_gl0_inv
	v_cmpx_gt_u32_e32 4, v0
	s_cbranch_execz .LBB27_25
; %bb.22:
	v_dual_mov_b32 v61, 0 :: v_dual_add_nc_u32 v62, -1, v0
	v_add_nc_u32_e32 v63, 0x70, v1
	v_add_nc_u32_e32 v64, 0, v1
	s_mov_b32 s1, 0
.LBB27_23:                              ; =>This Inner Loop Header: Depth=1
	scratch_load_b32 v65, v64, off
	ds_load_b32 v66, v63
	v_add_nc_u32_e32 v62, 1, v62
	v_add_nc_u32_e32 v63, 4, v63
	v_add_nc_u32_e32 v64, 4, v64
	s_delay_alu instid0(VALU_DEP_3)
	v_cmp_lt_u32_e32 vcc_lo, 2, v62
	s_or_b32 s1, vcc_lo, s1
	s_waitcnt vmcnt(0) lgkmcnt(0)
	v_fmac_f32_e32 v61, v65, v66
	s_and_not1_b32 exec_lo, exec_lo, s1
	s_cbranch_execnz .LBB27_23
; %bb.24:
	s_or_b32 exec_lo, exec_lo, s1
	v_mov_b32_e32 v62, 0
	ds_load_b32 v62, v62 offset:16
	s_waitcnt lgkmcnt(0)
	v_mul_f32_e32 v61, v61, v62
	scratch_store_b32 off, v61, off offset:16
.LBB27_25:
	s_or_b32 exec_lo, exec_lo, s0
	s_waitcnt_vscnt null, 0x0
	s_barrier
	buffer_gl0_inv
	scratch_load_b32 v61, off, off offset:20
	;; [unrolled: 39-line block ×21, first 2 shown]
	s_mov_b32 s0, exec_lo
	s_waitcnt vmcnt(0)
	ds_store_b32 v3, v61
	s_waitcnt lgkmcnt(0)
	s_barrier
	buffer_gl0_inv
	v_cmpx_gt_u32_e32 24, v0
	s_cbranch_execz .LBB27_105
; %bb.102:
	v_dual_mov_b32 v61, 0 :: v_dual_add_nc_u32 v62, -1, v0
	v_add_nc_u32_e32 v63, 0x70, v1
	v_add_nc_u32_e32 v64, 0, v1
	s_mov_b32 s1, 0
.LBB27_103:                             ; =>This Inner Loop Header: Depth=1
	scratch_load_b32 v65, v64, off
	ds_load_b32 v66, v63
	v_add_nc_u32_e32 v62, 1, v62
	v_add_nc_u32_e32 v63, 4, v63
	;; [unrolled: 1-line block ×3, first 2 shown]
	s_delay_alu instid0(VALU_DEP_3)
	v_cmp_lt_u32_e32 vcc_lo, 22, v62
	s_or_b32 s1, vcc_lo, s1
	s_waitcnt vmcnt(0) lgkmcnt(0)
	v_fmac_f32_e32 v61, v65, v66
	s_and_not1_b32 exec_lo, exec_lo, s1
	s_cbranch_execnz .LBB27_103
; %bb.104:
	s_or_b32 exec_lo, exec_lo, s1
	v_mov_b32_e32 v62, 0
	ds_load_b32 v62, v62 offset:96
	s_waitcnt lgkmcnt(0)
	v_mul_f32_e32 v61, v61, v62
	scratch_store_b32 off, v61, off offset:96
.LBB27_105:
	s_or_b32 exec_lo, exec_lo, s0
	s_waitcnt_vscnt null, 0x0
	s_barrier
	buffer_gl0_inv
	scratch_load_b32 v61, off, off offset:100
	s_mov_b32 s0, exec_lo
	s_waitcnt vmcnt(0)
	ds_store_b32 v3, v61
	s_waitcnt lgkmcnt(0)
	s_barrier
	buffer_gl0_inv
	v_cmpx_gt_u32_e32 25, v0
	s_cbranch_execz .LBB27_109
; %bb.106:
	v_dual_mov_b32 v61, 0 :: v_dual_add_nc_u32 v62, -1, v0
	v_add_nc_u32_e32 v63, 0x70, v1
	v_add_nc_u32_e32 v64, 0, v1
	s_mov_b32 s1, 0
.LBB27_107:                             ; =>This Inner Loop Header: Depth=1
	scratch_load_b32 v65, v64, off
	ds_load_b32 v66, v63
	v_add_nc_u32_e32 v62, 1, v62
	v_add_nc_u32_e32 v63, 4, v63
	;; [unrolled: 1-line block ×3, first 2 shown]
	s_delay_alu instid0(VALU_DEP_3)
	v_cmp_lt_u32_e32 vcc_lo, 23, v62
	s_or_b32 s1, vcc_lo, s1
	s_waitcnt vmcnt(0) lgkmcnt(0)
	v_fmac_f32_e32 v61, v65, v66
	s_and_not1_b32 exec_lo, exec_lo, s1
	s_cbranch_execnz .LBB27_107
; %bb.108:
	s_or_b32 exec_lo, exec_lo, s1
	v_mov_b32_e32 v62, 0
	ds_load_b32 v62, v62 offset:100
	s_waitcnt lgkmcnt(0)
	v_mul_f32_e32 v61, v61, v62
	scratch_store_b32 off, v61, off offset:100
.LBB27_109:
	s_or_b32 exec_lo, exec_lo, s0
	s_waitcnt_vscnt null, 0x0
	s_barrier
	buffer_gl0_inv
	scratch_load_b32 v61, off, off offset:104
	s_mov_b32 s0, exec_lo
	s_waitcnt vmcnt(0)
	ds_store_b32 v3, v61
	s_waitcnt lgkmcnt(0)
	s_barrier
	buffer_gl0_inv
	v_cmpx_gt_u32_e32 26, v0
	s_cbranch_execz .LBB27_113
; %bb.110:
	v_add_nc_u32_e32 v61, -1, v0
	v_add_nc_u32_e32 v62, 0x70, v1
	v_add_nc_u32_e32 v63, 0, v1
	v_mov_b32_e32 v1, 0
	s_mov_b32 s1, 0
.LBB27_111:                             ; =>This Inner Loop Header: Depth=1
	scratch_load_b32 v64, v63, off
	ds_load_b32 v65, v62
	v_add_nc_u32_e32 v61, 1, v61
	v_add_nc_u32_e32 v62, 4, v62
	;; [unrolled: 1-line block ×3, first 2 shown]
	s_delay_alu instid0(VALU_DEP_3)
	v_cmp_lt_u32_e32 vcc_lo, 24, v61
	s_or_b32 s1, vcc_lo, s1
	s_waitcnt vmcnt(0) lgkmcnt(0)
	v_fmac_f32_e32 v1, v64, v65
	s_and_not1_b32 exec_lo, exec_lo, s1
	s_cbranch_execnz .LBB27_111
; %bb.112:
	s_or_b32 exec_lo, exec_lo, s1
	v_mov_b32_e32 v61, 0
	ds_load_b32 v61, v61 offset:104
	s_waitcnt lgkmcnt(0)
	v_mul_f32_e32 v1, v1, v61
	scratch_store_b32 off, v1, off offset:104
.LBB27_113:
	s_or_b32 exec_lo, exec_lo, s0
	s_waitcnt_vscnt null, 0x0
	s_barrier
	buffer_gl0_inv
	scratch_load_b32 v1, off, off offset:108
	s_mov_b32 s0, exec_lo
	s_waitcnt vmcnt(0)
	ds_store_b32 v3, v1
	s_waitcnt lgkmcnt(0)
	s_barrier
	buffer_gl0_inv
	v_cmpx_ne_u32_e32 27, v0
	s_cbranch_execz .LBB27_117
; %bb.114:
	v_mov_b32_e32 v1, 0
	s_mov_b32 s1, 0
.LBB27_115:                             ; =>This Inner Loop Header: Depth=1
	scratch_load_b32 v61, v2, off
	ds_load_b32 v62, v3
	v_add_nc_u32_e32 v60, 1, v60
	v_add_nc_u32_e32 v3, 4, v3
	;; [unrolled: 1-line block ×3, first 2 shown]
	s_waitcnt vmcnt(0) lgkmcnt(0)
	v_fmac_f32_e32 v1, v61, v62
	v_cmp_lt_u32_e32 vcc_lo, 25, v60
	s_or_b32 s1, vcc_lo, s1
	s_delay_alu instid0(SALU_CYCLE_1)
	s_and_not1_b32 exec_lo, exec_lo, s1
	s_cbranch_execnz .LBB27_115
; %bb.116:
	s_or_b32 exec_lo, exec_lo, s1
	v_mov_b32_e32 v2, 0
	ds_load_b32 v2, v2 offset:108
	s_waitcnt lgkmcnt(0)
	v_mul_f32_e32 v1, v1, v2
	scratch_store_b32 off, v1, off offset:108
.LBB27_117:
	s_or_b32 exec_lo, exec_lo, s0
	s_mov_b32 s1, -1
	s_waitcnt_vscnt null, 0x0
	s_barrier
	buffer_gl0_inv
.LBB27_118:
	s_and_b32 vcc_lo, exec_lo, s1
	s_cbranch_vccz .LBB27_120
; %bb.119:
	s_lshl_b64 s[0:1], s[14:15], 2
	v_mov_b32_e32 v1, 0
	s_add_u32 s0, s6, s0
	s_addc_u32 s1, s7, s1
	global_load_b32 v1, v1, s[0:1]
	s_waitcnt vmcnt(0)
	v_cmp_ne_u32_e32 vcc_lo, 0, v1
	s_cbranch_vccz .LBB27_121
.LBB27_120:
	s_endpgm
.LBB27_121:
	v_lshl_add_u32 v1, v0, 2, 0x70
	s_mov_b32 s0, exec_lo
	v_cmpx_eq_u32_e32 27, v0
	s_cbranch_execz .LBB27_123
; %bb.122:
	scratch_load_b32 v2, off, off offset:104
	v_mov_b32_e32 v3, 0
	scratch_store_b32 off, v3, off offset:104
	s_waitcnt vmcnt(0)
	ds_store_b32 v1, v2
.LBB27_123:
	s_or_b32 exec_lo, exec_lo, s0
	s_waitcnt lgkmcnt(0)
	s_waitcnt_vscnt null, 0x0
	s_barrier
	buffer_gl0_inv
	scratch_load_b64 v[60:61], off, off offset:104
	v_mov_b32_e32 v2, 0
	s_mov_b32 s0, exec_lo
	ds_load_b32 v3, v2 offset:220
	s_waitcnt vmcnt(0) lgkmcnt(0)
	v_fma_f32 v3, v61, v3, 0
	s_delay_alu instid0(VALU_DEP_1)
	v_sub_f32_e32 v3, v60, v3
	scratch_store_b32 off, v3, off offset:104
	v_cmpx_lt_u32_e32 25, v0
	s_cbranch_execz .LBB27_125
; %bb.124:
	scratch_load_b32 v3, off, off offset:100
	scratch_store_b32 off, v2, off offset:100
	s_waitcnt vmcnt(0)
	ds_store_b32 v1, v3
.LBB27_125:
	s_or_b32 exec_lo, exec_lo, s0
	s_waitcnt lgkmcnt(0)
	s_waitcnt_vscnt null, 0x0
	s_barrier
	buffer_gl0_inv
	scratch_load_b96 v[60:62], off, off offset:100
	ds_load_b64 v[2:3], v2 offset:216
	s_mov_b32 s0, exec_lo
	s_waitcnt vmcnt(0) lgkmcnt(0)
	v_fma_f32 v2, v61, v2, 0
	s_delay_alu instid0(VALU_DEP_1) | instskip(NEXT) | instid1(VALU_DEP_1)
	v_fmac_f32_e32 v2, v62, v3
	v_sub_f32_e32 v2, v60, v2
	scratch_store_b32 off, v2, off offset:100
	v_cmpx_lt_u32_e32 24, v0
	s_cbranch_execz .LBB27_127
; %bb.126:
	scratch_load_b32 v2, off, off offset:96
	v_mov_b32_e32 v3, 0
	scratch_store_b32 off, v3, off offset:96
	s_waitcnt vmcnt(0)
	ds_store_b32 v1, v2
.LBB27_127:
	s_or_b32 exec_lo, exec_lo, s0
	s_waitcnt lgkmcnt(0)
	s_waitcnt_vscnt null, 0x0
	s_barrier
	buffer_gl0_inv
	scratch_load_b128 v[60:63], off, off offset:96
	v_mov_b32_e32 v2, 0
	ds_load_2addr_b32 v[64:65], v2 offset0:53 offset1:54
	ds_load_b32 v3, v2 offset:220
	s_mov_b32 s0, exec_lo
	s_waitcnt vmcnt(0) lgkmcnt(1)
	v_fma_f32 v61, v61, v64, 0
	s_delay_alu instid0(VALU_DEP_1) | instskip(SKIP_1) | instid1(VALU_DEP_1)
	v_fmac_f32_e32 v61, v62, v65
	s_waitcnt lgkmcnt(0)
	v_fmac_f32_e32 v61, v63, v3
	s_delay_alu instid0(VALU_DEP_1)
	v_sub_f32_e32 v3, v60, v61
	scratch_store_b32 off, v3, off offset:96
	v_cmpx_lt_u32_e32 23, v0
	s_cbranch_execz .LBB27_129
; %bb.128:
	scratch_load_b32 v3, off, off offset:92
	scratch_store_b32 off, v2, off offset:92
	s_waitcnt vmcnt(0)
	ds_store_b32 v1, v3
.LBB27_129:
	s_or_b32 exec_lo, exec_lo, s0
	s_waitcnt lgkmcnt(0)
	s_waitcnt_vscnt null, 0x0
	s_barrier
	buffer_gl0_inv
	s_clause 0x1
	scratch_load_b128 v[60:63], off, off offset:92
	scratch_load_b32 v3, off, off offset:108
	ds_load_b128 v[64:67], v2 offset:208
	s_mov_b32 s0, exec_lo
	s_waitcnt vmcnt(1) lgkmcnt(0)
	v_fma_f32 v2, v61, v64, 0
	s_delay_alu instid0(VALU_DEP_1) | instskip(NEXT) | instid1(VALU_DEP_1)
	v_fmac_f32_e32 v2, v62, v65
	v_fmac_f32_e32 v2, v63, v66
	s_waitcnt vmcnt(0)
	s_delay_alu instid0(VALU_DEP_1) | instskip(NEXT) | instid1(VALU_DEP_1)
	v_fmac_f32_e32 v2, v3, v67
	v_sub_f32_e32 v2, v60, v2
	scratch_store_b32 off, v2, off offset:92
	v_cmpx_lt_u32_e32 22, v0
	s_cbranch_execz .LBB27_131
; %bb.130:
	scratch_load_b32 v2, off, off offset:88
	v_mov_b32_e32 v3, 0
	scratch_store_b32 off, v3, off offset:88
	s_waitcnt vmcnt(0)
	ds_store_b32 v1, v2
.LBB27_131:
	s_or_b32 exec_lo, exec_lo, s0
	s_waitcnt lgkmcnt(0)
	s_waitcnt_vscnt null, 0x0
	s_barrier
	buffer_gl0_inv
	s_clause 0x1
	scratch_load_b128 v[60:63], off, off offset:88
	scratch_load_b64 v[64:65], off, off offset:104
	v_mov_b32_e32 v2, 0
	ds_load_2addr_b32 v[66:67], v2 offset0:51 offset1:52
	ds_load_2addr_b32 v[68:69], v2 offset0:53 offset1:54
	ds_load_b32 v3, v2 offset:220
	s_mov_b32 s0, exec_lo
	s_waitcnt vmcnt(1) lgkmcnt(2)
	v_fma_f32 v61, v61, v66, 0
	s_delay_alu instid0(VALU_DEP_1) | instskip(SKIP_1) | instid1(VALU_DEP_1)
	v_fmac_f32_e32 v61, v62, v67
	s_waitcnt lgkmcnt(1)
	v_fmac_f32_e32 v61, v63, v68
	s_waitcnt vmcnt(0)
	s_delay_alu instid0(VALU_DEP_1) | instskip(SKIP_1) | instid1(VALU_DEP_1)
	v_fmac_f32_e32 v61, v64, v69
	s_waitcnt lgkmcnt(0)
	v_fmac_f32_e32 v61, v65, v3
	s_delay_alu instid0(VALU_DEP_1)
	v_sub_f32_e32 v3, v60, v61
	scratch_store_b32 off, v3, off offset:88
	v_cmpx_lt_u32_e32 21, v0
	s_cbranch_execz .LBB27_133
; %bb.132:
	scratch_load_b32 v3, off, off offset:84
	scratch_store_b32 off, v2, off offset:84
	s_waitcnt vmcnt(0)
	ds_store_b32 v1, v3
.LBB27_133:
	s_or_b32 exec_lo, exec_lo, s0
	s_waitcnt lgkmcnt(0)
	s_waitcnt_vscnt null, 0x0
	s_barrier
	buffer_gl0_inv
	s_clause 0x1
	scratch_load_b128 v[60:63], off, off offset:84
	scratch_load_b96 v[68:70], off, off offset:100
	ds_load_2addr_b64 v[64:67], v2 offset0:25 offset1:26
	ds_load_b64 v[2:3], v2 offset:216
	s_mov_b32 s0, exec_lo
	s_waitcnt vmcnt(1) lgkmcnt(1)
	v_fma_f32 v61, v61, v64, 0
	s_delay_alu instid0(VALU_DEP_1) | instskip(NEXT) | instid1(VALU_DEP_1)
	v_fmac_f32_e32 v61, v62, v65
	v_fmac_f32_e32 v61, v63, v66
	s_waitcnt vmcnt(0)
	s_delay_alu instid0(VALU_DEP_1) | instskip(SKIP_1) | instid1(VALU_DEP_1)
	v_fmac_f32_e32 v61, v68, v67
	s_waitcnt lgkmcnt(0)
	v_fmac_f32_e32 v61, v69, v2
	s_delay_alu instid0(VALU_DEP_1) | instskip(NEXT) | instid1(VALU_DEP_1)
	v_fmac_f32_e32 v61, v70, v3
	v_sub_f32_e32 v2, v60, v61
	scratch_store_b32 off, v2, off offset:84
	v_cmpx_lt_u32_e32 20, v0
	s_cbranch_execz .LBB27_135
; %bb.134:
	scratch_load_b32 v2, off, off offset:80
	v_mov_b32_e32 v3, 0
	scratch_store_b32 off, v3, off offset:80
	s_waitcnt vmcnt(0)
	ds_store_b32 v1, v2
.LBB27_135:
	s_or_b32 exec_lo, exec_lo, s0
	s_waitcnt lgkmcnt(0)
	s_waitcnt_vscnt null, 0x0
	s_barrier
	buffer_gl0_inv
	s_clause 0x1
	scratch_load_b128 v[60:63], off, off offset:80
	scratch_load_b128 v[64:67], off, off offset:96
	v_mov_b32_e32 v2, 0
	ds_load_2addr_b32 v[68:69], v2 offset0:49 offset1:50
	ds_load_2addr_b32 v[70:71], v2 offset0:51 offset1:52
	;; [unrolled: 1-line block ×3, first 2 shown]
	ds_load_b32 v3, v2 offset:220
	s_mov_b32 s0, exec_lo
	s_waitcnt vmcnt(1) lgkmcnt(3)
	v_fma_f32 v61, v61, v68, 0
	s_delay_alu instid0(VALU_DEP_1) | instskip(SKIP_1) | instid1(VALU_DEP_1)
	v_fmac_f32_e32 v61, v62, v69
	s_waitcnt lgkmcnt(2)
	v_fmac_f32_e32 v61, v63, v70
	s_waitcnt vmcnt(0)
	s_delay_alu instid0(VALU_DEP_1) | instskip(SKIP_1) | instid1(VALU_DEP_1)
	v_fmac_f32_e32 v61, v64, v71
	s_waitcnt lgkmcnt(1)
	v_fmac_f32_e32 v61, v65, v72
	s_delay_alu instid0(VALU_DEP_1) | instskip(SKIP_1) | instid1(VALU_DEP_1)
	v_fmac_f32_e32 v61, v66, v73
	s_waitcnt lgkmcnt(0)
	v_fmac_f32_e32 v61, v67, v3
	s_delay_alu instid0(VALU_DEP_1)
	v_sub_f32_e32 v3, v60, v61
	scratch_store_b32 off, v3, off offset:80
	v_cmpx_lt_u32_e32 19, v0
	s_cbranch_execz .LBB27_137
; %bb.136:
	scratch_load_b32 v3, off, off offset:76
	scratch_store_b32 off, v2, off offset:76
	s_waitcnt vmcnt(0)
	ds_store_b32 v1, v3
.LBB27_137:
	s_or_b32 exec_lo, exec_lo, s0
	s_waitcnt lgkmcnt(0)
	s_waitcnt_vscnt null, 0x0
	s_barrier
	buffer_gl0_inv
	s_clause 0x2
	scratch_load_b128 v[60:63], off, off offset:76
	scratch_load_b128 v[64:67], off, off offset:92
	scratch_load_b32 v3, off, off offset:108
	ds_load_b128 v[68:71], v2 offset:192
	ds_load_b128 v[72:75], v2 offset:208
	s_mov_b32 s0, exec_lo
	s_waitcnt vmcnt(2) lgkmcnt(1)
	v_fma_f32 v2, v61, v68, 0
	s_delay_alu instid0(VALU_DEP_1) | instskip(NEXT) | instid1(VALU_DEP_1)
	v_fmac_f32_e32 v2, v62, v69
	v_fmac_f32_e32 v2, v63, v70
	s_waitcnt vmcnt(1)
	s_delay_alu instid0(VALU_DEP_1) | instskip(SKIP_1) | instid1(VALU_DEP_1)
	v_fmac_f32_e32 v2, v64, v71
	s_waitcnt lgkmcnt(0)
	v_fmac_f32_e32 v2, v65, v72
	s_delay_alu instid0(VALU_DEP_1) | instskip(NEXT) | instid1(VALU_DEP_1)
	v_fmac_f32_e32 v2, v66, v73
	v_fmac_f32_e32 v2, v67, v74
	s_waitcnt vmcnt(0)
	s_delay_alu instid0(VALU_DEP_1) | instskip(NEXT) | instid1(VALU_DEP_1)
	v_fmac_f32_e32 v2, v3, v75
	v_sub_f32_e32 v2, v60, v2
	scratch_store_b32 off, v2, off offset:76
	v_cmpx_lt_u32_e32 18, v0
	s_cbranch_execz .LBB27_139
; %bb.138:
	scratch_load_b32 v2, off, off offset:72
	v_mov_b32_e32 v3, 0
	scratch_store_b32 off, v3, off offset:72
	s_waitcnt vmcnt(0)
	ds_store_b32 v1, v2
.LBB27_139:
	s_or_b32 exec_lo, exec_lo, s0
	s_waitcnt lgkmcnt(0)
	s_waitcnt_vscnt null, 0x0
	s_barrier
	buffer_gl0_inv
	s_clause 0x2
	scratch_load_b128 v[60:63], off, off offset:72
	scratch_load_b128 v[64:67], off, off offset:88
	scratch_load_b64 v[68:69], off, off offset:104
	v_mov_b32_e32 v2, 0
	ds_load_2addr_b32 v[70:71], v2 offset0:47 offset1:48
	ds_load_2addr_b32 v[72:73], v2 offset0:49 offset1:50
	ds_load_2addr_b32 v[74:75], v2 offset0:51 offset1:52
	ds_load_2addr_b32 v[76:77], v2 offset0:53 offset1:54
	s_mov_b32 s0, exec_lo
	s_waitcnt vmcnt(2) lgkmcnt(3)
	v_fma_f32 v3, v61, v70, 0
	s_delay_alu instid0(VALU_DEP_1) | instskip(SKIP_4) | instid1(VALU_DEP_1)
	v_fmac_f32_e32 v3, v62, v71
	ds_load_b32 v61, v2 offset:220
	s_waitcnt lgkmcnt(3)
	v_fmac_f32_e32 v3, v63, v72
	s_waitcnt vmcnt(1)
	v_fmac_f32_e32 v3, v64, v73
	s_waitcnt lgkmcnt(2)
	s_delay_alu instid0(VALU_DEP_1) | instskip(NEXT) | instid1(VALU_DEP_1)
	v_fmac_f32_e32 v3, v65, v74
	v_fmac_f32_e32 v3, v66, v75
	s_waitcnt lgkmcnt(1)
	s_delay_alu instid0(VALU_DEP_1) | instskip(SKIP_1) | instid1(VALU_DEP_1)
	v_fmac_f32_e32 v3, v67, v76
	s_waitcnt vmcnt(0)
	v_fmac_f32_e32 v3, v68, v77
	s_waitcnt lgkmcnt(0)
	s_delay_alu instid0(VALU_DEP_1) | instskip(NEXT) | instid1(VALU_DEP_1)
	v_fmac_f32_e32 v3, v69, v61
	v_sub_f32_e32 v3, v60, v3
	scratch_store_b32 off, v3, off offset:72
	v_cmpx_lt_u32_e32 17, v0
	s_cbranch_execz .LBB27_141
; %bb.140:
	scratch_load_b32 v3, off, off offset:68
	scratch_store_b32 off, v2, off offset:68
	s_waitcnt vmcnt(0)
	ds_store_b32 v1, v3
.LBB27_141:
	s_or_b32 exec_lo, exec_lo, s0
	s_waitcnt lgkmcnt(0)
	s_waitcnt_vscnt null, 0x0
	s_barrier
	buffer_gl0_inv
	s_clause 0x2
	scratch_load_b128 v[60:63], off, off offset:68
	scratch_load_b128 v[64:67], off, off offset:84
	scratch_load_b96 v[76:78], off, off offset:100
	ds_load_2addr_b64 v[68:71], v2 offset0:23 offset1:24
	ds_load_2addr_b64 v[72:75], v2 offset0:25 offset1:26
	ds_load_b64 v[2:3], v2 offset:216
	s_mov_b32 s0, exec_lo
	s_waitcnt vmcnt(2) lgkmcnt(2)
	v_fma_f32 v61, v61, v68, 0
	s_delay_alu instid0(VALU_DEP_1) | instskip(NEXT) | instid1(VALU_DEP_1)
	v_fmac_f32_e32 v61, v62, v69
	v_fmac_f32_e32 v61, v63, v70
	s_waitcnt vmcnt(1)
	s_delay_alu instid0(VALU_DEP_1) | instskip(SKIP_1) | instid1(VALU_DEP_1)
	v_fmac_f32_e32 v61, v64, v71
	s_waitcnt lgkmcnt(1)
	v_fmac_f32_e32 v61, v65, v72
	s_delay_alu instid0(VALU_DEP_1) | instskip(NEXT) | instid1(VALU_DEP_1)
	v_fmac_f32_e32 v61, v66, v73
	v_fmac_f32_e32 v61, v67, v74
	s_waitcnt vmcnt(0)
	s_delay_alu instid0(VALU_DEP_1) | instskip(SKIP_1) | instid1(VALU_DEP_1)
	v_fmac_f32_e32 v61, v76, v75
	s_waitcnt lgkmcnt(0)
	v_fmac_f32_e32 v61, v77, v2
	s_delay_alu instid0(VALU_DEP_1) | instskip(NEXT) | instid1(VALU_DEP_1)
	v_fmac_f32_e32 v61, v78, v3
	v_sub_f32_e32 v2, v60, v61
	scratch_store_b32 off, v2, off offset:68
	v_cmpx_lt_u32_e32 16, v0
	s_cbranch_execz .LBB27_143
; %bb.142:
	scratch_load_b32 v2, off, off offset:64
	v_mov_b32_e32 v3, 0
	scratch_store_b32 off, v3, off offset:64
	s_waitcnt vmcnt(0)
	ds_store_b32 v1, v2
.LBB27_143:
	s_or_b32 exec_lo, exec_lo, s0
	s_waitcnt lgkmcnt(0)
	s_waitcnt_vscnt null, 0x0
	s_barrier
	buffer_gl0_inv
	s_clause 0x2
	scratch_load_b128 v[60:63], off, off offset:64
	scratch_load_b128 v[64:67], off, off offset:80
	;; [unrolled: 1-line block ×3, first 2 shown]
	v_mov_b32_e32 v2, 0
	ds_load_2addr_b32 v[72:73], v2 offset0:45 offset1:46
	ds_load_2addr_b32 v[74:75], v2 offset0:47 offset1:48
	ds_load_2addr_b32 v[76:77], v2 offset0:49 offset1:50
	ds_load_2addr_b32 v[78:79], v2 offset0:51 offset1:52
	s_mov_b32 s0, exec_lo
	s_waitcnt vmcnt(2) lgkmcnt(3)
	v_fma_f32 v3, v61, v72, 0
	s_delay_alu instid0(VALU_DEP_1)
	v_fmac_f32_e32 v3, v62, v73
	ds_load_2addr_b32 v[61:62], v2 offset0:53 offset1:54
	s_waitcnt lgkmcnt(3)
	v_fmac_f32_e32 v3, v63, v74
	ds_load_b32 v63, v2 offset:220
	s_waitcnt vmcnt(1)
	v_fmac_f32_e32 v3, v64, v75
	s_waitcnt lgkmcnt(3)
	s_delay_alu instid0(VALU_DEP_1) | instskip(NEXT) | instid1(VALU_DEP_1)
	v_fmac_f32_e32 v3, v65, v76
	v_fmac_f32_e32 v3, v66, v77
	s_waitcnt lgkmcnt(2)
	s_delay_alu instid0(VALU_DEP_1) | instskip(SKIP_1) | instid1(VALU_DEP_1)
	v_fmac_f32_e32 v3, v67, v78
	s_waitcnt vmcnt(0)
	v_fmac_f32_e32 v3, v68, v79
	s_waitcnt lgkmcnt(1)
	s_delay_alu instid0(VALU_DEP_1) | instskip(NEXT) | instid1(VALU_DEP_1)
	v_fmac_f32_e32 v3, v69, v61
	v_fmac_f32_e32 v3, v70, v62
	s_waitcnt lgkmcnt(0)
	s_delay_alu instid0(VALU_DEP_1) | instskip(NEXT) | instid1(VALU_DEP_1)
	v_fmac_f32_e32 v3, v71, v63
	v_sub_f32_e32 v3, v60, v3
	scratch_store_b32 off, v3, off offset:64
	v_cmpx_lt_u32_e32 15, v0
	s_cbranch_execz .LBB27_145
; %bb.144:
	scratch_load_b32 v3, off, off offset:60
	scratch_store_b32 off, v2, off offset:60
	s_waitcnt vmcnt(0)
	ds_store_b32 v1, v3
.LBB27_145:
	s_or_b32 exec_lo, exec_lo, s0
	s_waitcnt lgkmcnt(0)
	s_waitcnt_vscnt null, 0x0
	s_barrier
	buffer_gl0_inv
	s_clause 0x3
	scratch_load_b128 v[60:63], off, off offset:60
	scratch_load_b128 v[64:67], off, off offset:76
	;; [unrolled: 1-line block ×3, first 2 shown]
	scratch_load_b32 v3, off, off offset:108
	ds_load_b128 v[72:75], v2 offset:176
	ds_load_b128 v[76:79], v2 offset:192
	s_mov_b32 s0, exec_lo
	s_waitcnt vmcnt(3) lgkmcnt(1)
	v_fma_f32 v72, v61, v72, 0
	s_delay_alu instid0(VALU_DEP_1) | instskip(NEXT) | instid1(VALU_DEP_1)
	v_fmac_f32_e32 v72, v62, v73
	v_fmac_f32_e32 v72, v63, v74
	s_waitcnt vmcnt(2)
	s_delay_alu instid0(VALU_DEP_1) | instskip(SKIP_3) | instid1(VALU_DEP_1)
	v_fmac_f32_e32 v72, v64, v75
	ds_load_b128 v[61:64], v2 offset:208
	s_waitcnt lgkmcnt(1)
	v_fmac_f32_e32 v72, v65, v76
	v_fmac_f32_e32 v72, v66, v77
	s_delay_alu instid0(VALU_DEP_1) | instskip(SKIP_1) | instid1(VALU_DEP_1)
	v_fmac_f32_e32 v72, v67, v78
	s_waitcnt vmcnt(1)
	v_fmac_f32_e32 v72, v68, v79
	s_waitcnt lgkmcnt(0)
	s_delay_alu instid0(VALU_DEP_1) | instskip(NEXT) | instid1(VALU_DEP_1)
	v_fmac_f32_e32 v72, v69, v61
	v_fmac_f32_e32 v72, v70, v62
	s_delay_alu instid0(VALU_DEP_1) | instskip(SKIP_1) | instid1(VALU_DEP_1)
	v_fmac_f32_e32 v72, v71, v63
	s_waitcnt vmcnt(0)
	v_fmac_f32_e32 v72, v3, v64
	s_delay_alu instid0(VALU_DEP_1)
	v_sub_f32_e32 v2, v60, v72
	scratch_store_b32 off, v2, off offset:60
	v_cmpx_lt_u32_e32 14, v0
	s_cbranch_execz .LBB27_147
; %bb.146:
	scratch_load_b32 v2, off, off offset:56
	v_mov_b32_e32 v3, 0
	scratch_store_b32 off, v3, off offset:56
	s_waitcnt vmcnt(0)
	ds_store_b32 v1, v2
.LBB27_147:
	s_or_b32 exec_lo, exec_lo, s0
	s_waitcnt lgkmcnt(0)
	s_waitcnt_vscnt null, 0x0
	s_barrier
	buffer_gl0_inv
	s_clause 0x3
	scratch_load_b128 v[60:63], off, off offset:56
	scratch_load_b128 v[64:67], off, off offset:72
	;; [unrolled: 1-line block ×3, first 2 shown]
	scratch_load_b64 v[72:73], off, off offset:104
	v_mov_b32_e32 v2, 0
	ds_load_2addr_b32 v[74:75], v2 offset0:43 offset1:44
	ds_load_2addr_b32 v[76:77], v2 offset0:45 offset1:46
	;; [unrolled: 1-line block ×4, first 2 shown]
	s_mov_b32 s0, exec_lo
	s_waitcnt vmcnt(3) lgkmcnt(3)
	v_fma_f32 v3, v61, v74, 0
	s_delay_alu instid0(VALU_DEP_1) | instskip(SKIP_4) | instid1(VALU_DEP_1)
	v_fmac_f32_e32 v3, v62, v75
	ds_load_2addr_b32 v[61:62], v2 offset0:51 offset1:52
	s_waitcnt lgkmcnt(3)
	v_fmac_f32_e32 v3, v63, v76
	s_waitcnt vmcnt(2)
	v_fmac_f32_e32 v3, v64, v77
	ds_load_2addr_b32 v[63:64], v2 offset0:53 offset1:54
	s_waitcnt lgkmcnt(3)
	v_fmac_f32_e32 v3, v65, v78
	ds_load_b32 v65, v2 offset:220
	v_fmac_f32_e32 v3, v66, v79
	s_waitcnt lgkmcnt(3)
	s_delay_alu instid0(VALU_DEP_1) | instskip(SKIP_1) | instid1(VALU_DEP_1)
	v_fmac_f32_e32 v3, v67, v80
	s_waitcnt vmcnt(1)
	v_fmac_f32_e32 v3, v68, v81
	s_waitcnt lgkmcnt(2)
	s_delay_alu instid0(VALU_DEP_1) | instskip(NEXT) | instid1(VALU_DEP_1)
	v_fmac_f32_e32 v3, v69, v61
	v_fmac_f32_e32 v3, v70, v62
	s_waitcnt lgkmcnt(1)
	s_delay_alu instid0(VALU_DEP_1) | instskip(SKIP_1) | instid1(VALU_DEP_1)
	v_fmac_f32_e32 v3, v71, v63
	s_waitcnt vmcnt(0)
	v_fmac_f32_e32 v3, v72, v64
	s_waitcnt lgkmcnt(0)
	s_delay_alu instid0(VALU_DEP_1) | instskip(NEXT) | instid1(VALU_DEP_1)
	v_fmac_f32_e32 v3, v73, v65
	v_sub_f32_e32 v3, v60, v3
	scratch_store_b32 off, v3, off offset:56
	v_cmpx_lt_u32_e32 13, v0
	s_cbranch_execz .LBB27_149
; %bb.148:
	scratch_load_b32 v3, off, off offset:52
	scratch_store_b32 off, v2, off offset:52
	s_waitcnt vmcnt(0)
	ds_store_b32 v1, v3
.LBB27_149:
	s_or_b32 exec_lo, exec_lo, s0
	s_waitcnt lgkmcnt(0)
	s_waitcnt_vscnt null, 0x0
	s_barrier
	buffer_gl0_inv
	s_clause 0x3
	scratch_load_b128 v[60:63], off, off offset:52
	scratch_load_b128 v[64:67], off, off offset:68
	;; [unrolled: 1-line block ×3, first 2 shown]
	scratch_load_b96 v[80:82], off, off offset:100
	ds_load_2addr_b64 v[72:75], v2 offset0:21 offset1:22
	ds_load_2addr_b64 v[76:79], v2 offset0:23 offset1:24
	s_mov_b32 s0, exec_lo
	s_waitcnt vmcnt(3) lgkmcnt(1)
	v_fma_f32 v72, v61, v72, 0
	s_delay_alu instid0(VALU_DEP_1) | instskip(NEXT) | instid1(VALU_DEP_1)
	v_fmac_f32_e32 v72, v62, v73
	v_fmac_f32_e32 v72, v63, v74
	s_waitcnt vmcnt(2)
	s_delay_alu instid0(VALU_DEP_1) | instskip(SKIP_4) | instid1(VALU_DEP_1)
	v_fmac_f32_e32 v72, v64, v75
	ds_load_2addr_b64 v[61:64], v2 offset0:25 offset1:26
	ds_load_b64 v[2:3], v2 offset:216
	s_waitcnt lgkmcnt(2)
	v_fmac_f32_e32 v72, v65, v76
	v_fmac_f32_e32 v72, v66, v77
	s_delay_alu instid0(VALU_DEP_1) | instskip(SKIP_1) | instid1(VALU_DEP_1)
	v_fmac_f32_e32 v72, v67, v78
	s_waitcnt vmcnt(1)
	v_fmac_f32_e32 v72, v68, v79
	s_waitcnt lgkmcnt(1)
	s_delay_alu instid0(VALU_DEP_1) | instskip(NEXT) | instid1(VALU_DEP_1)
	v_fmac_f32_e32 v72, v69, v61
	v_fmac_f32_e32 v72, v70, v62
	s_delay_alu instid0(VALU_DEP_1) | instskip(SKIP_1) | instid1(VALU_DEP_1)
	v_fmac_f32_e32 v72, v71, v63
	s_waitcnt vmcnt(0)
	v_fmac_f32_e32 v72, v80, v64
	s_waitcnt lgkmcnt(0)
	s_delay_alu instid0(VALU_DEP_1) | instskip(NEXT) | instid1(VALU_DEP_1)
	v_fmac_f32_e32 v72, v81, v2
	v_fmac_f32_e32 v72, v82, v3
	s_delay_alu instid0(VALU_DEP_1)
	v_sub_f32_e32 v2, v60, v72
	scratch_store_b32 off, v2, off offset:52
	v_cmpx_lt_u32_e32 12, v0
	s_cbranch_execz .LBB27_151
; %bb.150:
	scratch_load_b32 v2, off, off offset:48
	v_mov_b32_e32 v3, 0
	scratch_store_b32 off, v3, off offset:48
	s_waitcnt vmcnt(0)
	ds_store_b32 v1, v2
.LBB27_151:
	s_or_b32 exec_lo, exec_lo, s0
	s_waitcnt lgkmcnt(0)
	s_waitcnt_vscnt null, 0x0
	s_barrier
	buffer_gl0_inv
	s_clause 0x3
	scratch_load_b128 v[60:63], off, off offset:48
	scratch_load_b128 v[64:67], off, off offset:64
	;; [unrolled: 1-line block ×4, first 2 shown]
	v_mov_b32_e32 v2, 0
	ds_load_2addr_b32 v[76:77], v2 offset0:41 offset1:42
	ds_load_2addr_b32 v[78:79], v2 offset0:43 offset1:44
	;; [unrolled: 1-line block ×4, first 2 shown]
	s_mov_b32 s0, exec_lo
	s_waitcnt vmcnt(3) lgkmcnt(3)
	v_fma_f32 v3, v61, v76, 0
	s_delay_alu instid0(VALU_DEP_1) | instskip(SKIP_4) | instid1(VALU_DEP_1)
	v_fmac_f32_e32 v3, v62, v77
	ds_load_2addr_b32 v[61:62], v2 offset0:49 offset1:50
	s_waitcnt lgkmcnt(3)
	v_fmac_f32_e32 v3, v63, v78
	s_waitcnt vmcnt(2)
	v_fmac_f32_e32 v3, v64, v79
	ds_load_2addr_b32 v[63:64], v2 offset0:51 offset1:52
	s_waitcnt lgkmcnt(3)
	v_fmac_f32_e32 v3, v65, v80
	s_delay_alu instid0(VALU_DEP_1) | instskip(SKIP_1) | instid1(VALU_DEP_1)
	v_fmac_f32_e32 v3, v66, v81
	s_waitcnt lgkmcnt(2)
	v_fmac_f32_e32 v3, v67, v82
	ds_load_2addr_b32 v[65:66], v2 offset0:53 offset1:54
	ds_load_b32 v67, v2 offset:220
	s_waitcnt vmcnt(1)
	v_fmac_f32_e32 v3, v68, v83
	s_waitcnt lgkmcnt(3)
	s_delay_alu instid0(VALU_DEP_1) | instskip(NEXT) | instid1(VALU_DEP_1)
	v_fmac_f32_e32 v3, v69, v61
	v_fmac_f32_e32 v3, v70, v62
	s_waitcnt lgkmcnt(2)
	s_delay_alu instid0(VALU_DEP_1) | instskip(SKIP_1) | instid1(VALU_DEP_1)
	v_fmac_f32_e32 v3, v71, v63
	s_waitcnt vmcnt(0)
	v_fmac_f32_e32 v3, v72, v64
	s_waitcnt lgkmcnt(1)
	s_delay_alu instid0(VALU_DEP_1) | instskip(NEXT) | instid1(VALU_DEP_1)
	v_fmac_f32_e32 v3, v73, v65
	v_fmac_f32_e32 v3, v74, v66
	s_waitcnt lgkmcnt(0)
	s_delay_alu instid0(VALU_DEP_1) | instskip(NEXT) | instid1(VALU_DEP_1)
	v_fmac_f32_e32 v3, v75, v67
	v_sub_f32_e32 v3, v60, v3
	scratch_store_b32 off, v3, off offset:48
	v_cmpx_lt_u32_e32 11, v0
	s_cbranch_execz .LBB27_153
; %bb.152:
	scratch_load_b32 v3, off, off offset:44
	scratch_store_b32 off, v2, off offset:44
	s_waitcnt vmcnt(0)
	ds_store_b32 v1, v3
.LBB27_153:
	s_or_b32 exec_lo, exec_lo, s0
	s_waitcnt lgkmcnt(0)
	s_waitcnt_vscnt null, 0x0
	s_barrier
	buffer_gl0_inv
	s_clause 0x4
	scratch_load_b128 v[60:63], off, off offset:44
	scratch_load_b128 v[64:67], off, off offset:60
	;; [unrolled: 1-line block ×4, first 2 shown]
	scratch_load_b32 v3, off, off offset:108
	ds_load_b128 v[76:79], v2 offset:160
	ds_load_b128 v[80:83], v2 offset:176
	s_mov_b32 s0, exec_lo
	s_waitcnt vmcnt(4) lgkmcnt(1)
	v_fma_f32 v76, v61, v76, 0
	s_delay_alu instid0(VALU_DEP_1) | instskip(NEXT) | instid1(VALU_DEP_1)
	v_fmac_f32_e32 v76, v62, v77
	v_fmac_f32_e32 v76, v63, v78
	s_waitcnt vmcnt(3)
	s_delay_alu instid0(VALU_DEP_1) | instskip(SKIP_3) | instid1(VALU_DEP_1)
	v_fmac_f32_e32 v76, v64, v79
	ds_load_b128 v[61:64], v2 offset:192
	s_waitcnt lgkmcnt(1)
	v_fmac_f32_e32 v76, v65, v80
	v_fmac_f32_e32 v76, v66, v81
	s_delay_alu instid0(VALU_DEP_1) | instskip(SKIP_1) | instid1(VALU_DEP_1)
	v_fmac_f32_e32 v76, v67, v82
	s_waitcnt vmcnt(2)
	v_fmac_f32_e32 v76, v68, v83
	ds_load_b128 v[65:68], v2 offset:208
	s_waitcnt lgkmcnt(1)
	v_fmac_f32_e32 v76, v69, v61
	s_delay_alu instid0(VALU_DEP_1) | instskip(NEXT) | instid1(VALU_DEP_1)
	v_fmac_f32_e32 v76, v70, v62
	v_fmac_f32_e32 v76, v71, v63
	s_waitcnt vmcnt(1)
	s_delay_alu instid0(VALU_DEP_1) | instskip(SKIP_1) | instid1(VALU_DEP_1)
	v_fmac_f32_e32 v76, v72, v64
	s_waitcnt lgkmcnt(0)
	v_fmac_f32_e32 v76, v73, v65
	s_delay_alu instid0(VALU_DEP_1) | instskip(NEXT) | instid1(VALU_DEP_1)
	v_fmac_f32_e32 v76, v74, v66
	v_fmac_f32_e32 v76, v75, v67
	s_waitcnt vmcnt(0)
	s_delay_alu instid0(VALU_DEP_1) | instskip(NEXT) | instid1(VALU_DEP_1)
	v_fmac_f32_e32 v76, v3, v68
	v_sub_f32_e32 v2, v60, v76
	scratch_store_b32 off, v2, off offset:44
	v_cmpx_lt_u32_e32 10, v0
	s_cbranch_execz .LBB27_155
; %bb.154:
	scratch_load_b32 v2, off, off offset:40
	v_mov_b32_e32 v3, 0
	scratch_store_b32 off, v3, off offset:40
	s_waitcnt vmcnt(0)
	ds_store_b32 v1, v2
.LBB27_155:
	s_or_b32 exec_lo, exec_lo, s0
	s_waitcnt lgkmcnt(0)
	s_waitcnt_vscnt null, 0x0
	s_barrier
	buffer_gl0_inv
	s_clause 0x4
	scratch_load_b128 v[60:63], off, off offset:40
	scratch_load_b128 v[64:67], off, off offset:56
	;; [unrolled: 1-line block ×4, first 2 shown]
	scratch_load_b64 v[76:77], off, off offset:104
	v_mov_b32_e32 v2, 0
	ds_load_2addr_b32 v[78:79], v2 offset0:39 offset1:40
	ds_load_2addr_b32 v[80:81], v2 offset0:41 offset1:42
	;; [unrolled: 1-line block ×4, first 2 shown]
	s_mov_b32 s0, exec_lo
	s_waitcnt vmcnt(4) lgkmcnt(3)
	v_fma_f32 v3, v61, v78, 0
	s_delay_alu instid0(VALU_DEP_1) | instskip(SKIP_4) | instid1(VALU_DEP_1)
	v_fmac_f32_e32 v3, v62, v79
	ds_load_2addr_b32 v[61:62], v2 offset0:47 offset1:48
	s_waitcnt lgkmcnt(3)
	v_fmac_f32_e32 v3, v63, v80
	s_waitcnt vmcnt(3)
	v_fmac_f32_e32 v3, v64, v81
	ds_load_2addr_b32 v[63:64], v2 offset0:49 offset1:50
	s_waitcnt lgkmcnt(3)
	v_fmac_f32_e32 v3, v65, v82
	s_delay_alu instid0(VALU_DEP_1) | instskip(SKIP_1) | instid1(VALU_DEP_1)
	v_fmac_f32_e32 v3, v66, v83
	s_waitcnt lgkmcnt(2)
	v_fmac_f32_e32 v3, v67, v84
	s_waitcnt vmcnt(2)
	s_delay_alu instid0(VALU_DEP_1)
	v_fmac_f32_e32 v3, v68, v85
	ds_load_2addr_b32 v[65:66], v2 offset0:51 offset1:52
	ds_load_2addr_b32 v[67:68], v2 offset0:53 offset1:54
	s_waitcnt lgkmcnt(3)
	v_fmac_f32_e32 v3, v69, v61
	ds_load_b32 v61, v2 offset:220
	v_fmac_f32_e32 v3, v70, v62
	s_waitcnt lgkmcnt(3)
	s_delay_alu instid0(VALU_DEP_1) | instskip(SKIP_1) | instid1(VALU_DEP_1)
	v_fmac_f32_e32 v3, v71, v63
	s_waitcnt vmcnt(1)
	v_fmac_f32_e32 v3, v72, v64
	s_waitcnt lgkmcnt(2)
	s_delay_alu instid0(VALU_DEP_1) | instskip(NEXT) | instid1(VALU_DEP_1)
	v_fmac_f32_e32 v3, v73, v65
	v_fmac_f32_e32 v3, v74, v66
	s_waitcnt lgkmcnt(1)
	s_delay_alu instid0(VALU_DEP_1) | instskip(SKIP_1) | instid1(VALU_DEP_1)
	v_fmac_f32_e32 v3, v75, v67
	s_waitcnt vmcnt(0)
	v_fmac_f32_e32 v3, v76, v68
	s_waitcnt lgkmcnt(0)
	s_delay_alu instid0(VALU_DEP_1) | instskip(NEXT) | instid1(VALU_DEP_1)
	v_fmac_f32_e32 v3, v77, v61
	v_sub_f32_e32 v3, v60, v3
	scratch_store_b32 off, v3, off offset:40
	v_cmpx_lt_u32_e32 9, v0
	s_cbranch_execz .LBB27_157
; %bb.156:
	scratch_load_b32 v3, off, off offset:36
	scratch_store_b32 off, v2, off offset:36
	s_waitcnt vmcnt(0)
	ds_store_b32 v1, v3
.LBB27_157:
	s_or_b32 exec_lo, exec_lo, s0
	s_waitcnt lgkmcnt(0)
	s_waitcnt_vscnt null, 0x0
	s_barrier
	buffer_gl0_inv
	s_clause 0x4
	scratch_load_b128 v[60:63], off, off offset:36
	scratch_load_b128 v[64:67], off, off offset:52
	;; [unrolled: 1-line block ×4, first 2 shown]
	scratch_load_b96 v[84:86], off, off offset:100
	ds_load_2addr_b64 v[76:79], v2 offset0:19 offset1:20
	ds_load_2addr_b64 v[80:83], v2 offset0:21 offset1:22
	s_mov_b32 s0, exec_lo
	s_waitcnt vmcnt(4) lgkmcnt(1)
	v_fma_f32 v76, v61, v76, 0
	s_delay_alu instid0(VALU_DEP_1) | instskip(NEXT) | instid1(VALU_DEP_1)
	v_fmac_f32_e32 v76, v62, v77
	v_fmac_f32_e32 v76, v63, v78
	s_waitcnt vmcnt(3)
	s_delay_alu instid0(VALU_DEP_1) | instskip(SKIP_3) | instid1(VALU_DEP_1)
	v_fmac_f32_e32 v76, v64, v79
	ds_load_2addr_b64 v[61:64], v2 offset0:23 offset1:24
	s_waitcnt lgkmcnt(1)
	v_fmac_f32_e32 v76, v65, v80
	v_fmac_f32_e32 v76, v66, v81
	s_delay_alu instid0(VALU_DEP_1) | instskip(SKIP_1) | instid1(VALU_DEP_1)
	v_fmac_f32_e32 v76, v67, v82
	s_waitcnt vmcnt(2)
	v_fmac_f32_e32 v76, v68, v83
	ds_load_2addr_b64 v[65:68], v2 offset0:25 offset1:26
	ds_load_b64 v[2:3], v2 offset:216
	s_waitcnt lgkmcnt(2)
	v_fmac_f32_e32 v76, v69, v61
	s_delay_alu instid0(VALU_DEP_1) | instskip(NEXT) | instid1(VALU_DEP_1)
	v_fmac_f32_e32 v76, v70, v62
	v_fmac_f32_e32 v76, v71, v63
	s_waitcnt vmcnt(1)
	s_delay_alu instid0(VALU_DEP_1) | instskip(SKIP_1) | instid1(VALU_DEP_1)
	v_fmac_f32_e32 v76, v72, v64
	s_waitcnt lgkmcnt(1)
	v_fmac_f32_e32 v76, v73, v65
	s_delay_alu instid0(VALU_DEP_1) | instskip(NEXT) | instid1(VALU_DEP_1)
	v_fmac_f32_e32 v76, v74, v66
	v_fmac_f32_e32 v76, v75, v67
	s_waitcnt vmcnt(0)
	s_delay_alu instid0(VALU_DEP_1) | instskip(SKIP_1) | instid1(VALU_DEP_1)
	v_fmac_f32_e32 v76, v84, v68
	s_waitcnt lgkmcnt(0)
	v_fmac_f32_e32 v76, v85, v2
	s_delay_alu instid0(VALU_DEP_1) | instskip(NEXT) | instid1(VALU_DEP_1)
	v_fmac_f32_e32 v76, v86, v3
	v_sub_f32_e32 v2, v60, v76
	scratch_store_b32 off, v2, off offset:36
	v_cmpx_lt_u32_e32 8, v0
	s_cbranch_execz .LBB27_159
; %bb.158:
	scratch_load_b32 v2, off, off offset:32
	v_mov_b32_e32 v3, 0
	scratch_store_b32 off, v3, off offset:32
	s_waitcnt vmcnt(0)
	ds_store_b32 v1, v2
.LBB27_159:
	s_or_b32 exec_lo, exec_lo, s0
	s_waitcnt lgkmcnt(0)
	s_waitcnt_vscnt null, 0x0
	s_barrier
	buffer_gl0_inv
	s_clause 0x4
	scratch_load_b128 v[60:63], off, off offset:32
	scratch_load_b128 v[64:67], off, off offset:48
	scratch_load_b128 v[68:71], off, off offset:64
	scratch_load_b128 v[72:75], off, off offset:80
	scratch_load_b128 v[76:79], off, off offset:96
	v_mov_b32_e32 v2, 0
	ds_load_2addr_b32 v[80:81], v2 offset0:37 offset1:38
	ds_load_2addr_b32 v[82:83], v2 offset0:39 offset1:40
	;; [unrolled: 1-line block ×4, first 2 shown]
	s_mov_b32 s0, exec_lo
	s_waitcnt vmcnt(4) lgkmcnt(3)
	v_fma_f32 v3, v61, v80, 0
	s_delay_alu instid0(VALU_DEP_1) | instskip(SKIP_4) | instid1(VALU_DEP_1)
	v_fmac_f32_e32 v3, v62, v81
	ds_load_2addr_b32 v[61:62], v2 offset0:45 offset1:46
	s_waitcnt lgkmcnt(3)
	v_fmac_f32_e32 v3, v63, v82
	s_waitcnt vmcnt(3)
	v_fmac_f32_e32 v3, v64, v83
	ds_load_2addr_b32 v[63:64], v2 offset0:47 offset1:48
	s_waitcnt lgkmcnt(3)
	v_fmac_f32_e32 v3, v65, v84
	s_delay_alu instid0(VALU_DEP_1) | instskip(SKIP_1) | instid1(VALU_DEP_1)
	v_fmac_f32_e32 v3, v66, v85
	s_waitcnt lgkmcnt(2)
	v_fmac_f32_e32 v3, v67, v86
	s_waitcnt vmcnt(2)
	s_delay_alu instid0(VALU_DEP_1) | instskip(SKIP_4) | instid1(VALU_DEP_1)
	v_fmac_f32_e32 v3, v68, v87
	ds_load_2addr_b32 v[65:66], v2 offset0:49 offset1:50
	ds_load_2addr_b32 v[67:68], v2 offset0:51 offset1:52
	s_waitcnt lgkmcnt(3)
	v_fmac_f32_e32 v3, v69, v61
	v_fmac_f32_e32 v3, v70, v62
	ds_load_2addr_b32 v[61:62], v2 offset0:53 offset1:54
	s_waitcnt lgkmcnt(3)
	v_fmac_f32_e32 v3, v71, v63
	ds_load_b32 v63, v2 offset:220
	s_waitcnt vmcnt(1)
	v_fmac_f32_e32 v3, v72, v64
	s_waitcnt lgkmcnt(3)
	s_delay_alu instid0(VALU_DEP_1) | instskip(NEXT) | instid1(VALU_DEP_1)
	v_fmac_f32_e32 v3, v73, v65
	v_fmac_f32_e32 v3, v74, v66
	s_waitcnt lgkmcnt(2)
	s_delay_alu instid0(VALU_DEP_1) | instskip(SKIP_1) | instid1(VALU_DEP_1)
	v_fmac_f32_e32 v3, v75, v67
	s_waitcnt vmcnt(0)
	v_fmac_f32_e32 v3, v76, v68
	s_waitcnt lgkmcnt(1)
	s_delay_alu instid0(VALU_DEP_1) | instskip(NEXT) | instid1(VALU_DEP_1)
	v_fmac_f32_e32 v3, v77, v61
	v_fmac_f32_e32 v3, v78, v62
	s_waitcnt lgkmcnt(0)
	s_delay_alu instid0(VALU_DEP_1) | instskip(NEXT) | instid1(VALU_DEP_1)
	v_fmac_f32_e32 v3, v79, v63
	v_sub_f32_e32 v3, v60, v3
	scratch_store_b32 off, v3, off offset:32
	v_cmpx_lt_u32_e32 7, v0
	s_cbranch_execz .LBB27_161
; %bb.160:
	scratch_load_b32 v3, off, off offset:28
	scratch_store_b32 off, v2, off offset:28
	s_waitcnt vmcnt(0)
	ds_store_b32 v1, v3
.LBB27_161:
	s_or_b32 exec_lo, exec_lo, s0
	s_waitcnt lgkmcnt(0)
	s_waitcnt_vscnt null, 0x0
	s_barrier
	buffer_gl0_inv
	s_clause 0x5
	scratch_load_b128 v[60:63], off, off offset:28
	scratch_load_b128 v[64:67], off, off offset:44
	;; [unrolled: 1-line block ×5, first 2 shown]
	scratch_load_b32 v3, off, off offset:108
	ds_load_b128 v[80:83], v2 offset:144
	ds_load_b128 v[84:87], v2 offset:160
	s_mov_b32 s0, exec_lo
	s_waitcnt vmcnt(5) lgkmcnt(1)
	v_fma_f32 v80, v61, v80, 0
	s_delay_alu instid0(VALU_DEP_1) | instskip(NEXT) | instid1(VALU_DEP_1)
	v_fmac_f32_e32 v80, v62, v81
	v_fmac_f32_e32 v80, v63, v82
	s_waitcnt vmcnt(4)
	s_delay_alu instid0(VALU_DEP_1) | instskip(SKIP_3) | instid1(VALU_DEP_1)
	v_fmac_f32_e32 v80, v64, v83
	ds_load_b128 v[61:64], v2 offset:176
	s_waitcnt lgkmcnt(1)
	v_fmac_f32_e32 v80, v65, v84
	v_fmac_f32_e32 v80, v66, v85
	s_delay_alu instid0(VALU_DEP_1) | instskip(SKIP_1) | instid1(VALU_DEP_1)
	v_fmac_f32_e32 v80, v67, v86
	s_waitcnt vmcnt(3)
	v_fmac_f32_e32 v80, v68, v87
	ds_load_b128 v[65:68], v2 offset:192
	s_waitcnt lgkmcnt(1)
	v_fmac_f32_e32 v80, v69, v61
	s_delay_alu instid0(VALU_DEP_1) | instskip(NEXT) | instid1(VALU_DEP_1)
	v_fmac_f32_e32 v80, v70, v62
	v_fmac_f32_e32 v80, v71, v63
	s_waitcnt vmcnt(2)
	s_delay_alu instid0(VALU_DEP_1) | instskip(SKIP_3) | instid1(VALU_DEP_1)
	v_fmac_f32_e32 v80, v72, v64
	ds_load_b128 v[61:64], v2 offset:208
	s_waitcnt lgkmcnt(1)
	v_fmac_f32_e32 v80, v73, v65
	v_fmac_f32_e32 v80, v74, v66
	s_delay_alu instid0(VALU_DEP_1) | instskip(SKIP_1) | instid1(VALU_DEP_1)
	v_fmac_f32_e32 v80, v75, v67
	s_waitcnt vmcnt(1)
	v_fmac_f32_e32 v80, v76, v68
	s_waitcnt lgkmcnt(0)
	s_delay_alu instid0(VALU_DEP_1) | instskip(NEXT) | instid1(VALU_DEP_1)
	v_fmac_f32_e32 v80, v77, v61
	v_fmac_f32_e32 v80, v78, v62
	s_delay_alu instid0(VALU_DEP_1) | instskip(SKIP_1) | instid1(VALU_DEP_1)
	v_fmac_f32_e32 v80, v79, v63
	s_waitcnt vmcnt(0)
	v_fmac_f32_e32 v80, v3, v64
	s_delay_alu instid0(VALU_DEP_1)
	v_sub_f32_e32 v2, v60, v80
	scratch_store_b32 off, v2, off offset:28
	v_cmpx_lt_u32_e32 6, v0
	s_cbranch_execz .LBB27_163
; %bb.162:
	scratch_load_b32 v2, off, off offset:24
	v_mov_b32_e32 v3, 0
	scratch_store_b32 off, v3, off offset:24
	s_waitcnt vmcnt(0)
	ds_store_b32 v1, v2
.LBB27_163:
	s_or_b32 exec_lo, exec_lo, s0
	s_waitcnt lgkmcnt(0)
	s_waitcnt_vscnt null, 0x0
	s_barrier
	buffer_gl0_inv
	s_clause 0x5
	scratch_load_b128 v[60:63], off, off offset:24
	scratch_load_b128 v[64:67], off, off offset:40
	;; [unrolled: 1-line block ×5, first 2 shown]
	scratch_load_b64 v[80:81], off, off offset:104
	v_mov_b32_e32 v2, 0
	ds_load_2addr_b32 v[82:83], v2 offset0:35 offset1:36
	ds_load_2addr_b32 v[84:85], v2 offset0:37 offset1:38
	;; [unrolled: 1-line block ×4, first 2 shown]
	s_mov_b32 s0, exec_lo
	s_waitcnt vmcnt(5) lgkmcnt(3)
	v_fma_f32 v3, v61, v82, 0
	s_delay_alu instid0(VALU_DEP_1) | instskip(SKIP_4) | instid1(VALU_DEP_1)
	v_fmac_f32_e32 v3, v62, v83
	ds_load_2addr_b32 v[61:62], v2 offset0:43 offset1:44
	s_waitcnt lgkmcnt(3)
	v_fmac_f32_e32 v3, v63, v84
	s_waitcnt vmcnt(4)
	v_fmac_f32_e32 v3, v64, v85
	ds_load_2addr_b32 v[63:64], v2 offset0:45 offset1:46
	s_waitcnt lgkmcnt(3)
	v_fmac_f32_e32 v3, v65, v86
	s_delay_alu instid0(VALU_DEP_1) | instskip(SKIP_1) | instid1(VALU_DEP_1)
	v_fmac_f32_e32 v3, v66, v87
	s_waitcnt lgkmcnt(2)
	v_fmac_f32_e32 v3, v67, v88
	s_waitcnt vmcnt(3)
	s_delay_alu instid0(VALU_DEP_1) | instskip(SKIP_4) | instid1(VALU_DEP_1)
	v_fmac_f32_e32 v3, v68, v89
	ds_load_2addr_b32 v[65:66], v2 offset0:47 offset1:48
	ds_load_2addr_b32 v[67:68], v2 offset0:49 offset1:50
	s_waitcnt lgkmcnt(3)
	v_fmac_f32_e32 v3, v69, v61
	v_fmac_f32_e32 v3, v70, v62
	ds_load_2addr_b32 v[61:62], v2 offset0:51 offset1:52
	s_waitcnt lgkmcnt(3)
	v_fmac_f32_e32 v3, v71, v63
	s_waitcnt vmcnt(2)
	s_delay_alu instid0(VALU_DEP_1)
	v_fmac_f32_e32 v3, v72, v64
	ds_load_2addr_b32 v[63:64], v2 offset0:53 offset1:54
	s_waitcnt lgkmcnt(3)
	v_fmac_f32_e32 v3, v73, v65
	ds_load_b32 v65, v2 offset:220
	v_fmac_f32_e32 v3, v74, v66
	s_waitcnt lgkmcnt(3)
	s_delay_alu instid0(VALU_DEP_1) | instskip(SKIP_1) | instid1(VALU_DEP_1)
	v_fmac_f32_e32 v3, v75, v67
	s_waitcnt vmcnt(1)
	v_fmac_f32_e32 v3, v76, v68
	s_waitcnt lgkmcnt(2)
	s_delay_alu instid0(VALU_DEP_1) | instskip(NEXT) | instid1(VALU_DEP_1)
	v_fmac_f32_e32 v3, v77, v61
	v_fmac_f32_e32 v3, v78, v62
	s_waitcnt lgkmcnt(1)
	s_delay_alu instid0(VALU_DEP_1) | instskip(SKIP_1) | instid1(VALU_DEP_1)
	v_fmac_f32_e32 v3, v79, v63
	s_waitcnt vmcnt(0)
	v_fmac_f32_e32 v3, v80, v64
	s_waitcnt lgkmcnt(0)
	s_delay_alu instid0(VALU_DEP_1) | instskip(NEXT) | instid1(VALU_DEP_1)
	v_fmac_f32_e32 v3, v81, v65
	v_sub_f32_e32 v3, v60, v3
	scratch_store_b32 off, v3, off offset:24
	v_cmpx_lt_u32_e32 5, v0
	s_cbranch_execz .LBB27_165
; %bb.164:
	scratch_load_b32 v3, off, off offset:20
	scratch_store_b32 off, v2, off offset:20
	s_waitcnt vmcnt(0)
	ds_store_b32 v1, v3
.LBB27_165:
	s_or_b32 exec_lo, exec_lo, s0
	s_waitcnt lgkmcnt(0)
	s_waitcnt_vscnt null, 0x0
	s_barrier
	buffer_gl0_inv
	s_clause 0x5
	scratch_load_b128 v[60:63], off, off offset:20
	scratch_load_b128 v[64:67], off, off offset:36
	;; [unrolled: 1-line block ×5, first 2 shown]
	scratch_load_b96 v[88:90], off, off offset:100
	ds_load_2addr_b64 v[80:83], v2 offset0:17 offset1:18
	ds_load_2addr_b64 v[84:87], v2 offset0:19 offset1:20
	s_mov_b32 s0, exec_lo
	s_waitcnt vmcnt(5) lgkmcnt(1)
	v_fma_f32 v80, v61, v80, 0
	s_delay_alu instid0(VALU_DEP_1) | instskip(NEXT) | instid1(VALU_DEP_1)
	v_fmac_f32_e32 v80, v62, v81
	v_fmac_f32_e32 v80, v63, v82
	s_waitcnt vmcnt(4)
	s_delay_alu instid0(VALU_DEP_1) | instskip(SKIP_3) | instid1(VALU_DEP_1)
	v_fmac_f32_e32 v80, v64, v83
	ds_load_2addr_b64 v[61:64], v2 offset0:21 offset1:22
	s_waitcnt lgkmcnt(1)
	v_fmac_f32_e32 v80, v65, v84
	v_fmac_f32_e32 v80, v66, v85
	s_delay_alu instid0(VALU_DEP_1) | instskip(SKIP_1) | instid1(VALU_DEP_1)
	v_fmac_f32_e32 v80, v67, v86
	s_waitcnt vmcnt(3)
	v_fmac_f32_e32 v80, v68, v87
	ds_load_2addr_b64 v[65:68], v2 offset0:23 offset1:24
	s_waitcnt lgkmcnt(1)
	v_fmac_f32_e32 v80, v69, v61
	s_delay_alu instid0(VALU_DEP_1) | instskip(NEXT) | instid1(VALU_DEP_1)
	v_fmac_f32_e32 v80, v70, v62
	v_fmac_f32_e32 v80, v71, v63
	s_waitcnt vmcnt(2)
	s_delay_alu instid0(VALU_DEP_1) | instskip(SKIP_4) | instid1(VALU_DEP_1)
	v_fmac_f32_e32 v80, v72, v64
	ds_load_2addr_b64 v[61:64], v2 offset0:25 offset1:26
	ds_load_b64 v[2:3], v2 offset:216
	s_waitcnt lgkmcnt(2)
	v_fmac_f32_e32 v80, v73, v65
	v_fmac_f32_e32 v80, v74, v66
	s_delay_alu instid0(VALU_DEP_1) | instskip(SKIP_1) | instid1(VALU_DEP_1)
	v_fmac_f32_e32 v80, v75, v67
	s_waitcnt vmcnt(1)
	v_fmac_f32_e32 v80, v76, v68
	s_waitcnt lgkmcnt(1)
	s_delay_alu instid0(VALU_DEP_1) | instskip(NEXT) | instid1(VALU_DEP_1)
	v_fmac_f32_e32 v80, v77, v61
	v_fmac_f32_e32 v80, v78, v62
	s_delay_alu instid0(VALU_DEP_1) | instskip(SKIP_1) | instid1(VALU_DEP_1)
	v_fmac_f32_e32 v80, v79, v63
	s_waitcnt vmcnt(0)
	v_fmac_f32_e32 v80, v88, v64
	s_waitcnt lgkmcnt(0)
	s_delay_alu instid0(VALU_DEP_1) | instskip(NEXT) | instid1(VALU_DEP_1)
	v_fmac_f32_e32 v80, v89, v2
	v_fmac_f32_e32 v80, v90, v3
	s_delay_alu instid0(VALU_DEP_1)
	v_sub_f32_e32 v2, v60, v80
	scratch_store_b32 off, v2, off offset:20
	v_cmpx_lt_u32_e32 4, v0
	s_cbranch_execz .LBB27_167
; %bb.166:
	scratch_load_b32 v2, off, off offset:16
	v_mov_b32_e32 v3, 0
	scratch_store_b32 off, v3, off offset:16
	s_waitcnt vmcnt(0)
	ds_store_b32 v1, v2
.LBB27_167:
	s_or_b32 exec_lo, exec_lo, s0
	s_waitcnt lgkmcnt(0)
	s_waitcnt_vscnt null, 0x0
	s_barrier
	buffer_gl0_inv
	s_clause 0x5
	scratch_load_b128 v[60:63], off, off offset:16
	scratch_load_b128 v[64:67], off, off offset:32
	scratch_load_b128 v[68:71], off, off offset:48
	scratch_load_b128 v[72:75], off, off offset:64
	scratch_load_b128 v[76:79], off, off offset:80
	scratch_load_b128 v[80:83], off, off offset:96
	v_mov_b32_e32 v2, 0
	ds_load_2addr_b32 v[84:85], v2 offset0:33 offset1:34
	ds_load_2addr_b32 v[86:87], v2 offset0:35 offset1:36
	;; [unrolled: 1-line block ×4, first 2 shown]
	s_mov_b32 s0, exec_lo
	s_waitcnt vmcnt(5) lgkmcnt(3)
	v_fma_f32 v3, v61, v84, 0
	s_delay_alu instid0(VALU_DEP_1) | instskip(SKIP_4) | instid1(VALU_DEP_1)
	v_fmac_f32_e32 v3, v62, v85
	ds_load_2addr_b32 v[61:62], v2 offset0:41 offset1:42
	s_waitcnt lgkmcnt(3)
	v_fmac_f32_e32 v3, v63, v86
	s_waitcnt vmcnt(4)
	v_fmac_f32_e32 v3, v64, v87
	ds_load_2addr_b32 v[63:64], v2 offset0:43 offset1:44
	s_waitcnt lgkmcnt(3)
	v_fmac_f32_e32 v3, v65, v88
	s_delay_alu instid0(VALU_DEP_1) | instskip(SKIP_1) | instid1(VALU_DEP_1)
	v_fmac_f32_e32 v3, v66, v89
	s_waitcnt lgkmcnt(2)
	v_fmac_f32_e32 v3, v67, v90
	s_waitcnt vmcnt(3)
	s_delay_alu instid0(VALU_DEP_1) | instskip(SKIP_4) | instid1(VALU_DEP_1)
	v_fmac_f32_e32 v3, v68, v91
	ds_load_2addr_b32 v[65:66], v2 offset0:45 offset1:46
	ds_load_2addr_b32 v[67:68], v2 offset0:47 offset1:48
	s_waitcnt lgkmcnt(3)
	v_fmac_f32_e32 v3, v69, v61
	v_fmac_f32_e32 v3, v70, v62
	ds_load_2addr_b32 v[61:62], v2 offset0:49 offset1:50
	s_waitcnt lgkmcnt(3)
	v_fmac_f32_e32 v3, v71, v63
	s_waitcnt vmcnt(2)
	s_delay_alu instid0(VALU_DEP_1) | instskip(SKIP_3) | instid1(VALU_DEP_1)
	v_fmac_f32_e32 v3, v72, v64
	ds_load_2addr_b32 v[63:64], v2 offset0:51 offset1:52
	s_waitcnt lgkmcnt(3)
	v_fmac_f32_e32 v3, v73, v65
	v_fmac_f32_e32 v3, v74, v66
	s_waitcnt lgkmcnt(2)
	s_delay_alu instid0(VALU_DEP_1)
	v_fmac_f32_e32 v3, v75, v67
	ds_load_2addr_b32 v[65:66], v2 offset0:53 offset1:54
	ds_load_b32 v67, v2 offset:220
	s_waitcnt vmcnt(1)
	v_fmac_f32_e32 v3, v76, v68
	s_waitcnt lgkmcnt(3)
	s_delay_alu instid0(VALU_DEP_1) | instskip(NEXT) | instid1(VALU_DEP_1)
	v_fmac_f32_e32 v3, v77, v61
	v_fmac_f32_e32 v3, v78, v62
	s_waitcnt lgkmcnt(2)
	s_delay_alu instid0(VALU_DEP_1) | instskip(SKIP_1) | instid1(VALU_DEP_1)
	v_fmac_f32_e32 v3, v79, v63
	s_waitcnt vmcnt(0)
	v_fmac_f32_e32 v3, v80, v64
	s_waitcnt lgkmcnt(1)
	s_delay_alu instid0(VALU_DEP_1) | instskip(NEXT) | instid1(VALU_DEP_1)
	v_fmac_f32_e32 v3, v81, v65
	v_fmac_f32_e32 v3, v82, v66
	s_waitcnt lgkmcnt(0)
	s_delay_alu instid0(VALU_DEP_1) | instskip(NEXT) | instid1(VALU_DEP_1)
	v_fmac_f32_e32 v3, v83, v67
	v_sub_f32_e32 v3, v60, v3
	scratch_store_b32 off, v3, off offset:16
	v_cmpx_lt_u32_e32 3, v0
	s_cbranch_execz .LBB27_169
; %bb.168:
	scratch_load_b32 v3, off, off offset:12
	scratch_store_b32 off, v2, off offset:12
	s_waitcnt vmcnt(0)
	ds_store_b32 v1, v3
.LBB27_169:
	s_or_b32 exec_lo, exec_lo, s0
	s_waitcnt lgkmcnt(0)
	s_waitcnt_vscnt null, 0x0
	s_barrier
	buffer_gl0_inv
	s_clause 0x6
	scratch_load_b128 v[60:63], off, off offset:12
	scratch_load_b128 v[64:67], off, off offset:28
	;; [unrolled: 1-line block ×6, first 2 shown]
	scratch_load_b32 v3, off, off offset:108
	ds_load_b128 v[84:87], v2 offset:128
	ds_load_b128 v[88:91], v2 offset:144
	s_mov_b32 s0, exec_lo
	s_waitcnt vmcnt(6) lgkmcnt(1)
	v_fma_f32 v84, v61, v84, 0
	s_delay_alu instid0(VALU_DEP_1) | instskip(NEXT) | instid1(VALU_DEP_1)
	v_fmac_f32_e32 v84, v62, v85
	v_fmac_f32_e32 v84, v63, v86
	s_waitcnt vmcnt(5)
	s_delay_alu instid0(VALU_DEP_1) | instskip(SKIP_3) | instid1(VALU_DEP_1)
	v_fmac_f32_e32 v84, v64, v87
	ds_load_b128 v[61:64], v2 offset:160
	s_waitcnt lgkmcnt(1)
	v_fmac_f32_e32 v84, v65, v88
	v_fmac_f32_e32 v84, v66, v89
	s_delay_alu instid0(VALU_DEP_1) | instskip(SKIP_1) | instid1(VALU_DEP_1)
	v_fmac_f32_e32 v84, v67, v90
	s_waitcnt vmcnt(4)
	v_fmac_f32_e32 v84, v68, v91
	ds_load_b128 v[65:68], v2 offset:176
	s_waitcnt lgkmcnt(1)
	v_fmac_f32_e32 v84, v69, v61
	s_delay_alu instid0(VALU_DEP_1) | instskip(NEXT) | instid1(VALU_DEP_1)
	v_fmac_f32_e32 v84, v70, v62
	v_fmac_f32_e32 v84, v71, v63
	s_waitcnt vmcnt(3)
	s_delay_alu instid0(VALU_DEP_1) | instskip(SKIP_3) | instid1(VALU_DEP_1)
	v_fmac_f32_e32 v84, v72, v64
	ds_load_b128 v[61:64], v2 offset:192
	s_waitcnt lgkmcnt(1)
	v_fmac_f32_e32 v84, v73, v65
	v_fmac_f32_e32 v84, v74, v66
	s_delay_alu instid0(VALU_DEP_1) | instskip(SKIP_1) | instid1(VALU_DEP_1)
	v_fmac_f32_e32 v84, v75, v67
	s_waitcnt vmcnt(2)
	v_fmac_f32_e32 v84, v76, v68
	ds_load_b128 v[65:68], v2 offset:208
	s_waitcnt lgkmcnt(1)
	v_fmac_f32_e32 v84, v77, v61
	s_delay_alu instid0(VALU_DEP_1) | instskip(NEXT) | instid1(VALU_DEP_1)
	v_fmac_f32_e32 v84, v78, v62
	v_fmac_f32_e32 v84, v79, v63
	s_waitcnt vmcnt(1)
	s_delay_alu instid0(VALU_DEP_1) | instskip(SKIP_1) | instid1(VALU_DEP_1)
	v_fmac_f32_e32 v84, v80, v64
	s_waitcnt lgkmcnt(0)
	v_fmac_f32_e32 v84, v81, v65
	s_delay_alu instid0(VALU_DEP_1) | instskip(NEXT) | instid1(VALU_DEP_1)
	v_fmac_f32_e32 v84, v82, v66
	v_fmac_f32_e32 v84, v83, v67
	s_waitcnt vmcnt(0)
	s_delay_alu instid0(VALU_DEP_1) | instskip(NEXT) | instid1(VALU_DEP_1)
	v_fmac_f32_e32 v84, v3, v68
	v_sub_f32_e32 v2, v60, v84
	scratch_store_b32 off, v2, off offset:12
	v_cmpx_lt_u32_e32 2, v0
	s_cbranch_execz .LBB27_171
; %bb.170:
	scratch_load_b32 v2, off, off offset:8
	v_mov_b32_e32 v3, 0
	scratch_store_b32 off, v3, off offset:8
	s_waitcnt vmcnt(0)
	ds_store_b32 v1, v2
.LBB27_171:
	s_or_b32 exec_lo, exec_lo, s0
	s_waitcnt lgkmcnt(0)
	s_waitcnt_vscnt null, 0x0
	s_barrier
	buffer_gl0_inv
	s_clause 0x6
	scratch_load_b128 v[60:63], off, off offset:8
	scratch_load_b128 v[64:67], off, off offset:24
	;; [unrolled: 1-line block ×6, first 2 shown]
	scratch_load_b64 v[84:85], off, off offset:104
	v_mov_b32_e32 v2, 0
	ds_load_2addr_b32 v[86:87], v2 offset0:31 offset1:32
	ds_load_2addr_b32 v[88:89], v2 offset0:33 offset1:34
	ds_load_2addr_b32 v[90:91], v2 offset0:35 offset1:36
	ds_load_2addr_b32 v[92:93], v2 offset0:37 offset1:38
	s_mov_b32 s0, exec_lo
	s_waitcnt vmcnt(6) lgkmcnt(3)
	v_fma_f32 v3, v61, v86, 0
	s_delay_alu instid0(VALU_DEP_1) | instskip(SKIP_4) | instid1(VALU_DEP_1)
	v_fmac_f32_e32 v3, v62, v87
	ds_load_2addr_b32 v[61:62], v2 offset0:39 offset1:40
	s_waitcnt lgkmcnt(3)
	v_fmac_f32_e32 v3, v63, v88
	s_waitcnt vmcnt(5)
	v_fmac_f32_e32 v3, v64, v89
	ds_load_2addr_b32 v[63:64], v2 offset0:41 offset1:42
	s_waitcnt lgkmcnt(3)
	v_fmac_f32_e32 v3, v65, v90
	s_delay_alu instid0(VALU_DEP_1) | instskip(SKIP_1) | instid1(VALU_DEP_1)
	v_fmac_f32_e32 v3, v66, v91
	s_waitcnt lgkmcnt(2)
	v_fmac_f32_e32 v3, v67, v92
	s_waitcnt vmcnt(4)
	s_delay_alu instid0(VALU_DEP_1) | instskip(SKIP_4) | instid1(VALU_DEP_1)
	v_fmac_f32_e32 v3, v68, v93
	ds_load_2addr_b32 v[65:66], v2 offset0:43 offset1:44
	ds_load_2addr_b32 v[67:68], v2 offset0:45 offset1:46
	s_waitcnt lgkmcnt(3)
	v_fmac_f32_e32 v3, v69, v61
	v_fmac_f32_e32 v3, v70, v62
	ds_load_2addr_b32 v[61:62], v2 offset0:47 offset1:48
	s_waitcnt lgkmcnt(3)
	v_fmac_f32_e32 v3, v71, v63
	s_waitcnt vmcnt(3)
	s_delay_alu instid0(VALU_DEP_1) | instskip(SKIP_3) | instid1(VALU_DEP_1)
	v_fmac_f32_e32 v3, v72, v64
	ds_load_2addr_b32 v[63:64], v2 offset0:49 offset1:50
	s_waitcnt lgkmcnt(3)
	v_fmac_f32_e32 v3, v73, v65
	v_fmac_f32_e32 v3, v74, v66
	s_waitcnt lgkmcnt(2)
	s_delay_alu instid0(VALU_DEP_1) | instskip(SKIP_1) | instid1(VALU_DEP_1)
	v_fmac_f32_e32 v3, v75, v67
	s_waitcnt vmcnt(2)
	v_fmac_f32_e32 v3, v76, v68
	ds_load_2addr_b32 v[65:66], v2 offset0:51 offset1:52
	ds_load_2addr_b32 v[67:68], v2 offset0:53 offset1:54
	s_waitcnt lgkmcnt(3)
	v_fmac_f32_e32 v3, v77, v61
	ds_load_b32 v61, v2 offset:220
	v_fmac_f32_e32 v3, v78, v62
	s_waitcnt lgkmcnt(3)
	s_delay_alu instid0(VALU_DEP_1) | instskip(SKIP_1) | instid1(VALU_DEP_1)
	v_fmac_f32_e32 v3, v79, v63
	s_waitcnt vmcnt(1)
	v_fmac_f32_e32 v3, v80, v64
	s_waitcnt lgkmcnt(2)
	s_delay_alu instid0(VALU_DEP_1) | instskip(NEXT) | instid1(VALU_DEP_1)
	v_fmac_f32_e32 v3, v81, v65
	v_fmac_f32_e32 v3, v82, v66
	s_waitcnt lgkmcnt(1)
	s_delay_alu instid0(VALU_DEP_1) | instskip(SKIP_1) | instid1(VALU_DEP_1)
	v_fmac_f32_e32 v3, v83, v67
	s_waitcnt vmcnt(0)
	v_fmac_f32_e32 v3, v84, v68
	s_waitcnt lgkmcnt(0)
	s_delay_alu instid0(VALU_DEP_1) | instskip(NEXT) | instid1(VALU_DEP_1)
	v_fmac_f32_e32 v3, v85, v61
	v_sub_f32_e32 v3, v60, v3
	scratch_store_b32 off, v3, off offset:8
	v_cmpx_lt_u32_e32 1, v0
	s_cbranch_execz .LBB27_173
; %bb.172:
	scratch_load_b32 v3, off, off offset:4
	scratch_store_b32 off, v2, off offset:4
	s_waitcnt vmcnt(0)
	ds_store_b32 v1, v3
.LBB27_173:
	s_or_b32 exec_lo, exec_lo, s0
	s_waitcnt lgkmcnt(0)
	s_waitcnt_vscnt null, 0x0
	s_barrier
	buffer_gl0_inv
	s_clause 0x6
	scratch_load_b128 v[60:63], off, off offset:4
	scratch_load_b128 v[64:67], off, off offset:20
	;; [unrolled: 1-line block ×6, first 2 shown]
	scratch_load_b96 v[92:94], off, off offset:100
	ds_load_2addr_b64 v[84:87], v2 offset0:15 offset1:16
	ds_load_2addr_b64 v[88:91], v2 offset0:17 offset1:18
	s_mov_b32 s0, exec_lo
	s_waitcnt vmcnt(6) lgkmcnt(1)
	v_fma_f32 v84, v61, v84, 0
	s_delay_alu instid0(VALU_DEP_1) | instskip(NEXT) | instid1(VALU_DEP_1)
	v_fmac_f32_e32 v84, v62, v85
	v_fmac_f32_e32 v84, v63, v86
	s_waitcnt vmcnt(5)
	s_delay_alu instid0(VALU_DEP_1) | instskip(SKIP_3) | instid1(VALU_DEP_1)
	v_fmac_f32_e32 v84, v64, v87
	ds_load_2addr_b64 v[61:64], v2 offset0:19 offset1:20
	s_waitcnt lgkmcnt(1)
	v_fmac_f32_e32 v84, v65, v88
	v_fmac_f32_e32 v84, v66, v89
	s_delay_alu instid0(VALU_DEP_1) | instskip(SKIP_1) | instid1(VALU_DEP_1)
	v_fmac_f32_e32 v84, v67, v90
	s_waitcnt vmcnt(4)
	v_fmac_f32_e32 v84, v68, v91
	ds_load_2addr_b64 v[65:68], v2 offset0:21 offset1:22
	s_waitcnt lgkmcnt(1)
	v_fmac_f32_e32 v84, v69, v61
	s_delay_alu instid0(VALU_DEP_1) | instskip(NEXT) | instid1(VALU_DEP_1)
	v_fmac_f32_e32 v84, v70, v62
	v_fmac_f32_e32 v84, v71, v63
	s_waitcnt vmcnt(3)
	s_delay_alu instid0(VALU_DEP_1) | instskip(SKIP_3) | instid1(VALU_DEP_1)
	v_fmac_f32_e32 v84, v72, v64
	ds_load_2addr_b64 v[61:64], v2 offset0:23 offset1:24
	s_waitcnt lgkmcnt(1)
	v_fmac_f32_e32 v84, v73, v65
	v_fmac_f32_e32 v84, v74, v66
	s_delay_alu instid0(VALU_DEP_1) | instskip(SKIP_1) | instid1(VALU_DEP_1)
	v_fmac_f32_e32 v84, v75, v67
	s_waitcnt vmcnt(2)
	v_fmac_f32_e32 v84, v76, v68
	ds_load_2addr_b64 v[65:68], v2 offset0:25 offset1:26
	ds_load_b64 v[2:3], v2 offset:216
	s_waitcnt lgkmcnt(2)
	v_fmac_f32_e32 v84, v77, v61
	s_delay_alu instid0(VALU_DEP_1) | instskip(NEXT) | instid1(VALU_DEP_1)
	v_fmac_f32_e32 v84, v78, v62
	v_fmac_f32_e32 v84, v79, v63
	s_waitcnt vmcnt(1)
	s_delay_alu instid0(VALU_DEP_1) | instskip(SKIP_1) | instid1(VALU_DEP_1)
	v_fmac_f32_e32 v84, v80, v64
	s_waitcnt lgkmcnt(1)
	v_fmac_f32_e32 v84, v81, v65
	s_delay_alu instid0(VALU_DEP_1) | instskip(NEXT) | instid1(VALU_DEP_1)
	v_fmac_f32_e32 v84, v82, v66
	v_fmac_f32_e32 v84, v83, v67
	s_waitcnt vmcnt(0)
	s_delay_alu instid0(VALU_DEP_1) | instskip(SKIP_1) | instid1(VALU_DEP_1)
	v_fmac_f32_e32 v84, v92, v68
	s_waitcnt lgkmcnt(0)
	v_fmac_f32_e32 v84, v93, v2
	s_delay_alu instid0(VALU_DEP_1) | instskip(NEXT) | instid1(VALU_DEP_1)
	v_fmac_f32_e32 v84, v94, v3
	v_sub_f32_e32 v2, v60, v84
	scratch_store_b32 off, v2, off offset:4
	v_cmpx_ne_u32_e32 0, v0
	s_cbranch_execz .LBB27_175
; %bb.174:
	scratch_load_b32 v0, off, off
	v_mov_b32_e32 v2, 0
	scratch_store_b32 off, v2, off
	s_waitcnt vmcnt(0)
	ds_store_b32 v1, v0
.LBB27_175:
	s_or_b32 exec_lo, exec_lo, s0
	s_waitcnt lgkmcnt(0)
	s_waitcnt_vscnt null, 0x0
	s_barrier
	buffer_gl0_inv
	s_clause 0x6
	scratch_load_b128 v[60:63], off, off
	scratch_load_b128 v[64:67], off, off offset:16
	scratch_load_b128 v[68:71], off, off offset:32
	;; [unrolled: 1-line block ×6, first 2 shown]
	v_mov_b32_e32 v92, 0
	ds_load_2addr_b32 v[84:85], v92 offset0:29 offset1:30
	ds_load_2addr_b32 v[86:87], v92 offset0:31 offset1:32
	;; [unrolled: 1-line block ×4, first 2 shown]
	s_and_b32 vcc_lo, exec_lo, s16
	s_waitcnt vmcnt(6) lgkmcnt(3)
	v_fma_f32 v84, v61, v84, 0
	s_delay_alu instid0(VALU_DEP_1) | instskip(SKIP_4) | instid1(VALU_DEP_1)
	v_fmac_f32_e32 v84, v62, v85
	ds_load_2addr_b32 v[61:62], v92 offset0:37 offset1:38
	s_waitcnt lgkmcnt(3)
	v_fmac_f32_e32 v84, v63, v86
	s_waitcnt vmcnt(5)
	v_fmac_f32_e32 v84, v64, v87
	ds_load_2addr_b32 v[63:64], v92 offset0:39 offset1:40
	s_waitcnt lgkmcnt(3)
	v_fmac_f32_e32 v84, v65, v88
	s_delay_alu instid0(VALU_DEP_1) | instskip(SKIP_1) | instid1(VALU_DEP_1)
	v_fmac_f32_e32 v84, v66, v89
	s_waitcnt lgkmcnt(2)
	v_fmac_f32_e32 v84, v67, v90
	s_waitcnt vmcnt(4)
	s_delay_alu instid0(VALU_DEP_1) | instskip(SKIP_4) | instid1(VALU_DEP_1)
	v_fmac_f32_e32 v84, v68, v91
	ds_load_2addr_b32 v[65:66], v92 offset0:41 offset1:42
	ds_load_2addr_b32 v[67:68], v92 offset0:43 offset1:44
	s_waitcnt lgkmcnt(3)
	v_fmac_f32_e32 v84, v69, v61
	v_fmac_f32_e32 v84, v70, v62
	ds_load_2addr_b32 v[61:62], v92 offset0:45 offset1:46
	s_waitcnt lgkmcnt(3)
	v_fmac_f32_e32 v84, v71, v63
	s_waitcnt vmcnt(3)
	s_delay_alu instid0(VALU_DEP_1) | instskip(SKIP_3) | instid1(VALU_DEP_1)
	v_fmac_f32_e32 v84, v72, v64
	ds_load_2addr_b32 v[63:64], v92 offset0:47 offset1:48
	s_waitcnt lgkmcnt(3)
	v_fmac_f32_e32 v84, v73, v65
	v_fmac_f32_e32 v84, v74, v66
	s_waitcnt lgkmcnt(2)
	s_delay_alu instid0(VALU_DEP_1) | instskip(SKIP_1) | instid1(VALU_DEP_1)
	v_fmac_f32_e32 v84, v75, v67
	s_waitcnt vmcnt(2)
	v_fmac_f32_e32 v84, v76, v68
	ds_load_2addr_b32 v[65:66], v92 offset0:49 offset1:50
	ds_load_2addr_b32 v[67:68], v92 offset0:51 offset1:52
	s_waitcnt lgkmcnt(3)
	v_fmac_f32_e32 v84, v77, v61
	s_delay_alu instid0(VALU_DEP_1)
	v_fmac_f32_e32 v84, v78, v62
	ds_load_2addr_b32 v[61:62], v92 offset0:53 offset1:54
	s_waitcnt lgkmcnt(3)
	v_fmac_f32_e32 v84, v79, v63
	ds_load_b32 v63, v92 offset:220
	s_waitcnt vmcnt(1)
	v_fmac_f32_e32 v84, v80, v64
	s_waitcnt lgkmcnt(3)
	s_delay_alu instid0(VALU_DEP_1) | instskip(NEXT) | instid1(VALU_DEP_1)
	v_fmac_f32_e32 v84, v81, v65
	v_fmac_f32_e32 v84, v82, v66
	s_waitcnt lgkmcnt(2)
	s_delay_alu instid0(VALU_DEP_1) | instskip(SKIP_1) | instid1(VALU_DEP_1)
	v_fmac_f32_e32 v84, v83, v67
	s_waitcnt vmcnt(0)
	v_fmac_f32_e32 v84, v0, v68
	s_waitcnt lgkmcnt(1)
	s_delay_alu instid0(VALU_DEP_1) | instskip(NEXT) | instid1(VALU_DEP_1)
	v_fmac_f32_e32 v84, v1, v61
	v_fmac_f32_e32 v84, v2, v62
	s_waitcnt lgkmcnt(0)
	s_delay_alu instid0(VALU_DEP_1) | instskip(NEXT) | instid1(VALU_DEP_1)
	v_fmac_f32_e32 v84, v3, v63
	v_sub_f32_e32 v0, v60, v84
	scratch_store_b32 off, v0, off
	s_cbranch_vccz .LBB27_231
; %bb.176:
	v_dual_mov_b32 v0, s12 :: v_dual_mov_b32 v1, s13
	s_mov_b32 s0, exec_lo
	flat_load_b32 v0, v[0:1] offset:104
	s_waitcnt vmcnt(0) lgkmcnt(0)
	v_cmpx_ne_u32_e32 27, v0
	s_cbranch_execz .LBB27_178
; %bb.177:
	v_lshl_add_u32 v0, v0, 2, 0
	scratch_load_b32 v1, v0, off offset:-4
	s_waitcnt vmcnt(0)
	scratch_store_b32 off, v1, off offset:104
	scratch_store_b32 v0, v2, off offset:-4
.LBB27_178:
	s_or_b32 exec_lo, exec_lo, s0
	v_dual_mov_b32 v0, s12 :: v_dual_mov_b32 v1, s13
	s_mov_b32 s0, exec_lo
	flat_load_b32 v0, v[0:1] offset:100
	s_waitcnt vmcnt(0) lgkmcnt(0)
	v_cmpx_ne_u32_e32 26, v0
	s_cbranch_execz .LBB27_180
; %bb.179:
	v_lshl_add_u32 v0, v0, 2, 0
	scratch_load_b32 v1, v0, off offset:-4
	scratch_load_b32 v2, off, off offset:100
	s_waitcnt vmcnt(1)
	scratch_store_b32 off, v1, off offset:100
	s_waitcnt vmcnt(0)
	scratch_store_b32 v0, v2, off offset:-4
.LBB27_180:
	s_or_b32 exec_lo, exec_lo, s0
	v_dual_mov_b32 v0, s12 :: v_dual_mov_b32 v1, s13
	s_mov_b32 s0, exec_lo
	flat_load_b32 v0, v[0:1] offset:96
	s_waitcnt vmcnt(0) lgkmcnt(0)
	v_cmpx_ne_u32_e32 25, v0
	s_cbranch_execz .LBB27_182
; %bb.181:
	v_lshl_add_u32 v0, v0, 2, 0
	scratch_load_b32 v1, v0, off offset:-4
	scratch_load_b32 v2, off, off offset:96
	s_waitcnt vmcnt(1)
	scratch_store_b32 off, v1, off offset:96
	s_waitcnt vmcnt(0)
	scratch_store_b32 v0, v2, off offset:-4
.LBB27_182:
	;; [unrolled: 16-line block ×25, first 2 shown]
	s_or_b32 exec_lo, exec_lo, s0
	v_dual_mov_b32 v0, s12 :: v_dual_mov_b32 v1, s13
	s_mov_b32 s0, exec_lo
	flat_load_b32 v1, v[0:1]
	scratch_load_b32 v0, off, off
	s_waitcnt vmcnt(1) lgkmcnt(0)
	v_cmpx_ne_u32_e32 1, v1
	s_cbranch_execz .LBB27_230
; %bb.229:
	v_lshl_add_u32 v1, v1, 2, 0
	scratch_load_b32 v2, v1, off offset:-4
	s_waitcnt vmcnt(0)
	scratch_store_b32 off, v2, off
	scratch_store_b32 v1, v0, off offset:-4
	scratch_load_b32 v0, off, off
.LBB27_230:
	s_or_b32 exec_lo, exec_lo, s0
.LBB27_231:
	s_clause 0x6
	scratch_load_b128 v[60:63], off, off offset:4
	scratch_load_b128 v[64:67], off, off offset:20
	;; [unrolled: 1-line block ×6, first 2 shown]
	scratch_load_b96 v[1:3], off, off offset:100
	s_waitcnt vmcnt(7)
	global_store_b32 v[4:5], v0, off
	s_waitcnt vmcnt(6)
	s_clause 0x3
	global_store_b32 v[6:7], v60, off
	global_store_b32 v[8:9], v61, off
	global_store_b32 v[10:11], v62, off
	global_store_b32 v[12:13], v63, off
	s_waitcnt vmcnt(5)
	s_clause 0x3
	global_store_b32 v[14:15], v64, off
	global_store_b32 v[16:17], v65, off
	global_store_b32 v[18:19], v66, off
	;; [unrolled: 6-line block ×7, first 2 shown]
	s_endpgm
	.section	.rodata,"a",@progbits
	.p2align	6, 0x0
	.amdhsa_kernel _ZN9rocsolver6v33100L18getri_kernel_smallILi28EfPfEEvT1_iilPiilS4_bb
		.amdhsa_group_segment_fixed_size 228
		.amdhsa_private_segment_fixed_size 128
		.amdhsa_kernarg_size 60
		.amdhsa_user_sgpr_count 15
		.amdhsa_user_sgpr_dispatch_ptr 0
		.amdhsa_user_sgpr_queue_ptr 0
		.amdhsa_user_sgpr_kernarg_segment_ptr 1
		.amdhsa_user_sgpr_dispatch_id 0
		.amdhsa_user_sgpr_private_segment_size 0
		.amdhsa_wavefront_size32 1
		.amdhsa_uses_dynamic_stack 0
		.amdhsa_enable_private_segment 1
		.amdhsa_system_sgpr_workgroup_id_x 1
		.amdhsa_system_sgpr_workgroup_id_y 0
		.amdhsa_system_sgpr_workgroup_id_z 0
		.amdhsa_system_sgpr_workgroup_info 0
		.amdhsa_system_vgpr_workitem_id 0
		.amdhsa_next_free_vgpr 95
		.amdhsa_next_free_sgpr 18
		.amdhsa_reserve_vcc 1
		.amdhsa_float_round_mode_32 0
		.amdhsa_float_round_mode_16_64 0
		.amdhsa_float_denorm_mode_32 3
		.amdhsa_float_denorm_mode_16_64 3
		.amdhsa_dx10_clamp 1
		.amdhsa_ieee_mode 1
		.amdhsa_fp16_overflow 0
		.amdhsa_workgroup_processor_mode 1
		.amdhsa_memory_ordered 1
		.amdhsa_forward_progress 0
		.amdhsa_shared_vgpr_count 0
		.amdhsa_exception_fp_ieee_invalid_op 0
		.amdhsa_exception_fp_denorm_src 0
		.amdhsa_exception_fp_ieee_div_zero 0
		.amdhsa_exception_fp_ieee_overflow 0
		.amdhsa_exception_fp_ieee_underflow 0
		.amdhsa_exception_fp_ieee_inexact 0
		.amdhsa_exception_int_div_zero 0
	.end_amdhsa_kernel
	.section	.text._ZN9rocsolver6v33100L18getri_kernel_smallILi28EfPfEEvT1_iilPiilS4_bb,"axG",@progbits,_ZN9rocsolver6v33100L18getri_kernel_smallILi28EfPfEEvT1_iilPiilS4_bb,comdat
.Lfunc_end27:
	.size	_ZN9rocsolver6v33100L18getri_kernel_smallILi28EfPfEEvT1_iilPiilS4_bb, .Lfunc_end27-_ZN9rocsolver6v33100L18getri_kernel_smallILi28EfPfEEvT1_iilPiilS4_bb
                                        ; -- End function
	.section	.AMDGPU.csdata,"",@progbits
; Kernel info:
; codeLenInByte = 16816
; NumSgprs: 20
; NumVgprs: 95
; ScratchSize: 128
; MemoryBound: 0
; FloatMode: 240
; IeeeMode: 1
; LDSByteSize: 228 bytes/workgroup (compile time only)
; SGPRBlocks: 2
; VGPRBlocks: 11
; NumSGPRsForWavesPerEU: 20
; NumVGPRsForWavesPerEU: 95
; Occupancy: 16
; WaveLimiterHint : 1
; COMPUTE_PGM_RSRC2:SCRATCH_EN: 1
; COMPUTE_PGM_RSRC2:USER_SGPR: 15
; COMPUTE_PGM_RSRC2:TRAP_HANDLER: 0
; COMPUTE_PGM_RSRC2:TGID_X_EN: 1
; COMPUTE_PGM_RSRC2:TGID_Y_EN: 0
; COMPUTE_PGM_RSRC2:TGID_Z_EN: 0
; COMPUTE_PGM_RSRC2:TIDIG_COMP_CNT: 0
	.section	.text._ZN9rocsolver6v33100L18getri_kernel_smallILi29EfPfEEvT1_iilPiilS4_bb,"axG",@progbits,_ZN9rocsolver6v33100L18getri_kernel_smallILi29EfPfEEvT1_iilPiilS4_bb,comdat
	.globl	_ZN9rocsolver6v33100L18getri_kernel_smallILi29EfPfEEvT1_iilPiilS4_bb ; -- Begin function _ZN9rocsolver6v33100L18getri_kernel_smallILi29EfPfEEvT1_iilPiilS4_bb
	.p2align	8
	.type	_ZN9rocsolver6v33100L18getri_kernel_smallILi29EfPfEEvT1_iilPiilS4_bb,@function
_ZN9rocsolver6v33100L18getri_kernel_smallILi29EfPfEEvT1_iilPiilS4_bb: ; @_ZN9rocsolver6v33100L18getri_kernel_smallILi29EfPfEEvT1_iilPiilS4_bb
; %bb.0:
	s_mov_b32 s2, exec_lo
	v_cmpx_gt_u32_e32 29, v0
	s_cbranch_execz .LBB28_124
; %bb.1:
	s_clause 0x2
	s_load_b32 s17, s[0:1], 0x38
	s_load_b128 s[8:11], s[0:1], 0x10
	s_load_b128 s[4:7], s[0:1], 0x28
	s_mov_b32 s14, s15
                                        ; implicit-def: $sgpr12_sgpr13
	s_waitcnt lgkmcnt(0)
	s_bitcmp1_b32 s17, 8
	s_cselect_b32 s16, -1, 0
	s_bfe_u32 s2, s17, 0x10008
	s_ashr_i32 s15, s15, 31
	s_cmp_eq_u32 s2, 0
	s_cbranch_scc1 .LBB28_3
; %bb.2:
	s_load_b32 s2, s[0:1], 0x20
	s_mul_i32 s3, s14, s5
	s_mul_hi_u32 s5, s14, s4
	s_mul_i32 s12, s15, s4
	s_add_i32 s3, s5, s3
	s_mul_i32 s4, s14, s4
	s_add_i32 s5, s3, s12
	s_delay_alu instid0(SALU_CYCLE_1)
	s_lshl_b64 s[4:5], s[4:5], 2
	s_waitcnt lgkmcnt(0)
	s_ashr_i32 s3, s2, 31
	s_add_u32 s4, s10, s4
	s_addc_u32 s5, s11, s5
	s_lshl_b64 s[2:3], s[2:3], 2
	s_delay_alu instid0(SALU_CYCLE_1)
	s_add_u32 s12, s4, s2
	s_addc_u32 s13, s5, s3
.LBB28_3:
	s_load_b128 s[0:3], s[0:1], 0x0
	s_mul_i32 s4, s14, s9
	s_mul_hi_u32 s5, s14, s8
	s_mul_i32 s9, s15, s8
	s_add_i32 s5, s5, s4
	s_mul_i32 s4, s14, s8
	s_add_i32 s5, s5, s9
	v_lshlrev_b32_e32 v1, 2, v0
	s_lshl_b64 s[4:5], s[4:5], 2
	s_waitcnt lgkmcnt(0)
	v_add3_u32 v2, s3, s3, v0
	s_ashr_i32 s9, s2, 31
	s_mov_b32 s8, s2
	s_add_u32 s2, s0, s4
	s_addc_u32 s5, s1, s5
	v_add_nc_u32_e32 v8, s3, v2
	s_lshl_b64 s[0:1], s[8:9], 2
	v_ashrrev_i32_e32 v3, 31, v2
	s_add_u32 s0, s2, s0
	s_addc_u32 s1, s5, s1
	v_add_nc_u32_e32 v10, s3, v8
	v_add_co_u32 v4, s2, s0, v1
	s_mov_b32 s4, s3
	s_ashr_i32 s5, s3, 31
	s_delay_alu instid0(VALU_DEP_2) | instskip(SKIP_3) | instid1(VALU_DEP_4)
	v_add_nc_u32_e32 v14, s3, v10
	v_add_co_ci_u32_e64 v5, null, s1, 0, s2
	v_lshlrev_b64 v[2:3], 2, v[2:3]
	v_ashrrev_i32_e32 v9, 31, v8
	v_add_nc_u32_e32 v16, s3, v14
	s_lshl_b64 s[4:5], s[4:5], 2
	v_ashrrev_i32_e32 v11, 31, v10
	v_add_co_u32 v6, vcc_lo, v4, s4
	s_delay_alu instid0(VALU_DEP_3)
	v_add_nc_u32_e32 v18, s3, v16
	v_add_co_ci_u32_e32 v7, vcc_lo, s5, v5, vcc_lo
	v_lshlrev_b64 v[12:13], 2, v[8:9]
	v_add_co_u32 v8, vcc_lo, s0, v2
	v_add_co_ci_u32_e32 v9, vcc_lo, s1, v3, vcc_lo
	v_lshlrev_b64 v[2:3], 2, v[10:11]
	v_ashrrev_i32_e32 v15, 31, v14
	v_add_nc_u32_e32 v20, s3, v18
	v_add_co_u32 v10, vcc_lo, s0, v12
	v_ashrrev_i32_e32 v17, 31, v16
	v_add_co_ci_u32_e32 v11, vcc_lo, s1, v13, vcc_lo
	v_lshlrev_b64 v[14:15], 2, v[14:15]
	v_add_co_u32 v12, vcc_lo, s0, v2
	v_add_nc_u32_e32 v22, s3, v20
	v_add_co_ci_u32_e32 v13, vcc_lo, s1, v3, vcc_lo
	v_lshlrev_b64 v[2:3], 2, v[16:17]
	v_ashrrev_i32_e32 v19, 31, v18
	v_add_co_u32 v14, vcc_lo, s0, v14
	v_ashrrev_i32_e32 v21, 31, v20
	v_add_nc_u32_e32 v24, s3, v22
	v_add_co_ci_u32_e32 v15, vcc_lo, s1, v15, vcc_lo
	v_lshlrev_b64 v[18:19], 2, v[18:19]
	v_add_co_u32 v16, vcc_lo, s0, v2
	v_add_co_ci_u32_e32 v17, vcc_lo, s1, v3, vcc_lo
	v_lshlrev_b64 v[2:3], 2, v[20:21]
	v_add_nc_u32_e32 v26, s3, v24
	v_add_co_u32 v18, vcc_lo, s0, v18
	v_ashrrev_i32_e32 v23, 31, v22
	v_add_co_ci_u32_e32 v19, vcc_lo, s1, v19, vcc_lo
	s_delay_alu instid0(VALU_DEP_4)
	v_add_nc_u32_e32 v28, s3, v26
	v_add_co_u32 v20, vcc_lo, s0, v2
	v_add_co_ci_u32_e32 v21, vcc_lo, s1, v3, vcc_lo
	v_lshlrev_b64 v[2:3], 2, v[22:23]
	v_ashrrev_i32_e32 v25, 31, v24
	v_add_nc_u32_e32 v30, s3, v28
	v_ashrrev_i32_e32 v27, 31, v26
	v_ashrrev_i32_e32 v29, 31, v28
	global_load_b32 v62, v1, s[0:1]
	v_lshlrev_b64 v[24:25], 2, v[24:25]
	v_add_co_u32 v22, vcc_lo, s0, v2
	v_add_nc_u32_e32 v32, s3, v30
	v_add_co_ci_u32_e32 v23, vcc_lo, s1, v3, vcc_lo
	v_lshlrev_b64 v[2:3], 2, v[26:27]
	v_add_co_u32 v24, vcc_lo, s0, v24
	v_ashrrev_i32_e32 v31, 31, v30
	v_add_nc_u32_e32 v34, s3, v32
	v_add_co_ci_u32_e32 v25, vcc_lo, s1, v25, vcc_lo
	v_lshlrev_b64 v[28:29], 2, v[28:29]
	v_add_co_u32 v26, vcc_lo, s0, v2
	v_add_co_ci_u32_e32 v27, vcc_lo, s1, v3, vcc_lo
	v_lshlrev_b64 v[2:3], 2, v[30:31]
	v_ashrrev_i32_e32 v33, 31, v32
	v_add_nc_u32_e32 v36, s3, v34
	v_add_co_u32 v28, vcc_lo, s0, v28
	v_ashrrev_i32_e32 v35, 31, v34
	v_add_co_ci_u32_e32 v29, vcc_lo, s1, v29, vcc_lo
	v_lshlrev_b64 v[32:33], 2, v[32:33]
	v_add_co_u32 v30, vcc_lo, s0, v2
	v_ashrrev_i32_e32 v37, 31, v36
	v_add_co_ci_u32_e32 v31, vcc_lo, s1, v3, vcc_lo
	v_lshlrev_b64 v[2:3], 2, v[34:35]
	v_add_nc_u32_e32 v39, s3, v36
	v_add_co_u32 v32, vcc_lo, s0, v32
	v_lshlrev_b64 v[37:38], 2, v[36:37]
	v_add_co_ci_u32_e32 v33, vcc_lo, s1, v33, vcc_lo
	v_add_co_u32 v34, vcc_lo, s0, v2
	v_ashrrev_i32_e32 v40, 31, v39
	v_add_nc_u32_e32 v2, s3, v39
	v_add_co_ci_u32_e32 v35, vcc_lo, s1, v3, vcc_lo
	v_add_co_u32 v36, vcc_lo, s0, v37
	v_add_co_ci_u32_e32 v37, vcc_lo, s1, v38, vcc_lo
	v_lshlrev_b64 v[38:39], 2, v[39:40]
	v_add_nc_u32_e32 v40, s3, v2
	v_ashrrev_i32_e32 v3, 31, v2
	s_clause 0xf
	global_load_b32 v63, v[6:7], off
	global_load_b32 v64, v[8:9], off
	;; [unrolled: 1-line block ×16, first 2 shown]
	s_bitcmp0_b32 s17, 0
	v_add_nc_u32_e32 v42, s3, v40
	v_lshlrev_b64 v[2:3], 2, v[2:3]
	v_ashrrev_i32_e32 v41, 31, v40
	v_add_co_u32 v38, vcc_lo, s0, v38
	s_delay_alu instid0(VALU_DEP_4) | instskip(SKIP_3) | instid1(VALU_DEP_4)
	v_add_nc_u32_e32 v46, s3, v42
	v_ashrrev_i32_e32 v43, 31, v42
	v_add_co_ci_u32_e32 v39, vcc_lo, s1, v39, vcc_lo
	v_lshlrev_b64 v[44:45], 2, v[40:41]
	v_add_nc_u32_e32 v48, s3, v46
	v_add_co_u32 v40, vcc_lo, s0, v2
	v_add_co_ci_u32_e32 v41, vcc_lo, s1, v3, vcc_lo
	s_delay_alu instid0(VALU_DEP_3) | instskip(SKIP_3) | instid1(VALU_DEP_4)
	v_add_nc_u32_e32 v50, s3, v48
	v_lshlrev_b64 v[2:3], 2, v[42:43]
	v_ashrrev_i32_e32 v47, 31, v46
	v_add_co_u32 v42, vcc_lo, s0, v44
	v_add_nc_u32_e32 v52, s3, v50
	v_ashrrev_i32_e32 v49, 31, v48
	v_add_co_ci_u32_e32 v43, vcc_lo, s1, v45, vcc_lo
	v_lshlrev_b64 v[46:47], 2, v[46:47]
	v_add_co_u32 v44, vcc_lo, s0, v2
	v_add_nc_u32_e32 v54, s3, v52
	v_add_co_ci_u32_e32 v45, vcc_lo, s1, v3, vcc_lo
	v_lshlrev_b64 v[2:3], 2, v[48:49]
	v_ashrrev_i32_e32 v51, 31, v50
	v_add_co_u32 v46, vcc_lo, s0, v46
	v_ashrrev_i32_e32 v53, 31, v52
	v_add_nc_u32_e32 v56, s3, v54
	v_add_co_ci_u32_e32 v47, vcc_lo, s1, v47, vcc_lo
	v_lshlrev_b64 v[50:51], 2, v[50:51]
	v_add_co_u32 v48, vcc_lo, s0, v2
	v_add_co_ci_u32_e32 v49, vcc_lo, s1, v3, vcc_lo
	v_lshlrev_b64 v[2:3], 2, v[52:53]
	v_ashrrev_i32_e32 v55, 31, v54
	v_add_nc_u32_e32 v58, s3, v56
	v_add_co_u32 v50, vcc_lo, s0, v50
	v_ashrrev_i32_e32 v57, 31, v56
	v_add_co_ci_u32_e32 v51, vcc_lo, s1, v51, vcc_lo
	v_lshlrev_b64 v[54:55], 2, v[54:55]
	v_add_co_u32 v52, vcc_lo, s0, v2
	v_add_nc_u32_e32 v60, s3, v58
	v_add_co_ci_u32_e32 v53, vcc_lo, s1, v3, vcc_lo
	v_lshlrev_b64 v[2:3], 2, v[56:57]
	v_ashrrev_i32_e32 v59, 31, v58
	v_add_co_u32 v54, vcc_lo, s0, v54
	v_ashrrev_i32_e32 v61, 31, v60
	v_add_co_ci_u32_e32 v55, vcc_lo, s1, v55, vcc_lo
	s_delay_alu instid0(VALU_DEP_4) | instskip(SKIP_3) | instid1(VALU_DEP_4)
	v_lshlrev_b64 v[58:59], 2, v[58:59]
	v_add_co_u32 v56, vcc_lo, s0, v2
	v_add_co_ci_u32_e32 v57, vcc_lo, s1, v3, vcc_lo
	v_lshlrev_b64 v[2:3], 2, v[60:61]
	v_add_co_u32 v58, vcc_lo, s0, v58
	v_add_co_ci_u32_e32 v59, vcc_lo, s1, v59, vcc_lo
	s_delay_alu instid0(VALU_DEP_3) | instskip(NEXT) | instid1(VALU_DEP_4)
	v_add_co_u32 v60, vcc_lo, s0, v2
	v_add_co_ci_u32_e32 v61, vcc_lo, s1, v3, vcc_lo
	s_clause 0xb
	global_load_b32 v79, v[38:39], off
	global_load_b32 v80, v[40:41], off
	;; [unrolled: 1-line block ×12, first 2 shown]
	s_mov_b32 s1, -1
	s_waitcnt vmcnt(25)
	scratch_store_b128 off, v[62:65], off
	s_waitcnt vmcnt(21)
	scratch_store_b128 off, v[66:69], off offset:16
	s_waitcnt vmcnt(17)
	scratch_store_b128 off, v[70:73], off offset:32
	s_waitcnt vmcnt(13)
	scratch_store_b128 off, v[74:77], off offset:48
	s_waitcnt vmcnt(9)
	scratch_store_b128 off, v[78:81], off offset:64
	s_waitcnt vmcnt(5)
	scratch_store_b128 off, v[82:85], off offset:80
	s_waitcnt vmcnt(1)
	scratch_store_b128 off, v[86:89], off offset:96
	s_waitcnt vmcnt(0)
	scratch_store_b32 off, v2, off offset:112
	s_cbranch_scc1 .LBB28_122
; %bb.4:
	v_cmp_eq_u32_e64 s0, 0, v0
	s_delay_alu instid0(VALU_DEP_1)
	s_and_saveexec_b32 s1, s0
	s_cbranch_execz .LBB28_6
; %bb.5:
	v_mov_b32_e32 v2, 0
	ds_store_b32 v2, v2 offset:116
.LBB28_6:
	s_or_b32 exec_lo, exec_lo, s1
	s_waitcnt lgkmcnt(0)
	s_waitcnt_vscnt null, 0x0
	s_barrier
	buffer_gl0_inv
	scratch_load_b32 v2, v1, off
	s_mov_b32 s2, exec_lo
	s_waitcnt vmcnt(0)
	v_cmpx_eq_f32_e32 0, v2
	s_cbranch_execz .LBB28_10
; %bb.7:
	v_mov_b32_e32 v2, 0
	s_mov_b32 s3, 0
	ds_load_b32 v3, v2 offset:116
	s_waitcnt lgkmcnt(0)
	v_readfirstlane_b32 s1, v3
	v_add_nc_u32_e32 v3, 1, v0
	s_delay_alu instid0(VALU_DEP_2) | instskip(NEXT) | instid1(VALU_DEP_1)
	s_cmp_eq_u32 s1, 0
	v_cmp_gt_i32_e32 vcc_lo, s1, v3
	s_cselect_b32 s4, -1, 0
	s_delay_alu instid0(SALU_CYCLE_1) | instskip(NEXT) | instid1(SALU_CYCLE_1)
	s_or_b32 s4, s4, vcc_lo
	s_and_b32 exec_lo, exec_lo, s4
	s_cbranch_execz .LBB28_10
; %bb.8:
	v_mov_b32_e32 v62, s1
.LBB28_9:                               ; =>This Inner Loop Header: Depth=1
	ds_cmpstore_rtn_b32 v62, v2, v3, v62 offset:116
	s_waitcnt lgkmcnt(0)
	v_cmp_ne_u32_e32 vcc_lo, 0, v62
	v_cmp_le_i32_e64 s1, v62, v3
	s_delay_alu instid0(VALU_DEP_1) | instskip(NEXT) | instid1(SALU_CYCLE_1)
	s_and_b32 s1, vcc_lo, s1
	s_and_b32 s1, exec_lo, s1
	s_delay_alu instid0(SALU_CYCLE_1) | instskip(NEXT) | instid1(SALU_CYCLE_1)
	s_or_b32 s3, s1, s3
	s_and_not1_b32 exec_lo, exec_lo, s3
	s_cbranch_execnz .LBB28_9
.LBB28_10:
	s_or_b32 exec_lo, exec_lo, s2
	v_mov_b32_e32 v2, 0
	s_barrier
	buffer_gl0_inv
	ds_load_b32 v3, v2 offset:116
	s_and_saveexec_b32 s1, s0
	s_cbranch_execz .LBB28_12
; %bb.11:
	s_lshl_b64 s[2:3], s[14:15], 2
	s_delay_alu instid0(SALU_CYCLE_1)
	s_add_u32 s2, s6, s2
	s_addc_u32 s3, s7, s3
	s_waitcnt lgkmcnt(0)
	global_store_b32 v2, v3, s[2:3]
.LBB28_12:
	s_or_b32 exec_lo, exec_lo, s1
	s_waitcnt lgkmcnt(0)
	v_cmp_ne_u32_e32 vcc_lo, 0, v3
	s_mov_b32 s1, 0
	s_cbranch_vccnz .LBB28_122
; %bb.13:
	v_add_nc_u32_e32 v2, 0, v1
	scratch_load_b32 v3, v2, off
	s_waitcnt vmcnt(0)
	v_div_scale_f32 v62, null, v3, v3, 1.0
	v_div_scale_f32 v65, vcc_lo, 1.0, v3, 1.0
	s_delay_alu instid0(VALU_DEP_2) | instskip(SKIP_2) | instid1(VALU_DEP_1)
	v_rcp_f32_e32 v63, v62
	s_waitcnt_depctr 0xfff
	v_fma_f32 v64, -v62, v63, 1.0
	v_fmac_f32_e32 v63, v64, v63
	s_delay_alu instid0(VALU_DEP_1) | instskip(NEXT) | instid1(VALU_DEP_1)
	v_mul_f32_e32 v64, v65, v63
	v_fma_f32 v66, -v62, v64, v65
	s_delay_alu instid0(VALU_DEP_1) | instskip(NEXT) | instid1(VALU_DEP_1)
	v_fmac_f32_e32 v64, v66, v63
	v_fma_f32 v62, -v62, v64, v65
	s_delay_alu instid0(VALU_DEP_1) | instskip(NEXT) | instid1(VALU_DEP_1)
	v_div_fmas_f32 v62, v62, v63, v64
	v_div_fixup_f32 v3, v62, v3, 1.0
	scratch_store_b32 v2, v3, off
	scratch_load_b32 v62, off, off offset:4
	v_xor_b32_e32 v63, 0x80000000, v3
	v_add_nc_u32_e32 v3, 0x80, v1
	s_waitcnt vmcnt(0)
	ds_store_2addr_b32 v1, v63, v62 offset1:32
	s_waitcnt lgkmcnt(0)
	s_waitcnt_vscnt null, 0x0
	s_barrier
	buffer_gl0_inv
	s_and_saveexec_b32 s1, s0
	s_cbranch_execz .LBB28_15
; %bb.14:
	scratch_load_b32 v62, v2, off
	ds_load_b32 v63, v3
	v_mov_b32_e32 v64, 0
	ds_load_b32 v64, v64 offset:4
	s_waitcnt vmcnt(0) lgkmcnt(1)
	v_fma_f32 v62, v62, v63, 0
	s_waitcnt lgkmcnt(0)
	s_delay_alu instid0(VALU_DEP_1)
	v_mul_f32_e32 v62, v62, v64
	scratch_store_b32 off, v62, off offset:4
.LBB28_15:
	s_or_b32 exec_lo, exec_lo, s1
	s_waitcnt_vscnt null, 0x0
	s_barrier
	buffer_gl0_inv
	scratch_load_b32 v62, off, off offset:8
	s_mov_b32 s1, exec_lo
	s_waitcnt vmcnt(0)
	ds_store_b32 v3, v62
	s_waitcnt lgkmcnt(0)
	s_barrier
	buffer_gl0_inv
	v_cmpx_gt_u32_e32 2, v0
	s_cbranch_execz .LBB28_17
; %bb.16:
	scratch_load_b32 v64, v2, off
	scratch_load_b32 v65, off, off offset:4
	ds_load_b32 v66, v3
	v_mov_b32_e32 v62, 0
	ds_load_2addr_b32 v[62:63], v62 offset0:2 offset1:33
	s_waitcnt vmcnt(1) lgkmcnt(1)
	v_fma_f32 v64, v64, v66, 0
	s_waitcnt vmcnt(0) lgkmcnt(0)
	s_delay_alu instid0(VALU_DEP_1) | instskip(NEXT) | instid1(VALU_DEP_1)
	v_fma_f32 v63, v65, v63, v64
	v_cndmask_b32_e64 v63, v64, v63, s0
	s_delay_alu instid0(VALU_DEP_1)
	v_mul_f32_e32 v62, v63, v62
	scratch_store_b32 off, v62, off offset:8
.LBB28_17:
	s_or_b32 exec_lo, exec_lo, s1
	s_waitcnt_vscnt null, 0x0
	s_barrier
	buffer_gl0_inv
	scratch_load_b32 v63, off, off offset:12
	v_add_nc_u32_e32 v62, -1, v0
	s_mov_b32 s0, exec_lo
	s_waitcnt vmcnt(0)
	ds_store_b32 v3, v63
	s_waitcnt lgkmcnt(0)
	s_barrier
	buffer_gl0_inv
	v_cmpx_gt_u32_e32 3, v0
	s_cbranch_execz .LBB28_21
; %bb.18:
	v_dual_mov_b32 v63, 0 :: v_dual_add_nc_u32 v64, -1, v0
	v_add_nc_u32_e32 v65, 0x80, v1
	v_add_nc_u32_e32 v66, 0, v1
	s_mov_b32 s1, 0
.LBB28_19:                              ; =>This Inner Loop Header: Depth=1
	scratch_load_b32 v67, v66, off
	ds_load_b32 v68, v65
	v_add_nc_u32_e32 v64, 1, v64
	v_add_nc_u32_e32 v65, 4, v65
	v_add_nc_u32_e32 v66, 4, v66
	s_delay_alu instid0(VALU_DEP_3)
	v_cmp_lt_u32_e32 vcc_lo, 1, v64
	s_or_b32 s1, vcc_lo, s1
	s_waitcnt vmcnt(0) lgkmcnt(0)
	v_fmac_f32_e32 v63, v67, v68
	s_and_not1_b32 exec_lo, exec_lo, s1
	s_cbranch_execnz .LBB28_19
; %bb.20:
	s_or_b32 exec_lo, exec_lo, s1
	v_mov_b32_e32 v64, 0
	ds_load_b32 v64, v64 offset:12
	s_waitcnt lgkmcnt(0)
	v_mul_f32_e32 v63, v63, v64
	scratch_store_b32 off, v63, off offset:12
.LBB28_21:
	s_or_b32 exec_lo, exec_lo, s0
	s_waitcnt_vscnt null, 0x0
	s_barrier
	buffer_gl0_inv
	scratch_load_b32 v63, off, off offset:16
	s_mov_b32 s0, exec_lo
	s_waitcnt vmcnt(0)
	ds_store_b32 v3, v63
	s_waitcnt lgkmcnt(0)
	s_barrier
	buffer_gl0_inv
	v_cmpx_gt_u32_e32 4, v0
	s_cbranch_execz .LBB28_25
; %bb.22:
	v_dual_mov_b32 v63, 0 :: v_dual_add_nc_u32 v64, -1, v0
	v_add_nc_u32_e32 v65, 0x80, v1
	v_add_nc_u32_e32 v66, 0, v1
	s_mov_b32 s1, 0
.LBB28_23:                              ; =>This Inner Loop Header: Depth=1
	scratch_load_b32 v67, v66, off
	ds_load_b32 v68, v65
	v_add_nc_u32_e32 v64, 1, v64
	v_add_nc_u32_e32 v65, 4, v65
	v_add_nc_u32_e32 v66, 4, v66
	s_delay_alu instid0(VALU_DEP_3)
	v_cmp_lt_u32_e32 vcc_lo, 2, v64
	s_or_b32 s1, vcc_lo, s1
	s_waitcnt vmcnt(0) lgkmcnt(0)
	v_fmac_f32_e32 v63, v67, v68
	s_and_not1_b32 exec_lo, exec_lo, s1
	s_cbranch_execnz .LBB28_23
; %bb.24:
	s_or_b32 exec_lo, exec_lo, s1
	v_mov_b32_e32 v64, 0
	ds_load_b32 v64, v64 offset:16
	s_waitcnt lgkmcnt(0)
	v_mul_f32_e32 v63, v63, v64
	scratch_store_b32 off, v63, off offset:16
.LBB28_25:
	s_or_b32 exec_lo, exec_lo, s0
	s_waitcnt_vscnt null, 0x0
	s_barrier
	buffer_gl0_inv
	scratch_load_b32 v63, off, off offset:20
	;; [unrolled: 39-line block ×21, first 2 shown]
	s_mov_b32 s0, exec_lo
	s_waitcnt vmcnt(0)
	ds_store_b32 v3, v63
	s_waitcnt lgkmcnt(0)
	s_barrier
	buffer_gl0_inv
	v_cmpx_gt_u32_e32 24, v0
	s_cbranch_execz .LBB28_105
; %bb.102:
	v_dual_mov_b32 v63, 0 :: v_dual_add_nc_u32 v64, -1, v0
	v_add_nc_u32_e32 v65, 0x80, v1
	v_add_nc_u32_e32 v66, 0, v1
	s_mov_b32 s1, 0
.LBB28_103:                             ; =>This Inner Loop Header: Depth=1
	scratch_load_b32 v67, v66, off
	ds_load_b32 v68, v65
	v_add_nc_u32_e32 v64, 1, v64
	v_add_nc_u32_e32 v65, 4, v65
	v_add_nc_u32_e32 v66, 4, v66
	s_delay_alu instid0(VALU_DEP_3)
	v_cmp_lt_u32_e32 vcc_lo, 22, v64
	s_or_b32 s1, vcc_lo, s1
	s_waitcnt vmcnt(0) lgkmcnt(0)
	v_fmac_f32_e32 v63, v67, v68
	s_and_not1_b32 exec_lo, exec_lo, s1
	s_cbranch_execnz .LBB28_103
; %bb.104:
	s_or_b32 exec_lo, exec_lo, s1
	v_mov_b32_e32 v64, 0
	ds_load_b32 v64, v64 offset:96
	s_waitcnt lgkmcnt(0)
	v_mul_f32_e32 v63, v63, v64
	scratch_store_b32 off, v63, off offset:96
.LBB28_105:
	s_or_b32 exec_lo, exec_lo, s0
	s_waitcnt_vscnt null, 0x0
	s_barrier
	buffer_gl0_inv
	scratch_load_b32 v63, off, off offset:100
	s_mov_b32 s0, exec_lo
	s_waitcnt vmcnt(0)
	ds_store_b32 v3, v63
	s_waitcnt lgkmcnt(0)
	s_barrier
	buffer_gl0_inv
	v_cmpx_gt_u32_e32 25, v0
	s_cbranch_execz .LBB28_109
; %bb.106:
	v_dual_mov_b32 v63, 0 :: v_dual_add_nc_u32 v64, -1, v0
	v_add_nc_u32_e32 v65, 0x80, v1
	v_add_nc_u32_e32 v66, 0, v1
	s_mov_b32 s1, 0
.LBB28_107:                             ; =>This Inner Loop Header: Depth=1
	scratch_load_b32 v67, v66, off
	ds_load_b32 v68, v65
	v_add_nc_u32_e32 v64, 1, v64
	v_add_nc_u32_e32 v65, 4, v65
	v_add_nc_u32_e32 v66, 4, v66
	s_delay_alu instid0(VALU_DEP_3)
	v_cmp_lt_u32_e32 vcc_lo, 23, v64
	s_or_b32 s1, vcc_lo, s1
	s_waitcnt vmcnt(0) lgkmcnt(0)
	v_fmac_f32_e32 v63, v67, v68
	s_and_not1_b32 exec_lo, exec_lo, s1
	s_cbranch_execnz .LBB28_107
; %bb.108:
	s_or_b32 exec_lo, exec_lo, s1
	v_mov_b32_e32 v64, 0
	ds_load_b32 v64, v64 offset:100
	s_waitcnt lgkmcnt(0)
	v_mul_f32_e32 v63, v63, v64
	scratch_store_b32 off, v63, off offset:100
.LBB28_109:
	s_or_b32 exec_lo, exec_lo, s0
	s_waitcnt_vscnt null, 0x0
	s_barrier
	buffer_gl0_inv
	scratch_load_b32 v63, off, off offset:104
	;; [unrolled: 39-line block ×3, first 2 shown]
	s_mov_b32 s0, exec_lo
	s_waitcnt vmcnt(0)
	ds_store_b32 v3, v63
	s_waitcnt lgkmcnt(0)
	s_barrier
	buffer_gl0_inv
	v_cmpx_gt_u32_e32 27, v0
	s_cbranch_execz .LBB28_117
; %bb.114:
	v_add_nc_u32_e32 v63, -1, v0
	v_add_nc_u32_e32 v64, 0x80, v1
	v_add_nc_u32_e32 v65, 0, v1
	v_mov_b32_e32 v1, 0
	s_mov_b32 s1, 0
.LBB28_115:                             ; =>This Inner Loop Header: Depth=1
	scratch_load_b32 v66, v65, off
	ds_load_b32 v67, v64
	v_add_nc_u32_e32 v63, 1, v63
	v_add_nc_u32_e32 v64, 4, v64
	;; [unrolled: 1-line block ×3, first 2 shown]
	s_delay_alu instid0(VALU_DEP_3)
	v_cmp_lt_u32_e32 vcc_lo, 25, v63
	s_or_b32 s1, vcc_lo, s1
	s_waitcnt vmcnt(0) lgkmcnt(0)
	v_fmac_f32_e32 v1, v66, v67
	s_and_not1_b32 exec_lo, exec_lo, s1
	s_cbranch_execnz .LBB28_115
; %bb.116:
	s_or_b32 exec_lo, exec_lo, s1
	v_mov_b32_e32 v63, 0
	ds_load_b32 v63, v63 offset:108
	s_waitcnt lgkmcnt(0)
	v_mul_f32_e32 v1, v1, v63
	scratch_store_b32 off, v1, off offset:108
.LBB28_117:
	s_or_b32 exec_lo, exec_lo, s0
	s_waitcnt_vscnt null, 0x0
	s_barrier
	buffer_gl0_inv
	scratch_load_b32 v1, off, off offset:112
	s_mov_b32 s0, exec_lo
	s_waitcnt vmcnt(0)
	ds_store_b32 v3, v1
	s_waitcnt lgkmcnt(0)
	s_barrier
	buffer_gl0_inv
	v_cmpx_ne_u32_e32 28, v0
	s_cbranch_execz .LBB28_121
; %bb.118:
	v_mov_b32_e32 v1, 0
	s_mov_b32 s1, 0
.LBB28_119:                             ; =>This Inner Loop Header: Depth=1
	scratch_load_b32 v63, v2, off
	ds_load_b32 v64, v3
	v_add_nc_u32_e32 v62, 1, v62
	v_add_nc_u32_e32 v3, 4, v3
	s_waitcnt vmcnt(0) lgkmcnt(0)
	v_dual_fmac_f32 v1, v63, v64 :: v_dual_add_nc_u32 v2, 4, v2
	s_delay_alu instid0(VALU_DEP_3) | instskip(SKIP_1) | instid1(SALU_CYCLE_1)
	v_cmp_lt_u32_e32 vcc_lo, 26, v62
	s_or_b32 s1, vcc_lo, s1
	s_and_not1_b32 exec_lo, exec_lo, s1
	s_cbranch_execnz .LBB28_119
; %bb.120:
	s_or_b32 exec_lo, exec_lo, s1
	v_mov_b32_e32 v2, 0
	ds_load_b32 v2, v2 offset:112
	s_waitcnt lgkmcnt(0)
	v_mul_f32_e32 v1, v1, v2
	scratch_store_b32 off, v1, off offset:112
.LBB28_121:
	s_or_b32 exec_lo, exec_lo, s0
	s_mov_b32 s1, -1
	s_waitcnt_vscnt null, 0x0
	s_barrier
	buffer_gl0_inv
.LBB28_122:
	s_and_b32 vcc_lo, exec_lo, s1
	s_cbranch_vccz .LBB28_124
; %bb.123:
	s_lshl_b64 s[0:1], s[14:15], 2
	v_mov_b32_e32 v1, 0
	s_add_u32 s0, s6, s0
	s_addc_u32 s1, s7, s1
	global_load_b32 v1, v1, s[0:1]
	s_waitcnt vmcnt(0)
	v_cmp_ne_u32_e32 vcc_lo, 0, v1
	s_cbranch_vccz .LBB28_125
.LBB28_124:
	s_endpgm
.LBB28_125:
	v_lshl_add_u32 v1, v0, 2, 0x80
	s_mov_b32 s0, exec_lo
	v_cmpx_eq_u32_e32 28, v0
	s_cbranch_execz .LBB28_127
; %bb.126:
	scratch_load_b32 v2, off, off offset:108
	v_mov_b32_e32 v3, 0
	scratch_store_b32 off, v3, off offset:108
	s_waitcnt vmcnt(0)
	ds_store_b32 v1, v2
.LBB28_127:
	s_or_b32 exec_lo, exec_lo, s0
	s_waitcnt lgkmcnt(0)
	s_waitcnt_vscnt null, 0x0
	s_barrier
	buffer_gl0_inv
	scratch_load_b64 v[62:63], off, off offset:108
	v_mov_b32_e32 v2, 0
	s_mov_b32 s0, exec_lo
	ds_load_b32 v3, v2 offset:240
	s_waitcnt vmcnt(0) lgkmcnt(0)
	v_fma_f32 v3, v63, v3, 0
	s_delay_alu instid0(VALU_DEP_1)
	v_sub_f32_e32 v3, v62, v3
	scratch_store_b32 off, v3, off offset:108
	v_cmpx_lt_u32_e32 26, v0
	s_cbranch_execz .LBB28_129
; %bb.128:
	scratch_load_b32 v3, off, off offset:104
	scratch_store_b32 off, v2, off offset:104
	s_waitcnt vmcnt(0)
	ds_store_b32 v1, v3
.LBB28_129:
	s_or_b32 exec_lo, exec_lo, s0
	s_waitcnt lgkmcnt(0)
	s_waitcnt_vscnt null, 0x0
	s_barrier
	buffer_gl0_inv
	scratch_load_b96 v[62:64], off, off offset:104
	ds_load_2addr_b32 v[2:3], v2 offset0:59 offset1:60
	s_mov_b32 s0, exec_lo
	s_waitcnt vmcnt(0) lgkmcnt(0)
	v_fma_f32 v2, v63, v2, 0
	s_delay_alu instid0(VALU_DEP_1) | instskip(NEXT) | instid1(VALU_DEP_1)
	v_fmac_f32_e32 v2, v64, v3
	v_sub_f32_e32 v2, v62, v2
	scratch_store_b32 off, v2, off offset:104
	v_cmpx_lt_u32_e32 25, v0
	s_cbranch_execz .LBB28_131
; %bb.130:
	scratch_load_b32 v2, off, off offset:100
	v_mov_b32_e32 v3, 0
	scratch_store_b32 off, v3, off offset:100
	s_waitcnt vmcnt(0)
	ds_store_b32 v1, v2
.LBB28_131:
	s_or_b32 exec_lo, exec_lo, s0
	s_waitcnt lgkmcnt(0)
	s_waitcnt_vscnt null, 0x0
	s_barrier
	buffer_gl0_inv
	scratch_load_b128 v[62:65], off, off offset:100
	v_mov_b32_e32 v2, 0
	ds_load_b64 v[66:67], v2 offset:232
	ds_load_b32 v3, v2 offset:240
	s_mov_b32 s0, exec_lo
	s_waitcnt vmcnt(0) lgkmcnt(1)
	v_fma_f32 v63, v63, v66, 0
	s_delay_alu instid0(VALU_DEP_1) | instskip(SKIP_1) | instid1(VALU_DEP_1)
	v_fmac_f32_e32 v63, v64, v67
	s_waitcnt lgkmcnt(0)
	v_fmac_f32_e32 v63, v65, v3
	s_delay_alu instid0(VALU_DEP_1)
	v_sub_f32_e32 v3, v62, v63
	scratch_store_b32 off, v3, off offset:100
	v_cmpx_lt_u32_e32 24, v0
	s_cbranch_execz .LBB28_133
; %bb.132:
	scratch_load_b32 v3, off, off offset:96
	scratch_store_b32 off, v2, off offset:96
	s_waitcnt vmcnt(0)
	ds_store_b32 v1, v3
.LBB28_133:
	s_or_b32 exec_lo, exec_lo, s0
	s_waitcnt lgkmcnt(0)
	s_waitcnt_vscnt null, 0x0
	s_barrier
	buffer_gl0_inv
	s_clause 0x1
	scratch_load_b128 v[62:65], off, off offset:96
	scratch_load_b32 v68, off, off offset:112
	ds_load_2addr_b32 v[66:67], v2 offset0:57 offset1:58
	ds_load_2addr_b32 v[2:3], v2 offset0:59 offset1:60
	s_mov_b32 s0, exec_lo
	s_waitcnt vmcnt(1) lgkmcnt(1)
	v_fma_f32 v63, v63, v66, 0
	s_delay_alu instid0(VALU_DEP_1) | instskip(SKIP_1) | instid1(VALU_DEP_1)
	v_fmac_f32_e32 v63, v64, v67
	s_waitcnt lgkmcnt(0)
	v_fmac_f32_e32 v63, v65, v2
	s_waitcnt vmcnt(0)
	s_delay_alu instid0(VALU_DEP_1) | instskip(NEXT) | instid1(VALU_DEP_1)
	v_fmac_f32_e32 v63, v68, v3
	v_sub_f32_e32 v2, v62, v63
	scratch_store_b32 off, v2, off offset:96
	v_cmpx_lt_u32_e32 23, v0
	s_cbranch_execz .LBB28_135
; %bb.134:
	scratch_load_b32 v2, off, off offset:92
	v_mov_b32_e32 v3, 0
	scratch_store_b32 off, v3, off offset:92
	s_waitcnt vmcnt(0)
	ds_store_b32 v1, v2
.LBB28_135:
	s_or_b32 exec_lo, exec_lo, s0
	s_waitcnt lgkmcnt(0)
	s_waitcnt_vscnt null, 0x0
	s_barrier
	buffer_gl0_inv
	s_clause 0x1
	scratch_load_b128 v[62:65], off, off offset:92
	scratch_load_b64 v[70:71], off, off offset:108
	v_mov_b32_e32 v2, 0
	ds_load_b128 v[66:69], v2 offset:224
	ds_load_b32 v3, v2 offset:240
	s_mov_b32 s0, exec_lo
	s_waitcnt vmcnt(1) lgkmcnt(1)
	v_fma_f32 v63, v63, v66, 0
	s_delay_alu instid0(VALU_DEP_1) | instskip(NEXT) | instid1(VALU_DEP_1)
	v_fmac_f32_e32 v63, v64, v67
	v_fmac_f32_e32 v63, v65, v68
	s_waitcnt vmcnt(0)
	s_delay_alu instid0(VALU_DEP_1) | instskip(SKIP_1) | instid1(VALU_DEP_1)
	v_fmac_f32_e32 v63, v70, v69
	s_waitcnt lgkmcnt(0)
	v_fmac_f32_e32 v63, v71, v3
	s_delay_alu instid0(VALU_DEP_1)
	v_sub_f32_e32 v3, v62, v63
	scratch_store_b32 off, v3, off offset:92
	v_cmpx_lt_u32_e32 22, v0
	s_cbranch_execz .LBB28_137
; %bb.136:
	scratch_load_b32 v3, off, off offset:88
	scratch_store_b32 off, v2, off offset:88
	s_waitcnt vmcnt(0)
	ds_store_b32 v1, v3
.LBB28_137:
	s_or_b32 exec_lo, exec_lo, s0
	s_waitcnt lgkmcnt(0)
	s_waitcnt_vscnt null, 0x0
	s_barrier
	buffer_gl0_inv
	s_clause 0x1
	scratch_load_b128 v[62:65], off, off offset:88
	scratch_load_b96 v[66:68], off, off offset:104
	ds_load_2addr_b32 v[69:70], v2 offset0:55 offset1:56
	ds_load_2addr_b32 v[71:72], v2 offset0:57 offset1:58
	;; [unrolled: 1-line block ×3, first 2 shown]
	s_mov_b32 s0, exec_lo
	s_waitcnt vmcnt(1) lgkmcnt(2)
	v_fma_f32 v63, v63, v69, 0
	s_delay_alu instid0(VALU_DEP_1) | instskip(SKIP_1) | instid1(VALU_DEP_1)
	v_fmac_f32_e32 v63, v64, v70
	s_waitcnt lgkmcnt(1)
	v_fmac_f32_e32 v63, v65, v71
	s_waitcnt vmcnt(0)
	s_delay_alu instid0(VALU_DEP_1) | instskip(SKIP_1) | instid1(VALU_DEP_1)
	v_fmac_f32_e32 v63, v66, v72
	s_waitcnt lgkmcnt(0)
	v_fmac_f32_e32 v63, v67, v2
	s_delay_alu instid0(VALU_DEP_1) | instskip(NEXT) | instid1(VALU_DEP_1)
	v_fmac_f32_e32 v63, v68, v3
	v_sub_f32_e32 v2, v62, v63
	scratch_store_b32 off, v2, off offset:88
	v_cmpx_lt_u32_e32 21, v0
	s_cbranch_execz .LBB28_139
; %bb.138:
	scratch_load_b32 v2, off, off offset:84
	v_mov_b32_e32 v3, 0
	scratch_store_b32 off, v3, off offset:84
	s_waitcnt vmcnt(0)
	ds_store_b32 v1, v2
.LBB28_139:
	s_or_b32 exec_lo, exec_lo, s0
	s_waitcnt lgkmcnt(0)
	s_waitcnt_vscnt null, 0x0
	s_barrier
	buffer_gl0_inv
	s_clause 0x1
	scratch_load_b128 v[62:65], off, off offset:84
	scratch_load_b128 v[66:69], off, off offset:100
	v_mov_b32_e32 v2, 0
	ds_load_2addr_b64 v[70:73], v2 offset0:27 offset1:28
	ds_load_b64 v[74:75], v2 offset:232
	s_mov_b32 s0, exec_lo
	s_waitcnt vmcnt(1) lgkmcnt(1)
	v_fma_f32 v3, v63, v70, 0
	s_delay_alu instid0(VALU_DEP_1) | instskip(SKIP_3) | instid1(VALU_DEP_1)
	v_fmac_f32_e32 v3, v64, v71
	ds_load_b32 v63, v2 offset:240
	v_fmac_f32_e32 v3, v65, v72
	s_waitcnt vmcnt(0)
	v_fmac_f32_e32 v3, v66, v73
	s_waitcnt lgkmcnt(1)
	s_delay_alu instid0(VALU_DEP_1) | instskip(NEXT) | instid1(VALU_DEP_1)
	v_fmac_f32_e32 v3, v67, v74
	v_fmac_f32_e32 v3, v68, v75
	s_waitcnt lgkmcnt(0)
	s_delay_alu instid0(VALU_DEP_1) | instskip(NEXT) | instid1(VALU_DEP_1)
	v_fmac_f32_e32 v3, v69, v63
	v_sub_f32_e32 v3, v62, v3
	scratch_store_b32 off, v3, off offset:84
	v_cmpx_lt_u32_e32 20, v0
	s_cbranch_execz .LBB28_141
; %bb.140:
	scratch_load_b32 v3, off, off offset:80
	scratch_store_b32 off, v2, off offset:80
	s_waitcnt vmcnt(0)
	ds_store_b32 v1, v3
.LBB28_141:
	s_or_b32 exec_lo, exec_lo, s0
	s_waitcnt lgkmcnt(0)
	s_waitcnt_vscnt null, 0x0
	s_barrier
	buffer_gl0_inv
	s_clause 0x2
	scratch_load_b128 v[62:65], off, off offset:80
	scratch_load_b128 v[66:69], off, off offset:96
	scratch_load_b32 v76, off, off offset:112
	ds_load_2addr_b32 v[70:71], v2 offset0:53 offset1:54
	ds_load_2addr_b32 v[72:73], v2 offset0:55 offset1:56
	ds_load_2addr_b32 v[74:75], v2 offset0:57 offset1:58
	ds_load_2addr_b32 v[2:3], v2 offset0:59 offset1:60
	s_mov_b32 s0, exec_lo
	s_waitcnt vmcnt(2) lgkmcnt(3)
	v_fma_f32 v63, v63, v70, 0
	s_delay_alu instid0(VALU_DEP_1) | instskip(SKIP_1) | instid1(VALU_DEP_1)
	v_fmac_f32_e32 v63, v64, v71
	s_waitcnt lgkmcnt(2)
	v_fmac_f32_e32 v63, v65, v72
	s_waitcnt vmcnt(1)
	s_delay_alu instid0(VALU_DEP_1) | instskip(SKIP_1) | instid1(VALU_DEP_1)
	v_fmac_f32_e32 v63, v66, v73
	s_waitcnt lgkmcnt(1)
	v_fmac_f32_e32 v63, v67, v74
	s_delay_alu instid0(VALU_DEP_1) | instskip(SKIP_1) | instid1(VALU_DEP_1)
	v_fmac_f32_e32 v63, v68, v75
	s_waitcnt lgkmcnt(0)
	v_fmac_f32_e32 v63, v69, v2
	s_waitcnt vmcnt(0)
	s_delay_alu instid0(VALU_DEP_1) | instskip(NEXT) | instid1(VALU_DEP_1)
	v_fmac_f32_e32 v63, v76, v3
	v_sub_f32_e32 v2, v62, v63
	scratch_store_b32 off, v2, off offset:80
	v_cmpx_lt_u32_e32 19, v0
	s_cbranch_execz .LBB28_143
; %bb.142:
	scratch_load_b32 v2, off, off offset:76
	v_mov_b32_e32 v3, 0
	scratch_store_b32 off, v3, off offset:76
	s_waitcnt vmcnt(0)
	ds_store_b32 v1, v2
.LBB28_143:
	s_or_b32 exec_lo, exec_lo, s0
	s_waitcnt lgkmcnt(0)
	s_waitcnt_vscnt null, 0x0
	s_barrier
	buffer_gl0_inv
	s_clause 0x2
	scratch_load_b128 v[62:65], off, off offset:76
	scratch_load_b128 v[66:69], off, off offset:92
	scratch_load_b64 v[78:79], off, off offset:108
	v_mov_b32_e32 v2, 0
	ds_load_b128 v[70:73], v2 offset:208
	ds_load_b128 v[74:77], v2 offset:224
	s_mov_b32 s0, exec_lo
	s_waitcnt vmcnt(2) lgkmcnt(1)
	v_fma_f32 v3, v63, v70, 0
	s_delay_alu instid0(VALU_DEP_1) | instskip(SKIP_3) | instid1(VALU_DEP_1)
	v_fmac_f32_e32 v3, v64, v71
	ds_load_b32 v63, v2 offset:240
	v_fmac_f32_e32 v3, v65, v72
	s_waitcnt vmcnt(1)
	v_fmac_f32_e32 v3, v66, v73
	s_waitcnt lgkmcnt(1)
	s_delay_alu instid0(VALU_DEP_1) | instskip(NEXT) | instid1(VALU_DEP_1)
	v_fmac_f32_e32 v3, v67, v74
	v_fmac_f32_e32 v3, v68, v75
	s_delay_alu instid0(VALU_DEP_1) | instskip(SKIP_1) | instid1(VALU_DEP_1)
	v_fmac_f32_e32 v3, v69, v76
	s_waitcnt vmcnt(0)
	v_fmac_f32_e32 v3, v78, v77
	s_waitcnt lgkmcnt(0)
	s_delay_alu instid0(VALU_DEP_1) | instskip(NEXT) | instid1(VALU_DEP_1)
	v_fmac_f32_e32 v3, v79, v63
	v_sub_f32_e32 v3, v62, v3
	scratch_store_b32 off, v3, off offset:76
	v_cmpx_lt_u32_e32 18, v0
	s_cbranch_execz .LBB28_145
; %bb.144:
	scratch_load_b32 v3, off, off offset:72
	scratch_store_b32 off, v2, off offset:72
	s_waitcnt vmcnt(0)
	ds_store_b32 v1, v3
.LBB28_145:
	s_or_b32 exec_lo, exec_lo, s0
	s_waitcnt lgkmcnt(0)
	s_waitcnt_vscnt null, 0x0
	s_barrier
	buffer_gl0_inv
	s_clause 0x2
	scratch_load_b128 v[62:65], off, off offset:72
	scratch_load_b128 v[66:69], off, off offset:88
	scratch_load_b96 v[70:72], off, off offset:104
	ds_load_2addr_b32 v[73:74], v2 offset0:51 offset1:52
	ds_load_2addr_b32 v[75:76], v2 offset0:53 offset1:54
	;; [unrolled: 1-line block ×5, first 2 shown]
	s_mov_b32 s0, exec_lo
	s_waitcnt vmcnt(2) lgkmcnt(4)
	v_fma_f32 v63, v63, v73, 0
	s_delay_alu instid0(VALU_DEP_1) | instskip(SKIP_1) | instid1(VALU_DEP_1)
	v_fmac_f32_e32 v63, v64, v74
	s_waitcnt lgkmcnt(3)
	v_fmac_f32_e32 v63, v65, v75
	s_waitcnt vmcnt(1)
	s_delay_alu instid0(VALU_DEP_1) | instskip(SKIP_1) | instid1(VALU_DEP_1)
	v_fmac_f32_e32 v63, v66, v76
	s_waitcnt lgkmcnt(2)
	v_fmac_f32_e32 v63, v67, v77
	s_delay_alu instid0(VALU_DEP_1) | instskip(SKIP_1) | instid1(VALU_DEP_1)
	v_fmac_f32_e32 v63, v68, v78
	s_waitcnt lgkmcnt(1)
	v_fmac_f32_e32 v63, v69, v79
	s_waitcnt vmcnt(0)
	s_delay_alu instid0(VALU_DEP_1) | instskip(SKIP_1) | instid1(VALU_DEP_1)
	v_fmac_f32_e32 v63, v70, v80
	s_waitcnt lgkmcnt(0)
	v_fmac_f32_e32 v63, v71, v2
	s_delay_alu instid0(VALU_DEP_1) | instskip(NEXT) | instid1(VALU_DEP_1)
	v_fmac_f32_e32 v63, v72, v3
	v_sub_f32_e32 v2, v62, v63
	scratch_store_b32 off, v2, off offset:72
	v_cmpx_lt_u32_e32 17, v0
	s_cbranch_execz .LBB28_147
; %bb.146:
	scratch_load_b32 v2, off, off offset:68
	v_mov_b32_e32 v3, 0
	scratch_store_b32 off, v3, off offset:68
	s_waitcnt vmcnt(0)
	ds_store_b32 v1, v2
.LBB28_147:
	s_or_b32 exec_lo, exec_lo, s0
	s_waitcnt lgkmcnt(0)
	s_waitcnt_vscnt null, 0x0
	s_barrier
	buffer_gl0_inv
	s_clause 0x2
	scratch_load_b128 v[62:65], off, off offset:68
	scratch_load_b128 v[66:69], off, off offset:84
	;; [unrolled: 1-line block ×3, first 2 shown]
	v_mov_b32_e32 v2, 0
	ds_load_2addr_b64 v[74:77], v2 offset0:25 offset1:26
	ds_load_2addr_b64 v[78:81], v2 offset0:27 offset1:28
	s_mov_b32 s0, exec_lo
	s_waitcnt vmcnt(2) lgkmcnt(1)
	v_fma_f32 v3, v63, v74, 0
	s_delay_alu instid0(VALU_DEP_1)
	v_fmac_f32_e32 v3, v64, v75
	ds_load_b64 v[63:64], v2 offset:232
	v_fmac_f32_e32 v3, v65, v76
	ds_load_b32 v65, v2 offset:240
	s_waitcnt vmcnt(1)
	v_fmac_f32_e32 v3, v66, v77
	s_waitcnt lgkmcnt(2)
	s_delay_alu instid0(VALU_DEP_1) | instskip(NEXT) | instid1(VALU_DEP_1)
	v_fmac_f32_e32 v3, v67, v78
	v_fmac_f32_e32 v3, v68, v79
	s_delay_alu instid0(VALU_DEP_1) | instskip(SKIP_1) | instid1(VALU_DEP_1)
	v_fmac_f32_e32 v3, v69, v80
	s_waitcnt vmcnt(0)
	v_fmac_f32_e32 v3, v70, v81
	s_waitcnt lgkmcnt(1)
	s_delay_alu instid0(VALU_DEP_1) | instskip(NEXT) | instid1(VALU_DEP_1)
	v_fmac_f32_e32 v3, v71, v63
	v_fmac_f32_e32 v3, v72, v64
	s_waitcnt lgkmcnt(0)
	s_delay_alu instid0(VALU_DEP_1) | instskip(NEXT) | instid1(VALU_DEP_1)
	v_fmac_f32_e32 v3, v73, v65
	v_sub_f32_e32 v3, v62, v3
	scratch_store_b32 off, v3, off offset:68
	v_cmpx_lt_u32_e32 16, v0
	s_cbranch_execz .LBB28_149
; %bb.148:
	scratch_load_b32 v3, off, off offset:64
	scratch_store_b32 off, v2, off offset:64
	s_waitcnt vmcnt(0)
	ds_store_b32 v1, v3
.LBB28_149:
	s_or_b32 exec_lo, exec_lo, s0
	s_waitcnt lgkmcnt(0)
	s_waitcnt_vscnt null, 0x0
	s_barrier
	buffer_gl0_inv
	s_clause 0x3
	scratch_load_b128 v[62:65], off, off offset:64
	scratch_load_b128 v[66:69], off, off offset:80
	;; [unrolled: 1-line block ×3, first 2 shown]
	scratch_load_b32 v82, off, off offset:112
	ds_load_2addr_b32 v[74:75], v2 offset0:49 offset1:50
	ds_load_2addr_b32 v[76:77], v2 offset0:51 offset1:52
	;; [unrolled: 1-line block ×4, first 2 shown]
	s_mov_b32 s0, exec_lo
	s_waitcnt vmcnt(3) lgkmcnt(3)
	v_fma_f32 v74, v63, v74, 0
	s_delay_alu instid0(VALU_DEP_1)
	v_fmac_f32_e32 v74, v64, v75
	ds_load_2addr_b32 v[63:64], v2 offset0:57 offset1:58
	ds_load_2addr_b32 v[2:3], v2 offset0:59 offset1:60
	s_waitcnt lgkmcnt(4)
	v_fmac_f32_e32 v74, v65, v76
	s_waitcnt vmcnt(2)
	s_delay_alu instid0(VALU_DEP_1) | instskip(SKIP_1) | instid1(VALU_DEP_1)
	v_fmac_f32_e32 v74, v66, v77
	s_waitcnt lgkmcnt(3)
	v_fmac_f32_e32 v74, v67, v78
	s_delay_alu instid0(VALU_DEP_1) | instskip(SKIP_1) | instid1(VALU_DEP_1)
	v_fmac_f32_e32 v74, v68, v79
	s_waitcnt lgkmcnt(2)
	v_fmac_f32_e32 v74, v69, v80
	s_waitcnt vmcnt(1)
	s_delay_alu instid0(VALU_DEP_1) | instskip(SKIP_1) | instid1(VALU_DEP_1)
	v_fmac_f32_e32 v74, v70, v81
	s_waitcnt lgkmcnt(1)
	v_fmac_f32_e32 v74, v71, v63
	s_delay_alu instid0(VALU_DEP_1) | instskip(SKIP_1) | instid1(VALU_DEP_1)
	v_fmac_f32_e32 v74, v72, v64
	s_waitcnt lgkmcnt(0)
	v_fmac_f32_e32 v74, v73, v2
	s_waitcnt vmcnt(0)
	s_delay_alu instid0(VALU_DEP_1) | instskip(NEXT) | instid1(VALU_DEP_1)
	v_fmac_f32_e32 v74, v82, v3
	v_sub_f32_e32 v2, v62, v74
	scratch_store_b32 off, v2, off offset:64
	v_cmpx_lt_u32_e32 15, v0
	s_cbranch_execz .LBB28_151
; %bb.150:
	scratch_load_b32 v2, off, off offset:60
	v_mov_b32_e32 v3, 0
	scratch_store_b32 off, v3, off offset:60
	s_waitcnt vmcnt(0)
	ds_store_b32 v1, v2
.LBB28_151:
	s_or_b32 exec_lo, exec_lo, s0
	s_waitcnt lgkmcnt(0)
	s_waitcnt_vscnt null, 0x0
	s_barrier
	buffer_gl0_inv
	s_clause 0x3
	scratch_load_b128 v[62:65], off, off offset:60
	scratch_load_b128 v[66:69], off, off offset:76
	;; [unrolled: 1-line block ×3, first 2 shown]
	scratch_load_b64 v[82:83], off, off offset:108
	v_mov_b32_e32 v2, 0
	ds_load_b128 v[74:77], v2 offset:192
	ds_load_b128 v[78:81], v2 offset:208
	s_mov_b32 s0, exec_lo
	s_waitcnt vmcnt(3) lgkmcnt(1)
	v_fma_f32 v3, v63, v74, 0
	s_delay_alu instid0(VALU_DEP_1) | instskip(NEXT) | instid1(VALU_DEP_1)
	v_fmac_f32_e32 v3, v64, v75
	v_fmac_f32_e32 v3, v65, v76
	s_waitcnt vmcnt(2)
	s_delay_alu instid0(VALU_DEP_1)
	v_fmac_f32_e32 v3, v66, v77
	ds_load_b128 v[63:66], v2 offset:224
	s_waitcnt lgkmcnt(1)
	v_fmac_f32_e32 v3, v67, v78
	ds_load_b32 v67, v2 offset:240
	v_fmac_f32_e32 v3, v68, v79
	s_delay_alu instid0(VALU_DEP_1) | instskip(SKIP_1) | instid1(VALU_DEP_1)
	v_fmac_f32_e32 v3, v69, v80
	s_waitcnt vmcnt(1)
	v_fmac_f32_e32 v3, v70, v81
	s_waitcnt lgkmcnt(1)
	s_delay_alu instid0(VALU_DEP_1) | instskip(NEXT) | instid1(VALU_DEP_1)
	v_fmac_f32_e32 v3, v71, v63
	v_fmac_f32_e32 v3, v72, v64
	s_delay_alu instid0(VALU_DEP_1) | instskip(SKIP_1) | instid1(VALU_DEP_1)
	v_fmac_f32_e32 v3, v73, v65
	s_waitcnt vmcnt(0)
	v_fmac_f32_e32 v3, v82, v66
	s_waitcnt lgkmcnt(0)
	s_delay_alu instid0(VALU_DEP_1) | instskip(NEXT) | instid1(VALU_DEP_1)
	v_fmac_f32_e32 v3, v83, v67
	v_sub_f32_e32 v3, v62, v3
	scratch_store_b32 off, v3, off offset:60
	v_cmpx_lt_u32_e32 14, v0
	s_cbranch_execz .LBB28_153
; %bb.152:
	scratch_load_b32 v3, off, off offset:56
	scratch_store_b32 off, v2, off offset:56
	s_waitcnt vmcnt(0)
	ds_store_b32 v1, v3
.LBB28_153:
	s_or_b32 exec_lo, exec_lo, s0
	s_waitcnt lgkmcnt(0)
	s_waitcnt_vscnt null, 0x0
	s_barrier
	buffer_gl0_inv
	s_clause 0x3
	scratch_load_b128 v[62:65], off, off offset:56
	scratch_load_b128 v[66:69], off, off offset:72
	scratch_load_b128 v[70:73], off, off offset:88
	scratch_load_b96 v[74:76], off, off offset:104
	ds_load_2addr_b32 v[77:78], v2 offset0:47 offset1:48
	ds_load_2addr_b32 v[79:80], v2 offset0:49 offset1:50
	;; [unrolled: 1-line block ×4, first 2 shown]
	s_mov_b32 s0, exec_lo
	s_waitcnt vmcnt(3) lgkmcnt(3)
	v_fma_f32 v77, v63, v77, 0
	s_delay_alu instid0(VALU_DEP_1) | instskip(SKIP_4) | instid1(VALU_DEP_1)
	v_fmac_f32_e32 v77, v64, v78
	ds_load_2addr_b32 v[63:64], v2 offset0:55 offset1:56
	s_waitcnt lgkmcnt(3)
	v_fmac_f32_e32 v77, v65, v79
	s_waitcnt vmcnt(2)
	v_fmac_f32_e32 v77, v66, v80
	ds_load_2addr_b32 v[65:66], v2 offset0:57 offset1:58
	ds_load_2addr_b32 v[2:3], v2 offset0:59 offset1:60
	s_waitcnt lgkmcnt(4)
	v_fmac_f32_e32 v77, v67, v81
	s_delay_alu instid0(VALU_DEP_1) | instskip(SKIP_1) | instid1(VALU_DEP_1)
	v_fmac_f32_e32 v77, v68, v82
	s_waitcnt lgkmcnt(3)
	v_fmac_f32_e32 v77, v69, v83
	s_waitcnt vmcnt(1)
	s_delay_alu instid0(VALU_DEP_1) | instskip(SKIP_1) | instid1(VALU_DEP_1)
	v_fmac_f32_e32 v77, v70, v84
	s_waitcnt lgkmcnt(2)
	v_fmac_f32_e32 v77, v71, v63
	s_delay_alu instid0(VALU_DEP_1) | instskip(SKIP_1) | instid1(VALU_DEP_1)
	v_fmac_f32_e32 v77, v72, v64
	s_waitcnt lgkmcnt(1)
	v_fmac_f32_e32 v77, v73, v65
	s_waitcnt vmcnt(0)
	s_delay_alu instid0(VALU_DEP_1) | instskip(SKIP_1) | instid1(VALU_DEP_1)
	v_fmac_f32_e32 v77, v74, v66
	s_waitcnt lgkmcnt(0)
	v_fmac_f32_e32 v77, v75, v2
	s_delay_alu instid0(VALU_DEP_1) | instskip(NEXT) | instid1(VALU_DEP_1)
	v_fmac_f32_e32 v77, v76, v3
	v_sub_f32_e32 v2, v62, v77
	scratch_store_b32 off, v2, off offset:56
	v_cmpx_lt_u32_e32 13, v0
	s_cbranch_execz .LBB28_155
; %bb.154:
	scratch_load_b32 v2, off, off offset:52
	v_mov_b32_e32 v3, 0
	scratch_store_b32 off, v3, off offset:52
	s_waitcnt vmcnt(0)
	ds_store_b32 v1, v2
.LBB28_155:
	s_or_b32 exec_lo, exec_lo, s0
	s_waitcnt lgkmcnt(0)
	s_waitcnt_vscnt null, 0x0
	s_barrier
	buffer_gl0_inv
	s_clause 0x3
	scratch_load_b128 v[62:65], off, off offset:52
	scratch_load_b128 v[66:69], off, off offset:68
	;; [unrolled: 1-line block ×4, first 2 shown]
	v_mov_b32_e32 v2, 0
	ds_load_2addr_b64 v[78:81], v2 offset0:23 offset1:24
	ds_load_2addr_b64 v[82:85], v2 offset0:25 offset1:26
	s_mov_b32 s0, exec_lo
	s_waitcnt vmcnt(3) lgkmcnt(1)
	v_fma_f32 v3, v63, v78, 0
	s_delay_alu instid0(VALU_DEP_1) | instskip(NEXT) | instid1(VALU_DEP_1)
	v_fmac_f32_e32 v3, v64, v79
	v_fmac_f32_e32 v3, v65, v80
	s_waitcnt vmcnt(2)
	s_delay_alu instid0(VALU_DEP_1) | instskip(SKIP_3) | instid1(VALU_DEP_1)
	v_fmac_f32_e32 v3, v66, v81
	ds_load_2addr_b64 v[63:66], v2 offset0:27 offset1:28
	s_waitcnt lgkmcnt(1)
	v_fmac_f32_e32 v3, v67, v82
	v_fmac_f32_e32 v3, v68, v83
	ds_load_b64 v[67:68], v2 offset:232
	v_fmac_f32_e32 v3, v69, v84
	s_waitcnt vmcnt(1)
	s_delay_alu instid0(VALU_DEP_1) | instskip(SKIP_1) | instid1(VALU_DEP_1)
	v_fmac_f32_e32 v3, v70, v85
	s_waitcnt lgkmcnt(1)
	v_fmac_f32_e32 v3, v71, v63
	ds_load_b32 v63, v2 offset:240
	v_fmac_f32_e32 v3, v72, v64
	s_delay_alu instid0(VALU_DEP_1) | instskip(SKIP_1) | instid1(VALU_DEP_1)
	v_fmac_f32_e32 v3, v73, v65
	s_waitcnt vmcnt(0)
	v_fmac_f32_e32 v3, v74, v66
	s_waitcnt lgkmcnt(1)
	s_delay_alu instid0(VALU_DEP_1) | instskip(NEXT) | instid1(VALU_DEP_1)
	v_fmac_f32_e32 v3, v75, v67
	v_fmac_f32_e32 v3, v76, v68
	s_waitcnt lgkmcnt(0)
	s_delay_alu instid0(VALU_DEP_1) | instskip(NEXT) | instid1(VALU_DEP_1)
	v_fmac_f32_e32 v3, v77, v63
	v_sub_f32_e32 v3, v62, v3
	scratch_store_b32 off, v3, off offset:52
	v_cmpx_lt_u32_e32 12, v0
	s_cbranch_execz .LBB28_157
; %bb.156:
	scratch_load_b32 v3, off, off offset:48
	scratch_store_b32 off, v2, off offset:48
	s_waitcnt vmcnt(0)
	ds_store_b32 v1, v3
.LBB28_157:
	s_or_b32 exec_lo, exec_lo, s0
	s_waitcnt lgkmcnt(0)
	s_waitcnt_vscnt null, 0x0
	s_barrier
	buffer_gl0_inv
	s_clause 0x4
	scratch_load_b128 v[62:65], off, off offset:48
	scratch_load_b128 v[66:69], off, off offset:64
	;; [unrolled: 1-line block ×4, first 2 shown]
	scratch_load_b32 v86, off, off offset:112
	ds_load_2addr_b32 v[78:79], v2 offset0:45 offset1:46
	ds_load_2addr_b32 v[80:81], v2 offset0:47 offset1:48
	;; [unrolled: 1-line block ×4, first 2 shown]
	s_mov_b32 s0, exec_lo
	s_waitcnt vmcnt(4) lgkmcnt(3)
	v_fma_f32 v78, v63, v78, 0
	s_delay_alu instid0(VALU_DEP_1) | instskip(SKIP_4) | instid1(VALU_DEP_1)
	v_fmac_f32_e32 v78, v64, v79
	ds_load_2addr_b32 v[63:64], v2 offset0:53 offset1:54
	s_waitcnt lgkmcnt(3)
	v_fmac_f32_e32 v78, v65, v80
	s_waitcnt vmcnt(3)
	v_fmac_f32_e32 v78, v66, v81
	ds_load_2addr_b32 v[65:66], v2 offset0:55 offset1:56
	s_waitcnt lgkmcnt(3)
	v_fmac_f32_e32 v78, v67, v82
	s_delay_alu instid0(VALU_DEP_1)
	v_fmac_f32_e32 v78, v68, v83
	ds_load_2addr_b32 v[67:68], v2 offset0:57 offset1:58
	ds_load_2addr_b32 v[2:3], v2 offset0:59 offset1:60
	s_waitcnt lgkmcnt(4)
	v_fmac_f32_e32 v78, v69, v84
	s_waitcnt vmcnt(2)
	s_delay_alu instid0(VALU_DEP_1) | instskip(SKIP_1) | instid1(VALU_DEP_1)
	v_fmac_f32_e32 v78, v70, v85
	s_waitcnt lgkmcnt(3)
	v_fmac_f32_e32 v78, v71, v63
	s_delay_alu instid0(VALU_DEP_1) | instskip(SKIP_1) | instid1(VALU_DEP_1)
	v_fmac_f32_e32 v78, v72, v64
	s_waitcnt lgkmcnt(2)
	v_fmac_f32_e32 v78, v73, v65
	s_waitcnt vmcnt(1)
	s_delay_alu instid0(VALU_DEP_1) | instskip(SKIP_1) | instid1(VALU_DEP_1)
	v_fmac_f32_e32 v78, v74, v66
	s_waitcnt lgkmcnt(1)
	v_fmac_f32_e32 v78, v75, v67
	s_delay_alu instid0(VALU_DEP_1) | instskip(SKIP_1) | instid1(VALU_DEP_1)
	v_fmac_f32_e32 v78, v76, v68
	s_waitcnt lgkmcnt(0)
	v_fmac_f32_e32 v78, v77, v2
	s_waitcnt vmcnt(0)
	s_delay_alu instid0(VALU_DEP_1) | instskip(NEXT) | instid1(VALU_DEP_1)
	v_fmac_f32_e32 v78, v86, v3
	v_sub_f32_e32 v2, v62, v78
	scratch_store_b32 off, v2, off offset:48
	v_cmpx_lt_u32_e32 11, v0
	s_cbranch_execz .LBB28_159
; %bb.158:
	scratch_load_b32 v2, off, off offset:44
	v_mov_b32_e32 v3, 0
	scratch_store_b32 off, v3, off offset:44
	s_waitcnt vmcnt(0)
	ds_store_b32 v1, v2
.LBB28_159:
	s_or_b32 exec_lo, exec_lo, s0
	s_waitcnt lgkmcnt(0)
	s_waitcnt_vscnt null, 0x0
	s_barrier
	buffer_gl0_inv
	s_clause 0x4
	scratch_load_b128 v[62:65], off, off offset:44
	scratch_load_b128 v[66:69], off, off offset:60
	;; [unrolled: 1-line block ×4, first 2 shown]
	scratch_load_b64 v[86:87], off, off offset:108
	v_mov_b32_e32 v2, 0
	ds_load_b128 v[78:81], v2 offset:176
	ds_load_b128 v[82:85], v2 offset:192
	s_mov_b32 s0, exec_lo
	s_waitcnt vmcnt(4) lgkmcnt(1)
	v_fma_f32 v3, v63, v78, 0
	s_delay_alu instid0(VALU_DEP_1) | instskip(NEXT) | instid1(VALU_DEP_1)
	v_fmac_f32_e32 v3, v64, v79
	v_fmac_f32_e32 v3, v65, v80
	s_waitcnt vmcnt(3)
	s_delay_alu instid0(VALU_DEP_1) | instskip(SKIP_3) | instid1(VALU_DEP_1)
	v_fmac_f32_e32 v3, v66, v81
	ds_load_b128 v[63:66], v2 offset:208
	s_waitcnt lgkmcnt(1)
	v_fmac_f32_e32 v3, v67, v82
	v_fmac_f32_e32 v3, v68, v83
	s_delay_alu instid0(VALU_DEP_1) | instskip(SKIP_1) | instid1(VALU_DEP_1)
	v_fmac_f32_e32 v3, v69, v84
	s_waitcnt vmcnt(2)
	v_fmac_f32_e32 v3, v70, v85
	ds_load_b128 v[67:70], v2 offset:224
	s_waitcnt lgkmcnt(1)
	v_fmac_f32_e32 v3, v71, v63
	ds_load_b32 v63, v2 offset:240
	v_fmac_f32_e32 v3, v72, v64
	s_delay_alu instid0(VALU_DEP_1) | instskip(SKIP_1) | instid1(VALU_DEP_1)
	v_fmac_f32_e32 v3, v73, v65
	s_waitcnt vmcnt(1)
	v_fmac_f32_e32 v3, v74, v66
	s_waitcnt lgkmcnt(1)
	s_delay_alu instid0(VALU_DEP_1) | instskip(NEXT) | instid1(VALU_DEP_1)
	v_fmac_f32_e32 v3, v75, v67
	v_fmac_f32_e32 v3, v76, v68
	s_delay_alu instid0(VALU_DEP_1) | instskip(SKIP_1) | instid1(VALU_DEP_1)
	v_fmac_f32_e32 v3, v77, v69
	s_waitcnt vmcnt(0)
	v_fmac_f32_e32 v3, v86, v70
	s_waitcnt lgkmcnt(0)
	s_delay_alu instid0(VALU_DEP_1) | instskip(NEXT) | instid1(VALU_DEP_1)
	v_fmac_f32_e32 v3, v87, v63
	v_sub_f32_e32 v3, v62, v3
	scratch_store_b32 off, v3, off offset:44
	v_cmpx_lt_u32_e32 10, v0
	s_cbranch_execz .LBB28_161
; %bb.160:
	scratch_load_b32 v3, off, off offset:40
	scratch_store_b32 off, v2, off offset:40
	s_waitcnt vmcnt(0)
	ds_store_b32 v1, v3
.LBB28_161:
	s_or_b32 exec_lo, exec_lo, s0
	s_waitcnt lgkmcnt(0)
	s_waitcnt_vscnt null, 0x0
	s_barrier
	buffer_gl0_inv
	s_clause 0x4
	scratch_load_b128 v[62:65], off, off offset:40
	scratch_load_b128 v[66:69], off, off offset:56
	;; [unrolled: 1-line block ×4, first 2 shown]
	scratch_load_b96 v[78:80], off, off offset:104
	ds_load_2addr_b32 v[81:82], v2 offset0:43 offset1:44
	ds_load_2addr_b32 v[83:84], v2 offset0:45 offset1:46
	;; [unrolled: 1-line block ×4, first 2 shown]
	s_mov_b32 s0, exec_lo
	s_waitcnt vmcnt(4) lgkmcnt(3)
	v_fma_f32 v81, v63, v81, 0
	s_delay_alu instid0(VALU_DEP_1) | instskip(SKIP_4) | instid1(VALU_DEP_1)
	v_fmac_f32_e32 v81, v64, v82
	ds_load_2addr_b32 v[63:64], v2 offset0:51 offset1:52
	s_waitcnt lgkmcnt(3)
	v_fmac_f32_e32 v81, v65, v83
	s_waitcnt vmcnt(3)
	v_fmac_f32_e32 v81, v66, v84
	ds_load_2addr_b32 v[65:66], v2 offset0:53 offset1:54
	s_waitcnt lgkmcnt(3)
	v_fmac_f32_e32 v81, v67, v85
	s_delay_alu instid0(VALU_DEP_1) | instskip(SKIP_1) | instid1(VALU_DEP_1)
	v_fmac_f32_e32 v81, v68, v86
	s_waitcnt lgkmcnt(2)
	v_fmac_f32_e32 v81, v69, v87
	s_waitcnt vmcnt(2)
	s_delay_alu instid0(VALU_DEP_1)
	v_fmac_f32_e32 v81, v70, v88
	ds_load_2addr_b32 v[67:68], v2 offset0:55 offset1:56
	ds_load_2addr_b32 v[69:70], v2 offset0:57 offset1:58
	;; [unrolled: 1-line block ×3, first 2 shown]
	s_waitcnt lgkmcnt(4)
	v_fmac_f32_e32 v81, v71, v63
	s_delay_alu instid0(VALU_DEP_1) | instskip(SKIP_1) | instid1(VALU_DEP_1)
	v_fmac_f32_e32 v81, v72, v64
	s_waitcnt lgkmcnt(3)
	v_fmac_f32_e32 v81, v73, v65
	s_waitcnt vmcnt(1)
	s_delay_alu instid0(VALU_DEP_1) | instskip(SKIP_1) | instid1(VALU_DEP_1)
	v_fmac_f32_e32 v81, v74, v66
	s_waitcnt lgkmcnt(2)
	v_fmac_f32_e32 v81, v75, v67
	s_delay_alu instid0(VALU_DEP_1) | instskip(SKIP_1) | instid1(VALU_DEP_1)
	v_fmac_f32_e32 v81, v76, v68
	s_waitcnt lgkmcnt(1)
	v_fmac_f32_e32 v81, v77, v69
	s_waitcnt vmcnt(0)
	s_delay_alu instid0(VALU_DEP_1) | instskip(SKIP_1) | instid1(VALU_DEP_1)
	v_fmac_f32_e32 v81, v78, v70
	s_waitcnt lgkmcnt(0)
	v_fmac_f32_e32 v81, v79, v2
	s_delay_alu instid0(VALU_DEP_1) | instskip(NEXT) | instid1(VALU_DEP_1)
	v_fmac_f32_e32 v81, v80, v3
	v_sub_f32_e32 v2, v62, v81
	scratch_store_b32 off, v2, off offset:40
	v_cmpx_lt_u32_e32 9, v0
	s_cbranch_execz .LBB28_163
; %bb.162:
	scratch_load_b32 v2, off, off offset:36
	v_mov_b32_e32 v3, 0
	scratch_store_b32 off, v3, off offset:36
	s_waitcnt vmcnt(0)
	ds_store_b32 v1, v2
.LBB28_163:
	s_or_b32 exec_lo, exec_lo, s0
	s_waitcnt lgkmcnt(0)
	s_waitcnt_vscnt null, 0x0
	s_barrier
	buffer_gl0_inv
	s_clause 0x4
	scratch_load_b128 v[62:65], off, off offset:36
	scratch_load_b128 v[66:69], off, off offset:52
	;; [unrolled: 1-line block ×5, first 2 shown]
	v_mov_b32_e32 v2, 0
	ds_load_2addr_b64 v[82:85], v2 offset0:21 offset1:22
	ds_load_2addr_b64 v[86:89], v2 offset0:23 offset1:24
	s_mov_b32 s0, exec_lo
	s_waitcnt vmcnt(4) lgkmcnt(1)
	v_fma_f32 v3, v63, v82, 0
	s_delay_alu instid0(VALU_DEP_1) | instskip(NEXT) | instid1(VALU_DEP_1)
	v_fmac_f32_e32 v3, v64, v83
	v_fmac_f32_e32 v3, v65, v84
	s_waitcnt vmcnt(3)
	s_delay_alu instid0(VALU_DEP_1) | instskip(SKIP_3) | instid1(VALU_DEP_1)
	v_fmac_f32_e32 v3, v66, v85
	ds_load_2addr_b64 v[63:66], v2 offset0:25 offset1:26
	s_waitcnt lgkmcnt(1)
	v_fmac_f32_e32 v3, v67, v86
	v_fmac_f32_e32 v3, v68, v87
	s_delay_alu instid0(VALU_DEP_1) | instskip(SKIP_1) | instid1(VALU_DEP_1)
	v_fmac_f32_e32 v3, v69, v88
	s_waitcnt vmcnt(2)
	v_fmac_f32_e32 v3, v70, v89
	ds_load_2addr_b64 v[67:70], v2 offset0:27 offset1:28
	s_waitcnt lgkmcnt(1)
	v_fmac_f32_e32 v3, v71, v63
	s_delay_alu instid0(VALU_DEP_1)
	v_fmac_f32_e32 v3, v72, v64
	ds_load_b64 v[63:64], v2 offset:232
	v_fmac_f32_e32 v3, v73, v65
	ds_load_b32 v65, v2 offset:240
	s_waitcnt vmcnt(1)
	v_fmac_f32_e32 v3, v74, v66
	s_waitcnt lgkmcnt(2)
	s_delay_alu instid0(VALU_DEP_1) | instskip(NEXT) | instid1(VALU_DEP_1)
	v_fmac_f32_e32 v3, v75, v67
	v_fmac_f32_e32 v3, v76, v68
	s_delay_alu instid0(VALU_DEP_1) | instskip(SKIP_1) | instid1(VALU_DEP_1)
	v_fmac_f32_e32 v3, v77, v69
	s_waitcnt vmcnt(0)
	v_fmac_f32_e32 v3, v78, v70
	s_waitcnt lgkmcnt(1)
	s_delay_alu instid0(VALU_DEP_1) | instskip(NEXT) | instid1(VALU_DEP_1)
	v_fmac_f32_e32 v3, v79, v63
	v_fmac_f32_e32 v3, v80, v64
	s_waitcnt lgkmcnt(0)
	s_delay_alu instid0(VALU_DEP_1) | instskip(NEXT) | instid1(VALU_DEP_1)
	v_fmac_f32_e32 v3, v81, v65
	v_sub_f32_e32 v3, v62, v3
	scratch_store_b32 off, v3, off offset:36
	v_cmpx_lt_u32_e32 8, v0
	s_cbranch_execz .LBB28_165
; %bb.164:
	scratch_load_b32 v3, off, off offset:32
	scratch_store_b32 off, v2, off offset:32
	s_waitcnt vmcnt(0)
	ds_store_b32 v1, v3
.LBB28_165:
	s_or_b32 exec_lo, exec_lo, s0
	s_waitcnt lgkmcnt(0)
	s_waitcnt_vscnt null, 0x0
	s_barrier
	buffer_gl0_inv
	s_clause 0x5
	scratch_load_b128 v[62:65], off, off offset:32
	scratch_load_b128 v[66:69], off, off offset:48
	;; [unrolled: 1-line block ×5, first 2 shown]
	scratch_load_b32 v90, off, off offset:112
	ds_load_2addr_b32 v[82:83], v2 offset0:41 offset1:42
	ds_load_2addr_b32 v[84:85], v2 offset0:43 offset1:44
	;; [unrolled: 1-line block ×4, first 2 shown]
	s_mov_b32 s0, exec_lo
	s_waitcnt vmcnt(5) lgkmcnt(3)
	v_fma_f32 v82, v63, v82, 0
	s_delay_alu instid0(VALU_DEP_1) | instskip(SKIP_4) | instid1(VALU_DEP_1)
	v_fmac_f32_e32 v82, v64, v83
	ds_load_2addr_b32 v[63:64], v2 offset0:49 offset1:50
	s_waitcnt lgkmcnt(3)
	v_fmac_f32_e32 v82, v65, v84
	s_waitcnt vmcnt(4)
	v_fmac_f32_e32 v82, v66, v85
	ds_load_2addr_b32 v[65:66], v2 offset0:51 offset1:52
	s_waitcnt lgkmcnt(3)
	v_fmac_f32_e32 v82, v67, v86
	s_delay_alu instid0(VALU_DEP_1) | instskip(SKIP_1) | instid1(VALU_DEP_1)
	v_fmac_f32_e32 v82, v68, v87
	s_waitcnt lgkmcnt(2)
	v_fmac_f32_e32 v82, v69, v88
	s_waitcnt vmcnt(3)
	s_delay_alu instid0(VALU_DEP_1) | instskip(SKIP_4) | instid1(VALU_DEP_1)
	v_fmac_f32_e32 v82, v70, v89
	ds_load_2addr_b32 v[67:68], v2 offset0:53 offset1:54
	ds_load_2addr_b32 v[69:70], v2 offset0:55 offset1:56
	s_waitcnt lgkmcnt(3)
	v_fmac_f32_e32 v82, v71, v63
	v_fmac_f32_e32 v82, v72, v64
	ds_load_2addr_b32 v[63:64], v2 offset0:57 offset1:58
	ds_load_2addr_b32 v[2:3], v2 offset0:59 offset1:60
	s_waitcnt lgkmcnt(4)
	v_fmac_f32_e32 v82, v73, v65
	s_waitcnt vmcnt(2)
	s_delay_alu instid0(VALU_DEP_1) | instskip(SKIP_1) | instid1(VALU_DEP_1)
	v_fmac_f32_e32 v82, v74, v66
	s_waitcnt lgkmcnt(3)
	v_fmac_f32_e32 v82, v75, v67
	s_delay_alu instid0(VALU_DEP_1) | instskip(SKIP_1) | instid1(VALU_DEP_1)
	v_fmac_f32_e32 v82, v76, v68
	s_waitcnt lgkmcnt(2)
	v_fmac_f32_e32 v82, v77, v69
	s_waitcnt vmcnt(1)
	s_delay_alu instid0(VALU_DEP_1) | instskip(SKIP_1) | instid1(VALU_DEP_1)
	v_fmac_f32_e32 v82, v78, v70
	s_waitcnt lgkmcnt(1)
	v_fmac_f32_e32 v82, v79, v63
	s_delay_alu instid0(VALU_DEP_1) | instskip(SKIP_1) | instid1(VALU_DEP_1)
	v_fmac_f32_e32 v82, v80, v64
	s_waitcnt lgkmcnt(0)
	v_fmac_f32_e32 v82, v81, v2
	s_waitcnt vmcnt(0)
	s_delay_alu instid0(VALU_DEP_1) | instskip(NEXT) | instid1(VALU_DEP_1)
	v_fmac_f32_e32 v82, v90, v3
	v_sub_f32_e32 v2, v62, v82
	scratch_store_b32 off, v2, off offset:32
	v_cmpx_lt_u32_e32 7, v0
	s_cbranch_execz .LBB28_167
; %bb.166:
	scratch_load_b32 v2, off, off offset:28
	v_mov_b32_e32 v3, 0
	scratch_store_b32 off, v3, off offset:28
	s_waitcnt vmcnt(0)
	ds_store_b32 v1, v2
.LBB28_167:
	s_or_b32 exec_lo, exec_lo, s0
	s_waitcnt lgkmcnt(0)
	s_waitcnt_vscnt null, 0x0
	s_barrier
	buffer_gl0_inv
	s_clause 0x5
	scratch_load_b128 v[62:65], off, off offset:28
	scratch_load_b128 v[66:69], off, off offset:44
	;; [unrolled: 1-line block ×5, first 2 shown]
	scratch_load_b64 v[90:91], off, off offset:108
	v_mov_b32_e32 v2, 0
	ds_load_b128 v[82:85], v2 offset:160
	ds_load_b128 v[86:89], v2 offset:176
	s_mov_b32 s0, exec_lo
	s_waitcnt vmcnt(5) lgkmcnt(1)
	v_fma_f32 v3, v63, v82, 0
	s_delay_alu instid0(VALU_DEP_1) | instskip(NEXT) | instid1(VALU_DEP_1)
	v_fmac_f32_e32 v3, v64, v83
	v_fmac_f32_e32 v3, v65, v84
	s_waitcnt vmcnt(4)
	s_delay_alu instid0(VALU_DEP_1) | instskip(SKIP_3) | instid1(VALU_DEP_1)
	v_fmac_f32_e32 v3, v66, v85
	ds_load_b128 v[63:66], v2 offset:192
	s_waitcnt lgkmcnt(1)
	v_fmac_f32_e32 v3, v67, v86
	v_fmac_f32_e32 v3, v68, v87
	s_delay_alu instid0(VALU_DEP_1) | instskip(SKIP_1) | instid1(VALU_DEP_1)
	v_fmac_f32_e32 v3, v69, v88
	s_waitcnt vmcnt(3)
	v_fmac_f32_e32 v3, v70, v89
	ds_load_b128 v[67:70], v2 offset:208
	s_waitcnt lgkmcnt(1)
	v_fmac_f32_e32 v3, v71, v63
	s_delay_alu instid0(VALU_DEP_1) | instskip(NEXT) | instid1(VALU_DEP_1)
	v_fmac_f32_e32 v3, v72, v64
	v_fmac_f32_e32 v3, v73, v65
	s_waitcnt vmcnt(2)
	s_delay_alu instid0(VALU_DEP_1)
	v_fmac_f32_e32 v3, v74, v66
	ds_load_b128 v[63:66], v2 offset:224
	s_waitcnt lgkmcnt(1)
	v_fmac_f32_e32 v3, v75, v67
	ds_load_b32 v67, v2 offset:240
	v_fmac_f32_e32 v3, v76, v68
	s_delay_alu instid0(VALU_DEP_1) | instskip(SKIP_1) | instid1(VALU_DEP_1)
	v_fmac_f32_e32 v3, v77, v69
	s_waitcnt vmcnt(1)
	v_fmac_f32_e32 v3, v78, v70
	s_waitcnt lgkmcnt(1)
	s_delay_alu instid0(VALU_DEP_1) | instskip(NEXT) | instid1(VALU_DEP_1)
	v_fmac_f32_e32 v3, v79, v63
	v_fmac_f32_e32 v3, v80, v64
	s_delay_alu instid0(VALU_DEP_1) | instskip(SKIP_1) | instid1(VALU_DEP_1)
	v_fmac_f32_e32 v3, v81, v65
	s_waitcnt vmcnt(0)
	v_fmac_f32_e32 v3, v90, v66
	s_waitcnt lgkmcnt(0)
	s_delay_alu instid0(VALU_DEP_1) | instskip(NEXT) | instid1(VALU_DEP_1)
	v_fmac_f32_e32 v3, v91, v67
	v_sub_f32_e32 v3, v62, v3
	scratch_store_b32 off, v3, off offset:28
	v_cmpx_lt_u32_e32 6, v0
	s_cbranch_execz .LBB28_169
; %bb.168:
	scratch_load_b32 v3, off, off offset:24
	scratch_store_b32 off, v2, off offset:24
	s_waitcnt vmcnt(0)
	ds_store_b32 v1, v3
.LBB28_169:
	s_or_b32 exec_lo, exec_lo, s0
	s_waitcnt lgkmcnt(0)
	s_waitcnt_vscnt null, 0x0
	s_barrier
	buffer_gl0_inv
	s_clause 0x5
	scratch_load_b128 v[62:65], off, off offset:24
	scratch_load_b128 v[66:69], off, off offset:40
	scratch_load_b128 v[70:73], off, off offset:56
	scratch_load_b128 v[74:77], off, off offset:72
	scratch_load_b128 v[78:81], off, off offset:88
	scratch_load_b96 v[82:84], off, off offset:104
	ds_load_2addr_b32 v[85:86], v2 offset0:39 offset1:40
	ds_load_2addr_b32 v[87:88], v2 offset0:41 offset1:42
	ds_load_2addr_b32 v[89:90], v2 offset0:43 offset1:44
	ds_load_2addr_b32 v[91:92], v2 offset0:45 offset1:46
	s_mov_b32 s0, exec_lo
	s_waitcnt vmcnt(5) lgkmcnt(3)
	v_fma_f32 v85, v63, v85, 0
	s_delay_alu instid0(VALU_DEP_1) | instskip(SKIP_4) | instid1(VALU_DEP_1)
	v_fmac_f32_e32 v85, v64, v86
	ds_load_2addr_b32 v[63:64], v2 offset0:47 offset1:48
	s_waitcnt lgkmcnt(3)
	v_fmac_f32_e32 v85, v65, v87
	s_waitcnt vmcnt(4)
	v_fmac_f32_e32 v85, v66, v88
	ds_load_2addr_b32 v[65:66], v2 offset0:49 offset1:50
	s_waitcnt lgkmcnt(3)
	v_fmac_f32_e32 v85, v67, v89
	s_delay_alu instid0(VALU_DEP_1) | instskip(SKIP_1) | instid1(VALU_DEP_1)
	v_fmac_f32_e32 v85, v68, v90
	s_waitcnt lgkmcnt(2)
	v_fmac_f32_e32 v85, v69, v91
	s_waitcnt vmcnt(3)
	s_delay_alu instid0(VALU_DEP_1) | instskip(SKIP_4) | instid1(VALU_DEP_1)
	v_fmac_f32_e32 v85, v70, v92
	ds_load_2addr_b32 v[67:68], v2 offset0:51 offset1:52
	ds_load_2addr_b32 v[69:70], v2 offset0:53 offset1:54
	s_waitcnt lgkmcnt(3)
	v_fmac_f32_e32 v85, v71, v63
	v_fmac_f32_e32 v85, v72, v64
	ds_load_2addr_b32 v[63:64], v2 offset0:55 offset1:56
	s_waitcnt lgkmcnt(3)
	v_fmac_f32_e32 v85, v73, v65
	s_waitcnt vmcnt(2)
	s_delay_alu instid0(VALU_DEP_1) | instskip(SKIP_4) | instid1(VALU_DEP_1)
	v_fmac_f32_e32 v85, v74, v66
	ds_load_2addr_b32 v[65:66], v2 offset0:57 offset1:58
	ds_load_2addr_b32 v[2:3], v2 offset0:59 offset1:60
	s_waitcnt lgkmcnt(4)
	v_fmac_f32_e32 v85, v75, v67
	v_fmac_f32_e32 v85, v76, v68
	s_waitcnt lgkmcnt(3)
	s_delay_alu instid0(VALU_DEP_1) | instskip(SKIP_1) | instid1(VALU_DEP_1)
	v_fmac_f32_e32 v85, v77, v69
	s_waitcnt vmcnt(1)
	v_fmac_f32_e32 v85, v78, v70
	s_waitcnt lgkmcnt(2)
	s_delay_alu instid0(VALU_DEP_1) | instskip(NEXT) | instid1(VALU_DEP_1)
	v_fmac_f32_e32 v85, v79, v63
	v_fmac_f32_e32 v85, v80, v64
	s_waitcnt lgkmcnt(1)
	s_delay_alu instid0(VALU_DEP_1) | instskip(SKIP_1) | instid1(VALU_DEP_1)
	v_fmac_f32_e32 v85, v81, v65
	s_waitcnt vmcnt(0)
	v_fmac_f32_e32 v85, v82, v66
	s_waitcnt lgkmcnt(0)
	s_delay_alu instid0(VALU_DEP_1) | instskip(NEXT) | instid1(VALU_DEP_1)
	v_fmac_f32_e32 v85, v83, v2
	v_fmac_f32_e32 v85, v84, v3
	s_delay_alu instid0(VALU_DEP_1)
	v_sub_f32_e32 v2, v62, v85
	scratch_store_b32 off, v2, off offset:24
	v_cmpx_lt_u32_e32 5, v0
	s_cbranch_execz .LBB28_171
; %bb.170:
	scratch_load_b32 v2, off, off offset:20
	v_mov_b32_e32 v3, 0
	scratch_store_b32 off, v3, off offset:20
	s_waitcnt vmcnt(0)
	ds_store_b32 v1, v2
.LBB28_171:
	s_or_b32 exec_lo, exec_lo, s0
	s_waitcnt lgkmcnt(0)
	s_waitcnt_vscnt null, 0x0
	s_barrier
	buffer_gl0_inv
	s_clause 0x5
	scratch_load_b128 v[62:65], off, off offset:20
	scratch_load_b128 v[66:69], off, off offset:36
	;; [unrolled: 1-line block ×6, first 2 shown]
	v_mov_b32_e32 v2, 0
	ds_load_2addr_b64 v[86:89], v2 offset0:19 offset1:20
	ds_load_2addr_b64 v[90:93], v2 offset0:21 offset1:22
	s_mov_b32 s0, exec_lo
	s_waitcnt vmcnt(5) lgkmcnt(1)
	v_fma_f32 v3, v63, v86, 0
	s_delay_alu instid0(VALU_DEP_1) | instskip(NEXT) | instid1(VALU_DEP_1)
	v_fmac_f32_e32 v3, v64, v87
	v_fmac_f32_e32 v3, v65, v88
	s_waitcnt vmcnt(4)
	s_delay_alu instid0(VALU_DEP_1) | instskip(SKIP_3) | instid1(VALU_DEP_1)
	v_fmac_f32_e32 v3, v66, v89
	ds_load_2addr_b64 v[63:66], v2 offset0:23 offset1:24
	s_waitcnt lgkmcnt(1)
	v_fmac_f32_e32 v3, v67, v90
	v_fmac_f32_e32 v3, v68, v91
	s_delay_alu instid0(VALU_DEP_1) | instskip(SKIP_1) | instid1(VALU_DEP_1)
	v_fmac_f32_e32 v3, v69, v92
	s_waitcnt vmcnt(3)
	v_fmac_f32_e32 v3, v70, v93
	ds_load_2addr_b64 v[67:70], v2 offset0:25 offset1:26
	s_waitcnt lgkmcnt(1)
	v_fmac_f32_e32 v3, v71, v63
	s_delay_alu instid0(VALU_DEP_1) | instskip(NEXT) | instid1(VALU_DEP_1)
	v_fmac_f32_e32 v3, v72, v64
	v_fmac_f32_e32 v3, v73, v65
	s_waitcnt vmcnt(2)
	s_delay_alu instid0(VALU_DEP_1) | instskip(SKIP_3) | instid1(VALU_DEP_1)
	v_fmac_f32_e32 v3, v74, v66
	ds_load_2addr_b64 v[63:66], v2 offset0:27 offset1:28
	s_waitcnt lgkmcnt(1)
	v_fmac_f32_e32 v3, v75, v67
	v_fmac_f32_e32 v3, v76, v68
	ds_load_b64 v[67:68], v2 offset:232
	v_fmac_f32_e32 v3, v77, v69
	s_waitcnt vmcnt(1)
	s_delay_alu instid0(VALU_DEP_1) | instskip(SKIP_1) | instid1(VALU_DEP_1)
	v_fmac_f32_e32 v3, v78, v70
	s_waitcnt lgkmcnt(1)
	v_fmac_f32_e32 v3, v79, v63
	ds_load_b32 v63, v2 offset:240
	v_fmac_f32_e32 v3, v80, v64
	s_delay_alu instid0(VALU_DEP_1) | instskip(SKIP_1) | instid1(VALU_DEP_1)
	v_fmac_f32_e32 v3, v81, v65
	s_waitcnt vmcnt(0)
	v_fmac_f32_e32 v3, v82, v66
	s_waitcnt lgkmcnt(1)
	s_delay_alu instid0(VALU_DEP_1) | instskip(NEXT) | instid1(VALU_DEP_1)
	v_fmac_f32_e32 v3, v83, v67
	v_fmac_f32_e32 v3, v84, v68
	s_waitcnt lgkmcnt(0)
	s_delay_alu instid0(VALU_DEP_1) | instskip(NEXT) | instid1(VALU_DEP_1)
	v_fmac_f32_e32 v3, v85, v63
	v_sub_f32_e32 v3, v62, v3
	scratch_store_b32 off, v3, off offset:20
	v_cmpx_lt_u32_e32 4, v0
	s_cbranch_execz .LBB28_173
; %bb.172:
	scratch_load_b32 v3, off, off offset:16
	scratch_store_b32 off, v2, off offset:16
	s_waitcnt vmcnt(0)
	ds_store_b32 v1, v3
.LBB28_173:
	s_or_b32 exec_lo, exec_lo, s0
	s_waitcnt lgkmcnt(0)
	s_waitcnt_vscnt null, 0x0
	s_barrier
	buffer_gl0_inv
	s_clause 0x6
	scratch_load_b128 v[62:65], off, off offset:16
	scratch_load_b128 v[66:69], off, off offset:32
	scratch_load_b128 v[70:73], off, off offset:48
	scratch_load_b128 v[74:77], off, off offset:64
	scratch_load_b128 v[78:81], off, off offset:80
	scratch_load_b128 v[82:85], off, off offset:96
	scratch_load_b32 v94, off, off offset:112
	ds_load_2addr_b32 v[86:87], v2 offset0:37 offset1:38
	ds_load_2addr_b32 v[88:89], v2 offset0:39 offset1:40
	;; [unrolled: 1-line block ×4, first 2 shown]
	s_mov_b32 s0, exec_lo
	s_waitcnt vmcnt(6) lgkmcnt(3)
	v_fma_f32 v86, v63, v86, 0
	s_delay_alu instid0(VALU_DEP_1) | instskip(SKIP_4) | instid1(VALU_DEP_1)
	v_fmac_f32_e32 v86, v64, v87
	ds_load_2addr_b32 v[63:64], v2 offset0:45 offset1:46
	s_waitcnt lgkmcnt(3)
	v_fmac_f32_e32 v86, v65, v88
	s_waitcnt vmcnt(5)
	v_fmac_f32_e32 v86, v66, v89
	ds_load_2addr_b32 v[65:66], v2 offset0:47 offset1:48
	s_waitcnt lgkmcnt(3)
	v_fmac_f32_e32 v86, v67, v90
	s_delay_alu instid0(VALU_DEP_1) | instskip(SKIP_1) | instid1(VALU_DEP_1)
	v_fmac_f32_e32 v86, v68, v91
	s_waitcnt lgkmcnt(2)
	v_fmac_f32_e32 v86, v69, v92
	s_waitcnt vmcnt(4)
	s_delay_alu instid0(VALU_DEP_1) | instskip(SKIP_4) | instid1(VALU_DEP_1)
	v_fmac_f32_e32 v86, v70, v93
	ds_load_2addr_b32 v[67:68], v2 offset0:49 offset1:50
	ds_load_2addr_b32 v[69:70], v2 offset0:51 offset1:52
	s_waitcnt lgkmcnt(3)
	v_fmac_f32_e32 v86, v71, v63
	v_fmac_f32_e32 v86, v72, v64
	ds_load_2addr_b32 v[63:64], v2 offset0:53 offset1:54
	s_waitcnt lgkmcnt(3)
	v_fmac_f32_e32 v86, v73, v65
	s_waitcnt vmcnt(3)
	s_delay_alu instid0(VALU_DEP_1) | instskip(SKIP_3) | instid1(VALU_DEP_1)
	v_fmac_f32_e32 v86, v74, v66
	ds_load_2addr_b32 v[65:66], v2 offset0:55 offset1:56
	s_waitcnt lgkmcnt(3)
	v_fmac_f32_e32 v86, v75, v67
	v_fmac_f32_e32 v86, v76, v68
	ds_load_2addr_b32 v[67:68], v2 offset0:57 offset1:58
	ds_load_2addr_b32 v[2:3], v2 offset0:59 offset1:60
	s_waitcnt lgkmcnt(4)
	v_fmac_f32_e32 v86, v77, v69
	s_waitcnt vmcnt(2)
	s_delay_alu instid0(VALU_DEP_1) | instskip(SKIP_1) | instid1(VALU_DEP_1)
	v_fmac_f32_e32 v86, v78, v70
	s_waitcnt lgkmcnt(3)
	v_fmac_f32_e32 v86, v79, v63
	s_delay_alu instid0(VALU_DEP_1) | instskip(SKIP_1) | instid1(VALU_DEP_1)
	v_fmac_f32_e32 v86, v80, v64
	s_waitcnt lgkmcnt(2)
	v_fmac_f32_e32 v86, v81, v65
	s_waitcnt vmcnt(1)
	s_delay_alu instid0(VALU_DEP_1) | instskip(SKIP_1) | instid1(VALU_DEP_1)
	v_fmac_f32_e32 v86, v82, v66
	s_waitcnt lgkmcnt(1)
	v_fmac_f32_e32 v86, v83, v67
	s_delay_alu instid0(VALU_DEP_1) | instskip(SKIP_1) | instid1(VALU_DEP_1)
	v_fmac_f32_e32 v86, v84, v68
	s_waitcnt lgkmcnt(0)
	v_fmac_f32_e32 v86, v85, v2
	s_waitcnt vmcnt(0)
	s_delay_alu instid0(VALU_DEP_1) | instskip(NEXT) | instid1(VALU_DEP_1)
	v_fmac_f32_e32 v86, v94, v3
	v_sub_f32_e32 v2, v62, v86
	scratch_store_b32 off, v2, off offset:16
	v_cmpx_lt_u32_e32 3, v0
	s_cbranch_execz .LBB28_175
; %bb.174:
	scratch_load_b32 v2, off, off offset:12
	v_mov_b32_e32 v3, 0
	scratch_store_b32 off, v3, off offset:12
	s_waitcnt vmcnt(0)
	ds_store_b32 v1, v2
.LBB28_175:
	s_or_b32 exec_lo, exec_lo, s0
	s_waitcnt lgkmcnt(0)
	s_waitcnt_vscnt null, 0x0
	s_barrier
	buffer_gl0_inv
	s_clause 0x6
	scratch_load_b128 v[62:65], off, off offset:12
	scratch_load_b128 v[66:69], off, off offset:28
	scratch_load_b128 v[70:73], off, off offset:44
	scratch_load_b128 v[74:77], off, off offset:60
	scratch_load_b128 v[78:81], off, off offset:76
	scratch_load_b128 v[82:85], off, off offset:92
	scratch_load_b64 v[94:95], off, off offset:108
	v_mov_b32_e32 v2, 0
	ds_load_b128 v[86:89], v2 offset:144
	ds_load_b128 v[90:93], v2 offset:160
	s_mov_b32 s0, exec_lo
	s_waitcnt vmcnt(6) lgkmcnt(1)
	v_fma_f32 v3, v63, v86, 0
	s_delay_alu instid0(VALU_DEP_1) | instskip(NEXT) | instid1(VALU_DEP_1)
	v_fmac_f32_e32 v3, v64, v87
	v_fmac_f32_e32 v3, v65, v88
	s_waitcnt vmcnt(5)
	s_delay_alu instid0(VALU_DEP_1) | instskip(SKIP_3) | instid1(VALU_DEP_1)
	v_fmac_f32_e32 v3, v66, v89
	ds_load_b128 v[63:66], v2 offset:176
	s_waitcnt lgkmcnt(1)
	v_fmac_f32_e32 v3, v67, v90
	v_fmac_f32_e32 v3, v68, v91
	s_delay_alu instid0(VALU_DEP_1) | instskip(SKIP_1) | instid1(VALU_DEP_1)
	v_fmac_f32_e32 v3, v69, v92
	s_waitcnt vmcnt(4)
	v_fmac_f32_e32 v3, v70, v93
	ds_load_b128 v[67:70], v2 offset:192
	s_waitcnt lgkmcnt(1)
	v_fmac_f32_e32 v3, v71, v63
	s_delay_alu instid0(VALU_DEP_1) | instskip(NEXT) | instid1(VALU_DEP_1)
	v_fmac_f32_e32 v3, v72, v64
	v_fmac_f32_e32 v3, v73, v65
	s_waitcnt vmcnt(3)
	s_delay_alu instid0(VALU_DEP_1) | instskip(SKIP_3) | instid1(VALU_DEP_1)
	v_fmac_f32_e32 v3, v74, v66
	ds_load_b128 v[63:66], v2 offset:208
	s_waitcnt lgkmcnt(1)
	v_fmac_f32_e32 v3, v75, v67
	v_fmac_f32_e32 v3, v76, v68
	s_delay_alu instid0(VALU_DEP_1) | instskip(SKIP_1) | instid1(VALU_DEP_1)
	v_fmac_f32_e32 v3, v77, v69
	s_waitcnt vmcnt(2)
	v_fmac_f32_e32 v3, v78, v70
	ds_load_b128 v[67:70], v2 offset:224
	s_waitcnt lgkmcnt(1)
	v_fmac_f32_e32 v3, v79, v63
	ds_load_b32 v63, v2 offset:240
	v_fmac_f32_e32 v3, v80, v64
	s_delay_alu instid0(VALU_DEP_1) | instskip(SKIP_1) | instid1(VALU_DEP_1)
	v_fmac_f32_e32 v3, v81, v65
	s_waitcnt vmcnt(1)
	v_fmac_f32_e32 v3, v82, v66
	s_waitcnt lgkmcnt(1)
	s_delay_alu instid0(VALU_DEP_1) | instskip(NEXT) | instid1(VALU_DEP_1)
	v_fmac_f32_e32 v3, v83, v67
	v_fmac_f32_e32 v3, v84, v68
	s_delay_alu instid0(VALU_DEP_1) | instskip(SKIP_1) | instid1(VALU_DEP_1)
	v_fmac_f32_e32 v3, v85, v69
	s_waitcnt vmcnt(0)
	v_fmac_f32_e32 v3, v94, v70
	s_waitcnt lgkmcnt(0)
	s_delay_alu instid0(VALU_DEP_1) | instskip(NEXT) | instid1(VALU_DEP_1)
	v_fmac_f32_e32 v3, v95, v63
	v_sub_f32_e32 v3, v62, v3
	scratch_store_b32 off, v3, off offset:12
	v_cmpx_lt_u32_e32 2, v0
	s_cbranch_execz .LBB28_177
; %bb.176:
	scratch_load_b32 v3, off, off offset:8
	scratch_store_b32 off, v2, off offset:8
	s_waitcnt vmcnt(0)
	ds_store_b32 v1, v3
.LBB28_177:
	s_or_b32 exec_lo, exec_lo, s0
	s_waitcnt lgkmcnt(0)
	s_waitcnt_vscnt null, 0x0
	s_barrier
	buffer_gl0_inv
	s_clause 0x6
	scratch_load_b128 v[62:65], off, off offset:8
	scratch_load_b128 v[66:69], off, off offset:24
	;; [unrolled: 1-line block ×6, first 2 shown]
	scratch_load_b96 v[86:88], off, off offset:104
	ds_load_2addr_b32 v[89:90], v2 offset0:35 offset1:36
	ds_load_2addr_b32 v[91:92], v2 offset0:37 offset1:38
	;; [unrolled: 1-line block ×4, first 2 shown]
	s_mov_b32 s0, exec_lo
	s_waitcnt vmcnt(6) lgkmcnt(3)
	v_fma_f32 v89, v63, v89, 0
	s_delay_alu instid0(VALU_DEP_1) | instskip(SKIP_4) | instid1(VALU_DEP_1)
	v_fmac_f32_e32 v89, v64, v90
	ds_load_2addr_b32 v[63:64], v2 offset0:43 offset1:44
	s_waitcnt lgkmcnt(3)
	v_fmac_f32_e32 v89, v65, v91
	s_waitcnt vmcnt(5)
	v_fmac_f32_e32 v89, v66, v92
	ds_load_2addr_b32 v[65:66], v2 offset0:45 offset1:46
	s_waitcnt lgkmcnt(3)
	v_fmac_f32_e32 v89, v67, v93
	s_delay_alu instid0(VALU_DEP_1) | instskip(SKIP_1) | instid1(VALU_DEP_1)
	v_fmac_f32_e32 v89, v68, v94
	s_waitcnt lgkmcnt(2)
	v_fmac_f32_e32 v89, v69, v95
	s_waitcnt vmcnt(4)
	s_delay_alu instid0(VALU_DEP_1) | instskip(SKIP_4) | instid1(VALU_DEP_1)
	v_fmac_f32_e32 v89, v70, v96
	ds_load_2addr_b32 v[67:68], v2 offset0:47 offset1:48
	ds_load_2addr_b32 v[69:70], v2 offset0:49 offset1:50
	s_waitcnt lgkmcnt(3)
	v_fmac_f32_e32 v89, v71, v63
	v_fmac_f32_e32 v89, v72, v64
	ds_load_2addr_b32 v[63:64], v2 offset0:51 offset1:52
	s_waitcnt lgkmcnt(3)
	v_fmac_f32_e32 v89, v73, v65
	s_waitcnt vmcnt(3)
	s_delay_alu instid0(VALU_DEP_1) | instskip(SKIP_3) | instid1(VALU_DEP_1)
	v_fmac_f32_e32 v89, v74, v66
	ds_load_2addr_b32 v[65:66], v2 offset0:53 offset1:54
	s_waitcnt lgkmcnt(3)
	v_fmac_f32_e32 v89, v75, v67
	v_fmac_f32_e32 v89, v76, v68
	s_waitcnt lgkmcnt(2)
	s_delay_alu instid0(VALU_DEP_1) | instskip(SKIP_1) | instid1(VALU_DEP_1)
	v_fmac_f32_e32 v89, v77, v69
	s_waitcnt vmcnt(2)
	v_fmac_f32_e32 v89, v78, v70
	ds_load_2addr_b32 v[67:68], v2 offset0:55 offset1:56
	ds_load_2addr_b32 v[69:70], v2 offset0:57 offset1:58
	;; [unrolled: 1-line block ×3, first 2 shown]
	s_waitcnt lgkmcnt(4)
	v_fmac_f32_e32 v89, v79, v63
	s_delay_alu instid0(VALU_DEP_1) | instskip(SKIP_1) | instid1(VALU_DEP_1)
	v_fmac_f32_e32 v89, v80, v64
	s_waitcnt lgkmcnt(3)
	v_fmac_f32_e32 v89, v81, v65
	s_waitcnt vmcnt(1)
	s_delay_alu instid0(VALU_DEP_1) | instskip(SKIP_1) | instid1(VALU_DEP_1)
	v_fmac_f32_e32 v89, v82, v66
	s_waitcnt lgkmcnt(2)
	v_fmac_f32_e32 v89, v83, v67
	s_delay_alu instid0(VALU_DEP_1) | instskip(SKIP_1) | instid1(VALU_DEP_1)
	v_fmac_f32_e32 v89, v84, v68
	s_waitcnt lgkmcnt(1)
	v_fmac_f32_e32 v89, v85, v69
	s_waitcnt vmcnt(0)
	s_delay_alu instid0(VALU_DEP_1) | instskip(SKIP_1) | instid1(VALU_DEP_1)
	v_fmac_f32_e32 v89, v86, v70
	s_waitcnt lgkmcnt(0)
	v_fmac_f32_e32 v89, v87, v2
	s_delay_alu instid0(VALU_DEP_1) | instskip(NEXT) | instid1(VALU_DEP_1)
	v_fmac_f32_e32 v89, v88, v3
	v_sub_f32_e32 v2, v62, v89
	scratch_store_b32 off, v2, off offset:8
	v_cmpx_lt_u32_e32 1, v0
	s_cbranch_execz .LBB28_179
; %bb.178:
	scratch_load_b32 v2, off, off offset:4
	v_mov_b32_e32 v3, 0
	scratch_store_b32 off, v3, off offset:4
	s_waitcnt vmcnt(0)
	ds_store_b32 v1, v2
.LBB28_179:
	s_or_b32 exec_lo, exec_lo, s0
	s_waitcnt lgkmcnt(0)
	s_waitcnt_vscnt null, 0x0
	s_barrier
	buffer_gl0_inv
	s_clause 0x6
	scratch_load_b128 v[63:66], off, off offset:4
	scratch_load_b128 v[67:70], off, off offset:20
	;; [unrolled: 1-line block ×7, first 2 shown]
	v_mov_b32_e32 v62, 0
	ds_load_2addr_b64 v[91:94], v62 offset0:17 offset1:18
	ds_load_2addr_b64 v[95:98], v62 offset0:19 offset1:20
	s_mov_b32 s0, exec_lo
	s_waitcnt vmcnt(6) lgkmcnt(1)
	v_fma_f32 v91, v64, v91, 0
	s_delay_alu instid0(VALU_DEP_1) | instskip(SKIP_3) | instid1(VALU_DEP_1)
	v_fmac_f32_e32 v91, v65, v92
	ds_load_b64 v[2:3], v62 offset:232
	v_fmac_f32_e32 v91, v66, v93
	s_waitcnt vmcnt(5)
	v_fmac_f32_e32 v91, v67, v94
	ds_load_2addr_b64 v[64:67], v62 offset0:21 offset1:22
	s_waitcnt lgkmcnt(2)
	v_fmac_f32_e32 v91, v68, v95
	s_delay_alu instid0(VALU_DEP_1) | instskip(NEXT) | instid1(VALU_DEP_1)
	v_fmac_f32_e32 v91, v69, v96
	v_fmac_f32_e32 v91, v70, v97
	s_waitcnt vmcnt(4)
	s_delay_alu instid0(VALU_DEP_1) | instskip(SKIP_3) | instid1(VALU_DEP_1)
	v_fmac_f32_e32 v91, v71, v98
	ds_load_2addr_b64 v[68:71], v62 offset0:23 offset1:24
	s_waitcnt lgkmcnt(1)
	v_fmac_f32_e32 v91, v72, v64
	v_fmac_f32_e32 v91, v73, v65
	s_delay_alu instid0(VALU_DEP_1) | instskip(SKIP_1) | instid1(VALU_DEP_1)
	v_fmac_f32_e32 v91, v74, v66
	s_waitcnt vmcnt(3)
	v_fmac_f32_e32 v91, v75, v67
	ds_load_2addr_b64 v[64:67], v62 offset0:25 offset1:26
	s_waitcnt lgkmcnt(1)
	v_fmac_f32_e32 v91, v76, v68
	s_delay_alu instid0(VALU_DEP_1) | instskip(NEXT) | instid1(VALU_DEP_1)
	v_fmac_f32_e32 v91, v77, v69
	v_fmac_f32_e32 v91, v78, v70
	s_waitcnt vmcnt(2)
	s_delay_alu instid0(VALU_DEP_1)
	v_fmac_f32_e32 v91, v79, v71
	ds_load_2addr_b64 v[68:71], v62 offset0:27 offset1:28
	s_waitcnt lgkmcnt(1)
	v_fmac_f32_e32 v91, v80, v64
	ds_load_b32 v64, v62 offset:240
	v_fmac_f32_e32 v91, v81, v65
	s_delay_alu instid0(VALU_DEP_1) | instskip(SKIP_1) | instid1(VALU_DEP_1)
	v_fmac_f32_e32 v91, v82, v66
	s_waitcnt vmcnt(1)
	v_fmac_f32_e32 v91, v83, v67
	s_waitcnt lgkmcnt(1)
	s_delay_alu instid0(VALU_DEP_1) | instskip(NEXT) | instid1(VALU_DEP_1)
	v_fmac_f32_e32 v91, v84, v68
	v_fmac_f32_e32 v91, v85, v69
	s_delay_alu instid0(VALU_DEP_1) | instskip(SKIP_1) | instid1(VALU_DEP_1)
	v_fmac_f32_e32 v91, v86, v70
	s_waitcnt vmcnt(0)
	v_fmac_f32_e32 v91, v87, v71
	s_delay_alu instid0(VALU_DEP_1) | instskip(NEXT) | instid1(VALU_DEP_1)
	v_fmac_f32_e32 v91, v88, v2
	v_fmac_f32_e32 v91, v89, v3
	s_waitcnt lgkmcnt(0)
	s_delay_alu instid0(VALU_DEP_1) | instskip(NEXT) | instid1(VALU_DEP_1)
	v_fmac_f32_e32 v91, v90, v64
	v_sub_f32_e32 v2, v63, v91
	scratch_store_b32 off, v2, off offset:4
	v_cmpx_ne_u32_e32 0, v0
	s_cbranch_execz .LBB28_181
; %bb.180:
	scratch_load_b32 v0, off, off
	scratch_store_b32 off, v62, off
	s_waitcnt vmcnt(0)
	ds_store_b32 v1, v0
.LBB28_181:
	s_or_b32 exec_lo, exec_lo, s0
	s_waitcnt lgkmcnt(0)
	s_waitcnt_vscnt null, 0x0
	s_barrier
	buffer_gl0_inv
	s_clause 0x7
	scratch_load_b128 v[63:66], off, off
	scratch_load_b128 v[67:70], off, off offset:16
	scratch_load_b128 v[71:74], off, off offset:32
	;; [unrolled: 1-line block ×6, first 2 shown]
	scratch_load_b32 v95, off, off offset:112
	ds_load_2addr_b32 v[87:88], v62 offset0:33 offset1:34
	ds_load_2addr_b32 v[89:90], v62 offset0:35 offset1:36
	;; [unrolled: 1-line block ×4, first 2 shown]
	s_and_b32 vcc_lo, exec_lo, s16
	s_waitcnt vmcnt(7) lgkmcnt(3)
	v_fma_f32 v87, v64, v87, 0
	s_delay_alu instid0(VALU_DEP_1) | instskip(SKIP_4) | instid1(VALU_DEP_1)
	v_fmac_f32_e32 v87, v65, v88
	ds_load_2addr_b32 v[64:65], v62 offset0:41 offset1:42
	s_waitcnt lgkmcnt(3)
	v_fmac_f32_e32 v87, v66, v89
	s_waitcnt vmcnt(6)
	v_fmac_f32_e32 v87, v67, v90
	ds_load_2addr_b32 v[66:67], v62 offset0:43 offset1:44
	s_waitcnt lgkmcnt(3)
	v_fmac_f32_e32 v87, v68, v91
	s_delay_alu instid0(VALU_DEP_1) | instskip(SKIP_1) | instid1(VALU_DEP_1)
	v_fmac_f32_e32 v87, v69, v92
	s_waitcnt lgkmcnt(2)
	v_fmac_f32_e32 v87, v70, v93
	s_waitcnt vmcnt(5)
	s_delay_alu instid0(VALU_DEP_1) | instskip(SKIP_4) | instid1(VALU_DEP_1)
	v_fmac_f32_e32 v87, v71, v94
	ds_load_2addr_b32 v[68:69], v62 offset0:45 offset1:46
	ds_load_2addr_b32 v[70:71], v62 offset0:47 offset1:48
	s_waitcnt lgkmcnt(3)
	v_fmac_f32_e32 v87, v72, v64
	v_fmac_f32_e32 v87, v73, v65
	ds_load_2addr_b32 v[64:65], v62 offset0:49 offset1:50
	s_waitcnt lgkmcnt(3)
	v_fmac_f32_e32 v87, v74, v66
	s_waitcnt vmcnt(4)
	s_delay_alu instid0(VALU_DEP_1) | instskip(SKIP_3) | instid1(VALU_DEP_1)
	v_fmac_f32_e32 v87, v75, v67
	ds_load_2addr_b32 v[66:67], v62 offset0:51 offset1:52
	s_waitcnt lgkmcnt(3)
	v_fmac_f32_e32 v87, v76, v68
	v_fmac_f32_e32 v87, v77, v69
	s_waitcnt lgkmcnt(2)
	s_delay_alu instid0(VALU_DEP_1) | instskip(SKIP_1) | instid1(VALU_DEP_1)
	v_fmac_f32_e32 v87, v78, v70
	s_waitcnt vmcnt(3)
	v_fmac_f32_e32 v87, v79, v71
	ds_load_2addr_b32 v[68:69], v62 offset0:53 offset1:54
	ds_load_2addr_b32 v[70:71], v62 offset0:55 offset1:56
	s_waitcnt lgkmcnt(3)
	v_fmac_f32_e32 v87, v80, v64
	s_delay_alu instid0(VALU_DEP_1) | instskip(SKIP_4) | instid1(VALU_DEP_1)
	v_fmac_f32_e32 v87, v81, v65
	ds_load_2addr_b32 v[64:65], v62 offset0:57 offset1:58
	s_waitcnt lgkmcnt(3)
	v_fmac_f32_e32 v87, v82, v66
	s_waitcnt vmcnt(2)
	v_fmac_f32_e32 v87, v83, v67
	ds_load_2addr_b32 v[66:67], v62 offset0:59 offset1:60
	s_waitcnt lgkmcnt(3)
	v_fmac_f32_e32 v87, v84, v68
	s_delay_alu instid0(VALU_DEP_1) | instskip(SKIP_1) | instid1(VALU_DEP_1)
	v_fmac_f32_e32 v87, v85, v69
	s_waitcnt lgkmcnt(2)
	v_fmac_f32_e32 v87, v86, v70
	s_waitcnt vmcnt(1)
	s_delay_alu instid0(VALU_DEP_1) | instskip(SKIP_1) | instid1(VALU_DEP_1)
	v_fmac_f32_e32 v87, v0, v71
	s_waitcnt lgkmcnt(1)
	v_fmac_f32_e32 v87, v1, v64
	s_delay_alu instid0(VALU_DEP_1) | instskip(SKIP_1) | instid1(VALU_DEP_1)
	v_fmac_f32_e32 v87, v2, v65
	s_waitcnt lgkmcnt(0)
	v_fmac_f32_e32 v87, v3, v66
	s_waitcnt vmcnt(0)
	s_delay_alu instid0(VALU_DEP_1) | instskip(NEXT) | instid1(VALU_DEP_1)
	v_fmac_f32_e32 v87, v95, v67
	v_sub_f32_e32 v0, v63, v87
	scratch_store_b32 off, v0, off
	s_cbranch_vccz .LBB28_239
; %bb.182:
	v_dual_mov_b32 v0, s12 :: v_dual_mov_b32 v1, s13
	s_mov_b32 s0, exec_lo
	flat_load_b32 v0, v[0:1] offset:108
	s_waitcnt vmcnt(0) lgkmcnt(0)
	v_cmpx_ne_u32_e32 28, v0
	s_cbranch_execz .LBB28_184
; %bb.183:
	v_lshl_add_u32 v0, v0, 2, 0
	scratch_load_b32 v1, v0, off offset:-4
	s_waitcnt vmcnt(0)
	scratch_store_b32 off, v1, off offset:108
	scratch_store_b32 v0, v3, off offset:-4
.LBB28_184:
	s_or_b32 exec_lo, exec_lo, s0
	v_dual_mov_b32 v0, s12 :: v_dual_mov_b32 v1, s13
	s_mov_b32 s0, exec_lo
	flat_load_b32 v0, v[0:1] offset:104
	s_waitcnt vmcnt(0) lgkmcnt(0)
	v_cmpx_ne_u32_e32 27, v0
	s_cbranch_execz .LBB28_186
; %bb.185:
	v_lshl_add_u32 v0, v0, 2, 0
	scratch_load_b32 v1, v0, off offset:-4
	scratch_load_b32 v2, off, off offset:104
	s_waitcnt vmcnt(1)
	scratch_store_b32 off, v1, off offset:104
	s_waitcnt vmcnt(0)
	scratch_store_b32 v0, v2, off offset:-4
.LBB28_186:
	s_or_b32 exec_lo, exec_lo, s0
	v_dual_mov_b32 v0, s12 :: v_dual_mov_b32 v1, s13
	s_mov_b32 s0, exec_lo
	flat_load_b32 v0, v[0:1] offset:100
	s_waitcnt vmcnt(0) lgkmcnt(0)
	v_cmpx_ne_u32_e32 26, v0
	s_cbranch_execz .LBB28_188
; %bb.187:
	v_lshl_add_u32 v0, v0, 2, 0
	scratch_load_b32 v1, v0, off offset:-4
	scratch_load_b32 v2, off, off offset:100
	s_waitcnt vmcnt(1)
	scratch_store_b32 off, v1, off offset:100
	s_waitcnt vmcnt(0)
	scratch_store_b32 v0, v2, off offset:-4
.LBB28_188:
	;; [unrolled: 16-line block ×26, first 2 shown]
	s_or_b32 exec_lo, exec_lo, s0
	v_dual_mov_b32 v0, s12 :: v_dual_mov_b32 v1, s13
	s_mov_b32 s0, exec_lo
	flat_load_b32 v1, v[0:1]
	scratch_load_b32 v0, off, off
	s_waitcnt vmcnt(1) lgkmcnt(0)
	v_cmpx_ne_u32_e32 1, v1
	s_cbranch_execz .LBB28_238
; %bb.237:
	v_lshl_add_u32 v1, v1, 2, 0
	scratch_load_b32 v2, v1, off offset:-4
	s_waitcnt vmcnt(0)
	scratch_store_b32 off, v2, off
	scratch_store_b32 v1, v0, off offset:-4
	scratch_load_b32 v0, off, off
.LBB28_238:
	s_or_b32 exec_lo, exec_lo, s0
.LBB28_239:
	s_clause 0x6
	scratch_load_b128 v[62:65], off, off offset:4
	scratch_load_b128 v[66:69], off, off offset:20
	scratch_load_b128 v[70:73], off, off offset:36
	scratch_load_b128 v[74:77], off, off offset:52
	scratch_load_b128 v[78:81], off, off offset:68
	scratch_load_b128 v[82:85], off, off offset:84
	scratch_load_b128 v[86:89], off, off offset:100
	s_waitcnt vmcnt(7)
	global_store_b32 v[4:5], v0, off
	s_waitcnt vmcnt(6)
	s_clause 0x3
	global_store_b32 v[6:7], v62, off
	global_store_b32 v[8:9], v63, off
	global_store_b32 v[10:11], v64, off
	global_store_b32 v[12:13], v65, off
	s_waitcnt vmcnt(5)
	s_clause 0x3
	global_store_b32 v[14:15], v66, off
	global_store_b32 v[16:17], v67, off
	global_store_b32 v[18:19], v68, off
	global_store_b32 v[20:21], v69, off
	s_waitcnt vmcnt(4)
	s_clause 0x3
	global_store_b32 v[22:23], v70, off
	global_store_b32 v[24:25], v71, off
	global_store_b32 v[26:27], v72, off
	global_store_b32 v[28:29], v73, off
	s_waitcnt vmcnt(3)
	s_clause 0x3
	global_store_b32 v[30:31], v74, off
	global_store_b32 v[32:33], v75, off
	global_store_b32 v[34:35], v76, off
	global_store_b32 v[36:37], v77, off
	s_waitcnt vmcnt(2)
	s_clause 0x3
	global_store_b32 v[38:39], v78, off
	global_store_b32 v[40:41], v79, off
	global_store_b32 v[42:43], v80, off
	global_store_b32 v[44:45], v81, off
	s_waitcnt vmcnt(1)
	s_clause 0x3
	global_store_b32 v[46:47], v82, off
	global_store_b32 v[48:49], v83, off
	global_store_b32 v[50:51], v84, off
	global_store_b32 v[52:53], v85, off
	s_waitcnt vmcnt(0)
	s_clause 0x3
	global_store_b32 v[54:55], v86, off
	global_store_b32 v[56:57], v87, off
	global_store_b32 v[58:59], v88, off
	global_store_b32 v[60:61], v89, off
	s_endpgm
	.section	.rodata,"a",@progbits
	.p2align	6, 0x0
	.amdhsa_kernel _ZN9rocsolver6v33100L18getri_kernel_smallILi29EfPfEEvT1_iilPiilS4_bb
		.amdhsa_group_segment_fixed_size 244
		.amdhsa_private_segment_fixed_size 128
		.amdhsa_kernarg_size 60
		.amdhsa_user_sgpr_count 15
		.amdhsa_user_sgpr_dispatch_ptr 0
		.amdhsa_user_sgpr_queue_ptr 0
		.amdhsa_user_sgpr_kernarg_segment_ptr 1
		.amdhsa_user_sgpr_dispatch_id 0
		.amdhsa_user_sgpr_private_segment_size 0
		.amdhsa_wavefront_size32 1
		.amdhsa_uses_dynamic_stack 0
		.amdhsa_enable_private_segment 1
		.amdhsa_system_sgpr_workgroup_id_x 1
		.amdhsa_system_sgpr_workgroup_id_y 0
		.amdhsa_system_sgpr_workgroup_id_z 0
		.amdhsa_system_sgpr_workgroup_info 0
		.amdhsa_system_vgpr_workitem_id 0
		.amdhsa_next_free_vgpr 99
		.amdhsa_next_free_sgpr 18
		.amdhsa_reserve_vcc 1
		.amdhsa_float_round_mode_32 0
		.amdhsa_float_round_mode_16_64 0
		.amdhsa_float_denorm_mode_32 3
		.amdhsa_float_denorm_mode_16_64 3
		.amdhsa_dx10_clamp 1
		.amdhsa_ieee_mode 1
		.amdhsa_fp16_overflow 0
		.amdhsa_workgroup_processor_mode 1
		.amdhsa_memory_ordered 1
		.amdhsa_forward_progress 0
		.amdhsa_shared_vgpr_count 0
		.amdhsa_exception_fp_ieee_invalid_op 0
		.amdhsa_exception_fp_denorm_src 0
		.amdhsa_exception_fp_ieee_div_zero 0
		.amdhsa_exception_fp_ieee_overflow 0
		.amdhsa_exception_fp_ieee_underflow 0
		.amdhsa_exception_fp_ieee_inexact 0
		.amdhsa_exception_int_div_zero 0
	.end_amdhsa_kernel
	.section	.text._ZN9rocsolver6v33100L18getri_kernel_smallILi29EfPfEEvT1_iilPiilS4_bb,"axG",@progbits,_ZN9rocsolver6v33100L18getri_kernel_smallILi29EfPfEEvT1_iilPiilS4_bb,comdat
.Lfunc_end28:
	.size	_ZN9rocsolver6v33100L18getri_kernel_smallILi29EfPfEEvT1_iilPiilS4_bb, .Lfunc_end28-_ZN9rocsolver6v33100L18getri_kernel_smallILi29EfPfEEvT1_iilPiilS4_bb
                                        ; -- End function
	.section	.AMDGPU.csdata,"",@progbits
; Kernel info:
; codeLenInByte = 17624
; NumSgprs: 20
; NumVgprs: 99
; ScratchSize: 128
; MemoryBound: 0
; FloatMode: 240
; IeeeMode: 1
; LDSByteSize: 244 bytes/workgroup (compile time only)
; SGPRBlocks: 2
; VGPRBlocks: 12
; NumSGPRsForWavesPerEU: 20
; NumVGPRsForWavesPerEU: 99
; Occupancy: 12
; WaveLimiterHint : 1
; COMPUTE_PGM_RSRC2:SCRATCH_EN: 1
; COMPUTE_PGM_RSRC2:USER_SGPR: 15
; COMPUTE_PGM_RSRC2:TRAP_HANDLER: 0
; COMPUTE_PGM_RSRC2:TGID_X_EN: 1
; COMPUTE_PGM_RSRC2:TGID_Y_EN: 0
; COMPUTE_PGM_RSRC2:TGID_Z_EN: 0
; COMPUTE_PGM_RSRC2:TIDIG_COMP_CNT: 0
	.section	.text._ZN9rocsolver6v33100L18getri_kernel_smallILi30EfPfEEvT1_iilPiilS4_bb,"axG",@progbits,_ZN9rocsolver6v33100L18getri_kernel_smallILi30EfPfEEvT1_iilPiilS4_bb,comdat
	.globl	_ZN9rocsolver6v33100L18getri_kernel_smallILi30EfPfEEvT1_iilPiilS4_bb ; -- Begin function _ZN9rocsolver6v33100L18getri_kernel_smallILi30EfPfEEvT1_iilPiilS4_bb
	.p2align	8
	.type	_ZN9rocsolver6v33100L18getri_kernel_smallILi30EfPfEEvT1_iilPiilS4_bb,@function
_ZN9rocsolver6v33100L18getri_kernel_smallILi30EfPfEEvT1_iilPiilS4_bb: ; @_ZN9rocsolver6v33100L18getri_kernel_smallILi30EfPfEEvT1_iilPiilS4_bb
; %bb.0:
	s_mov_b32 s2, exec_lo
	v_cmpx_gt_u32_e32 30, v0
	s_cbranch_execz .LBB29_128
; %bb.1:
	s_clause 0x2
	s_load_b32 s17, s[0:1], 0x38
	s_load_b128 s[8:11], s[0:1], 0x10
	s_load_b128 s[4:7], s[0:1], 0x28
	s_mov_b32 s14, s15
                                        ; implicit-def: $sgpr12_sgpr13
	s_waitcnt lgkmcnt(0)
	s_bitcmp1_b32 s17, 8
	s_cselect_b32 s16, -1, 0
	s_bfe_u32 s2, s17, 0x10008
	s_ashr_i32 s15, s15, 31
	s_cmp_eq_u32 s2, 0
	s_cbranch_scc1 .LBB29_3
; %bb.2:
	s_load_b32 s2, s[0:1], 0x20
	s_mul_i32 s3, s14, s5
	s_mul_hi_u32 s5, s14, s4
	s_mul_i32 s12, s15, s4
	s_add_i32 s3, s5, s3
	s_mul_i32 s4, s14, s4
	s_add_i32 s5, s3, s12
	s_delay_alu instid0(SALU_CYCLE_1)
	s_lshl_b64 s[4:5], s[4:5], 2
	s_waitcnt lgkmcnt(0)
	s_ashr_i32 s3, s2, 31
	s_add_u32 s4, s10, s4
	s_addc_u32 s5, s11, s5
	s_lshl_b64 s[2:3], s[2:3], 2
	s_delay_alu instid0(SALU_CYCLE_1)
	s_add_u32 s12, s4, s2
	s_addc_u32 s13, s5, s3
.LBB29_3:
	s_load_b128 s[0:3], s[0:1], 0x0
	s_mul_i32 s4, s14, s9
	s_mul_hi_u32 s5, s14, s8
	s_mul_i32 s9, s15, s8
	s_add_i32 s5, s5, s4
	s_mul_i32 s4, s14, s8
	s_add_i32 s5, s5, s9
	v_lshlrev_b32_e32 v61, 2, v0
	s_lshl_b64 s[4:5], s[4:5], 2
	s_waitcnt lgkmcnt(0)
	v_add3_u32 v3, s3, s3, v0
	s_ashr_i32 s9, s2, 31
	s_mov_b32 s8, s2
	s_add_u32 s2, s0, s4
	s_addc_u32 s5, s1, s5
	v_add_nc_u32_e32 v5, s3, v3
	s_lshl_b64 s[0:1], s[8:9], 2
	v_ashrrev_i32_e32 v4, 31, v3
	s_add_u32 s0, s2, s0
	s_addc_u32 s1, s5, s1
	v_add_nc_u32_e32 v9, s3, v5
	v_add_co_u32 v1, s2, s0, v61
	v_ashrrev_i32_e32 v6, 31, v5
	s_mov_b32 s4, s3
	s_ashr_i32 s5, s3, 31
	v_add_co_ci_u32_e64 v2, null, s1, 0, s2
	v_lshlrev_b64 v[7:8], 2, v[3:4]
	s_lshl_b64 s[4:5], s[4:5], 2
	v_add_nc_u32_e32 v13, s3, v9
	v_add_co_u32 v3, vcc_lo, v1, s4
	v_lshlrev_b64 v[11:12], 2, v[5:6]
	v_add_co_ci_u32_e32 v4, vcc_lo, s5, v2, vcc_lo
	v_add_co_u32 v5, vcc_lo, s0, v7
	v_ashrrev_i32_e32 v14, 31, v13
	v_add_nc_u32_e32 v15, s3, v13
	v_add_co_ci_u32_e32 v6, vcc_lo, s1, v8, vcc_lo
	v_ashrrev_i32_e32 v10, 31, v9
	v_add_co_u32 v7, vcc_lo, s0, v11
	v_add_co_ci_u32_e32 v8, vcc_lo, s1, v12, vcc_lo
	v_lshlrev_b64 v[11:12], 2, v[13:14]
	v_add_nc_u32_e32 v13, s3, v15
	v_lshlrev_b64 v[9:10], 2, v[9:10]
	v_ashrrev_i32_e32 v16, 31, v15
	global_load_b32 v62, v61, s[0:1]
	s_bitcmp0_b32 s17, 0
	v_add_nc_u32_e32 v17, s3, v13
	v_ashrrev_i32_e32 v14, 31, v13
	v_add_co_u32 v9, vcc_lo, s0, v9
	v_lshlrev_b64 v[15:16], 2, v[15:16]
	s_delay_alu instid0(VALU_DEP_4)
	v_ashrrev_i32_e32 v18, 31, v17
	v_add_co_ci_u32_e32 v10, vcc_lo, s1, v10, vcc_lo
	v_add_co_u32 v11, vcc_lo, s0, v11
	v_lshlrev_b64 v[19:20], 2, v[13:14]
	v_add_nc_u32_e32 v23, s3, v17
	v_add_co_ci_u32_e32 v12, vcc_lo, s1, v12, vcc_lo
	v_add_co_u32 v13, vcc_lo, s0, v15
	v_lshlrev_b64 v[21:22], 2, v[17:18]
	v_add_co_ci_u32_e32 v14, vcc_lo, s1, v16, vcc_lo
	v_add_co_u32 v15, vcc_lo, s0, v19
	v_ashrrev_i32_e32 v24, 31, v23
	v_add_nc_u32_e32 v19, s3, v23
	v_add_co_ci_u32_e32 v16, vcc_lo, s1, v20, vcc_lo
	v_add_co_u32 v17, vcc_lo, s0, v21
	v_add_co_ci_u32_e32 v18, vcc_lo, s1, v22, vcc_lo
	v_lshlrev_b64 v[21:22], 2, v[23:24]
	v_add_nc_u32_e32 v23, s3, v19
	v_ashrrev_i32_e32 v20, 31, v19
	s_clause 0x7
	global_load_b32 v63, v[3:4], off
	global_load_b32 v64, v[5:6], off
	;; [unrolled: 1-line block ×8, first 2 shown]
	v_add_nc_u32_e32 v27, s3, v23
	v_lshlrev_b64 v[25:26], 2, v[19:20]
	v_add_co_u32 v19, vcc_lo, s0, v21
	v_add_co_ci_u32_e32 v20, vcc_lo, s1, v22, vcc_lo
	s_delay_alu instid0(VALU_DEP_4)
	v_ashrrev_i32_e32 v28, 31, v27
	v_add_nc_u32_e32 v29, s3, v27
	v_ashrrev_i32_e32 v24, 31, v23
	v_add_co_u32 v21, vcc_lo, s0, v25
	v_add_co_ci_u32_e32 v22, vcc_lo, s1, v26, vcc_lo
	v_lshlrev_b64 v[25:26], 2, v[27:28]
	v_add_nc_u32_e32 v27, s3, v29
	v_lshlrev_b64 v[23:24], 2, v[23:24]
	v_ashrrev_i32_e32 v30, 31, v29
	s_delay_alu instid0(VALU_DEP_3) | instskip(SKIP_1) | instid1(VALU_DEP_4)
	v_add_nc_u32_e32 v31, s3, v27
	v_ashrrev_i32_e32 v28, 31, v27
	v_add_co_u32 v23, vcc_lo, s0, v23
	s_delay_alu instid0(VALU_DEP_4) | instskip(NEXT) | instid1(VALU_DEP_4)
	v_lshlrev_b64 v[29:30], 2, v[29:30]
	v_add_nc_u32_e32 v35, s3, v31
	v_add_co_ci_u32_e32 v24, vcc_lo, s1, v24, vcc_lo
	v_add_co_u32 v25, vcc_lo, s0, v25
	v_lshlrev_b64 v[33:34], 2, v[27:28]
	v_add_co_ci_u32_e32 v26, vcc_lo, s1, v26, vcc_lo
	v_add_co_u32 v27, vcc_lo, s0, v29
	v_ashrrev_i32_e32 v36, 31, v35
	v_add_co_ci_u32_e32 v28, vcc_lo, s1, v30, vcc_lo
	v_add_co_u32 v29, vcc_lo, s0, v33
	v_add_co_ci_u32_e32 v30, vcc_lo, s1, v34, vcc_lo
	s_delay_alu instid0(VALU_DEP_4) | instskip(SKIP_2) | instid1(VALU_DEP_2)
	v_lshlrev_b64 v[33:34], 2, v[35:36]
	v_add_nc_u32_e32 v35, s3, v35
	v_ashrrev_i32_e32 v32, 31, v31
	v_add_nc_u32_e32 v37, s3, v35
	s_delay_alu instid0(VALU_DEP_2) | instskip(SKIP_1) | instid1(VALU_DEP_3)
	v_lshlrev_b64 v[31:32], 2, v[31:32]
	v_ashrrev_i32_e32 v36, 31, v35
	v_add_nc_u32_e32 v39, s3, v37
	v_ashrrev_i32_e32 v38, 31, v37
	s_delay_alu instid0(VALU_DEP_4) | instskip(NEXT) | instid1(VALU_DEP_4)
	v_add_co_u32 v31, vcc_lo, s0, v31
	v_lshlrev_b64 v[35:36], 2, v[35:36]
	s_delay_alu instid0(VALU_DEP_4) | instskip(SKIP_3) | instid1(VALU_DEP_4)
	v_add_nc_u32_e32 v41, s3, v39
	v_ashrrev_i32_e32 v40, 31, v39
	v_add_co_ci_u32_e32 v32, vcc_lo, s1, v32, vcc_lo
	v_add_co_u32 v33, vcc_lo, s0, v33
	v_add_nc_u32_e32 v43, s3, v41
	v_lshlrev_b64 v[37:38], 2, v[37:38]
	v_ashrrev_i32_e32 v42, 31, v41
	v_add_co_ci_u32_e32 v34, vcc_lo, s1, v34, vcc_lo
	s_delay_alu instid0(VALU_DEP_4) | instskip(SKIP_3) | instid1(VALU_DEP_4)
	v_add_nc_u32_e32 v45, s3, v43
	v_add_co_u32 v35, vcc_lo, s0, v35
	v_lshlrev_b64 v[39:40], 2, v[39:40]
	v_ashrrev_i32_e32 v44, 31, v43
	v_add_nc_u32_e32 v47, s3, v45
	v_add_co_ci_u32_e32 v36, vcc_lo, s1, v36, vcc_lo
	v_add_co_u32 v37, vcc_lo, s0, v37
	v_lshlrev_b64 v[41:42], 2, v[41:42]
	v_ashrrev_i32_e32 v46, 31, v45
	v_add_co_ci_u32_e32 v38, vcc_lo, s1, v38, vcc_lo
	v_add_nc_u32_e32 v49, s3, v47
	v_add_co_u32 v39, vcc_lo, s0, v39
	v_lshlrev_b64 v[43:44], 2, v[43:44]
	v_ashrrev_i32_e32 v48, 31, v47
	v_add_co_ci_u32_e32 v40, vcc_lo, s1, v40, vcc_lo
	v_add_co_u32 v41, vcc_lo, s0, v41
	v_lshlrev_b64 v[45:46], 2, v[45:46]
	v_ashrrev_i32_e32 v50, 31, v49
	v_add_co_ci_u32_e32 v42, vcc_lo, s1, v42, vcc_lo
	v_add_co_u32 v43, vcc_lo, s0, v43
	v_lshlrev_b64 v[47:48], 2, v[47:48]
	v_add_nc_u32_e32 v52, s3, v49
	v_add_co_ci_u32_e32 v44, vcc_lo, s1, v44, vcc_lo
	v_add_co_u32 v45, vcc_lo, s0, v45
	v_lshlrev_b64 v[50:51], 2, v[49:50]
	v_add_co_ci_u32_e32 v46, vcc_lo, s1, v46, vcc_lo
	v_add_co_u32 v47, vcc_lo, s0, v47
	v_ashrrev_i32_e32 v53, 31, v52
	v_add_nc_u32_e32 v54, s3, v52
	v_add_co_ci_u32_e32 v48, vcc_lo, s1, v48, vcc_lo
	v_add_co_u32 v49, vcc_lo, s0, v50
	v_add_co_ci_u32_e32 v50, vcc_lo, s1, v51, vcc_lo
	v_lshlrev_b64 v[51:52], 2, v[52:53]
	v_add_nc_u32_e32 v53, s3, v54
	v_ashrrev_i32_e32 v55, 31, v54
	s_clause 0xf
	global_load_b32 v71, v[19:20], off
	global_load_b32 v72, v[21:22], off
	;; [unrolled: 1-line block ×16, first 2 shown]
	v_add_nc_u32_e32 v57, s3, v53
	v_lshlrev_b64 v[55:56], 2, v[54:55]
	v_ashrrev_i32_e32 v54, 31, v53
	v_add_co_u32 v51, vcc_lo, s0, v51
	s_delay_alu instid0(VALU_DEP_4) | instskip(SKIP_1) | instid1(VALU_DEP_4)
	v_add_nc_u32_e32 v87, s3, v57
	v_ashrrev_i32_e32 v58, 31, v57
	v_lshlrev_b64 v[59:60], 2, v[53:54]
	v_add_co_ci_u32_e32 v52, vcc_lo, s1, v52, vcc_lo
	v_add_co_u32 v53, vcc_lo, s0, v55
	v_ashrrev_i32_e32 v88, 31, v87
	v_add_co_ci_u32_e32 v54, vcc_lo, s1, v56, vcc_lo
	v_lshlrev_b64 v[57:58], 2, v[57:58]
	v_add_co_u32 v55, vcc_lo, s0, v59
	v_add_co_ci_u32_e32 v56, vcc_lo, s1, v60, vcc_lo
	v_lshlrev_b64 v[59:60], 2, v[87:88]
	s_delay_alu instid0(VALU_DEP_4) | instskip(SKIP_1) | instid1(VALU_DEP_3)
	v_add_co_u32 v57, vcc_lo, s0, v57
	v_add_co_ci_u32_e32 v58, vcc_lo, s1, v58, vcc_lo
	v_add_co_u32 v59, vcc_lo, s0, v59
	s_delay_alu instid0(VALU_DEP_4)
	v_add_co_ci_u32_e32 v60, vcc_lo, s1, v60, vcc_lo
	s_clause 0x4
	global_load_b32 v87, v[51:52], off
	global_load_b32 v88, v[53:54], off
	;; [unrolled: 1-line block ×5, first 2 shown]
	s_mov_b32 s1, -1
	s_waitcnt vmcnt(26)
	scratch_store_b128 off, v[62:65], off
	s_waitcnt vmcnt(22)
	scratch_store_b128 off, v[66:69], off offset:16
	s_waitcnt vmcnt(18)
	scratch_store_b128 off, v[70:73], off offset:32
	;; [unrolled: 2-line block ×6, first 2 shown]
	s_waitcnt vmcnt(0)
	scratch_store_b64 off, v[90:91], off offset:112
	s_cbranch_scc1 .LBB29_126
; %bb.4:
	v_cmp_eq_u32_e64 s0, 0, v0
	s_delay_alu instid0(VALU_DEP_1)
	s_and_saveexec_b32 s1, s0
	s_cbranch_execz .LBB29_6
; %bb.5:
	v_mov_b32_e32 v62, 0
	ds_store_b32 v62, v62 offset:120
.LBB29_6:
	s_or_b32 exec_lo, exec_lo, s1
	s_waitcnt lgkmcnt(0)
	s_waitcnt_vscnt null, 0x0
	s_barrier
	buffer_gl0_inv
	scratch_load_b32 v62, v61, off
	s_mov_b32 s2, exec_lo
	s_waitcnt vmcnt(0)
	v_cmpx_eq_f32_e32 0, v62
	s_cbranch_execz .LBB29_10
; %bb.7:
	v_mov_b32_e32 v62, 0
	s_mov_b32 s3, 0
	ds_load_b32 v63, v62 offset:120
	s_waitcnt lgkmcnt(0)
	v_readfirstlane_b32 s1, v63
	v_add_nc_u32_e32 v63, 1, v0
	s_delay_alu instid0(VALU_DEP_2) | instskip(NEXT) | instid1(VALU_DEP_1)
	s_cmp_eq_u32 s1, 0
	v_cmp_gt_i32_e32 vcc_lo, s1, v63
	s_cselect_b32 s4, -1, 0
	s_delay_alu instid0(SALU_CYCLE_1) | instskip(NEXT) | instid1(SALU_CYCLE_1)
	s_or_b32 s4, s4, vcc_lo
	s_and_b32 exec_lo, exec_lo, s4
	s_cbranch_execz .LBB29_10
; %bb.8:
	v_mov_b32_e32 v64, s1
.LBB29_9:                               ; =>This Inner Loop Header: Depth=1
	ds_cmpstore_rtn_b32 v64, v62, v63, v64 offset:120
	s_waitcnt lgkmcnt(0)
	v_cmp_ne_u32_e32 vcc_lo, 0, v64
	v_cmp_le_i32_e64 s1, v64, v63
	s_delay_alu instid0(VALU_DEP_1) | instskip(NEXT) | instid1(SALU_CYCLE_1)
	s_and_b32 s1, vcc_lo, s1
	s_and_b32 s1, exec_lo, s1
	s_delay_alu instid0(SALU_CYCLE_1) | instskip(NEXT) | instid1(SALU_CYCLE_1)
	s_or_b32 s3, s1, s3
	s_and_not1_b32 exec_lo, exec_lo, s3
	s_cbranch_execnz .LBB29_9
.LBB29_10:
	s_or_b32 exec_lo, exec_lo, s2
	v_mov_b32_e32 v62, 0
	s_barrier
	buffer_gl0_inv
	ds_load_b32 v63, v62 offset:120
	s_and_saveexec_b32 s1, s0
	s_cbranch_execz .LBB29_12
; %bb.11:
	s_lshl_b64 s[2:3], s[14:15], 2
	s_delay_alu instid0(SALU_CYCLE_1)
	s_add_u32 s2, s6, s2
	s_addc_u32 s3, s7, s3
	s_waitcnt lgkmcnt(0)
	global_store_b32 v62, v63, s[2:3]
.LBB29_12:
	s_or_b32 exec_lo, exec_lo, s1
	s_waitcnt lgkmcnt(0)
	v_cmp_ne_u32_e32 vcc_lo, 0, v63
	s_mov_b32 s1, 0
	s_cbranch_vccnz .LBB29_126
; %bb.13:
	v_add_nc_u32_e32 v62, 0, v61
	scratch_load_b32 v63, v62, off
	s_waitcnt vmcnt(0)
	v_div_scale_f32 v64, null, v63, v63, 1.0
	v_div_scale_f32 v67, vcc_lo, 1.0, v63, 1.0
	s_delay_alu instid0(VALU_DEP_2) | instskip(SKIP_2) | instid1(VALU_DEP_1)
	v_rcp_f32_e32 v65, v64
	s_waitcnt_depctr 0xfff
	v_fma_f32 v66, -v64, v65, 1.0
	v_fmac_f32_e32 v65, v66, v65
	s_delay_alu instid0(VALU_DEP_1) | instskip(NEXT) | instid1(VALU_DEP_1)
	v_mul_f32_e32 v66, v67, v65
	v_fma_f32 v68, -v64, v66, v67
	s_delay_alu instid0(VALU_DEP_1) | instskip(NEXT) | instid1(VALU_DEP_1)
	v_fmac_f32_e32 v66, v68, v65
	v_fma_f32 v64, -v64, v66, v67
	s_delay_alu instid0(VALU_DEP_1) | instskip(NEXT) | instid1(VALU_DEP_1)
	v_div_fmas_f32 v64, v64, v65, v66
	v_div_fixup_f32 v63, v64, v63, 1.0
	scratch_store_b32 v62, v63, off
	scratch_load_b32 v64, off, off offset:4
	v_xor_b32_e32 v65, 0x80000000, v63
	v_add_nc_u32_e32 v63, 0x80, v61
	s_waitcnt vmcnt(0)
	ds_store_2addr_b32 v61, v65, v64 offset1:32
	s_waitcnt lgkmcnt(0)
	s_waitcnt_vscnt null, 0x0
	s_barrier
	buffer_gl0_inv
	s_and_saveexec_b32 s1, s0
	s_cbranch_execz .LBB29_15
; %bb.14:
	scratch_load_b32 v64, v62, off
	ds_load_b32 v65, v63
	v_mov_b32_e32 v66, 0
	ds_load_b32 v66, v66 offset:4
	s_waitcnt vmcnt(0) lgkmcnt(1)
	v_fma_f32 v64, v64, v65, 0
	s_waitcnt lgkmcnt(0)
	s_delay_alu instid0(VALU_DEP_1)
	v_mul_f32_e32 v64, v64, v66
	scratch_store_b32 off, v64, off offset:4
.LBB29_15:
	s_or_b32 exec_lo, exec_lo, s1
	s_waitcnt_vscnt null, 0x0
	s_barrier
	buffer_gl0_inv
	scratch_load_b32 v64, off, off offset:8
	s_mov_b32 s1, exec_lo
	s_waitcnt vmcnt(0)
	ds_store_b32 v63, v64
	s_waitcnt lgkmcnt(0)
	s_barrier
	buffer_gl0_inv
	v_cmpx_gt_u32_e32 2, v0
	s_cbranch_execz .LBB29_17
; %bb.16:
	scratch_load_b32 v66, v62, off
	scratch_load_b32 v67, off, off offset:4
	ds_load_b32 v68, v63
	v_mov_b32_e32 v64, 0
	ds_load_2addr_b32 v[64:65], v64 offset0:2 offset1:33
	s_waitcnt vmcnt(1) lgkmcnt(1)
	v_fma_f32 v66, v66, v68, 0
	s_waitcnt vmcnt(0) lgkmcnt(0)
	s_delay_alu instid0(VALU_DEP_1) | instskip(NEXT) | instid1(VALU_DEP_1)
	v_fma_f32 v65, v67, v65, v66
	v_cndmask_b32_e64 v65, v66, v65, s0
	s_delay_alu instid0(VALU_DEP_1)
	v_mul_f32_e32 v64, v65, v64
	scratch_store_b32 off, v64, off offset:8
.LBB29_17:
	s_or_b32 exec_lo, exec_lo, s1
	s_waitcnt_vscnt null, 0x0
	s_barrier
	buffer_gl0_inv
	scratch_load_b32 v65, off, off offset:12
	v_add_nc_u32_e32 v64, -1, v0
	s_mov_b32 s0, exec_lo
	s_waitcnt vmcnt(0)
	ds_store_b32 v63, v65
	s_waitcnt lgkmcnt(0)
	s_barrier
	buffer_gl0_inv
	v_cmpx_gt_u32_e32 3, v0
	s_cbranch_execz .LBB29_21
; %bb.18:
	v_dual_mov_b32 v65, 0 :: v_dual_add_nc_u32 v66, -1, v0
	v_add_nc_u32_e32 v67, 0x80, v61
	v_add_nc_u32_e32 v68, 0, v61
	s_mov_b32 s1, 0
.LBB29_19:                              ; =>This Inner Loop Header: Depth=1
	scratch_load_b32 v69, v68, off
	ds_load_b32 v70, v67
	v_add_nc_u32_e32 v66, 1, v66
	v_add_nc_u32_e32 v67, 4, v67
	v_add_nc_u32_e32 v68, 4, v68
	s_delay_alu instid0(VALU_DEP_3)
	v_cmp_lt_u32_e32 vcc_lo, 1, v66
	s_or_b32 s1, vcc_lo, s1
	s_waitcnt vmcnt(0) lgkmcnt(0)
	v_fmac_f32_e32 v65, v69, v70
	s_and_not1_b32 exec_lo, exec_lo, s1
	s_cbranch_execnz .LBB29_19
; %bb.20:
	s_or_b32 exec_lo, exec_lo, s1
	v_mov_b32_e32 v66, 0
	ds_load_b32 v66, v66 offset:12
	s_waitcnt lgkmcnt(0)
	v_mul_f32_e32 v65, v65, v66
	scratch_store_b32 off, v65, off offset:12
.LBB29_21:
	s_or_b32 exec_lo, exec_lo, s0
	s_waitcnt_vscnt null, 0x0
	s_barrier
	buffer_gl0_inv
	scratch_load_b32 v65, off, off offset:16
	s_mov_b32 s0, exec_lo
	s_waitcnt vmcnt(0)
	ds_store_b32 v63, v65
	s_waitcnt lgkmcnt(0)
	s_barrier
	buffer_gl0_inv
	v_cmpx_gt_u32_e32 4, v0
	s_cbranch_execz .LBB29_25
; %bb.22:
	v_dual_mov_b32 v65, 0 :: v_dual_add_nc_u32 v66, -1, v0
	v_add_nc_u32_e32 v67, 0x80, v61
	v_add_nc_u32_e32 v68, 0, v61
	s_mov_b32 s1, 0
.LBB29_23:                              ; =>This Inner Loop Header: Depth=1
	scratch_load_b32 v69, v68, off
	ds_load_b32 v70, v67
	v_add_nc_u32_e32 v66, 1, v66
	v_add_nc_u32_e32 v67, 4, v67
	v_add_nc_u32_e32 v68, 4, v68
	s_delay_alu instid0(VALU_DEP_3)
	v_cmp_lt_u32_e32 vcc_lo, 2, v66
	s_or_b32 s1, vcc_lo, s1
	s_waitcnt vmcnt(0) lgkmcnt(0)
	v_fmac_f32_e32 v65, v69, v70
	s_and_not1_b32 exec_lo, exec_lo, s1
	s_cbranch_execnz .LBB29_23
; %bb.24:
	s_or_b32 exec_lo, exec_lo, s1
	v_mov_b32_e32 v66, 0
	ds_load_b32 v66, v66 offset:16
	s_waitcnt lgkmcnt(0)
	v_mul_f32_e32 v65, v65, v66
	scratch_store_b32 off, v65, off offset:16
.LBB29_25:
	s_or_b32 exec_lo, exec_lo, s0
	s_waitcnt_vscnt null, 0x0
	s_barrier
	buffer_gl0_inv
	scratch_load_b32 v65, off, off offset:20
	;; [unrolled: 39-line block ×21, first 2 shown]
	s_mov_b32 s0, exec_lo
	s_waitcnt vmcnt(0)
	ds_store_b32 v63, v65
	s_waitcnt lgkmcnt(0)
	s_barrier
	buffer_gl0_inv
	v_cmpx_gt_u32_e32 24, v0
	s_cbranch_execz .LBB29_105
; %bb.102:
	v_dual_mov_b32 v65, 0 :: v_dual_add_nc_u32 v66, -1, v0
	v_add_nc_u32_e32 v67, 0x80, v61
	v_add_nc_u32_e32 v68, 0, v61
	s_mov_b32 s1, 0
.LBB29_103:                             ; =>This Inner Loop Header: Depth=1
	scratch_load_b32 v69, v68, off
	ds_load_b32 v70, v67
	v_add_nc_u32_e32 v66, 1, v66
	v_add_nc_u32_e32 v67, 4, v67
	v_add_nc_u32_e32 v68, 4, v68
	s_delay_alu instid0(VALU_DEP_3)
	v_cmp_lt_u32_e32 vcc_lo, 22, v66
	s_or_b32 s1, vcc_lo, s1
	s_waitcnt vmcnt(0) lgkmcnt(0)
	v_fmac_f32_e32 v65, v69, v70
	s_and_not1_b32 exec_lo, exec_lo, s1
	s_cbranch_execnz .LBB29_103
; %bb.104:
	s_or_b32 exec_lo, exec_lo, s1
	v_mov_b32_e32 v66, 0
	ds_load_b32 v66, v66 offset:96
	s_waitcnt lgkmcnt(0)
	v_mul_f32_e32 v65, v65, v66
	scratch_store_b32 off, v65, off offset:96
.LBB29_105:
	s_or_b32 exec_lo, exec_lo, s0
	s_waitcnt_vscnt null, 0x0
	s_barrier
	buffer_gl0_inv
	scratch_load_b32 v65, off, off offset:100
	s_mov_b32 s0, exec_lo
	s_waitcnt vmcnt(0)
	ds_store_b32 v63, v65
	s_waitcnt lgkmcnt(0)
	s_barrier
	buffer_gl0_inv
	v_cmpx_gt_u32_e32 25, v0
	s_cbranch_execz .LBB29_109
; %bb.106:
	v_dual_mov_b32 v65, 0 :: v_dual_add_nc_u32 v66, -1, v0
	v_add_nc_u32_e32 v67, 0x80, v61
	v_add_nc_u32_e32 v68, 0, v61
	s_mov_b32 s1, 0
.LBB29_107:                             ; =>This Inner Loop Header: Depth=1
	scratch_load_b32 v69, v68, off
	ds_load_b32 v70, v67
	v_add_nc_u32_e32 v66, 1, v66
	v_add_nc_u32_e32 v67, 4, v67
	v_add_nc_u32_e32 v68, 4, v68
	s_delay_alu instid0(VALU_DEP_3)
	v_cmp_lt_u32_e32 vcc_lo, 23, v66
	s_or_b32 s1, vcc_lo, s1
	s_waitcnt vmcnt(0) lgkmcnt(0)
	v_fmac_f32_e32 v65, v69, v70
	s_and_not1_b32 exec_lo, exec_lo, s1
	s_cbranch_execnz .LBB29_107
; %bb.108:
	s_or_b32 exec_lo, exec_lo, s1
	v_mov_b32_e32 v66, 0
	ds_load_b32 v66, v66 offset:100
	s_waitcnt lgkmcnt(0)
	v_mul_f32_e32 v65, v65, v66
	scratch_store_b32 off, v65, off offset:100
.LBB29_109:
	s_or_b32 exec_lo, exec_lo, s0
	s_waitcnt_vscnt null, 0x0
	s_barrier
	buffer_gl0_inv
	scratch_load_b32 v65, off, off offset:104
	;; [unrolled: 39-line block ×4, first 2 shown]
	s_mov_b32 s0, exec_lo
	s_waitcnt vmcnt(0)
	ds_store_b32 v63, v65
	s_waitcnt lgkmcnt(0)
	s_barrier
	buffer_gl0_inv
	v_cmpx_gt_u32_e32 28, v0
	s_cbranch_execz .LBB29_121
; %bb.118:
	v_add_nc_u32_e32 v65, -1, v0
	v_add_nc_u32_e32 v66, 0x80, v61
	v_add_nc_u32_e32 v67, 0, v61
	v_mov_b32_e32 v61, 0
	s_mov_b32 s1, 0
.LBB29_119:                             ; =>This Inner Loop Header: Depth=1
	scratch_load_b32 v68, v67, off
	ds_load_b32 v69, v66
	v_add_nc_u32_e32 v65, 1, v65
	v_add_nc_u32_e32 v66, 4, v66
	;; [unrolled: 1-line block ×3, first 2 shown]
	s_delay_alu instid0(VALU_DEP_3)
	v_cmp_lt_u32_e32 vcc_lo, 26, v65
	s_or_b32 s1, vcc_lo, s1
	s_waitcnt vmcnt(0) lgkmcnt(0)
	v_fmac_f32_e32 v61, v68, v69
	s_and_not1_b32 exec_lo, exec_lo, s1
	s_cbranch_execnz .LBB29_119
; %bb.120:
	s_or_b32 exec_lo, exec_lo, s1
	v_mov_b32_e32 v65, 0
	ds_load_b32 v65, v65 offset:112
	s_waitcnt lgkmcnt(0)
	v_mul_f32_e32 v61, v61, v65
	scratch_store_b32 off, v61, off offset:112
.LBB29_121:
	s_or_b32 exec_lo, exec_lo, s0
	s_waitcnt_vscnt null, 0x0
	s_barrier
	buffer_gl0_inv
	scratch_load_b32 v61, off, off offset:116
	s_mov_b32 s0, exec_lo
	s_waitcnt vmcnt(0)
	ds_store_b32 v63, v61
	s_waitcnt lgkmcnt(0)
	s_barrier
	buffer_gl0_inv
	v_cmpx_ne_u32_e32 29, v0
	s_cbranch_execz .LBB29_125
; %bb.122:
	v_mov_b32_e32 v61, 0
	s_mov_b32 s1, 0
.LBB29_123:                             ; =>This Inner Loop Header: Depth=1
	scratch_load_b32 v65, v62, off
	ds_load_b32 v66, v63
	v_add_nc_u32_e32 v64, 1, v64
	v_add_nc_u32_e32 v63, 4, v63
	;; [unrolled: 1-line block ×3, first 2 shown]
	s_waitcnt vmcnt(0) lgkmcnt(0)
	v_fmac_f32_e32 v61, v65, v66
	v_cmp_lt_u32_e32 vcc_lo, 27, v64
	s_or_b32 s1, vcc_lo, s1
	s_delay_alu instid0(SALU_CYCLE_1)
	s_and_not1_b32 exec_lo, exec_lo, s1
	s_cbranch_execnz .LBB29_123
; %bb.124:
	s_or_b32 exec_lo, exec_lo, s1
	v_mov_b32_e32 v62, 0
	ds_load_b32 v62, v62 offset:116
	s_waitcnt lgkmcnt(0)
	v_mul_f32_e32 v61, v61, v62
	scratch_store_b32 off, v61, off offset:116
.LBB29_125:
	s_or_b32 exec_lo, exec_lo, s0
	s_mov_b32 s1, -1
	s_waitcnt_vscnt null, 0x0
	s_barrier
	buffer_gl0_inv
.LBB29_126:
	s_and_b32 vcc_lo, exec_lo, s1
	s_cbranch_vccz .LBB29_128
; %bb.127:
	s_lshl_b64 s[0:1], s[14:15], 2
	v_mov_b32_e32 v61, 0
	s_add_u32 s0, s6, s0
	s_addc_u32 s1, s7, s1
	global_load_b32 v61, v61, s[0:1]
	s_waitcnt vmcnt(0)
	v_cmp_ne_u32_e32 vcc_lo, 0, v61
	s_cbranch_vccz .LBB29_129
.LBB29_128:
	s_endpgm
.LBB29_129:
	v_lshl_add_u32 v61, v0, 2, 0x80
	s_mov_b32 s0, exec_lo
	v_cmpx_eq_u32_e32 29, v0
	s_cbranch_execz .LBB29_131
; %bb.130:
	scratch_load_b32 v62, off, off offset:112
	v_mov_b32_e32 v63, 0
	scratch_store_b32 off, v63, off offset:112
	s_waitcnt vmcnt(0)
	ds_store_b32 v61, v62
.LBB29_131:
	s_or_b32 exec_lo, exec_lo, s0
	s_waitcnt lgkmcnt(0)
	s_waitcnt_vscnt null, 0x0
	s_barrier
	buffer_gl0_inv
	scratch_load_b64 v[63:64], off, off offset:112
	v_mov_b32_e32 v62, 0
	s_mov_b32 s0, exec_lo
	ds_load_b32 v65, v62 offset:244
	s_waitcnt vmcnt(0) lgkmcnt(0)
	v_fma_f32 v64, v64, v65, 0
	s_delay_alu instid0(VALU_DEP_1)
	v_sub_f32_e32 v63, v63, v64
	scratch_store_b32 off, v63, off offset:112
	v_cmpx_lt_u32_e32 27, v0
	s_cbranch_execz .LBB29_133
; %bb.132:
	scratch_load_b32 v63, off, off offset:108
	scratch_store_b32 off, v62, off offset:108
	s_waitcnt vmcnt(0)
	ds_store_b32 v61, v63
.LBB29_133:
	s_or_b32 exec_lo, exec_lo, s0
	s_waitcnt lgkmcnt(0)
	s_waitcnt_vscnt null, 0x0
	s_barrier
	buffer_gl0_inv
	scratch_load_b96 v[63:65], off, off offset:108
	ds_load_b64 v[66:67], v62 offset:240
	s_mov_b32 s0, exec_lo
	s_waitcnt vmcnt(0) lgkmcnt(0)
	v_fma_f32 v62, v64, v66, 0
	s_delay_alu instid0(VALU_DEP_1) | instskip(NEXT) | instid1(VALU_DEP_1)
	v_fmac_f32_e32 v62, v65, v67
	v_sub_f32_e32 v62, v63, v62
	scratch_store_b32 off, v62, off offset:108
	v_cmpx_lt_u32_e32 26, v0
	s_cbranch_execz .LBB29_135
; %bb.134:
	scratch_load_b32 v62, off, off offset:104
	v_mov_b32_e32 v63, 0
	scratch_store_b32 off, v63, off offset:104
	s_waitcnt vmcnt(0)
	ds_store_b32 v61, v62
.LBB29_135:
	s_or_b32 exec_lo, exec_lo, s0
	s_waitcnt lgkmcnt(0)
	s_waitcnt_vscnt null, 0x0
	s_barrier
	buffer_gl0_inv
	scratch_load_b128 v[63:66], off, off offset:104
	v_mov_b32_e32 v62, 0
	ds_load_2addr_b32 v[67:68], v62 offset0:59 offset1:60
	ds_load_b32 v69, v62 offset:244
	s_mov_b32 s0, exec_lo
	s_waitcnt vmcnt(0) lgkmcnt(1)
	v_fma_f32 v64, v64, v67, 0
	s_delay_alu instid0(VALU_DEP_1) | instskip(SKIP_1) | instid1(VALU_DEP_1)
	v_fmac_f32_e32 v64, v65, v68
	s_waitcnt lgkmcnt(0)
	v_fmac_f32_e32 v64, v66, v69
	s_delay_alu instid0(VALU_DEP_1)
	v_sub_f32_e32 v63, v63, v64
	scratch_store_b32 off, v63, off offset:104
	v_cmpx_lt_u32_e32 25, v0
	s_cbranch_execz .LBB29_137
; %bb.136:
	scratch_load_b32 v63, off, off offset:100
	scratch_store_b32 off, v62, off offset:100
	s_waitcnt vmcnt(0)
	ds_store_b32 v61, v63
.LBB29_137:
	s_or_b32 exec_lo, exec_lo, s0
	s_waitcnt lgkmcnt(0)
	s_waitcnt_vscnt null, 0x0
	s_barrier
	buffer_gl0_inv
	s_clause 0x1
	scratch_load_b128 v[63:66], off, off offset:100
	scratch_load_b32 v71, off, off offset:116
	ds_load_2addr_b64 v[67:70], v62 offset0:29 offset1:30
	s_mov_b32 s0, exec_lo
	s_waitcnt vmcnt(1) lgkmcnt(0)
	v_fma_f32 v62, v64, v67, 0
	s_delay_alu instid0(VALU_DEP_1) | instskip(NEXT) | instid1(VALU_DEP_1)
	v_fmac_f32_e32 v62, v65, v68
	v_fmac_f32_e32 v62, v66, v69
	s_waitcnt vmcnt(0)
	s_delay_alu instid0(VALU_DEP_1) | instskip(NEXT) | instid1(VALU_DEP_1)
	v_fmac_f32_e32 v62, v71, v70
	v_sub_f32_e32 v62, v63, v62
	scratch_store_b32 off, v62, off offset:100
	v_cmpx_lt_u32_e32 24, v0
	s_cbranch_execz .LBB29_139
; %bb.138:
	scratch_load_b32 v62, off, off offset:96
	v_mov_b32_e32 v63, 0
	scratch_store_b32 off, v63, off offset:96
	s_waitcnt vmcnt(0)
	ds_store_b32 v61, v62
.LBB29_139:
	s_or_b32 exec_lo, exec_lo, s0
	s_waitcnt lgkmcnt(0)
	s_waitcnt_vscnt null, 0x0
	s_barrier
	buffer_gl0_inv
	s_clause 0x1
	scratch_load_b128 v[63:66], off, off offset:96
	scratch_load_b64 v[67:68], off, off offset:112
	v_mov_b32_e32 v62, 0
	ds_load_2addr_b32 v[69:70], v62 offset0:57 offset1:58
	ds_load_2addr_b32 v[71:72], v62 offset0:59 offset1:60
	ds_load_b32 v73, v62 offset:244
	s_mov_b32 s0, exec_lo
	s_waitcnt vmcnt(1) lgkmcnt(2)
	v_fma_f32 v64, v64, v69, 0
	s_delay_alu instid0(VALU_DEP_1) | instskip(SKIP_1) | instid1(VALU_DEP_1)
	v_fmac_f32_e32 v64, v65, v70
	s_waitcnt lgkmcnt(1)
	v_fmac_f32_e32 v64, v66, v71
	s_waitcnt vmcnt(0)
	s_delay_alu instid0(VALU_DEP_1) | instskip(SKIP_1) | instid1(VALU_DEP_1)
	v_fmac_f32_e32 v64, v67, v72
	s_waitcnt lgkmcnt(0)
	v_fmac_f32_e32 v64, v68, v73
	s_delay_alu instid0(VALU_DEP_1)
	v_sub_f32_e32 v63, v63, v64
	scratch_store_b32 off, v63, off offset:96
	v_cmpx_lt_u32_e32 23, v0
	s_cbranch_execz .LBB29_141
; %bb.140:
	scratch_load_b32 v63, off, off offset:92
	scratch_store_b32 off, v62, off offset:92
	s_waitcnt vmcnt(0)
	ds_store_b32 v61, v63
.LBB29_141:
	s_or_b32 exec_lo, exec_lo, s0
	s_waitcnt lgkmcnt(0)
	s_waitcnt_vscnt null, 0x0
	s_barrier
	buffer_gl0_inv
	s_clause 0x1
	scratch_load_b128 v[63:66], off, off offset:92
	scratch_load_b96 v[71:73], off, off offset:108
	ds_load_b128 v[67:70], v62 offset:224
	ds_load_b64 v[74:75], v62 offset:240
	s_mov_b32 s0, exec_lo
	s_waitcnt vmcnt(1) lgkmcnt(1)
	v_fma_f32 v62, v64, v67, 0
	s_delay_alu instid0(VALU_DEP_1) | instskip(NEXT) | instid1(VALU_DEP_1)
	v_fmac_f32_e32 v62, v65, v68
	v_fmac_f32_e32 v62, v66, v69
	s_waitcnt vmcnt(0)
	s_delay_alu instid0(VALU_DEP_1) | instskip(SKIP_1) | instid1(VALU_DEP_1)
	v_fmac_f32_e32 v62, v71, v70
	s_waitcnt lgkmcnt(0)
	v_fmac_f32_e32 v62, v72, v74
	s_delay_alu instid0(VALU_DEP_1) | instskip(NEXT) | instid1(VALU_DEP_1)
	v_fmac_f32_e32 v62, v73, v75
	v_sub_f32_e32 v62, v63, v62
	scratch_store_b32 off, v62, off offset:92
	v_cmpx_lt_u32_e32 22, v0
	s_cbranch_execz .LBB29_143
; %bb.142:
	scratch_load_b32 v62, off, off offset:88
	v_mov_b32_e32 v63, 0
	scratch_store_b32 off, v63, off offset:88
	s_waitcnt vmcnt(0)
	ds_store_b32 v61, v62
.LBB29_143:
	s_or_b32 exec_lo, exec_lo, s0
	s_waitcnt lgkmcnt(0)
	s_waitcnt_vscnt null, 0x0
	s_barrier
	buffer_gl0_inv
	s_clause 0x1
	scratch_load_b128 v[63:66], off, off offset:88
	scratch_load_b128 v[67:70], off, off offset:104
	v_mov_b32_e32 v62, 0
	ds_load_2addr_b32 v[71:72], v62 offset0:55 offset1:56
	ds_load_2addr_b32 v[73:74], v62 offset0:57 offset1:58
	;; [unrolled: 1-line block ×3, first 2 shown]
	ds_load_b32 v77, v62 offset:244
	s_mov_b32 s0, exec_lo
	s_waitcnt vmcnt(1) lgkmcnt(3)
	v_fma_f32 v64, v64, v71, 0
	s_delay_alu instid0(VALU_DEP_1) | instskip(SKIP_1) | instid1(VALU_DEP_1)
	v_fmac_f32_e32 v64, v65, v72
	s_waitcnt lgkmcnt(2)
	v_fmac_f32_e32 v64, v66, v73
	s_waitcnt vmcnt(0)
	s_delay_alu instid0(VALU_DEP_1) | instskip(SKIP_1) | instid1(VALU_DEP_1)
	v_fmac_f32_e32 v64, v67, v74
	s_waitcnt lgkmcnt(1)
	v_fmac_f32_e32 v64, v68, v75
	s_delay_alu instid0(VALU_DEP_1) | instskip(SKIP_1) | instid1(VALU_DEP_1)
	v_fmac_f32_e32 v64, v69, v76
	s_waitcnt lgkmcnt(0)
	v_fmac_f32_e32 v64, v70, v77
	s_delay_alu instid0(VALU_DEP_1)
	v_sub_f32_e32 v63, v63, v64
	scratch_store_b32 off, v63, off offset:88
	v_cmpx_lt_u32_e32 21, v0
	s_cbranch_execz .LBB29_145
; %bb.144:
	scratch_load_b32 v63, off, off offset:84
	scratch_store_b32 off, v62, off offset:84
	s_waitcnt vmcnt(0)
	ds_store_b32 v61, v63
.LBB29_145:
	s_or_b32 exec_lo, exec_lo, s0
	s_waitcnt lgkmcnt(0)
	s_waitcnt_vscnt null, 0x0
	s_barrier
	buffer_gl0_inv
	s_clause 0x2
	scratch_load_b128 v[63:66], off, off offset:84
	scratch_load_b128 v[67:70], off, off offset:100
	scratch_load_b32 v79, off, off offset:116
	ds_load_2addr_b64 v[71:74], v62 offset0:27 offset1:28
	ds_load_2addr_b64 v[75:78], v62 offset0:29 offset1:30
	s_mov_b32 s0, exec_lo
	s_waitcnt vmcnt(2) lgkmcnt(1)
	v_fma_f32 v62, v64, v71, 0
	s_delay_alu instid0(VALU_DEP_1) | instskip(NEXT) | instid1(VALU_DEP_1)
	v_fmac_f32_e32 v62, v65, v72
	v_fmac_f32_e32 v62, v66, v73
	s_waitcnt vmcnt(1)
	s_delay_alu instid0(VALU_DEP_1) | instskip(SKIP_1) | instid1(VALU_DEP_1)
	v_fmac_f32_e32 v62, v67, v74
	s_waitcnt lgkmcnt(0)
	v_fmac_f32_e32 v62, v68, v75
	s_delay_alu instid0(VALU_DEP_1) | instskip(NEXT) | instid1(VALU_DEP_1)
	v_fmac_f32_e32 v62, v69, v76
	v_fmac_f32_e32 v62, v70, v77
	s_waitcnt vmcnt(0)
	s_delay_alu instid0(VALU_DEP_1) | instskip(NEXT) | instid1(VALU_DEP_1)
	v_fmac_f32_e32 v62, v79, v78
	v_sub_f32_e32 v62, v63, v62
	scratch_store_b32 off, v62, off offset:84
	v_cmpx_lt_u32_e32 20, v0
	s_cbranch_execz .LBB29_147
; %bb.146:
	scratch_load_b32 v62, off, off offset:80
	v_mov_b32_e32 v63, 0
	scratch_store_b32 off, v63, off offset:80
	s_waitcnt vmcnt(0)
	ds_store_b32 v61, v62
.LBB29_147:
	s_or_b32 exec_lo, exec_lo, s0
	s_waitcnt lgkmcnt(0)
	s_waitcnt_vscnt null, 0x0
	s_barrier
	buffer_gl0_inv
	s_clause 0x2
	scratch_load_b128 v[63:66], off, off offset:80
	scratch_load_b128 v[67:70], off, off offset:96
	scratch_load_b64 v[71:72], off, off offset:112
	v_mov_b32_e32 v62, 0
	ds_load_2addr_b32 v[73:74], v62 offset0:53 offset1:54
	ds_load_2addr_b32 v[75:76], v62 offset0:55 offset1:56
	;; [unrolled: 1-line block ×4, first 2 shown]
	s_mov_b32 s0, exec_lo
	s_waitcnt vmcnt(2) lgkmcnt(3)
	v_fma_f32 v64, v64, v73, 0
	s_delay_alu instid0(VALU_DEP_1) | instskip(SKIP_4) | instid1(VALU_DEP_1)
	v_fmac_f32_e32 v64, v65, v74
	ds_load_b32 v65, v62 offset:244
	s_waitcnt lgkmcnt(3)
	v_fmac_f32_e32 v64, v66, v75
	s_waitcnt vmcnt(1)
	v_fmac_f32_e32 v64, v67, v76
	s_waitcnt lgkmcnt(2)
	s_delay_alu instid0(VALU_DEP_1) | instskip(NEXT) | instid1(VALU_DEP_1)
	v_fmac_f32_e32 v64, v68, v77
	v_fmac_f32_e32 v64, v69, v78
	s_waitcnt lgkmcnt(1)
	s_delay_alu instid0(VALU_DEP_1) | instskip(SKIP_1) | instid1(VALU_DEP_1)
	v_fmac_f32_e32 v64, v70, v79
	s_waitcnt vmcnt(0)
	v_fmac_f32_e32 v64, v71, v80
	s_waitcnt lgkmcnt(0)
	s_delay_alu instid0(VALU_DEP_1) | instskip(NEXT) | instid1(VALU_DEP_1)
	v_fmac_f32_e32 v64, v72, v65
	v_sub_f32_e32 v63, v63, v64
	scratch_store_b32 off, v63, off offset:80
	v_cmpx_lt_u32_e32 19, v0
	s_cbranch_execz .LBB29_149
; %bb.148:
	scratch_load_b32 v63, off, off offset:76
	scratch_store_b32 off, v62, off offset:76
	s_waitcnt vmcnt(0)
	ds_store_b32 v61, v63
.LBB29_149:
	s_or_b32 exec_lo, exec_lo, s0
	s_waitcnt lgkmcnt(0)
	s_waitcnt_vscnt null, 0x0
	s_barrier
	buffer_gl0_inv
	s_clause 0x2
	scratch_load_b128 v[63:66], off, off offset:76
	scratch_load_b128 v[67:70], off, off offset:92
	scratch_load_b96 v[79:81], off, off offset:108
	ds_load_b128 v[71:74], v62 offset:208
	ds_load_b128 v[75:78], v62 offset:224
	s_mov_b32 s0, exec_lo
	s_waitcnt vmcnt(2) lgkmcnt(1)
	v_fma_f32 v71, v64, v71, 0
	s_delay_alu instid0(VALU_DEP_1) | instskip(SKIP_3) | instid1(VALU_DEP_1)
	v_fmac_f32_e32 v71, v65, v72
	ds_load_b64 v[64:65], v62 offset:240
	v_fmac_f32_e32 v71, v66, v73
	s_waitcnt vmcnt(1)
	v_fmac_f32_e32 v71, v67, v74
	s_waitcnt lgkmcnt(1)
	s_delay_alu instid0(VALU_DEP_1) | instskip(NEXT) | instid1(VALU_DEP_1)
	v_fmac_f32_e32 v71, v68, v75
	v_fmac_f32_e32 v71, v69, v76
	s_delay_alu instid0(VALU_DEP_1) | instskip(SKIP_1) | instid1(VALU_DEP_1)
	v_fmac_f32_e32 v71, v70, v77
	s_waitcnt vmcnt(0)
	v_fmac_f32_e32 v71, v79, v78
	s_waitcnt lgkmcnt(0)
	s_delay_alu instid0(VALU_DEP_1) | instskip(NEXT) | instid1(VALU_DEP_1)
	v_fmac_f32_e32 v71, v80, v64
	v_fmac_f32_e32 v71, v81, v65
	s_delay_alu instid0(VALU_DEP_1)
	v_sub_f32_e32 v62, v63, v71
	scratch_store_b32 off, v62, off offset:76
	v_cmpx_lt_u32_e32 18, v0
	s_cbranch_execz .LBB29_151
; %bb.150:
	scratch_load_b32 v62, off, off offset:72
	v_mov_b32_e32 v63, 0
	scratch_store_b32 off, v63, off offset:72
	s_waitcnt vmcnt(0)
	ds_store_b32 v61, v62
.LBB29_151:
	s_or_b32 exec_lo, exec_lo, s0
	s_waitcnt lgkmcnt(0)
	s_waitcnt_vscnt null, 0x0
	s_barrier
	buffer_gl0_inv
	s_clause 0x2
	scratch_load_b128 v[63:66], off, off offset:72
	scratch_load_b128 v[67:70], off, off offset:88
	;; [unrolled: 1-line block ×3, first 2 shown]
	v_mov_b32_e32 v62, 0
	ds_load_2addr_b32 v[75:76], v62 offset0:51 offset1:52
	ds_load_2addr_b32 v[77:78], v62 offset0:53 offset1:54
	;; [unrolled: 1-line block ×4, first 2 shown]
	s_mov_b32 s0, exec_lo
	s_waitcnt vmcnt(2) lgkmcnt(3)
	v_fma_f32 v75, v64, v75, 0
	s_delay_alu instid0(VALU_DEP_1)
	v_fmac_f32_e32 v75, v65, v76
	ds_load_2addr_b32 v[64:65], v62 offset0:59 offset1:60
	s_waitcnt lgkmcnt(3)
	v_fmac_f32_e32 v75, v66, v77
	ds_load_b32 v66, v62 offset:244
	s_waitcnt vmcnt(1)
	v_fmac_f32_e32 v75, v67, v78
	s_waitcnt lgkmcnt(3)
	s_delay_alu instid0(VALU_DEP_1) | instskip(NEXT) | instid1(VALU_DEP_1)
	v_fmac_f32_e32 v75, v68, v79
	v_fmac_f32_e32 v75, v69, v80
	s_waitcnt lgkmcnt(2)
	s_delay_alu instid0(VALU_DEP_1) | instskip(SKIP_1) | instid1(VALU_DEP_1)
	v_fmac_f32_e32 v75, v70, v81
	s_waitcnt vmcnt(0)
	v_fmac_f32_e32 v75, v71, v82
	s_waitcnt lgkmcnt(1)
	s_delay_alu instid0(VALU_DEP_1) | instskip(NEXT) | instid1(VALU_DEP_1)
	v_fmac_f32_e32 v75, v72, v64
	v_fmac_f32_e32 v75, v73, v65
	s_waitcnt lgkmcnt(0)
	s_delay_alu instid0(VALU_DEP_1) | instskip(NEXT) | instid1(VALU_DEP_1)
	v_fmac_f32_e32 v75, v74, v66
	v_sub_f32_e32 v63, v63, v75
	scratch_store_b32 off, v63, off offset:72
	v_cmpx_lt_u32_e32 17, v0
	s_cbranch_execz .LBB29_153
; %bb.152:
	scratch_load_b32 v63, off, off offset:68
	scratch_store_b32 off, v62, off offset:68
	s_waitcnt vmcnt(0)
	ds_store_b32 v61, v63
.LBB29_153:
	s_or_b32 exec_lo, exec_lo, s0
	s_waitcnt lgkmcnt(0)
	s_waitcnt_vscnt null, 0x0
	s_barrier
	buffer_gl0_inv
	s_clause 0x3
	scratch_load_b128 v[63:66], off, off offset:68
	scratch_load_b128 v[67:70], off, off offset:84
	;; [unrolled: 1-line block ×3, first 2 shown]
	scratch_load_b32 v83, off, off offset:116
	ds_load_2addr_b64 v[75:78], v62 offset0:25 offset1:26
	ds_load_2addr_b64 v[79:82], v62 offset0:27 offset1:28
	s_mov_b32 s0, exec_lo
	s_waitcnt vmcnt(3) lgkmcnt(1)
	v_fma_f32 v75, v64, v75, 0
	s_delay_alu instid0(VALU_DEP_1) | instskip(NEXT) | instid1(VALU_DEP_1)
	v_fmac_f32_e32 v75, v65, v76
	v_fmac_f32_e32 v75, v66, v77
	s_waitcnt vmcnt(2)
	s_delay_alu instid0(VALU_DEP_1) | instskip(SKIP_3) | instid1(VALU_DEP_1)
	v_fmac_f32_e32 v75, v67, v78
	ds_load_2addr_b64 v[64:67], v62 offset0:29 offset1:30
	s_waitcnt lgkmcnt(1)
	v_fmac_f32_e32 v75, v68, v79
	v_fmac_f32_e32 v75, v69, v80
	s_delay_alu instid0(VALU_DEP_1) | instskip(SKIP_1) | instid1(VALU_DEP_1)
	v_fmac_f32_e32 v75, v70, v81
	s_waitcnt vmcnt(1)
	v_fmac_f32_e32 v75, v71, v82
	s_waitcnt lgkmcnt(0)
	s_delay_alu instid0(VALU_DEP_1) | instskip(NEXT) | instid1(VALU_DEP_1)
	v_fmac_f32_e32 v75, v72, v64
	v_fmac_f32_e32 v75, v73, v65
	s_delay_alu instid0(VALU_DEP_1) | instskip(SKIP_1) | instid1(VALU_DEP_1)
	v_fmac_f32_e32 v75, v74, v66
	s_waitcnt vmcnt(0)
	v_fmac_f32_e32 v75, v83, v67
	s_delay_alu instid0(VALU_DEP_1)
	v_sub_f32_e32 v62, v63, v75
	scratch_store_b32 off, v62, off offset:68
	v_cmpx_lt_u32_e32 16, v0
	s_cbranch_execz .LBB29_155
; %bb.154:
	scratch_load_b32 v62, off, off offset:64
	v_mov_b32_e32 v63, 0
	scratch_store_b32 off, v63, off offset:64
	s_waitcnt vmcnt(0)
	ds_store_b32 v61, v62
.LBB29_155:
	s_or_b32 exec_lo, exec_lo, s0
	s_waitcnt lgkmcnt(0)
	s_waitcnt_vscnt null, 0x0
	s_barrier
	buffer_gl0_inv
	s_clause 0x3
	scratch_load_b128 v[63:66], off, off offset:64
	scratch_load_b128 v[67:70], off, off offset:80
	;; [unrolled: 1-line block ×3, first 2 shown]
	scratch_load_b64 v[75:76], off, off offset:112
	v_mov_b32_e32 v62, 0
	ds_load_2addr_b32 v[77:78], v62 offset0:49 offset1:50
	ds_load_2addr_b32 v[79:80], v62 offset0:51 offset1:52
	;; [unrolled: 1-line block ×4, first 2 shown]
	s_mov_b32 s0, exec_lo
	s_waitcnt vmcnt(3) lgkmcnt(3)
	v_fma_f32 v77, v64, v77, 0
	s_delay_alu instid0(VALU_DEP_1) | instskip(SKIP_4) | instid1(VALU_DEP_1)
	v_fmac_f32_e32 v77, v65, v78
	ds_load_2addr_b32 v[64:65], v62 offset0:57 offset1:58
	s_waitcnt lgkmcnt(3)
	v_fmac_f32_e32 v77, v66, v79
	s_waitcnt vmcnt(2)
	v_fmac_f32_e32 v77, v67, v80
	ds_load_2addr_b32 v[66:67], v62 offset0:59 offset1:60
	s_waitcnt lgkmcnt(3)
	v_fmac_f32_e32 v77, v68, v81
	ds_load_b32 v68, v62 offset:244
	v_fmac_f32_e32 v77, v69, v82
	s_waitcnt lgkmcnt(3)
	s_delay_alu instid0(VALU_DEP_1) | instskip(SKIP_1) | instid1(VALU_DEP_1)
	v_fmac_f32_e32 v77, v70, v83
	s_waitcnt vmcnt(1)
	v_fmac_f32_e32 v77, v71, v84
	s_waitcnt lgkmcnt(2)
	s_delay_alu instid0(VALU_DEP_1) | instskip(NEXT) | instid1(VALU_DEP_1)
	v_fmac_f32_e32 v77, v72, v64
	v_fmac_f32_e32 v77, v73, v65
	s_waitcnt lgkmcnt(1)
	s_delay_alu instid0(VALU_DEP_1) | instskip(SKIP_1) | instid1(VALU_DEP_1)
	v_fmac_f32_e32 v77, v74, v66
	s_waitcnt vmcnt(0)
	v_fmac_f32_e32 v77, v75, v67
	s_waitcnt lgkmcnt(0)
	s_delay_alu instid0(VALU_DEP_1) | instskip(NEXT) | instid1(VALU_DEP_1)
	v_fmac_f32_e32 v77, v76, v68
	v_sub_f32_e32 v63, v63, v77
	scratch_store_b32 off, v63, off offset:64
	v_cmpx_lt_u32_e32 15, v0
	s_cbranch_execz .LBB29_157
; %bb.156:
	scratch_load_b32 v63, off, off offset:60
	scratch_store_b32 off, v62, off offset:60
	s_waitcnt vmcnt(0)
	ds_store_b32 v61, v63
.LBB29_157:
	s_or_b32 exec_lo, exec_lo, s0
	s_waitcnt lgkmcnt(0)
	s_waitcnt_vscnt null, 0x0
	s_barrier
	buffer_gl0_inv
	s_clause 0x3
	scratch_load_b128 v[63:66], off, off offset:60
	scratch_load_b128 v[67:70], off, off offset:76
	;; [unrolled: 1-line block ×3, first 2 shown]
	scratch_load_b96 v[83:85], off, off offset:108
	ds_load_b128 v[75:78], v62 offset:192
	ds_load_b128 v[79:82], v62 offset:208
	s_mov_b32 s0, exec_lo
	s_waitcnt vmcnt(3) lgkmcnt(1)
	v_fma_f32 v75, v64, v75, 0
	s_delay_alu instid0(VALU_DEP_1) | instskip(NEXT) | instid1(VALU_DEP_1)
	v_fmac_f32_e32 v75, v65, v76
	v_fmac_f32_e32 v75, v66, v77
	s_waitcnt vmcnt(2)
	s_delay_alu instid0(VALU_DEP_1) | instskip(SKIP_3) | instid1(VALU_DEP_1)
	v_fmac_f32_e32 v75, v67, v78
	ds_load_b128 v[64:67], v62 offset:224
	s_waitcnt lgkmcnt(1)
	v_fmac_f32_e32 v75, v68, v79
	v_fmac_f32_e32 v75, v69, v80
	ds_load_b64 v[68:69], v62 offset:240
	v_fmac_f32_e32 v75, v70, v81
	s_waitcnt vmcnt(1)
	s_delay_alu instid0(VALU_DEP_1) | instskip(SKIP_1) | instid1(VALU_DEP_1)
	v_fmac_f32_e32 v75, v71, v82
	s_waitcnt lgkmcnt(1)
	v_fmac_f32_e32 v75, v72, v64
	s_delay_alu instid0(VALU_DEP_1) | instskip(NEXT) | instid1(VALU_DEP_1)
	v_fmac_f32_e32 v75, v73, v65
	v_fmac_f32_e32 v75, v74, v66
	s_waitcnt vmcnt(0)
	s_delay_alu instid0(VALU_DEP_1) | instskip(SKIP_1) | instid1(VALU_DEP_1)
	v_fmac_f32_e32 v75, v83, v67
	s_waitcnt lgkmcnt(0)
	v_fmac_f32_e32 v75, v84, v68
	s_delay_alu instid0(VALU_DEP_1) | instskip(NEXT) | instid1(VALU_DEP_1)
	v_fmac_f32_e32 v75, v85, v69
	v_sub_f32_e32 v62, v63, v75
	scratch_store_b32 off, v62, off offset:60
	v_cmpx_lt_u32_e32 14, v0
	s_cbranch_execz .LBB29_159
; %bb.158:
	scratch_load_b32 v62, off, off offset:56
	v_mov_b32_e32 v63, 0
	scratch_store_b32 off, v63, off offset:56
	s_waitcnt vmcnt(0)
	ds_store_b32 v61, v62
.LBB29_159:
	s_or_b32 exec_lo, exec_lo, s0
	s_waitcnt lgkmcnt(0)
	s_waitcnt_vscnt null, 0x0
	s_barrier
	buffer_gl0_inv
	s_clause 0x3
	scratch_load_b128 v[63:66], off, off offset:56
	scratch_load_b128 v[67:70], off, off offset:72
	;; [unrolled: 1-line block ×4, first 2 shown]
	v_mov_b32_e32 v62, 0
	ds_load_2addr_b32 v[79:80], v62 offset0:47 offset1:48
	ds_load_2addr_b32 v[81:82], v62 offset0:49 offset1:50
	;; [unrolled: 1-line block ×4, first 2 shown]
	s_mov_b32 s0, exec_lo
	s_waitcnt vmcnt(3) lgkmcnt(3)
	v_fma_f32 v79, v64, v79, 0
	s_delay_alu instid0(VALU_DEP_1) | instskip(SKIP_4) | instid1(VALU_DEP_1)
	v_fmac_f32_e32 v79, v65, v80
	ds_load_2addr_b32 v[64:65], v62 offset0:55 offset1:56
	s_waitcnt lgkmcnt(3)
	v_fmac_f32_e32 v79, v66, v81
	s_waitcnt vmcnt(2)
	v_fmac_f32_e32 v79, v67, v82
	ds_load_2addr_b32 v[66:67], v62 offset0:57 offset1:58
	s_waitcnt lgkmcnt(3)
	v_fmac_f32_e32 v79, v68, v83
	s_delay_alu instid0(VALU_DEP_1) | instskip(SKIP_1) | instid1(VALU_DEP_1)
	v_fmac_f32_e32 v79, v69, v84
	s_waitcnt lgkmcnt(2)
	v_fmac_f32_e32 v79, v70, v85
	ds_load_2addr_b32 v[68:69], v62 offset0:59 offset1:60
	ds_load_b32 v70, v62 offset:244
	s_waitcnt vmcnt(1)
	v_fmac_f32_e32 v79, v71, v86
	s_waitcnt lgkmcnt(3)
	s_delay_alu instid0(VALU_DEP_1) | instskip(NEXT) | instid1(VALU_DEP_1)
	v_fmac_f32_e32 v79, v72, v64
	v_fmac_f32_e32 v79, v73, v65
	s_waitcnt lgkmcnt(2)
	s_delay_alu instid0(VALU_DEP_1) | instskip(SKIP_1) | instid1(VALU_DEP_1)
	v_fmac_f32_e32 v79, v74, v66
	s_waitcnt vmcnt(0)
	v_fmac_f32_e32 v79, v75, v67
	s_waitcnt lgkmcnt(1)
	s_delay_alu instid0(VALU_DEP_1) | instskip(NEXT) | instid1(VALU_DEP_1)
	v_fmac_f32_e32 v79, v76, v68
	v_fmac_f32_e32 v79, v77, v69
	s_waitcnt lgkmcnt(0)
	s_delay_alu instid0(VALU_DEP_1) | instskip(NEXT) | instid1(VALU_DEP_1)
	v_fmac_f32_e32 v79, v78, v70
	v_sub_f32_e32 v63, v63, v79
	scratch_store_b32 off, v63, off offset:56
	v_cmpx_lt_u32_e32 13, v0
	s_cbranch_execz .LBB29_161
; %bb.160:
	scratch_load_b32 v63, off, off offset:52
	scratch_store_b32 off, v62, off offset:52
	s_waitcnt vmcnt(0)
	ds_store_b32 v61, v63
.LBB29_161:
	s_or_b32 exec_lo, exec_lo, s0
	s_waitcnt lgkmcnt(0)
	s_waitcnt_vscnt null, 0x0
	s_barrier
	buffer_gl0_inv
	s_clause 0x4
	scratch_load_b128 v[63:66], off, off offset:52
	scratch_load_b128 v[67:70], off, off offset:68
	;; [unrolled: 1-line block ×4, first 2 shown]
	scratch_load_b32 v87, off, off offset:116
	ds_load_2addr_b64 v[79:82], v62 offset0:23 offset1:24
	ds_load_2addr_b64 v[83:86], v62 offset0:25 offset1:26
	s_mov_b32 s0, exec_lo
	s_waitcnt vmcnt(4) lgkmcnt(1)
	v_fma_f32 v79, v64, v79, 0
	s_delay_alu instid0(VALU_DEP_1) | instskip(NEXT) | instid1(VALU_DEP_1)
	v_fmac_f32_e32 v79, v65, v80
	v_fmac_f32_e32 v79, v66, v81
	s_waitcnt vmcnt(3)
	s_delay_alu instid0(VALU_DEP_1) | instskip(SKIP_3) | instid1(VALU_DEP_1)
	v_fmac_f32_e32 v79, v67, v82
	ds_load_2addr_b64 v[64:67], v62 offset0:27 offset1:28
	s_waitcnt lgkmcnt(1)
	v_fmac_f32_e32 v79, v68, v83
	v_fmac_f32_e32 v79, v69, v84
	s_delay_alu instid0(VALU_DEP_1) | instskip(SKIP_1) | instid1(VALU_DEP_1)
	v_fmac_f32_e32 v79, v70, v85
	s_waitcnt vmcnt(2)
	v_fmac_f32_e32 v79, v71, v86
	ds_load_2addr_b64 v[68:71], v62 offset0:29 offset1:30
	s_waitcnt lgkmcnt(1)
	v_fmac_f32_e32 v79, v72, v64
	s_delay_alu instid0(VALU_DEP_1) | instskip(NEXT) | instid1(VALU_DEP_1)
	v_fmac_f32_e32 v79, v73, v65
	v_fmac_f32_e32 v79, v74, v66
	s_waitcnt vmcnt(1)
	s_delay_alu instid0(VALU_DEP_1) | instskip(SKIP_1) | instid1(VALU_DEP_1)
	v_fmac_f32_e32 v79, v75, v67
	s_waitcnt lgkmcnt(0)
	v_fmac_f32_e32 v79, v76, v68
	s_delay_alu instid0(VALU_DEP_1) | instskip(NEXT) | instid1(VALU_DEP_1)
	v_fmac_f32_e32 v79, v77, v69
	v_fmac_f32_e32 v79, v78, v70
	s_waitcnt vmcnt(0)
	s_delay_alu instid0(VALU_DEP_1) | instskip(NEXT) | instid1(VALU_DEP_1)
	v_fmac_f32_e32 v79, v87, v71
	v_sub_f32_e32 v62, v63, v79
	scratch_store_b32 off, v62, off offset:52
	v_cmpx_lt_u32_e32 12, v0
	s_cbranch_execz .LBB29_163
; %bb.162:
	scratch_load_b32 v62, off, off offset:48
	v_mov_b32_e32 v63, 0
	scratch_store_b32 off, v63, off offset:48
	s_waitcnt vmcnt(0)
	ds_store_b32 v61, v62
.LBB29_163:
	s_or_b32 exec_lo, exec_lo, s0
	s_waitcnt lgkmcnt(0)
	s_waitcnt_vscnt null, 0x0
	s_barrier
	buffer_gl0_inv
	s_clause 0x4
	scratch_load_b128 v[63:66], off, off offset:48
	scratch_load_b128 v[67:70], off, off offset:64
	;; [unrolled: 1-line block ×4, first 2 shown]
	scratch_load_b64 v[79:80], off, off offset:112
	v_mov_b32_e32 v62, 0
	ds_load_2addr_b32 v[81:82], v62 offset0:45 offset1:46
	ds_load_2addr_b32 v[83:84], v62 offset0:47 offset1:48
	;; [unrolled: 1-line block ×4, first 2 shown]
	s_mov_b32 s0, exec_lo
	s_waitcnt vmcnt(4) lgkmcnt(3)
	v_fma_f32 v81, v64, v81, 0
	s_delay_alu instid0(VALU_DEP_1) | instskip(SKIP_4) | instid1(VALU_DEP_1)
	v_fmac_f32_e32 v81, v65, v82
	ds_load_2addr_b32 v[64:65], v62 offset0:53 offset1:54
	s_waitcnt lgkmcnt(3)
	v_fmac_f32_e32 v81, v66, v83
	s_waitcnt vmcnt(3)
	v_fmac_f32_e32 v81, v67, v84
	ds_load_2addr_b32 v[66:67], v62 offset0:55 offset1:56
	s_waitcnt lgkmcnt(3)
	v_fmac_f32_e32 v81, v68, v85
	s_delay_alu instid0(VALU_DEP_1) | instskip(SKIP_1) | instid1(VALU_DEP_1)
	v_fmac_f32_e32 v81, v69, v86
	s_waitcnt lgkmcnt(2)
	v_fmac_f32_e32 v81, v70, v87
	s_waitcnt vmcnt(2)
	s_delay_alu instid0(VALU_DEP_1)
	v_fmac_f32_e32 v81, v71, v88
	ds_load_2addr_b32 v[68:69], v62 offset0:57 offset1:58
	ds_load_2addr_b32 v[70:71], v62 offset0:59 offset1:60
	s_waitcnt lgkmcnt(3)
	v_fmac_f32_e32 v81, v72, v64
	ds_load_b32 v64, v62 offset:244
	v_fmac_f32_e32 v81, v73, v65
	s_waitcnt lgkmcnt(3)
	s_delay_alu instid0(VALU_DEP_1) | instskip(SKIP_1) | instid1(VALU_DEP_1)
	v_fmac_f32_e32 v81, v74, v66
	s_waitcnt vmcnt(1)
	v_fmac_f32_e32 v81, v75, v67
	s_waitcnt lgkmcnt(2)
	s_delay_alu instid0(VALU_DEP_1) | instskip(NEXT) | instid1(VALU_DEP_1)
	v_fmac_f32_e32 v81, v76, v68
	v_fmac_f32_e32 v81, v77, v69
	s_waitcnt lgkmcnt(1)
	s_delay_alu instid0(VALU_DEP_1) | instskip(SKIP_1) | instid1(VALU_DEP_1)
	v_fmac_f32_e32 v81, v78, v70
	s_waitcnt vmcnt(0)
	v_fmac_f32_e32 v81, v79, v71
	s_waitcnt lgkmcnt(0)
	s_delay_alu instid0(VALU_DEP_1) | instskip(NEXT) | instid1(VALU_DEP_1)
	v_fmac_f32_e32 v81, v80, v64
	v_sub_f32_e32 v63, v63, v81
	scratch_store_b32 off, v63, off offset:48
	v_cmpx_lt_u32_e32 11, v0
	s_cbranch_execz .LBB29_165
; %bb.164:
	scratch_load_b32 v63, off, off offset:44
	scratch_store_b32 off, v62, off offset:44
	s_waitcnt vmcnt(0)
	ds_store_b32 v61, v63
.LBB29_165:
	s_or_b32 exec_lo, exec_lo, s0
	s_waitcnt lgkmcnt(0)
	s_waitcnt_vscnt null, 0x0
	s_barrier
	buffer_gl0_inv
	s_clause 0x4
	scratch_load_b128 v[63:66], off, off offset:44
	scratch_load_b128 v[67:70], off, off offset:60
	scratch_load_b128 v[71:74], off, off offset:76
	scratch_load_b128 v[75:78], off, off offset:92
	scratch_load_b96 v[87:89], off, off offset:108
	ds_load_b128 v[79:82], v62 offset:176
	ds_load_b128 v[83:86], v62 offset:192
	s_mov_b32 s0, exec_lo
	s_waitcnt vmcnt(4) lgkmcnt(1)
	v_fma_f32 v79, v64, v79, 0
	s_delay_alu instid0(VALU_DEP_1) | instskip(NEXT) | instid1(VALU_DEP_1)
	v_fmac_f32_e32 v79, v65, v80
	v_fmac_f32_e32 v79, v66, v81
	s_waitcnt vmcnt(3)
	s_delay_alu instid0(VALU_DEP_1) | instskip(SKIP_3) | instid1(VALU_DEP_1)
	v_fmac_f32_e32 v79, v67, v82
	ds_load_b128 v[64:67], v62 offset:208
	s_waitcnt lgkmcnt(1)
	v_fmac_f32_e32 v79, v68, v83
	v_fmac_f32_e32 v79, v69, v84
	s_delay_alu instid0(VALU_DEP_1) | instskip(SKIP_1) | instid1(VALU_DEP_1)
	v_fmac_f32_e32 v79, v70, v85
	s_waitcnt vmcnt(2)
	v_fmac_f32_e32 v79, v71, v86
	ds_load_b128 v[68:71], v62 offset:224
	s_waitcnt lgkmcnt(1)
	v_fmac_f32_e32 v79, v72, v64
	s_delay_alu instid0(VALU_DEP_1) | instskip(SKIP_3) | instid1(VALU_DEP_1)
	v_fmac_f32_e32 v79, v73, v65
	ds_load_b64 v[64:65], v62 offset:240
	v_fmac_f32_e32 v79, v74, v66
	s_waitcnt vmcnt(1)
	v_fmac_f32_e32 v79, v75, v67
	s_waitcnt lgkmcnt(1)
	s_delay_alu instid0(VALU_DEP_1) | instskip(NEXT) | instid1(VALU_DEP_1)
	v_fmac_f32_e32 v79, v76, v68
	v_fmac_f32_e32 v79, v77, v69
	s_delay_alu instid0(VALU_DEP_1) | instskip(SKIP_1) | instid1(VALU_DEP_1)
	v_fmac_f32_e32 v79, v78, v70
	s_waitcnt vmcnt(0)
	v_fmac_f32_e32 v79, v87, v71
	s_waitcnt lgkmcnt(0)
	s_delay_alu instid0(VALU_DEP_1) | instskip(NEXT) | instid1(VALU_DEP_1)
	v_fmac_f32_e32 v79, v88, v64
	v_fmac_f32_e32 v79, v89, v65
	s_delay_alu instid0(VALU_DEP_1)
	v_sub_f32_e32 v62, v63, v79
	scratch_store_b32 off, v62, off offset:44
	v_cmpx_lt_u32_e32 10, v0
	s_cbranch_execz .LBB29_167
; %bb.166:
	scratch_load_b32 v62, off, off offset:40
	v_mov_b32_e32 v63, 0
	scratch_store_b32 off, v63, off offset:40
	s_waitcnt vmcnt(0)
	ds_store_b32 v61, v62
.LBB29_167:
	s_or_b32 exec_lo, exec_lo, s0
	s_waitcnt lgkmcnt(0)
	s_waitcnt_vscnt null, 0x0
	s_barrier
	buffer_gl0_inv
	s_clause 0x4
	scratch_load_b128 v[63:66], off, off offset:40
	scratch_load_b128 v[67:70], off, off offset:56
	;; [unrolled: 1-line block ×5, first 2 shown]
	v_mov_b32_e32 v62, 0
	ds_load_2addr_b32 v[83:84], v62 offset0:43 offset1:44
	ds_load_2addr_b32 v[85:86], v62 offset0:45 offset1:46
	;; [unrolled: 1-line block ×4, first 2 shown]
	s_mov_b32 s0, exec_lo
	s_waitcnt vmcnt(4) lgkmcnt(3)
	v_fma_f32 v83, v64, v83, 0
	s_delay_alu instid0(VALU_DEP_1) | instskip(SKIP_4) | instid1(VALU_DEP_1)
	v_fmac_f32_e32 v83, v65, v84
	ds_load_2addr_b32 v[64:65], v62 offset0:51 offset1:52
	s_waitcnt lgkmcnt(3)
	v_fmac_f32_e32 v83, v66, v85
	s_waitcnt vmcnt(3)
	v_fmac_f32_e32 v83, v67, v86
	ds_load_2addr_b32 v[66:67], v62 offset0:53 offset1:54
	s_waitcnt lgkmcnt(3)
	v_fmac_f32_e32 v83, v68, v87
	s_delay_alu instid0(VALU_DEP_1) | instskip(SKIP_1) | instid1(VALU_DEP_1)
	v_fmac_f32_e32 v83, v69, v88
	s_waitcnt lgkmcnt(2)
	v_fmac_f32_e32 v83, v70, v89
	s_waitcnt vmcnt(2)
	s_delay_alu instid0(VALU_DEP_1) | instskip(SKIP_4) | instid1(VALU_DEP_1)
	v_fmac_f32_e32 v83, v71, v90
	ds_load_2addr_b32 v[68:69], v62 offset0:55 offset1:56
	ds_load_2addr_b32 v[70:71], v62 offset0:57 offset1:58
	s_waitcnt lgkmcnt(3)
	v_fmac_f32_e32 v83, v72, v64
	v_fmac_f32_e32 v83, v73, v65
	ds_load_2addr_b32 v[64:65], v62 offset0:59 offset1:60
	s_waitcnt lgkmcnt(3)
	v_fmac_f32_e32 v83, v74, v66
	ds_load_b32 v66, v62 offset:244
	s_waitcnt vmcnt(1)
	v_fmac_f32_e32 v83, v75, v67
	s_waitcnt lgkmcnt(3)
	s_delay_alu instid0(VALU_DEP_1) | instskip(NEXT) | instid1(VALU_DEP_1)
	v_fmac_f32_e32 v83, v76, v68
	v_fmac_f32_e32 v83, v77, v69
	s_waitcnt lgkmcnt(2)
	s_delay_alu instid0(VALU_DEP_1) | instskip(SKIP_1) | instid1(VALU_DEP_1)
	v_fmac_f32_e32 v83, v78, v70
	s_waitcnt vmcnt(0)
	v_fmac_f32_e32 v83, v79, v71
	s_waitcnt lgkmcnt(1)
	s_delay_alu instid0(VALU_DEP_1) | instskip(NEXT) | instid1(VALU_DEP_1)
	v_fmac_f32_e32 v83, v80, v64
	v_fmac_f32_e32 v83, v81, v65
	s_waitcnt lgkmcnt(0)
	s_delay_alu instid0(VALU_DEP_1) | instskip(NEXT) | instid1(VALU_DEP_1)
	v_fmac_f32_e32 v83, v82, v66
	v_sub_f32_e32 v63, v63, v83
	scratch_store_b32 off, v63, off offset:40
	v_cmpx_lt_u32_e32 9, v0
	s_cbranch_execz .LBB29_169
; %bb.168:
	scratch_load_b32 v63, off, off offset:36
	scratch_store_b32 off, v62, off offset:36
	s_waitcnt vmcnt(0)
	ds_store_b32 v61, v63
.LBB29_169:
	s_or_b32 exec_lo, exec_lo, s0
	s_waitcnt lgkmcnt(0)
	s_waitcnt_vscnt null, 0x0
	s_barrier
	buffer_gl0_inv
	s_clause 0x5
	scratch_load_b128 v[63:66], off, off offset:36
	scratch_load_b128 v[67:70], off, off offset:52
	;; [unrolled: 1-line block ×5, first 2 shown]
	scratch_load_b32 v91, off, off offset:116
	ds_load_2addr_b64 v[83:86], v62 offset0:21 offset1:22
	ds_load_2addr_b64 v[87:90], v62 offset0:23 offset1:24
	s_mov_b32 s0, exec_lo
	s_waitcnt vmcnt(5) lgkmcnt(1)
	v_fma_f32 v83, v64, v83, 0
	s_delay_alu instid0(VALU_DEP_1) | instskip(NEXT) | instid1(VALU_DEP_1)
	v_fmac_f32_e32 v83, v65, v84
	v_fmac_f32_e32 v83, v66, v85
	s_waitcnt vmcnt(4)
	s_delay_alu instid0(VALU_DEP_1) | instskip(SKIP_3) | instid1(VALU_DEP_1)
	v_fmac_f32_e32 v83, v67, v86
	ds_load_2addr_b64 v[64:67], v62 offset0:25 offset1:26
	s_waitcnt lgkmcnt(1)
	v_fmac_f32_e32 v83, v68, v87
	v_fmac_f32_e32 v83, v69, v88
	s_delay_alu instid0(VALU_DEP_1) | instskip(SKIP_1) | instid1(VALU_DEP_1)
	v_fmac_f32_e32 v83, v70, v89
	s_waitcnt vmcnt(3)
	v_fmac_f32_e32 v83, v71, v90
	ds_load_2addr_b64 v[68:71], v62 offset0:27 offset1:28
	s_waitcnt lgkmcnt(1)
	v_fmac_f32_e32 v83, v72, v64
	s_delay_alu instid0(VALU_DEP_1) | instskip(NEXT) | instid1(VALU_DEP_1)
	v_fmac_f32_e32 v83, v73, v65
	v_fmac_f32_e32 v83, v74, v66
	s_waitcnt vmcnt(2)
	s_delay_alu instid0(VALU_DEP_1) | instskip(SKIP_3) | instid1(VALU_DEP_1)
	v_fmac_f32_e32 v83, v75, v67
	ds_load_2addr_b64 v[64:67], v62 offset0:29 offset1:30
	s_waitcnt lgkmcnt(1)
	v_fmac_f32_e32 v83, v76, v68
	v_fmac_f32_e32 v83, v77, v69
	s_delay_alu instid0(VALU_DEP_1) | instskip(SKIP_1) | instid1(VALU_DEP_1)
	v_fmac_f32_e32 v83, v78, v70
	s_waitcnt vmcnt(1)
	v_fmac_f32_e32 v83, v79, v71
	s_waitcnt lgkmcnt(0)
	s_delay_alu instid0(VALU_DEP_1) | instskip(NEXT) | instid1(VALU_DEP_1)
	v_fmac_f32_e32 v83, v80, v64
	v_fmac_f32_e32 v83, v81, v65
	s_delay_alu instid0(VALU_DEP_1) | instskip(SKIP_1) | instid1(VALU_DEP_1)
	v_fmac_f32_e32 v83, v82, v66
	s_waitcnt vmcnt(0)
	v_fmac_f32_e32 v83, v91, v67
	s_delay_alu instid0(VALU_DEP_1)
	v_sub_f32_e32 v62, v63, v83
	scratch_store_b32 off, v62, off offset:36
	v_cmpx_lt_u32_e32 8, v0
	s_cbranch_execz .LBB29_171
; %bb.170:
	scratch_load_b32 v62, off, off offset:32
	v_mov_b32_e32 v63, 0
	scratch_store_b32 off, v63, off offset:32
	s_waitcnt vmcnt(0)
	ds_store_b32 v61, v62
.LBB29_171:
	s_or_b32 exec_lo, exec_lo, s0
	s_waitcnt lgkmcnt(0)
	s_waitcnt_vscnt null, 0x0
	s_barrier
	buffer_gl0_inv
	s_clause 0x5
	scratch_load_b128 v[63:66], off, off offset:32
	scratch_load_b128 v[67:70], off, off offset:48
	;; [unrolled: 1-line block ×5, first 2 shown]
	scratch_load_b64 v[83:84], off, off offset:112
	v_mov_b32_e32 v62, 0
	ds_load_2addr_b32 v[85:86], v62 offset0:41 offset1:42
	ds_load_2addr_b32 v[87:88], v62 offset0:43 offset1:44
	;; [unrolled: 1-line block ×4, first 2 shown]
	s_mov_b32 s0, exec_lo
	s_waitcnt vmcnt(5) lgkmcnt(3)
	v_fma_f32 v85, v64, v85, 0
	s_delay_alu instid0(VALU_DEP_1) | instskip(SKIP_4) | instid1(VALU_DEP_1)
	v_fmac_f32_e32 v85, v65, v86
	ds_load_2addr_b32 v[64:65], v62 offset0:49 offset1:50
	s_waitcnt lgkmcnt(3)
	v_fmac_f32_e32 v85, v66, v87
	s_waitcnt vmcnt(4)
	v_fmac_f32_e32 v85, v67, v88
	ds_load_2addr_b32 v[66:67], v62 offset0:51 offset1:52
	s_waitcnt lgkmcnt(3)
	v_fmac_f32_e32 v85, v68, v89
	s_delay_alu instid0(VALU_DEP_1) | instskip(SKIP_1) | instid1(VALU_DEP_1)
	v_fmac_f32_e32 v85, v69, v90
	s_waitcnt lgkmcnt(2)
	v_fmac_f32_e32 v85, v70, v91
	s_waitcnt vmcnt(3)
	s_delay_alu instid0(VALU_DEP_1) | instskip(SKIP_4) | instid1(VALU_DEP_1)
	v_fmac_f32_e32 v85, v71, v92
	ds_load_2addr_b32 v[68:69], v62 offset0:53 offset1:54
	ds_load_2addr_b32 v[70:71], v62 offset0:55 offset1:56
	s_waitcnt lgkmcnt(3)
	v_fmac_f32_e32 v85, v72, v64
	v_fmac_f32_e32 v85, v73, v65
	ds_load_2addr_b32 v[64:65], v62 offset0:57 offset1:58
	s_waitcnt lgkmcnt(3)
	v_fmac_f32_e32 v85, v74, v66
	s_waitcnt vmcnt(2)
	s_delay_alu instid0(VALU_DEP_1)
	v_fmac_f32_e32 v85, v75, v67
	ds_load_2addr_b32 v[66:67], v62 offset0:59 offset1:60
	s_waitcnt lgkmcnt(3)
	v_fmac_f32_e32 v85, v76, v68
	ds_load_b32 v68, v62 offset:244
	v_fmac_f32_e32 v85, v77, v69
	s_waitcnt lgkmcnt(3)
	s_delay_alu instid0(VALU_DEP_1) | instskip(SKIP_1) | instid1(VALU_DEP_1)
	v_fmac_f32_e32 v85, v78, v70
	s_waitcnt vmcnt(1)
	v_fmac_f32_e32 v85, v79, v71
	s_waitcnt lgkmcnt(2)
	s_delay_alu instid0(VALU_DEP_1) | instskip(NEXT) | instid1(VALU_DEP_1)
	v_fmac_f32_e32 v85, v80, v64
	v_fmac_f32_e32 v85, v81, v65
	s_waitcnt lgkmcnt(1)
	s_delay_alu instid0(VALU_DEP_1) | instskip(SKIP_1) | instid1(VALU_DEP_1)
	v_fmac_f32_e32 v85, v82, v66
	s_waitcnt vmcnt(0)
	v_fmac_f32_e32 v85, v83, v67
	s_waitcnt lgkmcnt(0)
	s_delay_alu instid0(VALU_DEP_1) | instskip(NEXT) | instid1(VALU_DEP_1)
	v_fmac_f32_e32 v85, v84, v68
	v_sub_f32_e32 v63, v63, v85
	scratch_store_b32 off, v63, off offset:32
	v_cmpx_lt_u32_e32 7, v0
	s_cbranch_execz .LBB29_173
; %bb.172:
	scratch_load_b32 v63, off, off offset:28
	scratch_store_b32 off, v62, off offset:28
	s_waitcnt vmcnt(0)
	ds_store_b32 v61, v63
.LBB29_173:
	s_or_b32 exec_lo, exec_lo, s0
	s_waitcnt lgkmcnt(0)
	s_waitcnt_vscnt null, 0x0
	s_barrier
	buffer_gl0_inv
	s_clause 0x5
	scratch_load_b128 v[63:66], off, off offset:28
	scratch_load_b128 v[67:70], off, off offset:44
	;; [unrolled: 1-line block ×5, first 2 shown]
	scratch_load_b96 v[91:93], off, off offset:108
	ds_load_b128 v[83:86], v62 offset:160
	ds_load_b128 v[87:90], v62 offset:176
	s_mov_b32 s0, exec_lo
	s_waitcnt vmcnt(5) lgkmcnt(1)
	v_fma_f32 v83, v64, v83, 0
	s_delay_alu instid0(VALU_DEP_1) | instskip(NEXT) | instid1(VALU_DEP_1)
	v_fmac_f32_e32 v83, v65, v84
	v_fmac_f32_e32 v83, v66, v85
	s_waitcnt vmcnt(4)
	s_delay_alu instid0(VALU_DEP_1) | instskip(SKIP_3) | instid1(VALU_DEP_1)
	v_fmac_f32_e32 v83, v67, v86
	ds_load_b128 v[64:67], v62 offset:192
	s_waitcnt lgkmcnt(1)
	v_fmac_f32_e32 v83, v68, v87
	v_fmac_f32_e32 v83, v69, v88
	s_delay_alu instid0(VALU_DEP_1) | instskip(SKIP_1) | instid1(VALU_DEP_1)
	v_fmac_f32_e32 v83, v70, v89
	s_waitcnt vmcnt(3)
	v_fmac_f32_e32 v83, v71, v90
	ds_load_b128 v[68:71], v62 offset:208
	s_waitcnt lgkmcnt(1)
	v_fmac_f32_e32 v83, v72, v64
	s_delay_alu instid0(VALU_DEP_1) | instskip(NEXT) | instid1(VALU_DEP_1)
	v_fmac_f32_e32 v83, v73, v65
	v_fmac_f32_e32 v83, v74, v66
	s_waitcnt vmcnt(2)
	s_delay_alu instid0(VALU_DEP_1) | instskip(SKIP_3) | instid1(VALU_DEP_1)
	v_fmac_f32_e32 v83, v75, v67
	ds_load_b128 v[64:67], v62 offset:224
	s_waitcnt lgkmcnt(1)
	v_fmac_f32_e32 v83, v76, v68
	v_fmac_f32_e32 v83, v77, v69
	ds_load_b64 v[68:69], v62 offset:240
	v_fmac_f32_e32 v83, v78, v70
	s_waitcnt vmcnt(1)
	s_delay_alu instid0(VALU_DEP_1) | instskip(SKIP_1) | instid1(VALU_DEP_1)
	v_fmac_f32_e32 v83, v79, v71
	s_waitcnt lgkmcnt(1)
	v_fmac_f32_e32 v83, v80, v64
	s_delay_alu instid0(VALU_DEP_1) | instskip(NEXT) | instid1(VALU_DEP_1)
	v_fmac_f32_e32 v83, v81, v65
	v_fmac_f32_e32 v83, v82, v66
	s_waitcnt vmcnt(0)
	s_delay_alu instid0(VALU_DEP_1) | instskip(SKIP_1) | instid1(VALU_DEP_1)
	v_fmac_f32_e32 v83, v91, v67
	s_waitcnt lgkmcnt(0)
	v_fmac_f32_e32 v83, v92, v68
	s_delay_alu instid0(VALU_DEP_1) | instskip(NEXT) | instid1(VALU_DEP_1)
	v_fmac_f32_e32 v83, v93, v69
	v_sub_f32_e32 v62, v63, v83
	scratch_store_b32 off, v62, off offset:28
	v_cmpx_lt_u32_e32 6, v0
	s_cbranch_execz .LBB29_175
; %bb.174:
	scratch_load_b32 v62, off, off offset:24
	v_mov_b32_e32 v63, 0
	scratch_store_b32 off, v63, off offset:24
	s_waitcnt vmcnt(0)
	ds_store_b32 v61, v62
.LBB29_175:
	s_or_b32 exec_lo, exec_lo, s0
	s_waitcnt lgkmcnt(0)
	s_waitcnt_vscnt null, 0x0
	s_barrier
	buffer_gl0_inv
	s_clause 0x5
	scratch_load_b128 v[63:66], off, off offset:24
	scratch_load_b128 v[67:70], off, off offset:40
	;; [unrolled: 1-line block ×6, first 2 shown]
	v_mov_b32_e32 v62, 0
	ds_load_2addr_b32 v[87:88], v62 offset0:39 offset1:40
	ds_load_2addr_b32 v[89:90], v62 offset0:41 offset1:42
	;; [unrolled: 1-line block ×4, first 2 shown]
	s_mov_b32 s0, exec_lo
	s_waitcnt vmcnt(5) lgkmcnt(3)
	v_fma_f32 v87, v64, v87, 0
	s_delay_alu instid0(VALU_DEP_1) | instskip(SKIP_4) | instid1(VALU_DEP_1)
	v_fmac_f32_e32 v87, v65, v88
	ds_load_2addr_b32 v[64:65], v62 offset0:47 offset1:48
	s_waitcnt lgkmcnt(3)
	v_fmac_f32_e32 v87, v66, v89
	s_waitcnt vmcnt(4)
	v_fmac_f32_e32 v87, v67, v90
	ds_load_2addr_b32 v[66:67], v62 offset0:49 offset1:50
	s_waitcnt lgkmcnt(3)
	v_fmac_f32_e32 v87, v68, v91
	s_delay_alu instid0(VALU_DEP_1) | instskip(SKIP_1) | instid1(VALU_DEP_1)
	v_fmac_f32_e32 v87, v69, v92
	s_waitcnt lgkmcnt(2)
	v_fmac_f32_e32 v87, v70, v93
	s_waitcnt vmcnt(3)
	s_delay_alu instid0(VALU_DEP_1) | instskip(SKIP_4) | instid1(VALU_DEP_1)
	v_fmac_f32_e32 v87, v71, v94
	ds_load_2addr_b32 v[68:69], v62 offset0:51 offset1:52
	ds_load_2addr_b32 v[70:71], v62 offset0:53 offset1:54
	s_waitcnt lgkmcnt(3)
	v_fmac_f32_e32 v87, v72, v64
	v_fmac_f32_e32 v87, v73, v65
	ds_load_2addr_b32 v[64:65], v62 offset0:55 offset1:56
	s_waitcnt lgkmcnt(3)
	v_fmac_f32_e32 v87, v74, v66
	s_waitcnt vmcnt(2)
	s_delay_alu instid0(VALU_DEP_1) | instskip(SKIP_3) | instid1(VALU_DEP_1)
	v_fmac_f32_e32 v87, v75, v67
	ds_load_2addr_b32 v[66:67], v62 offset0:57 offset1:58
	s_waitcnt lgkmcnt(3)
	v_fmac_f32_e32 v87, v76, v68
	v_fmac_f32_e32 v87, v77, v69
	s_waitcnt lgkmcnt(2)
	s_delay_alu instid0(VALU_DEP_1)
	v_fmac_f32_e32 v87, v78, v70
	ds_load_2addr_b32 v[68:69], v62 offset0:59 offset1:60
	ds_load_b32 v70, v62 offset:244
	s_waitcnt vmcnt(1)
	v_fmac_f32_e32 v87, v79, v71
	s_waitcnt lgkmcnt(3)
	s_delay_alu instid0(VALU_DEP_1) | instskip(NEXT) | instid1(VALU_DEP_1)
	v_fmac_f32_e32 v87, v80, v64
	v_fmac_f32_e32 v87, v81, v65
	s_waitcnt lgkmcnt(2)
	s_delay_alu instid0(VALU_DEP_1) | instskip(SKIP_1) | instid1(VALU_DEP_1)
	v_fmac_f32_e32 v87, v82, v66
	s_waitcnt vmcnt(0)
	v_fmac_f32_e32 v87, v83, v67
	s_waitcnt lgkmcnt(1)
	s_delay_alu instid0(VALU_DEP_1) | instskip(NEXT) | instid1(VALU_DEP_1)
	v_fmac_f32_e32 v87, v84, v68
	v_fmac_f32_e32 v87, v85, v69
	s_waitcnt lgkmcnt(0)
	s_delay_alu instid0(VALU_DEP_1) | instskip(NEXT) | instid1(VALU_DEP_1)
	v_fmac_f32_e32 v87, v86, v70
	v_sub_f32_e32 v63, v63, v87
	scratch_store_b32 off, v63, off offset:24
	v_cmpx_lt_u32_e32 5, v0
	s_cbranch_execz .LBB29_177
; %bb.176:
	scratch_load_b32 v63, off, off offset:20
	scratch_store_b32 off, v62, off offset:20
	s_waitcnt vmcnt(0)
	ds_store_b32 v61, v63
.LBB29_177:
	s_or_b32 exec_lo, exec_lo, s0
	s_waitcnt lgkmcnt(0)
	s_waitcnt_vscnt null, 0x0
	s_barrier
	buffer_gl0_inv
	s_clause 0x6
	scratch_load_b128 v[63:66], off, off offset:20
	scratch_load_b128 v[67:70], off, off offset:36
	scratch_load_b128 v[71:74], off, off offset:52
	scratch_load_b128 v[75:78], off, off offset:68
	scratch_load_b128 v[79:82], off, off offset:84
	scratch_load_b128 v[83:86], off, off offset:100
	scratch_load_b32 v95, off, off offset:116
	ds_load_2addr_b64 v[87:90], v62 offset0:19 offset1:20
	ds_load_2addr_b64 v[91:94], v62 offset0:21 offset1:22
	s_mov_b32 s0, exec_lo
	s_waitcnt vmcnt(6) lgkmcnt(1)
	v_fma_f32 v87, v64, v87, 0
	s_delay_alu instid0(VALU_DEP_1) | instskip(NEXT) | instid1(VALU_DEP_1)
	v_fmac_f32_e32 v87, v65, v88
	v_fmac_f32_e32 v87, v66, v89
	s_waitcnt vmcnt(5)
	s_delay_alu instid0(VALU_DEP_1) | instskip(SKIP_3) | instid1(VALU_DEP_1)
	v_fmac_f32_e32 v87, v67, v90
	ds_load_2addr_b64 v[64:67], v62 offset0:23 offset1:24
	s_waitcnt lgkmcnt(1)
	v_fmac_f32_e32 v87, v68, v91
	v_fmac_f32_e32 v87, v69, v92
	s_delay_alu instid0(VALU_DEP_1) | instskip(SKIP_1) | instid1(VALU_DEP_1)
	v_fmac_f32_e32 v87, v70, v93
	s_waitcnt vmcnt(4)
	v_fmac_f32_e32 v87, v71, v94
	ds_load_2addr_b64 v[68:71], v62 offset0:25 offset1:26
	s_waitcnt lgkmcnt(1)
	v_fmac_f32_e32 v87, v72, v64
	s_delay_alu instid0(VALU_DEP_1) | instskip(NEXT) | instid1(VALU_DEP_1)
	v_fmac_f32_e32 v87, v73, v65
	v_fmac_f32_e32 v87, v74, v66
	s_waitcnt vmcnt(3)
	s_delay_alu instid0(VALU_DEP_1) | instskip(SKIP_3) | instid1(VALU_DEP_1)
	v_fmac_f32_e32 v87, v75, v67
	ds_load_2addr_b64 v[64:67], v62 offset0:27 offset1:28
	s_waitcnt lgkmcnt(1)
	v_fmac_f32_e32 v87, v76, v68
	v_fmac_f32_e32 v87, v77, v69
	s_delay_alu instid0(VALU_DEP_1) | instskip(SKIP_1) | instid1(VALU_DEP_1)
	v_fmac_f32_e32 v87, v78, v70
	s_waitcnt vmcnt(2)
	v_fmac_f32_e32 v87, v79, v71
	ds_load_2addr_b64 v[68:71], v62 offset0:29 offset1:30
	s_waitcnt lgkmcnt(1)
	v_fmac_f32_e32 v87, v80, v64
	s_delay_alu instid0(VALU_DEP_1) | instskip(NEXT) | instid1(VALU_DEP_1)
	v_fmac_f32_e32 v87, v81, v65
	v_fmac_f32_e32 v87, v82, v66
	s_waitcnt vmcnt(1)
	s_delay_alu instid0(VALU_DEP_1) | instskip(SKIP_1) | instid1(VALU_DEP_1)
	v_fmac_f32_e32 v87, v83, v67
	s_waitcnt lgkmcnt(0)
	v_fmac_f32_e32 v87, v84, v68
	s_delay_alu instid0(VALU_DEP_1) | instskip(NEXT) | instid1(VALU_DEP_1)
	v_fmac_f32_e32 v87, v85, v69
	v_fmac_f32_e32 v87, v86, v70
	s_waitcnt vmcnt(0)
	s_delay_alu instid0(VALU_DEP_1) | instskip(NEXT) | instid1(VALU_DEP_1)
	v_fmac_f32_e32 v87, v95, v71
	v_sub_f32_e32 v62, v63, v87
	scratch_store_b32 off, v62, off offset:20
	v_cmpx_lt_u32_e32 4, v0
	s_cbranch_execz .LBB29_179
; %bb.178:
	scratch_load_b32 v62, off, off offset:16
	v_mov_b32_e32 v63, 0
	scratch_store_b32 off, v63, off offset:16
	s_waitcnt vmcnt(0)
	ds_store_b32 v61, v62
.LBB29_179:
	s_or_b32 exec_lo, exec_lo, s0
	s_waitcnt lgkmcnt(0)
	s_waitcnt_vscnt null, 0x0
	s_barrier
	buffer_gl0_inv
	s_clause 0x6
	scratch_load_b128 v[63:66], off, off offset:16
	scratch_load_b128 v[67:70], off, off offset:32
	;; [unrolled: 1-line block ×6, first 2 shown]
	scratch_load_b64 v[87:88], off, off offset:112
	v_mov_b32_e32 v62, 0
	ds_load_2addr_b32 v[89:90], v62 offset0:37 offset1:38
	ds_load_2addr_b32 v[91:92], v62 offset0:39 offset1:40
	;; [unrolled: 1-line block ×4, first 2 shown]
	s_mov_b32 s0, exec_lo
	s_waitcnt vmcnt(6) lgkmcnt(3)
	v_fma_f32 v89, v64, v89, 0
	s_delay_alu instid0(VALU_DEP_1) | instskip(SKIP_4) | instid1(VALU_DEP_1)
	v_fmac_f32_e32 v89, v65, v90
	ds_load_2addr_b32 v[64:65], v62 offset0:45 offset1:46
	s_waitcnt lgkmcnt(3)
	v_fmac_f32_e32 v89, v66, v91
	s_waitcnt vmcnt(5)
	v_fmac_f32_e32 v89, v67, v92
	ds_load_2addr_b32 v[66:67], v62 offset0:47 offset1:48
	s_waitcnt lgkmcnt(3)
	v_fmac_f32_e32 v89, v68, v93
	s_delay_alu instid0(VALU_DEP_1) | instskip(SKIP_1) | instid1(VALU_DEP_1)
	v_fmac_f32_e32 v89, v69, v94
	s_waitcnt lgkmcnt(2)
	v_fmac_f32_e32 v89, v70, v95
	s_waitcnt vmcnt(4)
	s_delay_alu instid0(VALU_DEP_1) | instskip(SKIP_4) | instid1(VALU_DEP_1)
	v_fmac_f32_e32 v89, v71, v96
	ds_load_2addr_b32 v[68:69], v62 offset0:49 offset1:50
	ds_load_2addr_b32 v[70:71], v62 offset0:51 offset1:52
	s_waitcnt lgkmcnt(3)
	v_fmac_f32_e32 v89, v72, v64
	v_fmac_f32_e32 v89, v73, v65
	ds_load_2addr_b32 v[64:65], v62 offset0:53 offset1:54
	s_waitcnt lgkmcnt(3)
	v_fmac_f32_e32 v89, v74, v66
	s_waitcnt vmcnt(3)
	s_delay_alu instid0(VALU_DEP_1) | instskip(SKIP_3) | instid1(VALU_DEP_1)
	v_fmac_f32_e32 v89, v75, v67
	ds_load_2addr_b32 v[66:67], v62 offset0:55 offset1:56
	s_waitcnt lgkmcnt(3)
	v_fmac_f32_e32 v89, v76, v68
	v_fmac_f32_e32 v89, v77, v69
	s_waitcnt lgkmcnt(2)
	s_delay_alu instid0(VALU_DEP_1) | instskip(SKIP_1) | instid1(VALU_DEP_1)
	v_fmac_f32_e32 v89, v78, v70
	s_waitcnt vmcnt(2)
	v_fmac_f32_e32 v89, v79, v71
	ds_load_2addr_b32 v[68:69], v62 offset0:57 offset1:58
	ds_load_2addr_b32 v[70:71], v62 offset0:59 offset1:60
	s_waitcnt lgkmcnt(3)
	v_fmac_f32_e32 v89, v80, v64
	ds_load_b32 v64, v62 offset:244
	v_fmac_f32_e32 v89, v81, v65
	s_waitcnt lgkmcnt(3)
	s_delay_alu instid0(VALU_DEP_1) | instskip(SKIP_1) | instid1(VALU_DEP_1)
	v_fmac_f32_e32 v89, v82, v66
	s_waitcnt vmcnt(1)
	v_fmac_f32_e32 v89, v83, v67
	s_waitcnt lgkmcnt(2)
	s_delay_alu instid0(VALU_DEP_1) | instskip(NEXT) | instid1(VALU_DEP_1)
	v_fmac_f32_e32 v89, v84, v68
	v_fmac_f32_e32 v89, v85, v69
	s_waitcnt lgkmcnt(1)
	s_delay_alu instid0(VALU_DEP_1) | instskip(SKIP_1) | instid1(VALU_DEP_1)
	v_fmac_f32_e32 v89, v86, v70
	s_waitcnt vmcnt(0)
	v_fmac_f32_e32 v89, v87, v71
	s_waitcnt lgkmcnt(0)
	s_delay_alu instid0(VALU_DEP_1) | instskip(NEXT) | instid1(VALU_DEP_1)
	v_fmac_f32_e32 v89, v88, v64
	v_sub_f32_e32 v63, v63, v89
	scratch_store_b32 off, v63, off offset:16
	v_cmpx_lt_u32_e32 3, v0
	s_cbranch_execz .LBB29_181
; %bb.180:
	scratch_load_b32 v63, off, off offset:12
	scratch_store_b32 off, v62, off offset:12
	s_waitcnt vmcnt(0)
	ds_store_b32 v61, v63
.LBB29_181:
	s_or_b32 exec_lo, exec_lo, s0
	s_waitcnt lgkmcnt(0)
	s_waitcnt_vscnt null, 0x0
	s_barrier
	buffer_gl0_inv
	s_clause 0x6
	scratch_load_b128 v[63:66], off, off offset:12
	scratch_load_b128 v[67:70], off, off offset:28
	;; [unrolled: 1-line block ×6, first 2 shown]
	scratch_load_b96 v[95:97], off, off offset:108
	ds_load_b128 v[87:90], v62 offset:144
	ds_load_b128 v[91:94], v62 offset:160
	s_mov_b32 s0, exec_lo
	s_waitcnt vmcnt(6) lgkmcnt(1)
	v_fma_f32 v87, v64, v87, 0
	s_delay_alu instid0(VALU_DEP_1) | instskip(NEXT) | instid1(VALU_DEP_1)
	v_fmac_f32_e32 v87, v65, v88
	v_fmac_f32_e32 v87, v66, v89
	s_waitcnt vmcnt(5)
	s_delay_alu instid0(VALU_DEP_1) | instskip(SKIP_3) | instid1(VALU_DEP_1)
	v_fmac_f32_e32 v87, v67, v90
	ds_load_b128 v[64:67], v62 offset:176
	s_waitcnt lgkmcnt(1)
	v_fmac_f32_e32 v87, v68, v91
	v_fmac_f32_e32 v87, v69, v92
	s_delay_alu instid0(VALU_DEP_1) | instskip(SKIP_1) | instid1(VALU_DEP_1)
	v_fmac_f32_e32 v87, v70, v93
	s_waitcnt vmcnt(4)
	v_fmac_f32_e32 v87, v71, v94
	ds_load_b128 v[68:71], v62 offset:192
	s_waitcnt lgkmcnt(1)
	v_fmac_f32_e32 v87, v72, v64
	s_delay_alu instid0(VALU_DEP_1) | instskip(NEXT) | instid1(VALU_DEP_1)
	v_fmac_f32_e32 v87, v73, v65
	v_fmac_f32_e32 v87, v74, v66
	s_waitcnt vmcnt(3)
	s_delay_alu instid0(VALU_DEP_1) | instskip(SKIP_3) | instid1(VALU_DEP_1)
	v_fmac_f32_e32 v87, v75, v67
	ds_load_b128 v[64:67], v62 offset:208
	s_waitcnt lgkmcnt(1)
	v_fmac_f32_e32 v87, v76, v68
	v_fmac_f32_e32 v87, v77, v69
	s_delay_alu instid0(VALU_DEP_1) | instskip(SKIP_1) | instid1(VALU_DEP_1)
	v_fmac_f32_e32 v87, v78, v70
	s_waitcnt vmcnt(2)
	v_fmac_f32_e32 v87, v79, v71
	ds_load_b128 v[68:71], v62 offset:224
	s_waitcnt lgkmcnt(1)
	v_fmac_f32_e32 v87, v80, v64
	s_delay_alu instid0(VALU_DEP_1) | instskip(SKIP_3) | instid1(VALU_DEP_1)
	v_fmac_f32_e32 v87, v81, v65
	ds_load_b64 v[64:65], v62 offset:240
	v_fmac_f32_e32 v87, v82, v66
	s_waitcnt vmcnt(1)
	v_fmac_f32_e32 v87, v83, v67
	s_waitcnt lgkmcnt(1)
	s_delay_alu instid0(VALU_DEP_1) | instskip(NEXT) | instid1(VALU_DEP_1)
	v_fmac_f32_e32 v87, v84, v68
	v_fmac_f32_e32 v87, v85, v69
	s_delay_alu instid0(VALU_DEP_1) | instskip(SKIP_1) | instid1(VALU_DEP_1)
	v_fmac_f32_e32 v87, v86, v70
	s_waitcnt vmcnt(0)
	v_fmac_f32_e32 v87, v95, v71
	s_waitcnt lgkmcnt(0)
	s_delay_alu instid0(VALU_DEP_1) | instskip(NEXT) | instid1(VALU_DEP_1)
	v_fmac_f32_e32 v87, v96, v64
	v_fmac_f32_e32 v87, v97, v65
	s_delay_alu instid0(VALU_DEP_1)
	v_sub_f32_e32 v62, v63, v87
	scratch_store_b32 off, v62, off offset:12
	v_cmpx_lt_u32_e32 2, v0
	s_cbranch_execz .LBB29_183
; %bb.182:
	scratch_load_b32 v62, off, off offset:8
	v_mov_b32_e32 v63, 0
	scratch_store_b32 off, v63, off offset:8
	s_waitcnt vmcnt(0)
	ds_store_b32 v61, v62
.LBB29_183:
	s_or_b32 exec_lo, exec_lo, s0
	s_waitcnt lgkmcnt(0)
	s_waitcnt_vscnt null, 0x0
	s_barrier
	buffer_gl0_inv
	s_clause 0x6
	scratch_load_b128 v[63:66], off, off offset:8
	scratch_load_b128 v[67:70], off, off offset:24
	;; [unrolled: 1-line block ×7, first 2 shown]
	v_mov_b32_e32 v62, 0
	ds_load_2addr_b32 v[91:92], v62 offset0:35 offset1:36
	ds_load_2addr_b32 v[93:94], v62 offset0:37 offset1:38
	ds_load_2addr_b32 v[95:96], v62 offset0:39 offset1:40
	ds_load_2addr_b32 v[97:98], v62 offset0:41 offset1:42
	s_mov_b32 s0, exec_lo
	s_waitcnt vmcnt(6) lgkmcnt(3)
	v_fma_f32 v91, v64, v91, 0
	s_delay_alu instid0(VALU_DEP_1) | instskip(SKIP_4) | instid1(VALU_DEP_1)
	v_fmac_f32_e32 v91, v65, v92
	ds_load_2addr_b32 v[64:65], v62 offset0:43 offset1:44
	s_waitcnt lgkmcnt(3)
	v_fmac_f32_e32 v91, v66, v93
	s_waitcnt vmcnt(5)
	v_fmac_f32_e32 v91, v67, v94
	ds_load_2addr_b32 v[66:67], v62 offset0:45 offset1:46
	s_waitcnt lgkmcnt(3)
	v_fmac_f32_e32 v91, v68, v95
	s_delay_alu instid0(VALU_DEP_1) | instskip(SKIP_1) | instid1(VALU_DEP_1)
	v_fmac_f32_e32 v91, v69, v96
	s_waitcnt lgkmcnt(2)
	v_fmac_f32_e32 v91, v70, v97
	s_waitcnt vmcnt(4)
	s_delay_alu instid0(VALU_DEP_1) | instskip(SKIP_4) | instid1(VALU_DEP_1)
	v_fmac_f32_e32 v91, v71, v98
	ds_load_2addr_b32 v[68:69], v62 offset0:47 offset1:48
	ds_load_2addr_b32 v[70:71], v62 offset0:49 offset1:50
	s_waitcnt lgkmcnt(3)
	v_fmac_f32_e32 v91, v72, v64
	v_fmac_f32_e32 v91, v73, v65
	ds_load_2addr_b32 v[64:65], v62 offset0:51 offset1:52
	s_waitcnt lgkmcnt(3)
	v_fmac_f32_e32 v91, v74, v66
	s_waitcnt vmcnt(3)
	s_delay_alu instid0(VALU_DEP_1) | instskip(SKIP_3) | instid1(VALU_DEP_1)
	v_fmac_f32_e32 v91, v75, v67
	ds_load_2addr_b32 v[66:67], v62 offset0:53 offset1:54
	s_waitcnt lgkmcnt(3)
	v_fmac_f32_e32 v91, v76, v68
	v_fmac_f32_e32 v91, v77, v69
	s_waitcnt lgkmcnt(2)
	s_delay_alu instid0(VALU_DEP_1) | instskip(SKIP_1) | instid1(VALU_DEP_1)
	v_fmac_f32_e32 v91, v78, v70
	s_waitcnt vmcnt(2)
	v_fmac_f32_e32 v91, v79, v71
	ds_load_2addr_b32 v[68:69], v62 offset0:55 offset1:56
	ds_load_2addr_b32 v[70:71], v62 offset0:57 offset1:58
	s_waitcnt lgkmcnt(3)
	v_fmac_f32_e32 v91, v80, v64
	s_delay_alu instid0(VALU_DEP_1)
	v_fmac_f32_e32 v91, v81, v65
	ds_load_2addr_b32 v[64:65], v62 offset0:59 offset1:60
	s_waitcnt lgkmcnt(3)
	v_fmac_f32_e32 v91, v82, v66
	ds_load_b32 v66, v62 offset:244
	s_waitcnt vmcnt(1)
	v_fmac_f32_e32 v91, v83, v67
	s_waitcnt lgkmcnt(3)
	s_delay_alu instid0(VALU_DEP_1) | instskip(NEXT) | instid1(VALU_DEP_1)
	v_fmac_f32_e32 v91, v84, v68
	v_fmac_f32_e32 v91, v85, v69
	s_waitcnt lgkmcnt(2)
	s_delay_alu instid0(VALU_DEP_1) | instskip(SKIP_1) | instid1(VALU_DEP_1)
	v_fmac_f32_e32 v91, v86, v70
	s_waitcnt vmcnt(0)
	v_fmac_f32_e32 v91, v87, v71
	s_waitcnt lgkmcnt(1)
	s_delay_alu instid0(VALU_DEP_1) | instskip(NEXT) | instid1(VALU_DEP_1)
	v_fmac_f32_e32 v91, v88, v64
	v_fmac_f32_e32 v91, v89, v65
	s_waitcnt lgkmcnt(0)
	s_delay_alu instid0(VALU_DEP_1) | instskip(NEXT) | instid1(VALU_DEP_1)
	v_fmac_f32_e32 v91, v90, v66
	v_sub_f32_e32 v63, v63, v91
	scratch_store_b32 off, v63, off offset:8
	v_cmpx_lt_u32_e32 1, v0
	s_cbranch_execz .LBB29_185
; %bb.184:
	scratch_load_b32 v63, off, off offset:4
	scratch_store_b32 off, v62, off offset:4
	s_waitcnt vmcnt(0)
	ds_store_b32 v61, v63
.LBB29_185:
	s_or_b32 exec_lo, exec_lo, s0
	s_waitcnt lgkmcnt(0)
	s_waitcnt_vscnt null, 0x0
	s_barrier
	buffer_gl0_inv
	s_clause 0x7
	scratch_load_b128 v[63:66], off, off offset:4
	scratch_load_b128 v[67:70], off, off offset:20
	;; [unrolled: 1-line block ×7, first 2 shown]
	scratch_load_b32 v99, off, off offset:116
	ds_load_2addr_b64 v[91:94], v62 offset0:17 offset1:18
	ds_load_2addr_b64 v[95:98], v62 offset0:19 offset1:20
	s_mov_b32 s0, exec_lo
	s_waitcnt vmcnt(7) lgkmcnt(1)
	v_fma_f32 v91, v64, v91, 0
	s_delay_alu instid0(VALU_DEP_1) | instskip(NEXT) | instid1(VALU_DEP_1)
	v_fmac_f32_e32 v91, v65, v92
	v_fmac_f32_e32 v91, v66, v93
	s_waitcnt vmcnt(6)
	s_delay_alu instid0(VALU_DEP_1) | instskip(SKIP_3) | instid1(VALU_DEP_1)
	v_fmac_f32_e32 v91, v67, v94
	ds_load_2addr_b64 v[64:67], v62 offset0:21 offset1:22
	s_waitcnt lgkmcnt(1)
	v_fmac_f32_e32 v91, v68, v95
	v_fmac_f32_e32 v91, v69, v96
	s_delay_alu instid0(VALU_DEP_1) | instskip(SKIP_1) | instid1(VALU_DEP_1)
	v_fmac_f32_e32 v91, v70, v97
	s_waitcnt vmcnt(5)
	v_fmac_f32_e32 v91, v71, v98
	ds_load_2addr_b64 v[68:71], v62 offset0:23 offset1:24
	s_waitcnt lgkmcnt(1)
	v_fmac_f32_e32 v91, v72, v64
	s_delay_alu instid0(VALU_DEP_1) | instskip(NEXT) | instid1(VALU_DEP_1)
	v_fmac_f32_e32 v91, v73, v65
	v_fmac_f32_e32 v91, v74, v66
	s_waitcnt vmcnt(4)
	s_delay_alu instid0(VALU_DEP_1) | instskip(SKIP_3) | instid1(VALU_DEP_1)
	v_fmac_f32_e32 v91, v75, v67
	ds_load_2addr_b64 v[64:67], v62 offset0:25 offset1:26
	s_waitcnt lgkmcnt(1)
	v_fmac_f32_e32 v91, v76, v68
	v_fmac_f32_e32 v91, v77, v69
	s_delay_alu instid0(VALU_DEP_1) | instskip(SKIP_1) | instid1(VALU_DEP_1)
	v_fmac_f32_e32 v91, v78, v70
	s_waitcnt vmcnt(3)
	v_fmac_f32_e32 v91, v79, v71
	ds_load_2addr_b64 v[68:71], v62 offset0:27 offset1:28
	s_waitcnt lgkmcnt(1)
	v_fmac_f32_e32 v91, v80, v64
	s_delay_alu instid0(VALU_DEP_1) | instskip(NEXT) | instid1(VALU_DEP_1)
	v_fmac_f32_e32 v91, v81, v65
	v_fmac_f32_e32 v91, v82, v66
	s_waitcnt vmcnt(2)
	s_delay_alu instid0(VALU_DEP_1) | instskip(SKIP_3) | instid1(VALU_DEP_1)
	v_fmac_f32_e32 v91, v83, v67
	ds_load_2addr_b64 v[64:67], v62 offset0:29 offset1:30
	s_waitcnt lgkmcnt(1)
	v_fmac_f32_e32 v91, v84, v68
	v_fmac_f32_e32 v91, v85, v69
	s_delay_alu instid0(VALU_DEP_1) | instskip(SKIP_1) | instid1(VALU_DEP_1)
	v_fmac_f32_e32 v91, v86, v70
	s_waitcnt vmcnt(1)
	v_fmac_f32_e32 v91, v87, v71
	s_waitcnt lgkmcnt(0)
	s_delay_alu instid0(VALU_DEP_1) | instskip(NEXT) | instid1(VALU_DEP_1)
	v_fmac_f32_e32 v91, v88, v64
	v_fmac_f32_e32 v91, v89, v65
	s_delay_alu instid0(VALU_DEP_1) | instskip(SKIP_1) | instid1(VALU_DEP_1)
	v_fmac_f32_e32 v91, v90, v66
	s_waitcnt vmcnt(0)
	v_fmac_f32_e32 v91, v99, v67
	s_delay_alu instid0(VALU_DEP_1)
	v_sub_f32_e32 v62, v63, v91
	scratch_store_b32 off, v62, off offset:4
	v_cmpx_ne_u32_e32 0, v0
	s_cbranch_execz .LBB29_187
; %bb.186:
	scratch_load_b32 v0, off, off
	v_mov_b32_e32 v62, 0
	scratch_store_b32 off, v62, off
	s_waitcnt vmcnt(0)
	ds_store_b32 v61, v0
.LBB29_187:
	s_or_b32 exec_lo, exec_lo, s0
	s_waitcnt lgkmcnt(0)
	s_waitcnt_vscnt null, 0x0
	s_barrier
	buffer_gl0_inv
	s_clause 0x7
	scratch_load_b128 v[63:66], off, off
	scratch_load_b128 v[67:70], off, off offset:16
	scratch_load_b128 v[71:74], off, off offset:32
	;; [unrolled: 1-line block ×6, first 2 shown]
	scratch_load_b64 v[61:62], off, off offset:112
	v_mov_b32_e32 v0, 0
	ds_load_2addr_b32 v[91:92], v0 offset0:33 offset1:34
	ds_load_2addr_b32 v[93:94], v0 offset0:35 offset1:36
	;; [unrolled: 1-line block ×4, first 2 shown]
	s_and_b32 vcc_lo, exec_lo, s16
	s_waitcnt vmcnt(7) lgkmcnt(3)
	v_fma_f32 v91, v64, v91, 0
	s_delay_alu instid0(VALU_DEP_1) | instskip(SKIP_4) | instid1(VALU_DEP_1)
	v_fmac_f32_e32 v91, v65, v92
	ds_load_2addr_b32 v[64:65], v0 offset0:41 offset1:42
	s_waitcnt lgkmcnt(3)
	v_fmac_f32_e32 v91, v66, v93
	s_waitcnt vmcnt(6)
	v_fmac_f32_e32 v91, v67, v94
	ds_load_2addr_b32 v[66:67], v0 offset0:43 offset1:44
	s_waitcnt lgkmcnt(3)
	v_fmac_f32_e32 v91, v68, v95
	s_delay_alu instid0(VALU_DEP_1) | instskip(SKIP_1) | instid1(VALU_DEP_1)
	v_fmac_f32_e32 v91, v69, v96
	s_waitcnt lgkmcnt(2)
	v_fmac_f32_e32 v91, v70, v97
	s_waitcnt vmcnt(5)
	s_delay_alu instid0(VALU_DEP_1) | instskip(SKIP_4) | instid1(VALU_DEP_1)
	v_fmac_f32_e32 v91, v71, v98
	ds_load_2addr_b32 v[68:69], v0 offset0:45 offset1:46
	ds_load_2addr_b32 v[70:71], v0 offset0:47 offset1:48
	s_waitcnt lgkmcnt(3)
	v_fmac_f32_e32 v91, v72, v64
	v_fmac_f32_e32 v91, v73, v65
	ds_load_2addr_b32 v[64:65], v0 offset0:49 offset1:50
	s_waitcnt lgkmcnt(3)
	v_fmac_f32_e32 v91, v74, v66
	s_waitcnt vmcnt(4)
	s_delay_alu instid0(VALU_DEP_1) | instskip(SKIP_3) | instid1(VALU_DEP_1)
	v_fmac_f32_e32 v91, v75, v67
	ds_load_2addr_b32 v[66:67], v0 offset0:51 offset1:52
	s_waitcnt lgkmcnt(3)
	v_fmac_f32_e32 v91, v76, v68
	v_fmac_f32_e32 v91, v77, v69
	s_waitcnt lgkmcnt(2)
	s_delay_alu instid0(VALU_DEP_1) | instskip(SKIP_1) | instid1(VALU_DEP_1)
	v_fmac_f32_e32 v91, v78, v70
	s_waitcnt vmcnt(3)
	v_fmac_f32_e32 v91, v79, v71
	ds_load_2addr_b32 v[68:69], v0 offset0:53 offset1:54
	ds_load_2addr_b32 v[70:71], v0 offset0:55 offset1:56
	s_waitcnt lgkmcnt(3)
	v_fmac_f32_e32 v91, v80, v64
	s_delay_alu instid0(VALU_DEP_1) | instskip(SKIP_4) | instid1(VALU_DEP_1)
	v_fmac_f32_e32 v91, v81, v65
	ds_load_2addr_b32 v[64:65], v0 offset0:57 offset1:58
	s_waitcnt lgkmcnt(3)
	v_fmac_f32_e32 v91, v82, v66
	s_waitcnt vmcnt(2)
	v_fmac_f32_e32 v91, v83, v67
	ds_load_2addr_b32 v[66:67], v0 offset0:59 offset1:60
	ds_load_b32 v0, v0 offset:244
	s_waitcnt lgkmcnt(4)
	v_fmac_f32_e32 v91, v84, v68
	s_delay_alu instid0(VALU_DEP_1) | instskip(SKIP_1) | instid1(VALU_DEP_1)
	v_fmac_f32_e32 v91, v85, v69
	s_waitcnt lgkmcnt(3)
	v_fmac_f32_e32 v91, v86, v70
	s_waitcnt vmcnt(1)
	s_delay_alu instid0(VALU_DEP_1) | instskip(SKIP_1) | instid1(VALU_DEP_1)
	v_fmac_f32_e32 v91, v87, v71
	s_waitcnt lgkmcnt(2)
	v_fmac_f32_e32 v91, v88, v64
	s_delay_alu instid0(VALU_DEP_1) | instskip(SKIP_1) | instid1(VALU_DEP_1)
	v_fmac_f32_e32 v91, v89, v65
	s_waitcnt lgkmcnt(1)
	v_fmac_f32_e32 v91, v90, v66
	s_waitcnt vmcnt(0)
	s_delay_alu instid0(VALU_DEP_1) | instskip(SKIP_1) | instid1(VALU_DEP_1)
	v_fmac_f32_e32 v91, v61, v67
	s_waitcnt lgkmcnt(0)
	v_fmac_f32_e32 v91, v62, v0
	s_delay_alu instid0(VALU_DEP_1)
	v_sub_f32_e32 v0, v63, v91
	scratch_store_b32 off, v0, off
	s_cbranch_vccz .LBB29_247
; %bb.188:
	v_dual_mov_b32 v63, s13 :: v_dual_mov_b32 v62, s12
	s_mov_b32 s0, exec_lo
	flat_load_b32 v0, v[62:63] offset:112
	s_waitcnt vmcnt(0) lgkmcnt(0)
	v_cmpx_ne_u32_e32 29, v0
	s_cbranch_execz .LBB29_190
; %bb.189:
	v_lshl_add_u32 v0, v0, 2, 0
	scratch_load_b32 v62, v0, off offset:-4
	s_waitcnt vmcnt(0)
	scratch_store_b32 off, v62, off offset:112
	scratch_store_b32 v0, v61, off offset:-4
.LBB29_190:
	s_or_b32 exec_lo, exec_lo, s0
	v_dual_mov_b32 v62, s13 :: v_dual_mov_b32 v61, s12
	s_mov_b32 s0, exec_lo
	flat_load_b32 v0, v[61:62] offset:108
	s_waitcnt vmcnt(0) lgkmcnt(0)
	v_cmpx_ne_u32_e32 28, v0
	s_cbranch_execz .LBB29_192
; %bb.191:
	v_lshl_add_u32 v0, v0, 2, 0
	scratch_load_b32 v61, v0, off offset:-4
	scratch_load_b32 v62, off, off offset:108
	s_waitcnt vmcnt(1)
	scratch_store_b32 off, v61, off offset:108
	s_waitcnt vmcnt(0)
	scratch_store_b32 v0, v62, off offset:-4
.LBB29_192:
	s_or_b32 exec_lo, exec_lo, s0
	v_dual_mov_b32 v62, s13 :: v_dual_mov_b32 v61, s12
	s_mov_b32 s0, exec_lo
	flat_load_b32 v0, v[61:62] offset:104
	s_waitcnt vmcnt(0) lgkmcnt(0)
	v_cmpx_ne_u32_e32 27, v0
	s_cbranch_execz .LBB29_194
; %bb.193:
	v_lshl_add_u32 v0, v0, 2, 0
	scratch_load_b32 v61, v0, off offset:-4
	scratch_load_b32 v62, off, off offset:104
	s_waitcnt vmcnt(1)
	scratch_store_b32 off, v61, off offset:104
	s_waitcnt vmcnt(0)
	scratch_store_b32 v0, v62, off offset:-4
.LBB29_194:
	;; [unrolled: 16-line block ×27, first 2 shown]
	s_or_b32 exec_lo, exec_lo, s0
	v_dual_mov_b32 v62, s13 :: v_dual_mov_b32 v61, s12
	s_mov_b32 s0, exec_lo
	flat_load_b32 v61, v[61:62]
	scratch_load_b32 v0, off, off
	s_waitcnt vmcnt(1) lgkmcnt(0)
	v_cmpx_ne_u32_e32 1, v61
	s_cbranch_execz .LBB29_246
; %bb.245:
	v_lshl_add_u32 v61, v61, 2, 0
	scratch_load_b32 v62, v61, off offset:-4
	s_waitcnt vmcnt(0)
	scratch_store_b32 off, v62, off
	scratch_store_b32 v61, v0, off offset:-4
	scratch_load_b32 v0, off, off
.LBB29_246:
	s_or_b32 exec_lo, exec_lo, s0
.LBB29_247:
	s_clause 0x7
	scratch_load_b128 v[61:64], off, off offset:4
	scratch_load_b128 v[65:68], off, off offset:20
	;; [unrolled: 1-line block ×7, first 2 shown]
	scratch_load_b32 v89, off, off offset:116
	s_waitcnt vmcnt(8)
	global_store_b32 v[1:2], v0, off
	s_waitcnt vmcnt(7)
	s_clause 0x3
	global_store_b32 v[3:4], v61, off
	global_store_b32 v[5:6], v62, off
	global_store_b32 v[7:8], v63, off
	global_store_b32 v[9:10], v64, off
	s_waitcnt vmcnt(6)
	s_clause 0x3
	global_store_b32 v[11:12], v65, off
	global_store_b32 v[13:14], v66, off
	global_store_b32 v[15:16], v67, off
	;; [unrolled: 6-line block ×7, first 2 shown]
	global_store_b32 v[57:58], v88, off
	s_waitcnt vmcnt(0)
	global_store_b32 v[59:60], v89, off
	s_endpgm
	.section	.rodata,"a",@progbits
	.p2align	6, 0x0
	.amdhsa_kernel _ZN9rocsolver6v33100L18getri_kernel_smallILi30EfPfEEvT1_iilPiilS4_bb
		.amdhsa_group_segment_fixed_size 248
		.amdhsa_private_segment_fixed_size 128
		.amdhsa_kernarg_size 60
		.amdhsa_user_sgpr_count 15
		.amdhsa_user_sgpr_dispatch_ptr 0
		.amdhsa_user_sgpr_queue_ptr 0
		.amdhsa_user_sgpr_kernarg_segment_ptr 1
		.amdhsa_user_sgpr_dispatch_id 0
		.amdhsa_user_sgpr_private_segment_size 0
		.amdhsa_wavefront_size32 1
		.amdhsa_uses_dynamic_stack 0
		.amdhsa_enable_private_segment 1
		.amdhsa_system_sgpr_workgroup_id_x 1
		.amdhsa_system_sgpr_workgroup_id_y 0
		.amdhsa_system_sgpr_workgroup_id_z 0
		.amdhsa_system_sgpr_workgroup_info 0
		.amdhsa_system_vgpr_workitem_id 0
		.amdhsa_next_free_vgpr 100
		.amdhsa_next_free_sgpr 18
		.amdhsa_reserve_vcc 1
		.amdhsa_float_round_mode_32 0
		.amdhsa_float_round_mode_16_64 0
		.amdhsa_float_denorm_mode_32 3
		.amdhsa_float_denorm_mode_16_64 3
		.amdhsa_dx10_clamp 1
		.amdhsa_ieee_mode 1
		.amdhsa_fp16_overflow 0
		.amdhsa_workgroup_processor_mode 1
		.amdhsa_memory_ordered 1
		.amdhsa_forward_progress 0
		.amdhsa_shared_vgpr_count 0
		.amdhsa_exception_fp_ieee_invalid_op 0
		.amdhsa_exception_fp_denorm_src 0
		.amdhsa_exception_fp_ieee_div_zero 0
		.amdhsa_exception_fp_ieee_overflow 0
		.amdhsa_exception_fp_ieee_underflow 0
		.amdhsa_exception_fp_ieee_inexact 0
		.amdhsa_exception_int_div_zero 0
	.end_amdhsa_kernel
	.section	.text._ZN9rocsolver6v33100L18getri_kernel_smallILi30EfPfEEvT1_iilPiilS4_bb,"axG",@progbits,_ZN9rocsolver6v33100L18getri_kernel_smallILi30EfPfEEvT1_iilPiilS4_bb,comdat
.Lfunc_end29:
	.size	_ZN9rocsolver6v33100L18getri_kernel_smallILi30EfPfEEvT1_iilPiilS4_bb, .Lfunc_end29-_ZN9rocsolver6v33100L18getri_kernel_smallILi30EfPfEEvT1_iilPiilS4_bb
                                        ; -- End function
	.section	.AMDGPU.csdata,"",@progbits
; Kernel info:
; codeLenInByte = 18416
; NumSgprs: 20
; NumVgprs: 100
; ScratchSize: 128
; MemoryBound: 0
; FloatMode: 240
; IeeeMode: 1
; LDSByteSize: 248 bytes/workgroup (compile time only)
; SGPRBlocks: 2
; VGPRBlocks: 12
; NumSGPRsForWavesPerEU: 20
; NumVGPRsForWavesPerEU: 100
; Occupancy: 12
; WaveLimiterHint : 1
; COMPUTE_PGM_RSRC2:SCRATCH_EN: 1
; COMPUTE_PGM_RSRC2:USER_SGPR: 15
; COMPUTE_PGM_RSRC2:TRAP_HANDLER: 0
; COMPUTE_PGM_RSRC2:TGID_X_EN: 1
; COMPUTE_PGM_RSRC2:TGID_Y_EN: 0
; COMPUTE_PGM_RSRC2:TGID_Z_EN: 0
; COMPUTE_PGM_RSRC2:TIDIG_COMP_CNT: 0
	.section	.text._ZN9rocsolver6v33100L18getri_kernel_smallILi31EfPfEEvT1_iilPiilS4_bb,"axG",@progbits,_ZN9rocsolver6v33100L18getri_kernel_smallILi31EfPfEEvT1_iilPiilS4_bb,comdat
	.globl	_ZN9rocsolver6v33100L18getri_kernel_smallILi31EfPfEEvT1_iilPiilS4_bb ; -- Begin function _ZN9rocsolver6v33100L18getri_kernel_smallILi31EfPfEEvT1_iilPiilS4_bb
	.p2align	8
	.type	_ZN9rocsolver6v33100L18getri_kernel_smallILi31EfPfEEvT1_iilPiilS4_bb,@function
_ZN9rocsolver6v33100L18getri_kernel_smallILi31EfPfEEvT1_iilPiilS4_bb: ; @_ZN9rocsolver6v33100L18getri_kernel_smallILi31EfPfEEvT1_iilPiilS4_bb
; %bb.0:
	s_mov_b32 s2, exec_lo
	v_cmpx_gt_u32_e32 31, v0
	s_cbranch_execz .LBB30_132
; %bb.1:
	s_clause 0x2
	s_load_b32 s17, s[0:1], 0x38
	s_load_b128 s[8:11], s[0:1], 0x10
	s_load_b128 s[4:7], s[0:1], 0x28
	s_mov_b32 s14, s15
                                        ; implicit-def: $sgpr12_sgpr13
	s_waitcnt lgkmcnt(0)
	s_bitcmp1_b32 s17, 8
	s_cselect_b32 s16, -1, 0
	s_bfe_u32 s2, s17, 0x10008
	s_ashr_i32 s15, s15, 31
	s_cmp_eq_u32 s2, 0
	s_cbranch_scc1 .LBB30_3
; %bb.2:
	s_load_b32 s2, s[0:1], 0x20
	s_mul_i32 s3, s14, s5
	s_mul_hi_u32 s5, s14, s4
	s_mul_i32 s12, s15, s4
	s_add_i32 s3, s5, s3
	s_mul_i32 s4, s14, s4
	s_add_i32 s5, s3, s12
	s_delay_alu instid0(SALU_CYCLE_1)
	s_lshl_b64 s[4:5], s[4:5], 2
	s_waitcnt lgkmcnt(0)
	s_ashr_i32 s3, s2, 31
	s_add_u32 s4, s10, s4
	s_addc_u32 s5, s11, s5
	s_lshl_b64 s[2:3], s[2:3], 2
	s_delay_alu instid0(SALU_CYCLE_1)
	s_add_u32 s12, s4, s2
	s_addc_u32 s13, s5, s3
.LBB30_3:
	s_load_b128 s[0:3], s[0:1], 0x0
	s_mul_i32 s4, s14, s9
	s_mul_hi_u32 s5, s14, s8
	s_mul_i32 s9, s15, s8
	s_add_i32 s5, s5, s4
	s_mul_i32 s4, s14, s8
	s_add_i32 s5, s5, s9
	v_lshlrev_b32_e32 v1, 2, v0
	s_lshl_b64 s[4:5], s[4:5], 2
	s_waitcnt lgkmcnt(0)
	v_add3_u32 v5, s3, s3, v0
	s_ashr_i32 s9, s2, 31
	s_mov_b32 s8, s2
	s_add_u32 s2, s0, s4
	s_addc_u32 s5, s1, s5
	v_add_nc_u32_e32 v7, s3, v5
	s_lshl_b64 s[0:1], s[8:9], 2
	v_ashrrev_i32_e32 v6, 31, v5
	s_add_u32 s0, s2, s0
	s_addc_u32 s1, s5, s1
	v_add_nc_u32_e32 v11, s3, v7
	v_add_co_u32 v3, s2, s0, v1
	v_ashrrev_i32_e32 v8, 31, v7
	s_mov_b32 s4, s3
	s_ashr_i32 s5, s3, 31
	v_add_co_ci_u32_e64 v4, null, s1, 0, s2
	v_lshlrev_b64 v[9:10], 2, v[5:6]
	s_lshl_b64 s[4:5], s[4:5], 2
	v_add_nc_u32_e32 v15, s3, v11
	v_add_co_u32 v5, vcc_lo, v3, s4
	v_lshlrev_b64 v[13:14], 2, v[7:8]
	v_add_co_ci_u32_e32 v6, vcc_lo, s5, v4, vcc_lo
	v_add_co_u32 v7, vcc_lo, s0, v9
	v_ashrrev_i32_e32 v16, 31, v15
	v_add_nc_u32_e32 v17, s3, v15
	v_add_co_ci_u32_e32 v8, vcc_lo, s1, v10, vcc_lo
	v_ashrrev_i32_e32 v12, 31, v11
	v_add_co_u32 v9, vcc_lo, s0, v13
	v_add_co_ci_u32_e32 v10, vcc_lo, s1, v14, vcc_lo
	v_lshlrev_b64 v[13:14], 2, v[15:16]
	v_add_nc_u32_e32 v15, s3, v17
	v_lshlrev_b64 v[11:12], 2, v[11:12]
	v_ashrrev_i32_e32 v18, 31, v17
	global_load_b32 v65, v1, s[0:1]
	s_bitcmp0_b32 s17, 0
	v_add_nc_u32_e32 v19, s3, v15
	v_ashrrev_i32_e32 v16, 31, v15
	v_add_co_u32 v11, vcc_lo, s0, v11
	v_lshlrev_b64 v[17:18], 2, v[17:18]
	s_delay_alu instid0(VALU_DEP_4)
	v_add_nc_u32_e32 v23, s3, v19
	v_add_co_ci_u32_e32 v12, vcc_lo, s1, v12, vcc_lo
	v_add_co_u32 v13, vcc_lo, s0, v13
	v_lshlrev_b64 v[21:22], 2, v[15:16]
	v_add_co_ci_u32_e32 v14, vcc_lo, s1, v14, vcc_lo
	v_add_co_u32 v15, vcc_lo, s0, v17
	v_ashrrev_i32_e32 v24, 31, v23
	v_add_nc_u32_e32 v25, s3, v23
	v_add_co_ci_u32_e32 v16, vcc_lo, s1, v18, vcc_lo
	v_ashrrev_i32_e32 v20, 31, v19
	v_add_co_u32 v17, vcc_lo, s0, v21
	v_add_co_ci_u32_e32 v18, vcc_lo, s1, v22, vcc_lo
	v_lshlrev_b64 v[21:22], 2, v[23:24]
	v_add_nc_u32_e32 v23, s3, v25
	v_lshlrev_b64 v[19:20], 2, v[19:20]
	v_ashrrev_i32_e32 v26, 31, v25
	s_delay_alu instid0(VALU_DEP_3) | instskip(SKIP_1) | instid1(VALU_DEP_4)
	v_add_nc_u32_e32 v27, s3, v23
	v_ashrrev_i32_e32 v24, 31, v23
	v_add_co_u32 v19, vcc_lo, s0, v19
	s_delay_alu instid0(VALU_DEP_4) | instskip(NEXT) | instid1(VALU_DEP_4)
	v_lshlrev_b64 v[25:26], 2, v[25:26]
	v_add_nc_u32_e32 v31, s3, v27
	v_add_co_ci_u32_e32 v20, vcc_lo, s1, v20, vcc_lo
	v_add_co_u32 v21, vcc_lo, s0, v21
	v_lshlrev_b64 v[29:30], 2, v[23:24]
	v_add_co_ci_u32_e32 v22, vcc_lo, s1, v22, vcc_lo
	v_add_co_u32 v23, vcc_lo, s0, v25
	v_ashrrev_i32_e32 v32, 31, v31
	v_add_nc_u32_e32 v33, s3, v31
	v_add_co_ci_u32_e32 v24, vcc_lo, s1, v26, vcc_lo
	v_ashrrev_i32_e32 v28, 31, v27
	v_add_co_u32 v25, vcc_lo, s0, v29
	v_add_co_ci_u32_e32 v26, vcc_lo, s1, v30, vcc_lo
	v_lshlrev_b64 v[29:30], 2, v[31:32]
	v_add_nc_u32_e32 v31, s3, v33
	v_lshlrev_b64 v[27:28], 2, v[27:28]
	v_ashrrev_i32_e32 v34, 31, v33
	s_clause 0x7
	global_load_b32 v66, v[5:6], off
	global_load_b32 v67, v[7:8], off
	;; [unrolled: 1-line block ×8, first 2 shown]
	v_add_nc_u32_e32 v35, s3, v31
	v_ashrrev_i32_e32 v32, 31, v31
	v_add_co_u32 v27, vcc_lo, s0, v27
	v_lshlrev_b64 v[33:34], 2, v[33:34]
	s_delay_alu instid0(VALU_DEP_4)
	v_add_nc_u32_e32 v39, s3, v35
	v_add_co_ci_u32_e32 v28, vcc_lo, s1, v28, vcc_lo
	v_add_co_u32 v29, vcc_lo, s0, v29
	v_lshlrev_b64 v[37:38], 2, v[31:32]
	v_add_co_ci_u32_e32 v30, vcc_lo, s1, v30, vcc_lo
	v_add_co_u32 v31, vcc_lo, s0, v33
	v_ashrrev_i32_e32 v40, 31, v39
	v_add_nc_u32_e32 v41, s3, v39
	v_add_co_ci_u32_e32 v32, vcc_lo, s1, v34, vcc_lo
	v_add_co_u32 v33, vcc_lo, s0, v37
	v_add_co_ci_u32_e32 v34, vcc_lo, s1, v38, vcc_lo
	v_lshlrev_b64 v[37:38], 2, v[39:40]
	v_add_nc_u32_e32 v39, s3, v41
	v_ashrrev_i32_e32 v36, 31, v35
	v_ashrrev_i32_e32 v42, 31, v41
	s_delay_alu instid0(VALU_DEP_3) | instskip(NEXT) | instid1(VALU_DEP_3)
	v_add_nc_u32_e32 v43, s3, v39
	v_lshlrev_b64 v[35:36], 2, v[35:36]
	v_ashrrev_i32_e32 v40, 31, v39
	s_delay_alu instid0(VALU_DEP_4) | instskip(NEXT) | instid1(VALU_DEP_4)
	v_lshlrev_b64 v[41:42], 2, v[41:42]
	v_add_nc_u32_e32 v45, s3, v43
	v_ashrrev_i32_e32 v44, 31, v43
	v_add_co_u32 v35, vcc_lo, s0, v35
	v_add_co_ci_u32_e32 v36, vcc_lo, s1, v36, vcc_lo
	s_delay_alu instid0(VALU_DEP_4) | instskip(SKIP_3) | instid1(VALU_DEP_4)
	v_add_nc_u32_e32 v49, s3, v45
	v_add_co_u32 v37, vcc_lo, s0, v37
	v_lshlrev_b64 v[47:48], 2, v[39:40]
	v_ashrrev_i32_e32 v46, 31, v45
	v_add_nc_u32_e32 v51, s3, v49
	v_add_co_ci_u32_e32 v38, vcc_lo, s1, v38, vcc_lo
	v_add_co_u32 v39, vcc_lo, s0, v41
	s_delay_alu instid0(VALU_DEP_3) | instskip(SKIP_3) | instid1(VALU_DEP_4)
	v_add_nc_u32_e32 v53, s3, v51
	v_lshlrev_b64 v[43:44], 2, v[43:44]
	v_ashrrev_i32_e32 v50, 31, v49
	v_add_co_ci_u32_e32 v40, vcc_lo, s1, v42, vcc_lo
	v_add_nc_u32_e32 v55, s3, v53
	v_add_co_u32 v41, vcc_lo, s0, v47
	v_lshlrev_b64 v[45:46], 2, v[45:46]
	v_ashrrev_i32_e32 v52, 31, v51
	s_delay_alu instid0(VALU_DEP_4) | instskip(SKIP_2) | instid1(VALU_DEP_3)
	v_add_nc_u32_e32 v57, s3, v55
	v_add_co_ci_u32_e32 v42, vcc_lo, s1, v48, vcc_lo
	v_add_co_u32 v43, vcc_lo, s0, v43
	v_add_nc_u32_e32 v59, s3, v57
	v_lshlrev_b64 v[47:48], 2, v[49:50]
	v_ashrrev_i32_e32 v54, 31, v53
	v_add_co_ci_u32_e32 v44, vcc_lo, s1, v44, vcc_lo
	s_delay_alu instid0(VALU_DEP_4)
	v_add_nc_u32_e32 v61, s3, v59
	v_add_co_u32 v45, vcc_lo, s0, v45
	v_lshlrev_b64 v[49:50], 2, v[51:52]
	v_ashrrev_i32_e32 v56, 31, v55
	v_add_co_ci_u32_e32 v46, vcc_lo, s1, v46, vcc_lo
	v_add_co_u32 v47, vcc_lo, s0, v47
	v_lshlrev_b64 v[51:52], 2, v[53:54]
	v_ashrrev_i32_e32 v58, 31, v57
	v_ashrrev_i32_e32 v60, 31, v59
	v_add_nc_u32_e32 v63, s3, v61
	v_add_co_ci_u32_e32 v48, vcc_lo, s1, v48, vcc_lo
	v_add_co_u32 v49, vcc_lo, s0, v49
	v_lshlrev_b64 v[53:54], 2, v[55:56]
	v_add_co_ci_u32_e32 v50, vcc_lo, s1, v50, vcc_lo
	v_lshlrev_b64 v[55:56], 2, v[57:58]
	v_lshlrev_b64 v[57:58], 2, v[59:60]
	v_add_nc_u32_e32 v59, s3, v63
	v_add_co_u32 v51, vcc_lo, s0, v51
	v_ashrrev_i32_e32 v62, 31, v61
	v_add_co_ci_u32_e32 v52, vcc_lo, s1, v52, vcc_lo
	v_add_co_u32 v53, vcc_lo, s0, v53
	v_ashrrev_i32_e32 v60, 31, v59
	v_add_co_ci_u32_e32 v54, vcc_lo, s1, v54, vcc_lo
	v_add_co_u32 v55, vcc_lo, s0, v55
	v_lshlrev_b64 v[61:62], 2, v[61:62]
	v_ashrrev_i32_e32 v64, 31, v63
	v_add_co_ci_u32_e32 v56, vcc_lo, s1, v56, vcc_lo
	v_add_co_u32 v57, vcc_lo, s0, v57
	v_lshlrev_b64 v[82:83], 2, v[59:60]
	v_add_co_ci_u32_e32 v58, vcc_lo, s1, v58, vcc_lo
	v_lshlrev_b64 v[63:64], 2, v[63:64]
	v_add_co_u32 v59, vcc_lo, s0, v61
	v_add_co_ci_u32_e32 v60, vcc_lo, s1, v62, vcc_lo
	v_add_co_u32 v61, vcc_lo, s0, v82
	v_add_co_ci_u32_e32 v62, vcc_lo, s1, v83, vcc_lo
	v_add_co_u32 v63, vcc_lo, s0, v63
	s_clause 0x7
	global_load_b32 v74, v[21:22], off
	global_load_b32 v75, v[23:24], off
	;; [unrolled: 1-line block ×8, first 2 shown]
	v_add_co_ci_u32_e32 v64, vcc_lo, s1, v64, vcc_lo
	s_clause 0xd
	global_load_b32 v82, v[37:38], off
	global_load_b32 v83, v[39:40], off
	;; [unrolled: 1-line block ×14, first 2 shown]
	s_mov_b32 s1, -1
	s_waitcnt vmcnt(27)
	scratch_store_b128 off, v[65:68], off
	s_waitcnt vmcnt(23)
	scratch_store_b128 off, v[69:72], off offset:16
	s_waitcnt vmcnt(19)
	scratch_store_b128 off, v[73:76], off offset:32
	;; [unrolled: 2-line block ×6, first 2 shown]
	s_waitcnt vmcnt(0)
	scratch_store_b96 off, v[93:95], off offset:112
	s_cbranch_scc1 .LBB30_130
; %bb.4:
	v_cmp_eq_u32_e64 s0, 0, v0
	s_delay_alu instid0(VALU_DEP_1)
	s_and_saveexec_b32 s1, s0
	s_cbranch_execz .LBB30_6
; %bb.5:
	v_mov_b32_e32 v2, 0
	ds_store_b32 v2, v2 offset:124
.LBB30_6:
	s_or_b32 exec_lo, exec_lo, s1
	s_waitcnt lgkmcnt(0)
	s_waitcnt_vscnt null, 0x0
	s_barrier
	buffer_gl0_inv
	scratch_load_b32 v2, v1, off
	s_mov_b32 s2, exec_lo
	s_waitcnt vmcnt(0)
	v_cmpx_eq_f32_e32 0, v2
	s_cbranch_execz .LBB30_10
; %bb.7:
	v_mov_b32_e32 v2, 0
	s_mov_b32 s3, 0
	ds_load_b32 v65, v2 offset:124
	s_waitcnt lgkmcnt(0)
	v_readfirstlane_b32 s1, v65
	v_add_nc_u32_e32 v65, 1, v0
	s_delay_alu instid0(VALU_DEP_2) | instskip(NEXT) | instid1(VALU_DEP_1)
	s_cmp_eq_u32 s1, 0
	v_cmp_gt_i32_e32 vcc_lo, s1, v65
	s_cselect_b32 s4, -1, 0
	s_delay_alu instid0(SALU_CYCLE_1) | instskip(NEXT) | instid1(SALU_CYCLE_1)
	s_or_b32 s4, s4, vcc_lo
	s_and_b32 exec_lo, exec_lo, s4
	s_cbranch_execz .LBB30_10
; %bb.8:
	v_mov_b32_e32 v66, s1
.LBB30_9:                               ; =>This Inner Loop Header: Depth=1
	ds_cmpstore_rtn_b32 v66, v2, v65, v66 offset:124
	s_waitcnt lgkmcnt(0)
	v_cmp_ne_u32_e32 vcc_lo, 0, v66
	v_cmp_le_i32_e64 s1, v66, v65
	s_delay_alu instid0(VALU_DEP_1) | instskip(NEXT) | instid1(SALU_CYCLE_1)
	s_and_b32 s1, vcc_lo, s1
	s_and_b32 s1, exec_lo, s1
	s_delay_alu instid0(SALU_CYCLE_1) | instskip(NEXT) | instid1(SALU_CYCLE_1)
	s_or_b32 s3, s1, s3
	s_and_not1_b32 exec_lo, exec_lo, s3
	s_cbranch_execnz .LBB30_9
.LBB30_10:
	s_or_b32 exec_lo, exec_lo, s2
	v_mov_b32_e32 v2, 0
	s_barrier
	buffer_gl0_inv
	ds_load_b32 v65, v2 offset:124
	s_and_saveexec_b32 s1, s0
	s_cbranch_execz .LBB30_12
; %bb.11:
	s_lshl_b64 s[2:3], s[14:15], 2
	s_delay_alu instid0(SALU_CYCLE_1)
	s_add_u32 s2, s6, s2
	s_addc_u32 s3, s7, s3
	s_waitcnt lgkmcnt(0)
	global_store_b32 v2, v65, s[2:3]
.LBB30_12:
	s_or_b32 exec_lo, exec_lo, s1
	s_waitcnt lgkmcnt(0)
	v_cmp_ne_u32_e32 vcc_lo, 0, v65
	s_mov_b32 s1, 0
	s_cbranch_vccnz .LBB30_130
; %bb.13:
	v_add_nc_u32_e32 v2, 0, v1
	scratch_load_b32 v65, v2, off
	s_waitcnt vmcnt(0)
	v_div_scale_f32 v66, null, v65, v65, 1.0
	v_div_scale_f32 v69, vcc_lo, 1.0, v65, 1.0
	s_delay_alu instid0(VALU_DEP_2) | instskip(SKIP_2) | instid1(VALU_DEP_1)
	v_rcp_f32_e32 v67, v66
	s_waitcnt_depctr 0xfff
	v_fma_f32 v68, -v66, v67, 1.0
	v_fmac_f32_e32 v67, v68, v67
	s_delay_alu instid0(VALU_DEP_1) | instskip(NEXT) | instid1(VALU_DEP_1)
	v_mul_f32_e32 v68, v69, v67
	v_fma_f32 v70, -v66, v68, v69
	s_delay_alu instid0(VALU_DEP_1) | instskip(NEXT) | instid1(VALU_DEP_1)
	v_fmac_f32_e32 v68, v70, v67
	v_fma_f32 v66, -v66, v68, v69
	s_delay_alu instid0(VALU_DEP_1) | instskip(NEXT) | instid1(VALU_DEP_1)
	v_div_fmas_f32 v66, v66, v67, v68
	v_div_fixup_f32 v65, v66, v65, 1.0
	scratch_store_b32 v2, v65, off
	scratch_load_b32 v66, off, off offset:4
	v_xor_b32_e32 v67, 0x80000000, v65
	v_add_nc_u32_e32 v65, 0x80, v1
	s_waitcnt vmcnt(0)
	ds_store_2addr_b32 v1, v67, v66 offset1:32
	s_waitcnt lgkmcnt(0)
	s_waitcnt_vscnt null, 0x0
	s_barrier
	buffer_gl0_inv
	s_and_saveexec_b32 s1, s0
	s_cbranch_execz .LBB30_15
; %bb.14:
	scratch_load_b32 v66, v2, off
	ds_load_b32 v67, v65
	v_mov_b32_e32 v68, 0
	ds_load_b32 v68, v68 offset:4
	s_waitcnt vmcnt(0) lgkmcnt(1)
	v_fma_f32 v66, v66, v67, 0
	s_waitcnt lgkmcnt(0)
	s_delay_alu instid0(VALU_DEP_1)
	v_mul_f32_e32 v66, v66, v68
	scratch_store_b32 off, v66, off offset:4
.LBB30_15:
	s_or_b32 exec_lo, exec_lo, s1
	s_waitcnt_vscnt null, 0x0
	s_barrier
	buffer_gl0_inv
	scratch_load_b32 v66, off, off offset:8
	s_mov_b32 s1, exec_lo
	s_waitcnt vmcnt(0)
	ds_store_b32 v65, v66
	s_waitcnt lgkmcnt(0)
	s_barrier
	buffer_gl0_inv
	v_cmpx_gt_u32_e32 2, v0
	s_cbranch_execz .LBB30_17
; %bb.16:
	scratch_load_b32 v68, v2, off
	scratch_load_b32 v69, off, off offset:4
	ds_load_b32 v70, v65
	v_mov_b32_e32 v66, 0
	ds_load_2addr_b32 v[66:67], v66 offset0:2 offset1:33
	s_waitcnt vmcnt(1) lgkmcnt(1)
	v_fma_f32 v68, v68, v70, 0
	s_waitcnt vmcnt(0) lgkmcnt(0)
	s_delay_alu instid0(VALU_DEP_1) | instskip(NEXT) | instid1(VALU_DEP_1)
	v_fma_f32 v67, v69, v67, v68
	v_cndmask_b32_e64 v67, v68, v67, s0
	s_delay_alu instid0(VALU_DEP_1)
	v_mul_f32_e32 v66, v67, v66
	scratch_store_b32 off, v66, off offset:8
.LBB30_17:
	s_or_b32 exec_lo, exec_lo, s1
	s_waitcnt_vscnt null, 0x0
	s_barrier
	buffer_gl0_inv
	scratch_load_b32 v67, off, off offset:12
	v_add_nc_u32_e32 v66, -1, v0
	s_mov_b32 s0, exec_lo
	s_waitcnt vmcnt(0)
	ds_store_b32 v65, v67
	s_waitcnt lgkmcnt(0)
	s_barrier
	buffer_gl0_inv
	v_cmpx_gt_u32_e32 3, v0
	s_cbranch_execz .LBB30_21
; %bb.18:
	v_dual_mov_b32 v67, 0 :: v_dual_add_nc_u32 v68, -1, v0
	v_add_nc_u32_e32 v69, 0x80, v1
	v_add_nc_u32_e32 v70, 0, v1
	s_mov_b32 s1, 0
.LBB30_19:                              ; =>This Inner Loop Header: Depth=1
	scratch_load_b32 v71, v70, off
	ds_load_b32 v72, v69
	v_add_nc_u32_e32 v68, 1, v68
	v_add_nc_u32_e32 v69, 4, v69
	v_add_nc_u32_e32 v70, 4, v70
	s_delay_alu instid0(VALU_DEP_3)
	v_cmp_lt_u32_e32 vcc_lo, 1, v68
	s_or_b32 s1, vcc_lo, s1
	s_waitcnt vmcnt(0) lgkmcnt(0)
	v_fmac_f32_e32 v67, v71, v72
	s_and_not1_b32 exec_lo, exec_lo, s1
	s_cbranch_execnz .LBB30_19
; %bb.20:
	s_or_b32 exec_lo, exec_lo, s1
	v_mov_b32_e32 v68, 0
	ds_load_b32 v68, v68 offset:12
	s_waitcnt lgkmcnt(0)
	v_mul_f32_e32 v67, v67, v68
	scratch_store_b32 off, v67, off offset:12
.LBB30_21:
	s_or_b32 exec_lo, exec_lo, s0
	s_waitcnt_vscnt null, 0x0
	s_barrier
	buffer_gl0_inv
	scratch_load_b32 v67, off, off offset:16
	s_mov_b32 s0, exec_lo
	s_waitcnt vmcnt(0)
	ds_store_b32 v65, v67
	s_waitcnt lgkmcnt(0)
	s_barrier
	buffer_gl0_inv
	v_cmpx_gt_u32_e32 4, v0
	s_cbranch_execz .LBB30_25
; %bb.22:
	v_dual_mov_b32 v67, 0 :: v_dual_add_nc_u32 v68, -1, v0
	v_add_nc_u32_e32 v69, 0x80, v1
	v_add_nc_u32_e32 v70, 0, v1
	s_mov_b32 s1, 0
.LBB30_23:                              ; =>This Inner Loop Header: Depth=1
	scratch_load_b32 v71, v70, off
	ds_load_b32 v72, v69
	v_add_nc_u32_e32 v68, 1, v68
	v_add_nc_u32_e32 v69, 4, v69
	v_add_nc_u32_e32 v70, 4, v70
	s_delay_alu instid0(VALU_DEP_3)
	v_cmp_lt_u32_e32 vcc_lo, 2, v68
	s_or_b32 s1, vcc_lo, s1
	s_waitcnt vmcnt(0) lgkmcnt(0)
	v_fmac_f32_e32 v67, v71, v72
	s_and_not1_b32 exec_lo, exec_lo, s1
	s_cbranch_execnz .LBB30_23
; %bb.24:
	s_or_b32 exec_lo, exec_lo, s1
	v_mov_b32_e32 v68, 0
	ds_load_b32 v68, v68 offset:16
	s_waitcnt lgkmcnt(0)
	v_mul_f32_e32 v67, v67, v68
	scratch_store_b32 off, v67, off offset:16
.LBB30_25:
	s_or_b32 exec_lo, exec_lo, s0
	s_waitcnt_vscnt null, 0x0
	s_barrier
	buffer_gl0_inv
	scratch_load_b32 v67, off, off offset:20
	;; [unrolled: 39-line block ×21, first 2 shown]
	s_mov_b32 s0, exec_lo
	s_waitcnt vmcnt(0)
	ds_store_b32 v65, v67
	s_waitcnt lgkmcnt(0)
	s_barrier
	buffer_gl0_inv
	v_cmpx_gt_u32_e32 24, v0
	s_cbranch_execz .LBB30_105
; %bb.102:
	v_dual_mov_b32 v67, 0 :: v_dual_add_nc_u32 v68, -1, v0
	v_add_nc_u32_e32 v69, 0x80, v1
	v_add_nc_u32_e32 v70, 0, v1
	s_mov_b32 s1, 0
.LBB30_103:                             ; =>This Inner Loop Header: Depth=1
	scratch_load_b32 v71, v70, off
	ds_load_b32 v72, v69
	v_add_nc_u32_e32 v68, 1, v68
	v_add_nc_u32_e32 v69, 4, v69
	v_add_nc_u32_e32 v70, 4, v70
	s_delay_alu instid0(VALU_DEP_3)
	v_cmp_lt_u32_e32 vcc_lo, 22, v68
	s_or_b32 s1, vcc_lo, s1
	s_waitcnt vmcnt(0) lgkmcnt(0)
	v_fmac_f32_e32 v67, v71, v72
	s_and_not1_b32 exec_lo, exec_lo, s1
	s_cbranch_execnz .LBB30_103
; %bb.104:
	s_or_b32 exec_lo, exec_lo, s1
	v_mov_b32_e32 v68, 0
	ds_load_b32 v68, v68 offset:96
	s_waitcnt lgkmcnt(0)
	v_mul_f32_e32 v67, v67, v68
	scratch_store_b32 off, v67, off offset:96
.LBB30_105:
	s_or_b32 exec_lo, exec_lo, s0
	s_waitcnt_vscnt null, 0x0
	s_barrier
	buffer_gl0_inv
	scratch_load_b32 v67, off, off offset:100
	s_mov_b32 s0, exec_lo
	s_waitcnt vmcnt(0)
	ds_store_b32 v65, v67
	s_waitcnt lgkmcnt(0)
	s_barrier
	buffer_gl0_inv
	v_cmpx_gt_u32_e32 25, v0
	s_cbranch_execz .LBB30_109
; %bb.106:
	v_dual_mov_b32 v67, 0 :: v_dual_add_nc_u32 v68, -1, v0
	v_add_nc_u32_e32 v69, 0x80, v1
	v_add_nc_u32_e32 v70, 0, v1
	s_mov_b32 s1, 0
.LBB30_107:                             ; =>This Inner Loop Header: Depth=1
	scratch_load_b32 v71, v70, off
	ds_load_b32 v72, v69
	v_add_nc_u32_e32 v68, 1, v68
	v_add_nc_u32_e32 v69, 4, v69
	v_add_nc_u32_e32 v70, 4, v70
	s_delay_alu instid0(VALU_DEP_3)
	v_cmp_lt_u32_e32 vcc_lo, 23, v68
	s_or_b32 s1, vcc_lo, s1
	s_waitcnt vmcnt(0) lgkmcnt(0)
	v_fmac_f32_e32 v67, v71, v72
	s_and_not1_b32 exec_lo, exec_lo, s1
	s_cbranch_execnz .LBB30_107
; %bb.108:
	s_or_b32 exec_lo, exec_lo, s1
	v_mov_b32_e32 v68, 0
	ds_load_b32 v68, v68 offset:100
	s_waitcnt lgkmcnt(0)
	v_mul_f32_e32 v67, v67, v68
	scratch_store_b32 off, v67, off offset:100
.LBB30_109:
	s_or_b32 exec_lo, exec_lo, s0
	s_waitcnt_vscnt null, 0x0
	s_barrier
	buffer_gl0_inv
	scratch_load_b32 v67, off, off offset:104
	;; [unrolled: 39-line block ×5, first 2 shown]
	s_mov_b32 s0, exec_lo
	s_waitcnt vmcnt(0)
	ds_store_b32 v65, v67
	s_waitcnt lgkmcnt(0)
	s_barrier
	buffer_gl0_inv
	v_cmpx_gt_u32_e32 29, v0
	s_cbranch_execz .LBB30_125
; %bb.122:
	v_add_nc_u32_e32 v67, -1, v0
	v_add_nc_u32_e32 v68, 0x80, v1
	v_add_nc_u32_e32 v69, 0, v1
	v_mov_b32_e32 v1, 0
	s_mov_b32 s1, 0
.LBB30_123:                             ; =>This Inner Loop Header: Depth=1
	scratch_load_b32 v70, v69, off
	ds_load_b32 v71, v68
	v_add_nc_u32_e32 v67, 1, v67
	v_add_nc_u32_e32 v68, 4, v68
	;; [unrolled: 1-line block ×3, first 2 shown]
	s_delay_alu instid0(VALU_DEP_3)
	v_cmp_lt_u32_e32 vcc_lo, 27, v67
	s_or_b32 s1, vcc_lo, s1
	s_waitcnt vmcnt(0) lgkmcnt(0)
	v_fmac_f32_e32 v1, v70, v71
	s_and_not1_b32 exec_lo, exec_lo, s1
	s_cbranch_execnz .LBB30_123
; %bb.124:
	s_or_b32 exec_lo, exec_lo, s1
	v_mov_b32_e32 v67, 0
	ds_load_b32 v67, v67 offset:116
	s_waitcnt lgkmcnt(0)
	v_mul_f32_e32 v1, v1, v67
	scratch_store_b32 off, v1, off offset:116
.LBB30_125:
	s_or_b32 exec_lo, exec_lo, s0
	s_waitcnt_vscnt null, 0x0
	s_barrier
	buffer_gl0_inv
	scratch_load_b32 v1, off, off offset:120
	s_mov_b32 s0, exec_lo
	s_waitcnt vmcnt(0)
	ds_store_b32 v65, v1
	s_waitcnt lgkmcnt(0)
	s_barrier
	buffer_gl0_inv
	v_cmpx_ne_u32_e32 30, v0
	s_cbranch_execz .LBB30_129
; %bb.126:
	v_mov_b32_e32 v1, 0
	s_mov_b32 s1, 0
.LBB30_127:                             ; =>This Inner Loop Header: Depth=1
	scratch_load_b32 v67, v2, off
	ds_load_b32 v68, v65
	v_add_nc_u32_e32 v66, 1, v66
	v_add_nc_u32_e32 v65, 4, v65
	s_waitcnt vmcnt(0) lgkmcnt(0)
	v_dual_fmac_f32 v1, v67, v68 :: v_dual_add_nc_u32 v2, 4, v2
	s_delay_alu instid0(VALU_DEP_3) | instskip(SKIP_1) | instid1(SALU_CYCLE_1)
	v_cmp_lt_u32_e32 vcc_lo, 28, v66
	s_or_b32 s1, vcc_lo, s1
	s_and_not1_b32 exec_lo, exec_lo, s1
	s_cbranch_execnz .LBB30_127
; %bb.128:
	s_or_b32 exec_lo, exec_lo, s1
	v_mov_b32_e32 v2, 0
	ds_load_b32 v2, v2 offset:120
	s_waitcnt lgkmcnt(0)
	v_mul_f32_e32 v1, v1, v2
	scratch_store_b32 off, v1, off offset:120
.LBB30_129:
	s_or_b32 exec_lo, exec_lo, s0
	s_mov_b32 s1, -1
	s_waitcnt_vscnt null, 0x0
	s_barrier
	buffer_gl0_inv
.LBB30_130:
	s_and_b32 vcc_lo, exec_lo, s1
	s_cbranch_vccz .LBB30_132
; %bb.131:
	s_lshl_b64 s[0:1], s[14:15], 2
	v_mov_b32_e32 v1, 0
	s_add_u32 s0, s6, s0
	s_addc_u32 s1, s7, s1
	global_load_b32 v1, v1, s[0:1]
	s_waitcnt vmcnt(0)
	v_cmp_ne_u32_e32 vcc_lo, 0, v1
	s_cbranch_vccz .LBB30_133
.LBB30_132:
	s_endpgm
.LBB30_133:
	v_lshl_add_u32 v1, v0, 2, 0x80
	s_mov_b32 s0, exec_lo
	v_cmpx_eq_u32_e32 30, v0
	s_cbranch_execz .LBB30_135
; %bb.134:
	scratch_load_b32 v2, off, off offset:116
	v_mov_b32_e32 v65, 0
	scratch_store_b32 off, v65, off offset:116
	s_waitcnt vmcnt(0)
	ds_store_b32 v1, v2
.LBB30_135:
	s_or_b32 exec_lo, exec_lo, s0
	s_waitcnt lgkmcnt(0)
	s_waitcnt_vscnt null, 0x0
	s_barrier
	buffer_gl0_inv
	scratch_load_b64 v[65:66], off, off offset:116
	v_mov_b32_e32 v2, 0
	s_mov_b32 s0, exec_lo
	ds_load_b32 v67, v2 offset:248
	s_waitcnt vmcnt(0) lgkmcnt(0)
	v_fma_f32 v66, v66, v67, 0
	s_delay_alu instid0(VALU_DEP_1)
	v_sub_f32_e32 v65, v65, v66
	scratch_store_b32 off, v65, off offset:116
	v_cmpx_lt_u32_e32 28, v0
	s_cbranch_execz .LBB30_137
; %bb.136:
	scratch_load_b32 v65, off, off offset:112
	scratch_store_b32 off, v2, off offset:112
	s_waitcnt vmcnt(0)
	ds_store_b32 v1, v65
.LBB30_137:
	s_or_b32 exec_lo, exec_lo, s0
	s_waitcnt lgkmcnt(0)
	s_waitcnt_vscnt null, 0x0
	s_barrier
	buffer_gl0_inv
	scratch_load_b96 v[65:67], off, off offset:112
	ds_load_2addr_b32 v[68:69], v2 offset0:61 offset1:62
	s_mov_b32 s0, exec_lo
	s_waitcnt vmcnt(0) lgkmcnt(0)
	v_fma_f32 v2, v66, v68, 0
	s_delay_alu instid0(VALU_DEP_1) | instskip(NEXT) | instid1(VALU_DEP_1)
	v_fmac_f32_e32 v2, v67, v69
	v_sub_f32_e32 v2, v65, v2
	scratch_store_b32 off, v2, off offset:112
	v_cmpx_lt_u32_e32 27, v0
	s_cbranch_execz .LBB30_139
; %bb.138:
	scratch_load_b32 v2, off, off offset:108
	v_mov_b32_e32 v65, 0
	scratch_store_b32 off, v65, off offset:108
	s_waitcnt vmcnt(0)
	ds_store_b32 v1, v2
.LBB30_139:
	s_or_b32 exec_lo, exec_lo, s0
	s_waitcnt lgkmcnt(0)
	s_waitcnt_vscnt null, 0x0
	s_barrier
	buffer_gl0_inv
	scratch_load_b128 v[65:68], off, off offset:108
	v_mov_b32_e32 v2, 0
	s_mov_b32 s0, exec_lo
	ds_load_b96 v[69:71], v2 offset:240
	s_waitcnt vmcnt(0) lgkmcnt(0)
	v_fma_f32 v66, v66, v69, 0
	s_delay_alu instid0(VALU_DEP_1) | instskip(NEXT) | instid1(VALU_DEP_1)
	v_fmac_f32_e32 v66, v67, v70
	v_fmac_f32_e32 v66, v68, v71
	s_delay_alu instid0(VALU_DEP_1)
	v_sub_f32_e32 v65, v65, v66
	scratch_store_b32 off, v65, off offset:108
	v_cmpx_lt_u32_e32 26, v0
	s_cbranch_execz .LBB30_141
; %bb.140:
	scratch_load_b32 v65, off, off offset:104
	scratch_store_b32 off, v2, off offset:104
	s_waitcnt vmcnt(0)
	ds_store_b32 v1, v65
.LBB30_141:
	s_or_b32 exec_lo, exec_lo, s0
	s_waitcnt lgkmcnt(0)
	s_waitcnt_vscnt null, 0x0
	s_barrier
	buffer_gl0_inv
	s_clause 0x1
	scratch_load_b128 v[65:68], off, off offset:104
	scratch_load_b32 v73, off, off offset:120
	ds_load_2addr_b32 v[69:70], v2 offset0:59 offset1:60
	ds_load_2addr_b32 v[71:72], v2 offset0:61 offset1:62
	s_mov_b32 s0, exec_lo
	s_waitcnt vmcnt(1) lgkmcnt(1)
	v_fma_f32 v2, v66, v69, 0
	s_delay_alu instid0(VALU_DEP_1) | instskip(SKIP_1) | instid1(VALU_DEP_1)
	v_fmac_f32_e32 v2, v67, v70
	s_waitcnt lgkmcnt(0)
	v_fmac_f32_e32 v2, v68, v71
	s_waitcnt vmcnt(0)
	s_delay_alu instid0(VALU_DEP_1) | instskip(NEXT) | instid1(VALU_DEP_1)
	v_fmac_f32_e32 v2, v73, v72
	v_sub_f32_e32 v2, v65, v2
	scratch_store_b32 off, v2, off offset:104
	v_cmpx_lt_u32_e32 25, v0
	s_cbranch_execz .LBB30_143
; %bb.142:
	scratch_load_b32 v2, off, off offset:100
	v_mov_b32_e32 v65, 0
	scratch_store_b32 off, v65, off offset:100
	s_waitcnt vmcnt(0)
	ds_store_b32 v1, v2
.LBB30_143:
	s_or_b32 exec_lo, exec_lo, s0
	s_waitcnt lgkmcnt(0)
	s_waitcnt_vscnt null, 0x0
	s_barrier
	buffer_gl0_inv
	s_clause 0x1
	scratch_load_b128 v[65:68], off, off offset:100
	scratch_load_b64 v[73:74], off, off offset:116
	v_mov_b32_e32 v2, 0
	ds_load_2addr_b64 v[69:72], v2 offset0:29 offset1:30
	ds_load_b32 v75, v2 offset:248
	s_mov_b32 s0, exec_lo
	s_waitcnt vmcnt(1) lgkmcnt(1)
	v_fma_f32 v66, v66, v69, 0
	s_delay_alu instid0(VALU_DEP_1) | instskip(NEXT) | instid1(VALU_DEP_1)
	v_fmac_f32_e32 v66, v67, v70
	v_fmac_f32_e32 v66, v68, v71
	s_waitcnt vmcnt(0)
	s_delay_alu instid0(VALU_DEP_1) | instskip(SKIP_1) | instid1(VALU_DEP_1)
	v_fmac_f32_e32 v66, v73, v72
	s_waitcnt lgkmcnt(0)
	v_fmac_f32_e32 v66, v74, v75
	s_delay_alu instid0(VALU_DEP_1)
	v_sub_f32_e32 v65, v65, v66
	scratch_store_b32 off, v65, off offset:100
	v_cmpx_lt_u32_e32 24, v0
	s_cbranch_execz .LBB30_145
; %bb.144:
	scratch_load_b32 v65, off, off offset:96
	scratch_store_b32 off, v2, off offset:96
	s_waitcnt vmcnt(0)
	ds_store_b32 v1, v65
.LBB30_145:
	s_or_b32 exec_lo, exec_lo, s0
	s_waitcnt lgkmcnt(0)
	s_waitcnt_vscnt null, 0x0
	s_barrier
	buffer_gl0_inv
	s_clause 0x1
	scratch_load_b128 v[65:68], off, off offset:96
	scratch_load_b96 v[69:71], off, off offset:112
	ds_load_2addr_b32 v[72:73], v2 offset0:57 offset1:58
	ds_load_2addr_b32 v[74:75], v2 offset0:59 offset1:60
	;; [unrolled: 1-line block ×3, first 2 shown]
	s_mov_b32 s0, exec_lo
	s_waitcnt vmcnt(1) lgkmcnt(2)
	v_fma_f32 v2, v66, v72, 0
	s_delay_alu instid0(VALU_DEP_1) | instskip(SKIP_1) | instid1(VALU_DEP_1)
	v_fmac_f32_e32 v2, v67, v73
	s_waitcnt lgkmcnt(1)
	v_fmac_f32_e32 v2, v68, v74
	s_waitcnt vmcnt(0)
	s_delay_alu instid0(VALU_DEP_1) | instskip(SKIP_1) | instid1(VALU_DEP_1)
	v_fmac_f32_e32 v2, v69, v75
	s_waitcnt lgkmcnt(0)
	v_fmac_f32_e32 v2, v70, v76
	s_delay_alu instid0(VALU_DEP_1) | instskip(NEXT) | instid1(VALU_DEP_1)
	v_fmac_f32_e32 v2, v71, v77
	v_sub_f32_e32 v2, v65, v2
	scratch_store_b32 off, v2, off offset:96
	v_cmpx_lt_u32_e32 23, v0
	s_cbranch_execz .LBB30_147
; %bb.146:
	scratch_load_b32 v2, off, off offset:92
	v_mov_b32_e32 v65, 0
	scratch_store_b32 off, v65, off offset:92
	s_waitcnt vmcnt(0)
	ds_store_b32 v1, v2
.LBB30_147:
	s_or_b32 exec_lo, exec_lo, s0
	s_waitcnt lgkmcnt(0)
	s_waitcnt_vscnt null, 0x0
	s_barrier
	buffer_gl0_inv
	s_clause 0x1
	scratch_load_b128 v[65:68], off, off offset:92
	scratch_load_b128 v[69:72], off, off offset:108
	v_mov_b32_e32 v2, 0
	ds_load_b128 v[73:76], v2 offset:224
	ds_load_b96 v[77:79], v2 offset:240
	s_mov_b32 s0, exec_lo
	s_waitcnt vmcnt(1) lgkmcnt(1)
	v_fma_f32 v66, v66, v73, 0
	s_delay_alu instid0(VALU_DEP_1) | instskip(NEXT) | instid1(VALU_DEP_1)
	v_fmac_f32_e32 v66, v67, v74
	v_fmac_f32_e32 v66, v68, v75
	s_waitcnt vmcnt(0)
	s_delay_alu instid0(VALU_DEP_1) | instskip(SKIP_1) | instid1(VALU_DEP_1)
	v_fmac_f32_e32 v66, v69, v76
	s_waitcnt lgkmcnt(0)
	v_fmac_f32_e32 v66, v70, v77
	s_delay_alu instid0(VALU_DEP_1) | instskip(NEXT) | instid1(VALU_DEP_1)
	v_fmac_f32_e32 v66, v71, v78
	v_fmac_f32_e32 v66, v72, v79
	s_delay_alu instid0(VALU_DEP_1)
	v_sub_f32_e32 v65, v65, v66
	scratch_store_b32 off, v65, off offset:92
	v_cmpx_lt_u32_e32 22, v0
	s_cbranch_execz .LBB30_149
; %bb.148:
	scratch_load_b32 v65, off, off offset:88
	scratch_store_b32 off, v2, off offset:88
	s_waitcnt vmcnt(0)
	ds_store_b32 v1, v65
.LBB30_149:
	s_or_b32 exec_lo, exec_lo, s0
	s_waitcnt lgkmcnt(0)
	s_waitcnt_vscnt null, 0x0
	s_barrier
	buffer_gl0_inv
	s_clause 0x2
	scratch_load_b128 v[65:68], off, off offset:88
	scratch_load_b128 v[69:72], off, off offset:104
	scratch_load_b32 v81, off, off offset:120
	ds_load_2addr_b32 v[73:74], v2 offset0:55 offset1:56
	ds_load_2addr_b32 v[75:76], v2 offset0:57 offset1:58
	;; [unrolled: 1-line block ×4, first 2 shown]
	s_mov_b32 s0, exec_lo
	s_waitcnt vmcnt(2) lgkmcnt(3)
	v_fma_f32 v2, v66, v73, 0
	s_delay_alu instid0(VALU_DEP_1) | instskip(SKIP_1) | instid1(VALU_DEP_1)
	v_fmac_f32_e32 v2, v67, v74
	s_waitcnt lgkmcnt(2)
	v_fmac_f32_e32 v2, v68, v75
	s_waitcnt vmcnt(1)
	s_delay_alu instid0(VALU_DEP_1) | instskip(SKIP_1) | instid1(VALU_DEP_1)
	v_fmac_f32_e32 v2, v69, v76
	s_waitcnt lgkmcnt(1)
	v_fmac_f32_e32 v2, v70, v77
	s_delay_alu instid0(VALU_DEP_1) | instskip(SKIP_1) | instid1(VALU_DEP_1)
	v_fmac_f32_e32 v2, v71, v78
	s_waitcnt lgkmcnt(0)
	v_fmac_f32_e32 v2, v72, v79
	s_waitcnt vmcnt(0)
	s_delay_alu instid0(VALU_DEP_1) | instskip(NEXT) | instid1(VALU_DEP_1)
	v_fmac_f32_e32 v2, v81, v80
	v_sub_f32_e32 v2, v65, v2
	scratch_store_b32 off, v2, off offset:88
	v_cmpx_lt_u32_e32 21, v0
	s_cbranch_execz .LBB30_151
; %bb.150:
	scratch_load_b32 v2, off, off offset:84
	v_mov_b32_e32 v65, 0
	scratch_store_b32 off, v65, off offset:84
	s_waitcnt vmcnt(0)
	ds_store_b32 v1, v2
.LBB30_151:
	s_or_b32 exec_lo, exec_lo, s0
	s_waitcnt lgkmcnt(0)
	s_waitcnt_vscnt null, 0x0
	s_barrier
	buffer_gl0_inv
	s_clause 0x2
	scratch_load_b128 v[65:68], off, off offset:84
	scratch_load_b128 v[69:72], off, off offset:100
	scratch_load_b64 v[81:82], off, off offset:116
	v_mov_b32_e32 v2, 0
	ds_load_2addr_b64 v[73:76], v2 offset0:27 offset1:28
	ds_load_2addr_b64 v[77:80], v2 offset0:29 offset1:30
	s_mov_b32 s0, exec_lo
	s_waitcnt vmcnt(2) lgkmcnt(1)
	v_fma_f32 v66, v66, v73, 0
	s_delay_alu instid0(VALU_DEP_1) | instskip(SKIP_3) | instid1(VALU_DEP_1)
	v_fmac_f32_e32 v66, v67, v74
	ds_load_b32 v67, v2 offset:248
	v_fmac_f32_e32 v66, v68, v75
	s_waitcnt vmcnt(1)
	v_fmac_f32_e32 v66, v69, v76
	s_waitcnt lgkmcnt(1)
	s_delay_alu instid0(VALU_DEP_1) | instskip(NEXT) | instid1(VALU_DEP_1)
	v_fmac_f32_e32 v66, v70, v77
	v_fmac_f32_e32 v66, v71, v78
	s_delay_alu instid0(VALU_DEP_1) | instskip(SKIP_1) | instid1(VALU_DEP_1)
	v_fmac_f32_e32 v66, v72, v79
	s_waitcnt vmcnt(0)
	v_fmac_f32_e32 v66, v81, v80
	s_waitcnt lgkmcnt(0)
	s_delay_alu instid0(VALU_DEP_1) | instskip(NEXT) | instid1(VALU_DEP_1)
	v_fmac_f32_e32 v66, v82, v67
	v_sub_f32_e32 v65, v65, v66
	scratch_store_b32 off, v65, off offset:84
	v_cmpx_lt_u32_e32 20, v0
	s_cbranch_execz .LBB30_153
; %bb.152:
	scratch_load_b32 v65, off, off offset:80
	scratch_store_b32 off, v2, off offset:80
	s_waitcnt vmcnt(0)
	ds_store_b32 v1, v65
.LBB30_153:
	s_or_b32 exec_lo, exec_lo, s0
	s_waitcnt lgkmcnt(0)
	s_waitcnt_vscnt null, 0x0
	s_barrier
	buffer_gl0_inv
	s_clause 0x2
	scratch_load_b128 v[65:68], off, off offset:80
	scratch_load_b128 v[69:72], off, off offset:96
	scratch_load_b96 v[73:75], off, off offset:112
	ds_load_2addr_b32 v[76:77], v2 offset0:53 offset1:54
	ds_load_2addr_b32 v[78:79], v2 offset0:55 offset1:56
	;; [unrolled: 1-line block ×4, first 2 shown]
	s_mov_b32 s0, exec_lo
	s_waitcnt vmcnt(2) lgkmcnt(3)
	v_fma_f32 v76, v66, v76, 0
	s_delay_alu instid0(VALU_DEP_1) | instskip(SKIP_4) | instid1(VALU_DEP_1)
	v_fmac_f32_e32 v76, v67, v77
	ds_load_2addr_b32 v[66:67], v2 offset0:61 offset1:62
	s_waitcnt lgkmcnt(3)
	v_fmac_f32_e32 v76, v68, v78
	s_waitcnt vmcnt(1)
	v_fmac_f32_e32 v76, v69, v79
	s_waitcnt lgkmcnt(2)
	s_delay_alu instid0(VALU_DEP_1) | instskip(NEXT) | instid1(VALU_DEP_1)
	v_fmac_f32_e32 v76, v70, v80
	v_fmac_f32_e32 v76, v71, v81
	s_waitcnt lgkmcnt(1)
	s_delay_alu instid0(VALU_DEP_1) | instskip(SKIP_1) | instid1(VALU_DEP_1)
	v_fmac_f32_e32 v76, v72, v82
	s_waitcnt vmcnt(0)
	v_fmac_f32_e32 v76, v73, v83
	s_waitcnt lgkmcnt(0)
	s_delay_alu instid0(VALU_DEP_1) | instskip(NEXT) | instid1(VALU_DEP_1)
	v_fmac_f32_e32 v76, v74, v66
	v_fmac_f32_e32 v76, v75, v67
	s_delay_alu instid0(VALU_DEP_1)
	v_sub_f32_e32 v2, v65, v76
	scratch_store_b32 off, v2, off offset:80
	v_cmpx_lt_u32_e32 19, v0
	s_cbranch_execz .LBB30_155
; %bb.154:
	scratch_load_b32 v2, off, off offset:76
	v_mov_b32_e32 v65, 0
	scratch_store_b32 off, v65, off offset:76
	s_waitcnt vmcnt(0)
	ds_store_b32 v1, v2
.LBB30_155:
	s_or_b32 exec_lo, exec_lo, s0
	s_waitcnt lgkmcnt(0)
	s_waitcnt_vscnt null, 0x0
	s_barrier
	buffer_gl0_inv
	s_clause 0x2
	scratch_load_b128 v[65:68], off, off offset:76
	scratch_load_b128 v[69:72], off, off offset:92
	;; [unrolled: 1-line block ×3, first 2 shown]
	v_mov_b32_e32 v2, 0
	ds_load_b128 v[77:80], v2 offset:208
	ds_load_b128 v[81:84], v2 offset:224
	s_mov_b32 s0, exec_lo
	s_waitcnt vmcnt(2) lgkmcnt(1)
	v_fma_f32 v77, v66, v77, 0
	s_delay_alu instid0(VALU_DEP_1) | instskip(NEXT) | instid1(VALU_DEP_1)
	v_fmac_f32_e32 v77, v67, v78
	v_fmac_f32_e32 v77, v68, v79
	ds_load_b96 v[66:68], v2 offset:240
	s_waitcnt vmcnt(1)
	v_fmac_f32_e32 v77, v69, v80
	s_waitcnt lgkmcnt(1)
	s_delay_alu instid0(VALU_DEP_1) | instskip(NEXT) | instid1(VALU_DEP_1)
	v_fmac_f32_e32 v77, v70, v81
	v_fmac_f32_e32 v77, v71, v82
	s_delay_alu instid0(VALU_DEP_1) | instskip(SKIP_1) | instid1(VALU_DEP_1)
	v_fmac_f32_e32 v77, v72, v83
	s_waitcnt vmcnt(0)
	v_fmac_f32_e32 v77, v73, v84
	s_waitcnt lgkmcnt(0)
	s_delay_alu instid0(VALU_DEP_1) | instskip(NEXT) | instid1(VALU_DEP_1)
	v_fmac_f32_e32 v77, v74, v66
	v_fmac_f32_e32 v77, v75, v67
	s_delay_alu instid0(VALU_DEP_1) | instskip(NEXT) | instid1(VALU_DEP_1)
	v_fmac_f32_e32 v77, v76, v68
	v_sub_f32_e32 v65, v65, v77
	scratch_store_b32 off, v65, off offset:76
	v_cmpx_lt_u32_e32 18, v0
	s_cbranch_execz .LBB30_157
; %bb.156:
	scratch_load_b32 v65, off, off offset:72
	scratch_store_b32 off, v2, off offset:72
	s_waitcnt vmcnt(0)
	ds_store_b32 v1, v65
.LBB30_157:
	s_or_b32 exec_lo, exec_lo, s0
	s_waitcnt lgkmcnt(0)
	s_waitcnt_vscnt null, 0x0
	s_barrier
	buffer_gl0_inv
	s_clause 0x3
	scratch_load_b128 v[65:68], off, off offset:72
	scratch_load_b128 v[69:72], off, off offset:88
	;; [unrolled: 1-line block ×3, first 2 shown]
	scratch_load_b32 v85, off, off offset:120
	ds_load_2addr_b32 v[77:78], v2 offset0:51 offset1:52
	ds_load_2addr_b32 v[79:80], v2 offset0:53 offset1:54
	;; [unrolled: 1-line block ×4, first 2 shown]
	s_mov_b32 s0, exec_lo
	s_waitcnt vmcnt(3) lgkmcnt(3)
	v_fma_f32 v77, v66, v77, 0
	s_delay_alu instid0(VALU_DEP_1) | instskip(SKIP_4) | instid1(VALU_DEP_1)
	v_fmac_f32_e32 v77, v67, v78
	ds_load_2addr_b32 v[66:67], v2 offset0:59 offset1:60
	s_waitcnt lgkmcnt(3)
	v_fmac_f32_e32 v77, v68, v79
	s_waitcnt vmcnt(2)
	v_fmac_f32_e32 v77, v69, v80
	ds_load_2addr_b32 v[68:69], v2 offset0:61 offset1:62
	s_waitcnt lgkmcnt(3)
	v_fmac_f32_e32 v77, v70, v81
	s_delay_alu instid0(VALU_DEP_1) | instskip(SKIP_1) | instid1(VALU_DEP_1)
	v_fmac_f32_e32 v77, v71, v82
	s_waitcnt lgkmcnt(2)
	v_fmac_f32_e32 v77, v72, v83
	s_waitcnt vmcnt(1)
	s_delay_alu instid0(VALU_DEP_1) | instskip(SKIP_1) | instid1(VALU_DEP_1)
	v_fmac_f32_e32 v77, v73, v84
	s_waitcnt lgkmcnt(1)
	v_fmac_f32_e32 v77, v74, v66
	s_delay_alu instid0(VALU_DEP_1) | instskip(SKIP_1) | instid1(VALU_DEP_1)
	v_fmac_f32_e32 v77, v75, v67
	s_waitcnt lgkmcnt(0)
	v_fmac_f32_e32 v77, v76, v68
	s_waitcnt vmcnt(0)
	s_delay_alu instid0(VALU_DEP_1) | instskip(NEXT) | instid1(VALU_DEP_1)
	v_fmac_f32_e32 v77, v85, v69
	v_sub_f32_e32 v2, v65, v77
	scratch_store_b32 off, v2, off offset:72
	v_cmpx_lt_u32_e32 17, v0
	s_cbranch_execz .LBB30_159
; %bb.158:
	scratch_load_b32 v2, off, off offset:68
	v_mov_b32_e32 v65, 0
	scratch_store_b32 off, v65, off offset:68
	s_waitcnt vmcnt(0)
	ds_store_b32 v1, v2
.LBB30_159:
	s_or_b32 exec_lo, exec_lo, s0
	s_waitcnt lgkmcnt(0)
	s_waitcnt_vscnt null, 0x0
	s_barrier
	buffer_gl0_inv
	s_clause 0x3
	scratch_load_b128 v[65:68], off, off offset:68
	scratch_load_b128 v[69:72], off, off offset:84
	;; [unrolled: 1-line block ×3, first 2 shown]
	scratch_load_b64 v[85:86], off, off offset:116
	v_mov_b32_e32 v2, 0
	ds_load_2addr_b64 v[77:80], v2 offset0:25 offset1:26
	ds_load_2addr_b64 v[81:84], v2 offset0:27 offset1:28
	s_mov_b32 s0, exec_lo
	s_waitcnt vmcnt(3) lgkmcnt(1)
	v_fma_f32 v77, v66, v77, 0
	s_delay_alu instid0(VALU_DEP_1) | instskip(NEXT) | instid1(VALU_DEP_1)
	v_fmac_f32_e32 v77, v67, v78
	v_fmac_f32_e32 v77, v68, v79
	s_waitcnt vmcnt(2)
	s_delay_alu instid0(VALU_DEP_1)
	v_fmac_f32_e32 v77, v69, v80
	ds_load_2addr_b64 v[66:69], v2 offset0:29 offset1:30
	s_waitcnt lgkmcnt(1)
	v_fmac_f32_e32 v77, v70, v81
	ds_load_b32 v70, v2 offset:248
	v_fmac_f32_e32 v77, v71, v82
	s_delay_alu instid0(VALU_DEP_1) | instskip(SKIP_1) | instid1(VALU_DEP_1)
	v_fmac_f32_e32 v77, v72, v83
	s_waitcnt vmcnt(1)
	v_fmac_f32_e32 v77, v73, v84
	s_waitcnt lgkmcnt(1)
	s_delay_alu instid0(VALU_DEP_1) | instskip(NEXT) | instid1(VALU_DEP_1)
	v_fmac_f32_e32 v77, v74, v66
	v_fmac_f32_e32 v77, v75, v67
	s_delay_alu instid0(VALU_DEP_1) | instskip(SKIP_1) | instid1(VALU_DEP_1)
	v_fmac_f32_e32 v77, v76, v68
	s_waitcnt vmcnt(0)
	v_fmac_f32_e32 v77, v85, v69
	s_waitcnt lgkmcnt(0)
	s_delay_alu instid0(VALU_DEP_1) | instskip(NEXT) | instid1(VALU_DEP_1)
	v_fmac_f32_e32 v77, v86, v70
	v_sub_f32_e32 v65, v65, v77
	scratch_store_b32 off, v65, off offset:68
	v_cmpx_lt_u32_e32 16, v0
	s_cbranch_execz .LBB30_161
; %bb.160:
	scratch_load_b32 v65, off, off offset:64
	scratch_store_b32 off, v2, off offset:64
	s_waitcnt vmcnt(0)
	ds_store_b32 v1, v65
.LBB30_161:
	s_or_b32 exec_lo, exec_lo, s0
	s_waitcnt lgkmcnt(0)
	s_waitcnt_vscnt null, 0x0
	s_barrier
	buffer_gl0_inv
	s_clause 0x3
	scratch_load_b128 v[65:68], off, off offset:64
	scratch_load_b128 v[69:72], off, off offset:80
	scratch_load_b128 v[73:76], off, off offset:96
	scratch_load_b96 v[77:79], off, off offset:112
	ds_load_2addr_b32 v[80:81], v2 offset0:49 offset1:50
	ds_load_2addr_b32 v[82:83], v2 offset0:51 offset1:52
	;; [unrolled: 1-line block ×4, first 2 shown]
	s_mov_b32 s0, exec_lo
	s_waitcnt vmcnt(3) lgkmcnt(3)
	v_fma_f32 v80, v66, v80, 0
	s_delay_alu instid0(VALU_DEP_1) | instskip(SKIP_4) | instid1(VALU_DEP_1)
	v_fmac_f32_e32 v80, v67, v81
	ds_load_2addr_b32 v[66:67], v2 offset0:57 offset1:58
	s_waitcnt lgkmcnt(3)
	v_fmac_f32_e32 v80, v68, v82
	s_waitcnt vmcnt(2)
	v_fmac_f32_e32 v80, v69, v83
	ds_load_2addr_b32 v[68:69], v2 offset0:59 offset1:60
	s_waitcnt lgkmcnt(3)
	v_fmac_f32_e32 v80, v70, v84
	s_delay_alu instid0(VALU_DEP_1) | instskip(SKIP_4) | instid1(VALU_DEP_1)
	v_fmac_f32_e32 v80, v71, v85
	ds_load_2addr_b32 v[70:71], v2 offset0:61 offset1:62
	s_waitcnt lgkmcnt(3)
	v_fmac_f32_e32 v80, v72, v86
	s_waitcnt vmcnt(1)
	v_fmac_f32_e32 v80, v73, v87
	s_waitcnt lgkmcnt(2)
	s_delay_alu instid0(VALU_DEP_1) | instskip(NEXT) | instid1(VALU_DEP_1)
	v_fmac_f32_e32 v80, v74, v66
	v_fmac_f32_e32 v80, v75, v67
	s_waitcnt lgkmcnt(1)
	s_delay_alu instid0(VALU_DEP_1) | instskip(SKIP_1) | instid1(VALU_DEP_1)
	v_fmac_f32_e32 v80, v76, v68
	s_waitcnt vmcnt(0)
	v_fmac_f32_e32 v80, v77, v69
	s_waitcnt lgkmcnt(0)
	s_delay_alu instid0(VALU_DEP_1) | instskip(NEXT) | instid1(VALU_DEP_1)
	v_fmac_f32_e32 v80, v78, v70
	v_fmac_f32_e32 v80, v79, v71
	s_delay_alu instid0(VALU_DEP_1)
	v_sub_f32_e32 v2, v65, v80
	scratch_store_b32 off, v2, off offset:64
	v_cmpx_lt_u32_e32 15, v0
	s_cbranch_execz .LBB30_163
; %bb.162:
	scratch_load_b32 v2, off, off offset:60
	v_mov_b32_e32 v65, 0
	scratch_store_b32 off, v65, off offset:60
	s_waitcnt vmcnt(0)
	ds_store_b32 v1, v2
.LBB30_163:
	s_or_b32 exec_lo, exec_lo, s0
	s_waitcnt lgkmcnt(0)
	s_waitcnt_vscnt null, 0x0
	s_barrier
	buffer_gl0_inv
	s_clause 0x3
	scratch_load_b128 v[65:68], off, off offset:60
	scratch_load_b128 v[69:72], off, off offset:76
	;; [unrolled: 1-line block ×4, first 2 shown]
	v_mov_b32_e32 v2, 0
	ds_load_b128 v[81:84], v2 offset:192
	ds_load_b128 v[85:88], v2 offset:208
	s_mov_b32 s0, exec_lo
	s_waitcnt vmcnt(3) lgkmcnt(1)
	v_fma_f32 v81, v66, v81, 0
	s_delay_alu instid0(VALU_DEP_1) | instskip(NEXT) | instid1(VALU_DEP_1)
	v_fmac_f32_e32 v81, v67, v82
	v_fmac_f32_e32 v81, v68, v83
	s_waitcnt vmcnt(2)
	s_delay_alu instid0(VALU_DEP_1) | instskip(SKIP_3) | instid1(VALU_DEP_1)
	v_fmac_f32_e32 v81, v69, v84
	ds_load_b128 v[66:69], v2 offset:224
	s_waitcnt lgkmcnt(1)
	v_fmac_f32_e32 v81, v70, v85
	v_fmac_f32_e32 v81, v71, v86
	s_delay_alu instid0(VALU_DEP_1) | instskip(SKIP_4) | instid1(VALU_DEP_1)
	v_fmac_f32_e32 v81, v72, v87
	ds_load_b96 v[70:72], v2 offset:240
	s_waitcnt vmcnt(1)
	v_fmac_f32_e32 v81, v73, v88
	s_waitcnt lgkmcnt(1)
	v_fmac_f32_e32 v81, v74, v66
	s_delay_alu instid0(VALU_DEP_1) | instskip(NEXT) | instid1(VALU_DEP_1)
	v_fmac_f32_e32 v81, v75, v67
	v_fmac_f32_e32 v81, v76, v68
	s_waitcnt vmcnt(0)
	s_delay_alu instid0(VALU_DEP_1) | instskip(SKIP_1) | instid1(VALU_DEP_1)
	v_fmac_f32_e32 v81, v77, v69
	s_waitcnt lgkmcnt(0)
	v_fmac_f32_e32 v81, v78, v70
	s_delay_alu instid0(VALU_DEP_1) | instskip(NEXT) | instid1(VALU_DEP_1)
	v_fmac_f32_e32 v81, v79, v71
	v_fmac_f32_e32 v81, v80, v72
	s_delay_alu instid0(VALU_DEP_1)
	v_sub_f32_e32 v65, v65, v81
	scratch_store_b32 off, v65, off offset:60
	v_cmpx_lt_u32_e32 14, v0
	s_cbranch_execz .LBB30_165
; %bb.164:
	scratch_load_b32 v65, off, off offset:56
	scratch_store_b32 off, v2, off offset:56
	s_waitcnt vmcnt(0)
	ds_store_b32 v1, v65
.LBB30_165:
	s_or_b32 exec_lo, exec_lo, s0
	s_waitcnt lgkmcnt(0)
	s_waitcnt_vscnt null, 0x0
	s_barrier
	buffer_gl0_inv
	s_clause 0x4
	scratch_load_b128 v[65:68], off, off offset:56
	scratch_load_b128 v[69:72], off, off offset:72
	;; [unrolled: 1-line block ×4, first 2 shown]
	scratch_load_b32 v89, off, off offset:120
	ds_load_2addr_b32 v[81:82], v2 offset0:47 offset1:48
	ds_load_2addr_b32 v[83:84], v2 offset0:49 offset1:50
	;; [unrolled: 1-line block ×4, first 2 shown]
	s_mov_b32 s0, exec_lo
	s_waitcnt vmcnt(4) lgkmcnt(3)
	v_fma_f32 v81, v66, v81, 0
	s_delay_alu instid0(VALU_DEP_1) | instskip(SKIP_4) | instid1(VALU_DEP_1)
	v_fmac_f32_e32 v81, v67, v82
	ds_load_2addr_b32 v[66:67], v2 offset0:55 offset1:56
	s_waitcnt lgkmcnt(3)
	v_fmac_f32_e32 v81, v68, v83
	s_waitcnt vmcnt(3)
	v_fmac_f32_e32 v81, v69, v84
	ds_load_2addr_b32 v[68:69], v2 offset0:57 offset1:58
	s_waitcnt lgkmcnt(3)
	v_fmac_f32_e32 v81, v70, v85
	s_delay_alu instid0(VALU_DEP_1) | instskip(SKIP_1) | instid1(VALU_DEP_1)
	v_fmac_f32_e32 v81, v71, v86
	s_waitcnt lgkmcnt(2)
	v_fmac_f32_e32 v81, v72, v87
	s_waitcnt vmcnt(2)
	s_delay_alu instid0(VALU_DEP_1) | instskip(SKIP_4) | instid1(VALU_DEP_1)
	v_fmac_f32_e32 v81, v73, v88
	ds_load_2addr_b32 v[70:71], v2 offset0:59 offset1:60
	ds_load_2addr_b32 v[72:73], v2 offset0:61 offset1:62
	s_waitcnt lgkmcnt(3)
	v_fmac_f32_e32 v81, v74, v66
	v_fmac_f32_e32 v81, v75, v67
	s_waitcnt lgkmcnt(2)
	s_delay_alu instid0(VALU_DEP_1) | instskip(SKIP_1) | instid1(VALU_DEP_1)
	v_fmac_f32_e32 v81, v76, v68
	s_waitcnt vmcnt(1)
	v_fmac_f32_e32 v81, v77, v69
	s_waitcnt lgkmcnt(1)
	s_delay_alu instid0(VALU_DEP_1) | instskip(NEXT) | instid1(VALU_DEP_1)
	v_fmac_f32_e32 v81, v78, v70
	v_fmac_f32_e32 v81, v79, v71
	s_waitcnt lgkmcnt(0)
	s_delay_alu instid0(VALU_DEP_1) | instskip(SKIP_1) | instid1(VALU_DEP_1)
	v_fmac_f32_e32 v81, v80, v72
	s_waitcnt vmcnt(0)
	v_fmac_f32_e32 v81, v89, v73
	s_delay_alu instid0(VALU_DEP_1)
	v_sub_f32_e32 v2, v65, v81
	scratch_store_b32 off, v2, off offset:56
	v_cmpx_lt_u32_e32 13, v0
	s_cbranch_execz .LBB30_167
; %bb.166:
	scratch_load_b32 v2, off, off offset:52
	v_mov_b32_e32 v65, 0
	scratch_store_b32 off, v65, off offset:52
	s_waitcnt vmcnt(0)
	ds_store_b32 v1, v2
.LBB30_167:
	s_or_b32 exec_lo, exec_lo, s0
	s_waitcnt lgkmcnt(0)
	s_waitcnt_vscnt null, 0x0
	s_barrier
	buffer_gl0_inv
	s_clause 0x4
	scratch_load_b128 v[65:68], off, off offset:52
	scratch_load_b128 v[69:72], off, off offset:68
	;; [unrolled: 1-line block ×4, first 2 shown]
	scratch_load_b64 v[89:90], off, off offset:116
	v_mov_b32_e32 v2, 0
	ds_load_2addr_b64 v[81:84], v2 offset0:23 offset1:24
	ds_load_2addr_b64 v[85:88], v2 offset0:25 offset1:26
	s_mov_b32 s0, exec_lo
	s_waitcnt vmcnt(4) lgkmcnt(1)
	v_fma_f32 v81, v66, v81, 0
	s_delay_alu instid0(VALU_DEP_1) | instskip(NEXT) | instid1(VALU_DEP_1)
	v_fmac_f32_e32 v81, v67, v82
	v_fmac_f32_e32 v81, v68, v83
	s_waitcnt vmcnt(3)
	s_delay_alu instid0(VALU_DEP_1) | instskip(SKIP_3) | instid1(VALU_DEP_1)
	v_fmac_f32_e32 v81, v69, v84
	ds_load_2addr_b64 v[66:69], v2 offset0:27 offset1:28
	s_waitcnt lgkmcnt(1)
	v_fmac_f32_e32 v81, v70, v85
	v_fmac_f32_e32 v81, v71, v86
	s_delay_alu instid0(VALU_DEP_1) | instskip(SKIP_1) | instid1(VALU_DEP_1)
	v_fmac_f32_e32 v81, v72, v87
	s_waitcnt vmcnt(2)
	v_fmac_f32_e32 v81, v73, v88
	ds_load_2addr_b64 v[70:73], v2 offset0:29 offset1:30
	s_waitcnt lgkmcnt(1)
	v_fmac_f32_e32 v81, v74, v66
	ds_load_b32 v66, v2 offset:248
	v_fmac_f32_e32 v81, v75, v67
	s_delay_alu instid0(VALU_DEP_1) | instskip(SKIP_1) | instid1(VALU_DEP_1)
	v_fmac_f32_e32 v81, v76, v68
	s_waitcnt vmcnt(1)
	v_fmac_f32_e32 v81, v77, v69
	s_waitcnt lgkmcnt(1)
	s_delay_alu instid0(VALU_DEP_1) | instskip(NEXT) | instid1(VALU_DEP_1)
	v_fmac_f32_e32 v81, v78, v70
	v_fmac_f32_e32 v81, v79, v71
	s_delay_alu instid0(VALU_DEP_1) | instskip(SKIP_1) | instid1(VALU_DEP_1)
	v_fmac_f32_e32 v81, v80, v72
	s_waitcnt vmcnt(0)
	v_fmac_f32_e32 v81, v89, v73
	s_waitcnt lgkmcnt(0)
	s_delay_alu instid0(VALU_DEP_1) | instskip(NEXT) | instid1(VALU_DEP_1)
	v_fmac_f32_e32 v81, v90, v66
	v_sub_f32_e32 v65, v65, v81
	scratch_store_b32 off, v65, off offset:52
	v_cmpx_lt_u32_e32 12, v0
	s_cbranch_execz .LBB30_169
; %bb.168:
	scratch_load_b32 v65, off, off offset:48
	scratch_store_b32 off, v2, off offset:48
	s_waitcnt vmcnt(0)
	ds_store_b32 v1, v65
.LBB30_169:
	s_or_b32 exec_lo, exec_lo, s0
	s_waitcnt lgkmcnt(0)
	s_waitcnt_vscnt null, 0x0
	s_barrier
	buffer_gl0_inv
	s_clause 0x4
	scratch_load_b128 v[65:68], off, off offset:48
	scratch_load_b128 v[69:72], off, off offset:64
	;; [unrolled: 1-line block ×4, first 2 shown]
	scratch_load_b96 v[81:83], off, off offset:112
	ds_load_2addr_b32 v[84:85], v2 offset0:45 offset1:46
	ds_load_2addr_b32 v[86:87], v2 offset0:47 offset1:48
	;; [unrolled: 1-line block ×4, first 2 shown]
	s_mov_b32 s0, exec_lo
	s_waitcnt vmcnt(4) lgkmcnt(3)
	v_fma_f32 v84, v66, v84, 0
	s_delay_alu instid0(VALU_DEP_1) | instskip(SKIP_4) | instid1(VALU_DEP_1)
	v_fmac_f32_e32 v84, v67, v85
	ds_load_2addr_b32 v[66:67], v2 offset0:53 offset1:54
	s_waitcnt lgkmcnt(3)
	v_fmac_f32_e32 v84, v68, v86
	s_waitcnt vmcnt(3)
	v_fmac_f32_e32 v84, v69, v87
	ds_load_2addr_b32 v[68:69], v2 offset0:55 offset1:56
	s_waitcnt lgkmcnt(3)
	v_fmac_f32_e32 v84, v70, v88
	s_delay_alu instid0(VALU_DEP_1) | instskip(SKIP_1) | instid1(VALU_DEP_1)
	v_fmac_f32_e32 v84, v71, v89
	s_waitcnt lgkmcnt(2)
	v_fmac_f32_e32 v84, v72, v90
	s_waitcnt vmcnt(2)
	s_delay_alu instid0(VALU_DEP_1) | instskip(SKIP_4) | instid1(VALU_DEP_1)
	v_fmac_f32_e32 v84, v73, v91
	ds_load_2addr_b32 v[70:71], v2 offset0:57 offset1:58
	ds_load_2addr_b32 v[72:73], v2 offset0:59 offset1:60
	s_waitcnt lgkmcnt(3)
	v_fmac_f32_e32 v84, v74, v66
	v_fmac_f32_e32 v84, v75, v67
	ds_load_2addr_b32 v[66:67], v2 offset0:61 offset1:62
	s_waitcnt lgkmcnt(3)
	v_fmac_f32_e32 v84, v76, v68
	s_waitcnt vmcnt(1)
	s_delay_alu instid0(VALU_DEP_1) | instskip(SKIP_1) | instid1(VALU_DEP_1)
	v_fmac_f32_e32 v84, v77, v69
	s_waitcnt lgkmcnt(2)
	v_fmac_f32_e32 v84, v78, v70
	s_delay_alu instid0(VALU_DEP_1) | instskip(SKIP_1) | instid1(VALU_DEP_1)
	v_fmac_f32_e32 v84, v79, v71
	s_waitcnt lgkmcnt(1)
	v_fmac_f32_e32 v84, v80, v72
	s_waitcnt vmcnt(0)
	s_delay_alu instid0(VALU_DEP_1) | instskip(SKIP_1) | instid1(VALU_DEP_1)
	v_fmac_f32_e32 v84, v81, v73
	s_waitcnt lgkmcnt(0)
	v_fmac_f32_e32 v84, v82, v66
	s_delay_alu instid0(VALU_DEP_1) | instskip(NEXT) | instid1(VALU_DEP_1)
	v_fmac_f32_e32 v84, v83, v67
	v_sub_f32_e32 v2, v65, v84
	scratch_store_b32 off, v2, off offset:48
	v_cmpx_lt_u32_e32 11, v0
	s_cbranch_execz .LBB30_171
; %bb.170:
	scratch_load_b32 v2, off, off offset:44
	v_mov_b32_e32 v65, 0
	scratch_store_b32 off, v65, off offset:44
	s_waitcnt vmcnt(0)
	ds_store_b32 v1, v2
.LBB30_171:
	s_or_b32 exec_lo, exec_lo, s0
	s_waitcnt lgkmcnt(0)
	s_waitcnt_vscnt null, 0x0
	s_barrier
	buffer_gl0_inv
	s_clause 0x4
	scratch_load_b128 v[65:68], off, off offset:44
	scratch_load_b128 v[69:72], off, off offset:60
	;; [unrolled: 1-line block ×5, first 2 shown]
	v_mov_b32_e32 v2, 0
	ds_load_b128 v[85:88], v2 offset:176
	ds_load_b128 v[89:92], v2 offset:192
	s_mov_b32 s0, exec_lo
	s_waitcnt vmcnt(4) lgkmcnt(1)
	v_fma_f32 v85, v66, v85, 0
	s_delay_alu instid0(VALU_DEP_1) | instskip(NEXT) | instid1(VALU_DEP_1)
	v_fmac_f32_e32 v85, v67, v86
	v_fmac_f32_e32 v85, v68, v87
	s_waitcnt vmcnt(3)
	s_delay_alu instid0(VALU_DEP_1) | instskip(SKIP_3) | instid1(VALU_DEP_1)
	v_fmac_f32_e32 v85, v69, v88
	ds_load_b128 v[66:69], v2 offset:208
	s_waitcnt lgkmcnt(1)
	v_fmac_f32_e32 v85, v70, v89
	v_fmac_f32_e32 v85, v71, v90
	s_delay_alu instid0(VALU_DEP_1) | instskip(SKIP_1) | instid1(VALU_DEP_1)
	v_fmac_f32_e32 v85, v72, v91
	s_waitcnt vmcnt(2)
	v_fmac_f32_e32 v85, v73, v92
	ds_load_b128 v[70:73], v2 offset:224
	s_waitcnt lgkmcnt(1)
	v_fmac_f32_e32 v85, v74, v66
	s_delay_alu instid0(VALU_DEP_1) | instskip(NEXT) | instid1(VALU_DEP_1)
	v_fmac_f32_e32 v85, v75, v67
	v_fmac_f32_e32 v85, v76, v68
	ds_load_b96 v[66:68], v2 offset:240
	s_waitcnt vmcnt(1)
	v_fmac_f32_e32 v85, v77, v69
	s_waitcnt lgkmcnt(1)
	s_delay_alu instid0(VALU_DEP_1) | instskip(NEXT) | instid1(VALU_DEP_1)
	v_fmac_f32_e32 v85, v78, v70
	v_fmac_f32_e32 v85, v79, v71
	s_delay_alu instid0(VALU_DEP_1) | instskip(SKIP_1) | instid1(VALU_DEP_1)
	v_fmac_f32_e32 v85, v80, v72
	s_waitcnt vmcnt(0)
	v_fmac_f32_e32 v85, v81, v73
	s_waitcnt lgkmcnt(0)
	s_delay_alu instid0(VALU_DEP_1) | instskip(NEXT) | instid1(VALU_DEP_1)
	v_fmac_f32_e32 v85, v82, v66
	v_fmac_f32_e32 v85, v83, v67
	s_delay_alu instid0(VALU_DEP_1) | instskip(NEXT) | instid1(VALU_DEP_1)
	v_fmac_f32_e32 v85, v84, v68
	v_sub_f32_e32 v65, v65, v85
	scratch_store_b32 off, v65, off offset:44
	v_cmpx_lt_u32_e32 10, v0
	s_cbranch_execz .LBB30_173
; %bb.172:
	scratch_load_b32 v65, off, off offset:40
	scratch_store_b32 off, v2, off offset:40
	s_waitcnt vmcnt(0)
	ds_store_b32 v1, v65
.LBB30_173:
	s_or_b32 exec_lo, exec_lo, s0
	s_waitcnt lgkmcnt(0)
	s_waitcnt_vscnt null, 0x0
	s_barrier
	buffer_gl0_inv
	s_clause 0x5
	scratch_load_b128 v[65:68], off, off offset:40
	scratch_load_b128 v[69:72], off, off offset:56
	;; [unrolled: 1-line block ×5, first 2 shown]
	scratch_load_b32 v93, off, off offset:120
	ds_load_2addr_b32 v[85:86], v2 offset0:43 offset1:44
	ds_load_2addr_b32 v[87:88], v2 offset0:45 offset1:46
	;; [unrolled: 1-line block ×4, first 2 shown]
	s_mov_b32 s0, exec_lo
	s_waitcnt vmcnt(5) lgkmcnt(3)
	v_fma_f32 v85, v66, v85, 0
	s_delay_alu instid0(VALU_DEP_1) | instskip(SKIP_4) | instid1(VALU_DEP_1)
	v_fmac_f32_e32 v85, v67, v86
	ds_load_2addr_b32 v[66:67], v2 offset0:51 offset1:52
	s_waitcnt lgkmcnt(3)
	v_fmac_f32_e32 v85, v68, v87
	s_waitcnt vmcnt(4)
	v_fmac_f32_e32 v85, v69, v88
	ds_load_2addr_b32 v[68:69], v2 offset0:53 offset1:54
	s_waitcnt lgkmcnt(3)
	v_fmac_f32_e32 v85, v70, v89
	s_delay_alu instid0(VALU_DEP_1) | instskip(SKIP_1) | instid1(VALU_DEP_1)
	v_fmac_f32_e32 v85, v71, v90
	s_waitcnt lgkmcnt(2)
	v_fmac_f32_e32 v85, v72, v91
	s_waitcnt vmcnt(3)
	s_delay_alu instid0(VALU_DEP_1) | instskip(SKIP_4) | instid1(VALU_DEP_1)
	v_fmac_f32_e32 v85, v73, v92
	ds_load_2addr_b32 v[70:71], v2 offset0:55 offset1:56
	ds_load_2addr_b32 v[72:73], v2 offset0:57 offset1:58
	s_waitcnt lgkmcnt(3)
	v_fmac_f32_e32 v85, v74, v66
	v_fmac_f32_e32 v85, v75, v67
	ds_load_2addr_b32 v[66:67], v2 offset0:59 offset1:60
	s_waitcnt lgkmcnt(3)
	v_fmac_f32_e32 v85, v76, v68
	s_waitcnt vmcnt(2)
	s_delay_alu instid0(VALU_DEP_1) | instskip(SKIP_3) | instid1(VALU_DEP_1)
	v_fmac_f32_e32 v85, v77, v69
	ds_load_2addr_b32 v[68:69], v2 offset0:61 offset1:62
	s_waitcnt lgkmcnt(3)
	v_fmac_f32_e32 v85, v78, v70
	v_fmac_f32_e32 v85, v79, v71
	s_waitcnt lgkmcnt(2)
	s_delay_alu instid0(VALU_DEP_1) | instskip(SKIP_1) | instid1(VALU_DEP_1)
	v_fmac_f32_e32 v85, v80, v72
	s_waitcnt vmcnt(1)
	v_fmac_f32_e32 v85, v81, v73
	s_waitcnt lgkmcnt(1)
	s_delay_alu instid0(VALU_DEP_1) | instskip(NEXT) | instid1(VALU_DEP_1)
	v_fmac_f32_e32 v85, v82, v66
	v_fmac_f32_e32 v85, v83, v67
	s_waitcnt lgkmcnt(0)
	s_delay_alu instid0(VALU_DEP_1) | instskip(SKIP_1) | instid1(VALU_DEP_1)
	v_fmac_f32_e32 v85, v84, v68
	s_waitcnt vmcnt(0)
	v_fmac_f32_e32 v85, v93, v69
	s_delay_alu instid0(VALU_DEP_1)
	v_sub_f32_e32 v2, v65, v85
	scratch_store_b32 off, v2, off offset:40
	v_cmpx_lt_u32_e32 9, v0
	s_cbranch_execz .LBB30_175
; %bb.174:
	scratch_load_b32 v2, off, off offset:36
	v_mov_b32_e32 v65, 0
	scratch_store_b32 off, v65, off offset:36
	s_waitcnt vmcnt(0)
	ds_store_b32 v1, v2
.LBB30_175:
	s_or_b32 exec_lo, exec_lo, s0
	s_waitcnt lgkmcnt(0)
	s_waitcnt_vscnt null, 0x0
	s_barrier
	buffer_gl0_inv
	s_clause 0x5
	scratch_load_b128 v[65:68], off, off offset:36
	scratch_load_b128 v[69:72], off, off offset:52
	;; [unrolled: 1-line block ×5, first 2 shown]
	scratch_load_b64 v[93:94], off, off offset:116
	v_mov_b32_e32 v2, 0
	ds_load_2addr_b64 v[85:88], v2 offset0:21 offset1:22
	ds_load_2addr_b64 v[89:92], v2 offset0:23 offset1:24
	s_mov_b32 s0, exec_lo
	s_waitcnt vmcnt(5) lgkmcnt(1)
	v_fma_f32 v85, v66, v85, 0
	s_delay_alu instid0(VALU_DEP_1) | instskip(NEXT) | instid1(VALU_DEP_1)
	v_fmac_f32_e32 v85, v67, v86
	v_fmac_f32_e32 v85, v68, v87
	s_waitcnt vmcnt(4)
	s_delay_alu instid0(VALU_DEP_1) | instskip(SKIP_3) | instid1(VALU_DEP_1)
	v_fmac_f32_e32 v85, v69, v88
	ds_load_2addr_b64 v[66:69], v2 offset0:25 offset1:26
	s_waitcnt lgkmcnt(1)
	v_fmac_f32_e32 v85, v70, v89
	v_fmac_f32_e32 v85, v71, v90
	s_delay_alu instid0(VALU_DEP_1) | instskip(SKIP_1) | instid1(VALU_DEP_1)
	v_fmac_f32_e32 v85, v72, v91
	s_waitcnt vmcnt(3)
	v_fmac_f32_e32 v85, v73, v92
	ds_load_2addr_b64 v[70:73], v2 offset0:27 offset1:28
	s_waitcnt lgkmcnt(1)
	v_fmac_f32_e32 v85, v74, v66
	s_delay_alu instid0(VALU_DEP_1) | instskip(NEXT) | instid1(VALU_DEP_1)
	v_fmac_f32_e32 v85, v75, v67
	v_fmac_f32_e32 v85, v76, v68
	s_waitcnt vmcnt(2)
	s_delay_alu instid0(VALU_DEP_1)
	v_fmac_f32_e32 v85, v77, v69
	ds_load_2addr_b64 v[66:69], v2 offset0:29 offset1:30
	s_waitcnt lgkmcnt(1)
	v_fmac_f32_e32 v85, v78, v70
	ds_load_b32 v70, v2 offset:248
	v_fmac_f32_e32 v85, v79, v71
	s_delay_alu instid0(VALU_DEP_1) | instskip(SKIP_1) | instid1(VALU_DEP_1)
	v_fmac_f32_e32 v85, v80, v72
	s_waitcnt vmcnt(1)
	v_fmac_f32_e32 v85, v81, v73
	s_waitcnt lgkmcnt(1)
	s_delay_alu instid0(VALU_DEP_1) | instskip(NEXT) | instid1(VALU_DEP_1)
	v_fmac_f32_e32 v85, v82, v66
	v_fmac_f32_e32 v85, v83, v67
	s_delay_alu instid0(VALU_DEP_1) | instskip(SKIP_1) | instid1(VALU_DEP_1)
	v_fmac_f32_e32 v85, v84, v68
	s_waitcnt vmcnt(0)
	v_fmac_f32_e32 v85, v93, v69
	s_waitcnt lgkmcnt(0)
	s_delay_alu instid0(VALU_DEP_1) | instskip(NEXT) | instid1(VALU_DEP_1)
	v_fmac_f32_e32 v85, v94, v70
	v_sub_f32_e32 v65, v65, v85
	scratch_store_b32 off, v65, off offset:36
	v_cmpx_lt_u32_e32 8, v0
	s_cbranch_execz .LBB30_177
; %bb.176:
	scratch_load_b32 v65, off, off offset:32
	scratch_store_b32 off, v2, off offset:32
	s_waitcnt vmcnt(0)
	ds_store_b32 v1, v65
.LBB30_177:
	s_or_b32 exec_lo, exec_lo, s0
	s_waitcnt lgkmcnt(0)
	s_waitcnt_vscnt null, 0x0
	s_barrier
	buffer_gl0_inv
	s_clause 0x5
	scratch_load_b128 v[65:68], off, off offset:32
	scratch_load_b128 v[69:72], off, off offset:48
	;; [unrolled: 1-line block ×5, first 2 shown]
	scratch_load_b96 v[85:87], off, off offset:112
	ds_load_2addr_b32 v[88:89], v2 offset0:41 offset1:42
	ds_load_2addr_b32 v[90:91], v2 offset0:43 offset1:44
	;; [unrolled: 1-line block ×3, first 2 shown]
	s_mov_b32 s0, exec_lo
	s_waitcnt vmcnt(5) lgkmcnt(2)
	v_fma_f32 v88, v66, v88, 0
	s_delay_alu instid0(VALU_DEP_1) | instskip(SKIP_4) | instid1(VALU_DEP_1)
	v_fmac_f32_e32 v88, v67, v89
	ds_load_2addr_b32 v[66:67], v2 offset0:47 offset1:48
	s_waitcnt lgkmcnt(2)
	v_fmac_f32_e32 v88, v68, v90
	s_waitcnt vmcnt(4)
	v_fmac_f32_e32 v88, v69, v91
	ds_load_2addr_b32 v[68:69], v2 offset0:49 offset1:50
	s_waitcnt lgkmcnt(2)
	v_fmac_f32_e32 v88, v70, v92
	s_delay_alu instid0(VALU_DEP_1) | instskip(SKIP_4) | instid1(VALU_DEP_1)
	v_fmac_f32_e32 v88, v71, v93
	ds_load_2addr_b32 v[70:71], v2 offset0:51 offset1:52
	s_waitcnt lgkmcnt(2)
	v_fmac_f32_e32 v88, v72, v66
	s_waitcnt vmcnt(3)
	v_fmac_f32_e32 v88, v73, v67
	ds_load_2addr_b32 v[66:67], v2 offset0:53 offset1:54
	s_waitcnt lgkmcnt(2)
	v_fmac_f32_e32 v88, v74, v68
	;; [unrolled: 10-line block ×4, first 2 shown]
	s_delay_alu instid0(VALU_DEP_1) | instskip(SKIP_1) | instid1(VALU_DEP_1)
	v_fmac_f32_e32 v88, v83, v71
	s_waitcnt lgkmcnt(1)
	v_fmac_f32_e32 v88, v84, v66
	s_waitcnt vmcnt(0)
	s_delay_alu instid0(VALU_DEP_1) | instskip(SKIP_1) | instid1(VALU_DEP_1)
	v_fmac_f32_e32 v88, v85, v67
	s_waitcnt lgkmcnt(0)
	v_fmac_f32_e32 v88, v86, v68
	s_delay_alu instid0(VALU_DEP_1) | instskip(NEXT) | instid1(VALU_DEP_1)
	v_fmac_f32_e32 v88, v87, v69
	v_sub_f32_e32 v2, v65, v88
	scratch_store_b32 off, v2, off offset:32
	v_cmpx_lt_u32_e32 7, v0
	s_cbranch_execz .LBB30_179
; %bb.178:
	scratch_load_b32 v2, off, off offset:28
	v_mov_b32_e32 v65, 0
	scratch_store_b32 off, v65, off offset:28
	s_waitcnt vmcnt(0)
	ds_store_b32 v1, v2
.LBB30_179:
	s_or_b32 exec_lo, exec_lo, s0
	s_waitcnt lgkmcnt(0)
	s_waitcnt_vscnt null, 0x0
	s_barrier
	buffer_gl0_inv
	s_clause 0x5
	scratch_load_b128 v[65:68], off, off offset:28
	scratch_load_b128 v[69:72], off, off offset:44
	;; [unrolled: 1-line block ×6, first 2 shown]
	v_mov_b32_e32 v2, 0
	ds_load_b128 v[89:92], v2 offset:160
	ds_load_b128 v[93:96], v2 offset:176
	s_mov_b32 s0, exec_lo
	s_waitcnt vmcnt(5) lgkmcnt(1)
	v_fma_f32 v89, v66, v89, 0
	s_delay_alu instid0(VALU_DEP_1) | instskip(NEXT) | instid1(VALU_DEP_1)
	v_fmac_f32_e32 v89, v67, v90
	v_fmac_f32_e32 v89, v68, v91
	s_waitcnt vmcnt(4)
	s_delay_alu instid0(VALU_DEP_1) | instskip(SKIP_3) | instid1(VALU_DEP_1)
	v_fmac_f32_e32 v89, v69, v92
	ds_load_b128 v[66:69], v2 offset:192
	s_waitcnt lgkmcnt(1)
	v_fmac_f32_e32 v89, v70, v93
	v_fmac_f32_e32 v89, v71, v94
	s_delay_alu instid0(VALU_DEP_1) | instskip(SKIP_1) | instid1(VALU_DEP_1)
	v_fmac_f32_e32 v89, v72, v95
	s_waitcnt vmcnt(3)
	v_fmac_f32_e32 v89, v73, v96
	ds_load_b128 v[70:73], v2 offset:208
	s_waitcnt lgkmcnt(1)
	v_fmac_f32_e32 v89, v74, v66
	s_delay_alu instid0(VALU_DEP_1) | instskip(NEXT) | instid1(VALU_DEP_1)
	v_fmac_f32_e32 v89, v75, v67
	v_fmac_f32_e32 v89, v76, v68
	s_waitcnt vmcnt(2)
	s_delay_alu instid0(VALU_DEP_1) | instskip(SKIP_3) | instid1(VALU_DEP_1)
	v_fmac_f32_e32 v89, v77, v69
	ds_load_b128 v[66:69], v2 offset:224
	s_waitcnt lgkmcnt(1)
	v_fmac_f32_e32 v89, v78, v70
	v_fmac_f32_e32 v89, v79, v71
	s_delay_alu instid0(VALU_DEP_1) | instskip(SKIP_4) | instid1(VALU_DEP_1)
	v_fmac_f32_e32 v89, v80, v72
	ds_load_b96 v[70:72], v2 offset:240
	s_waitcnt vmcnt(1)
	v_fmac_f32_e32 v89, v81, v73
	s_waitcnt lgkmcnt(1)
	v_fmac_f32_e32 v89, v82, v66
	s_delay_alu instid0(VALU_DEP_1) | instskip(NEXT) | instid1(VALU_DEP_1)
	v_fmac_f32_e32 v89, v83, v67
	v_fmac_f32_e32 v89, v84, v68
	s_waitcnt vmcnt(0)
	s_delay_alu instid0(VALU_DEP_1) | instskip(SKIP_1) | instid1(VALU_DEP_1)
	v_fmac_f32_e32 v89, v85, v69
	s_waitcnt lgkmcnt(0)
	v_fmac_f32_e32 v89, v86, v70
	s_delay_alu instid0(VALU_DEP_1) | instskip(NEXT) | instid1(VALU_DEP_1)
	v_fmac_f32_e32 v89, v87, v71
	v_fmac_f32_e32 v89, v88, v72
	s_delay_alu instid0(VALU_DEP_1)
	v_sub_f32_e32 v65, v65, v89
	scratch_store_b32 off, v65, off offset:28
	v_cmpx_lt_u32_e32 6, v0
	s_cbranch_execz .LBB30_181
; %bb.180:
	scratch_load_b32 v65, off, off offset:24
	scratch_store_b32 off, v2, off offset:24
	s_waitcnt vmcnt(0)
	ds_store_b32 v1, v65
.LBB30_181:
	s_or_b32 exec_lo, exec_lo, s0
	s_waitcnt lgkmcnt(0)
	s_waitcnt_vscnt null, 0x0
	s_barrier
	buffer_gl0_inv
	s_clause 0x6
	scratch_load_b128 v[65:68], off, off offset:24
	scratch_load_b128 v[69:72], off, off offset:40
	;; [unrolled: 1-line block ×6, first 2 shown]
	scratch_load_b32 v97, off, off offset:120
	ds_load_2addr_b32 v[89:90], v2 offset0:39 offset1:40
	ds_load_2addr_b32 v[91:92], v2 offset0:41 offset1:42
	;; [unrolled: 1-line block ×4, first 2 shown]
	s_mov_b32 s0, exec_lo
	s_waitcnt vmcnt(6) lgkmcnt(3)
	v_fma_f32 v89, v66, v89, 0
	s_delay_alu instid0(VALU_DEP_1) | instskip(SKIP_4) | instid1(VALU_DEP_1)
	v_fmac_f32_e32 v89, v67, v90
	ds_load_2addr_b32 v[66:67], v2 offset0:47 offset1:48
	s_waitcnt lgkmcnt(3)
	v_fmac_f32_e32 v89, v68, v91
	s_waitcnt vmcnt(5)
	v_fmac_f32_e32 v89, v69, v92
	ds_load_2addr_b32 v[68:69], v2 offset0:49 offset1:50
	s_waitcnt lgkmcnt(3)
	v_fmac_f32_e32 v89, v70, v93
	s_delay_alu instid0(VALU_DEP_1) | instskip(SKIP_1) | instid1(VALU_DEP_1)
	v_fmac_f32_e32 v89, v71, v94
	s_waitcnt lgkmcnt(2)
	v_fmac_f32_e32 v89, v72, v95
	s_waitcnt vmcnt(4)
	s_delay_alu instid0(VALU_DEP_1) | instskip(SKIP_4) | instid1(VALU_DEP_1)
	v_fmac_f32_e32 v89, v73, v96
	ds_load_2addr_b32 v[70:71], v2 offset0:51 offset1:52
	ds_load_2addr_b32 v[72:73], v2 offset0:53 offset1:54
	s_waitcnt lgkmcnt(3)
	v_fmac_f32_e32 v89, v74, v66
	v_fmac_f32_e32 v89, v75, v67
	ds_load_2addr_b32 v[66:67], v2 offset0:55 offset1:56
	s_waitcnt lgkmcnt(3)
	v_fmac_f32_e32 v89, v76, v68
	s_waitcnt vmcnt(3)
	s_delay_alu instid0(VALU_DEP_1) | instskip(SKIP_3) | instid1(VALU_DEP_1)
	v_fmac_f32_e32 v89, v77, v69
	ds_load_2addr_b32 v[68:69], v2 offset0:57 offset1:58
	s_waitcnt lgkmcnt(3)
	v_fmac_f32_e32 v89, v78, v70
	v_fmac_f32_e32 v89, v79, v71
	s_waitcnt lgkmcnt(2)
	s_delay_alu instid0(VALU_DEP_1) | instskip(SKIP_1) | instid1(VALU_DEP_1)
	v_fmac_f32_e32 v89, v80, v72
	s_waitcnt vmcnt(2)
	v_fmac_f32_e32 v89, v81, v73
	ds_load_2addr_b32 v[70:71], v2 offset0:59 offset1:60
	ds_load_2addr_b32 v[72:73], v2 offset0:61 offset1:62
	s_waitcnt lgkmcnt(3)
	v_fmac_f32_e32 v89, v82, v66
	s_delay_alu instid0(VALU_DEP_1) | instskip(SKIP_1) | instid1(VALU_DEP_1)
	v_fmac_f32_e32 v89, v83, v67
	s_waitcnt lgkmcnt(2)
	v_fmac_f32_e32 v89, v84, v68
	s_waitcnt vmcnt(1)
	s_delay_alu instid0(VALU_DEP_1) | instskip(SKIP_1) | instid1(VALU_DEP_1)
	v_fmac_f32_e32 v89, v85, v69
	s_waitcnt lgkmcnt(1)
	v_fmac_f32_e32 v89, v86, v70
	s_delay_alu instid0(VALU_DEP_1) | instskip(SKIP_1) | instid1(VALU_DEP_1)
	v_fmac_f32_e32 v89, v87, v71
	s_waitcnt lgkmcnt(0)
	v_fmac_f32_e32 v89, v88, v72
	s_waitcnt vmcnt(0)
	s_delay_alu instid0(VALU_DEP_1) | instskip(NEXT) | instid1(VALU_DEP_1)
	v_fmac_f32_e32 v89, v97, v73
	v_sub_f32_e32 v2, v65, v89
	scratch_store_b32 off, v2, off offset:24
	v_cmpx_lt_u32_e32 5, v0
	s_cbranch_execz .LBB30_183
; %bb.182:
	scratch_load_b32 v2, off, off offset:20
	v_mov_b32_e32 v65, 0
	scratch_store_b32 off, v65, off offset:20
	s_waitcnt vmcnt(0)
	ds_store_b32 v1, v2
.LBB30_183:
	s_or_b32 exec_lo, exec_lo, s0
	s_waitcnt lgkmcnt(0)
	s_waitcnt_vscnt null, 0x0
	s_barrier
	buffer_gl0_inv
	s_clause 0x6
	scratch_load_b128 v[65:68], off, off offset:20
	scratch_load_b128 v[69:72], off, off offset:36
	;; [unrolled: 1-line block ×6, first 2 shown]
	scratch_load_b64 v[97:98], off, off offset:116
	v_mov_b32_e32 v2, 0
	ds_load_2addr_b64 v[89:92], v2 offset0:19 offset1:20
	ds_load_2addr_b64 v[93:96], v2 offset0:21 offset1:22
	s_mov_b32 s0, exec_lo
	s_waitcnt vmcnt(6) lgkmcnt(1)
	v_fma_f32 v89, v66, v89, 0
	s_delay_alu instid0(VALU_DEP_1) | instskip(NEXT) | instid1(VALU_DEP_1)
	v_fmac_f32_e32 v89, v67, v90
	v_fmac_f32_e32 v89, v68, v91
	s_waitcnt vmcnt(5)
	s_delay_alu instid0(VALU_DEP_1) | instskip(SKIP_3) | instid1(VALU_DEP_1)
	v_fmac_f32_e32 v89, v69, v92
	ds_load_2addr_b64 v[66:69], v2 offset0:23 offset1:24
	s_waitcnt lgkmcnt(1)
	v_fmac_f32_e32 v89, v70, v93
	v_fmac_f32_e32 v89, v71, v94
	s_delay_alu instid0(VALU_DEP_1) | instskip(SKIP_1) | instid1(VALU_DEP_1)
	v_fmac_f32_e32 v89, v72, v95
	s_waitcnt vmcnt(4)
	v_fmac_f32_e32 v89, v73, v96
	ds_load_2addr_b64 v[70:73], v2 offset0:25 offset1:26
	s_waitcnt lgkmcnt(1)
	v_fmac_f32_e32 v89, v74, v66
	s_delay_alu instid0(VALU_DEP_1) | instskip(NEXT) | instid1(VALU_DEP_1)
	v_fmac_f32_e32 v89, v75, v67
	v_fmac_f32_e32 v89, v76, v68
	s_waitcnt vmcnt(3)
	s_delay_alu instid0(VALU_DEP_1) | instskip(SKIP_3) | instid1(VALU_DEP_1)
	v_fmac_f32_e32 v89, v77, v69
	ds_load_2addr_b64 v[66:69], v2 offset0:27 offset1:28
	s_waitcnt lgkmcnt(1)
	v_fmac_f32_e32 v89, v78, v70
	v_fmac_f32_e32 v89, v79, v71
	s_delay_alu instid0(VALU_DEP_1) | instskip(SKIP_1) | instid1(VALU_DEP_1)
	v_fmac_f32_e32 v89, v80, v72
	s_waitcnt vmcnt(2)
	v_fmac_f32_e32 v89, v81, v73
	ds_load_2addr_b64 v[70:73], v2 offset0:29 offset1:30
	s_waitcnt lgkmcnt(1)
	v_fmac_f32_e32 v89, v82, v66
	ds_load_b32 v66, v2 offset:248
	v_fmac_f32_e32 v89, v83, v67
	s_delay_alu instid0(VALU_DEP_1) | instskip(SKIP_1) | instid1(VALU_DEP_1)
	v_fmac_f32_e32 v89, v84, v68
	s_waitcnt vmcnt(1)
	v_fmac_f32_e32 v89, v85, v69
	s_waitcnt lgkmcnt(1)
	s_delay_alu instid0(VALU_DEP_1) | instskip(NEXT) | instid1(VALU_DEP_1)
	v_fmac_f32_e32 v89, v86, v70
	v_fmac_f32_e32 v89, v87, v71
	s_delay_alu instid0(VALU_DEP_1) | instskip(SKIP_1) | instid1(VALU_DEP_1)
	v_fmac_f32_e32 v89, v88, v72
	s_waitcnt vmcnt(0)
	v_fmac_f32_e32 v89, v97, v73
	s_waitcnt lgkmcnt(0)
	s_delay_alu instid0(VALU_DEP_1) | instskip(NEXT) | instid1(VALU_DEP_1)
	v_fmac_f32_e32 v89, v98, v66
	v_sub_f32_e32 v65, v65, v89
	scratch_store_b32 off, v65, off offset:20
	v_cmpx_lt_u32_e32 4, v0
	s_cbranch_execz .LBB30_185
; %bb.184:
	scratch_load_b32 v65, off, off offset:16
	scratch_store_b32 off, v2, off offset:16
	s_waitcnt vmcnt(0)
	ds_store_b32 v1, v65
.LBB30_185:
	s_or_b32 exec_lo, exec_lo, s0
	s_waitcnt lgkmcnt(0)
	s_waitcnt_vscnt null, 0x0
	s_barrier
	buffer_gl0_inv
	s_clause 0x6
	scratch_load_b128 v[65:68], off, off offset:16
	scratch_load_b128 v[69:72], off, off offset:32
	;; [unrolled: 1-line block ×6, first 2 shown]
	scratch_load_b96 v[89:91], off, off offset:112
	ds_load_2addr_b32 v[92:93], v2 offset0:37 offset1:38
	ds_load_2addr_b32 v[94:95], v2 offset0:39 offset1:40
	;; [unrolled: 1-line block ×4, first 2 shown]
	s_mov_b32 s0, exec_lo
	s_waitcnt vmcnt(6) lgkmcnt(3)
	v_fma_f32 v92, v66, v92, 0
	s_delay_alu instid0(VALU_DEP_1) | instskip(SKIP_4) | instid1(VALU_DEP_1)
	v_fmac_f32_e32 v92, v67, v93
	ds_load_2addr_b32 v[66:67], v2 offset0:45 offset1:46
	s_waitcnt lgkmcnt(3)
	v_fmac_f32_e32 v92, v68, v94
	s_waitcnt vmcnt(5)
	v_fmac_f32_e32 v92, v69, v95
	ds_load_2addr_b32 v[68:69], v2 offset0:47 offset1:48
	s_waitcnt lgkmcnt(3)
	v_fmac_f32_e32 v92, v70, v96
	s_delay_alu instid0(VALU_DEP_1) | instskip(SKIP_1) | instid1(VALU_DEP_1)
	v_fmac_f32_e32 v92, v71, v97
	s_waitcnt lgkmcnt(2)
	v_fmac_f32_e32 v92, v72, v98
	s_waitcnt vmcnt(4)
	s_delay_alu instid0(VALU_DEP_1) | instskip(SKIP_4) | instid1(VALU_DEP_1)
	v_fmac_f32_e32 v92, v73, v99
	ds_load_2addr_b32 v[70:71], v2 offset0:49 offset1:50
	ds_load_2addr_b32 v[72:73], v2 offset0:51 offset1:52
	s_waitcnt lgkmcnt(3)
	v_fmac_f32_e32 v92, v74, v66
	v_fmac_f32_e32 v92, v75, v67
	ds_load_2addr_b32 v[66:67], v2 offset0:53 offset1:54
	s_waitcnt lgkmcnt(3)
	v_fmac_f32_e32 v92, v76, v68
	s_waitcnt vmcnt(3)
	s_delay_alu instid0(VALU_DEP_1) | instskip(SKIP_3) | instid1(VALU_DEP_1)
	v_fmac_f32_e32 v92, v77, v69
	ds_load_2addr_b32 v[68:69], v2 offset0:55 offset1:56
	s_waitcnt lgkmcnt(3)
	v_fmac_f32_e32 v92, v78, v70
	v_fmac_f32_e32 v92, v79, v71
	s_waitcnt lgkmcnt(2)
	s_delay_alu instid0(VALU_DEP_1) | instskip(SKIP_1) | instid1(VALU_DEP_1)
	v_fmac_f32_e32 v92, v80, v72
	s_waitcnt vmcnt(2)
	v_fmac_f32_e32 v92, v81, v73
	ds_load_2addr_b32 v[70:71], v2 offset0:57 offset1:58
	ds_load_2addr_b32 v[72:73], v2 offset0:59 offset1:60
	s_waitcnt lgkmcnt(3)
	v_fmac_f32_e32 v92, v82, v66
	s_delay_alu instid0(VALU_DEP_1) | instskip(SKIP_4) | instid1(VALU_DEP_1)
	v_fmac_f32_e32 v92, v83, v67
	ds_load_2addr_b32 v[66:67], v2 offset0:61 offset1:62
	s_waitcnt lgkmcnt(3)
	v_fmac_f32_e32 v92, v84, v68
	s_waitcnt vmcnt(1)
	v_fmac_f32_e32 v92, v85, v69
	s_waitcnt lgkmcnt(2)
	s_delay_alu instid0(VALU_DEP_1) | instskip(NEXT) | instid1(VALU_DEP_1)
	v_fmac_f32_e32 v92, v86, v70
	v_fmac_f32_e32 v92, v87, v71
	s_waitcnt lgkmcnt(1)
	s_delay_alu instid0(VALU_DEP_1) | instskip(SKIP_1) | instid1(VALU_DEP_1)
	v_fmac_f32_e32 v92, v88, v72
	s_waitcnt vmcnt(0)
	v_fmac_f32_e32 v92, v89, v73
	s_waitcnt lgkmcnt(0)
	s_delay_alu instid0(VALU_DEP_1) | instskip(NEXT) | instid1(VALU_DEP_1)
	v_fmac_f32_e32 v92, v90, v66
	v_fmac_f32_e32 v92, v91, v67
	s_delay_alu instid0(VALU_DEP_1)
	v_sub_f32_e32 v2, v65, v92
	scratch_store_b32 off, v2, off offset:16
	v_cmpx_lt_u32_e32 3, v0
	s_cbranch_execz .LBB30_187
; %bb.186:
	scratch_load_b32 v2, off, off offset:12
	v_mov_b32_e32 v65, 0
	scratch_store_b32 off, v65, off offset:12
	s_waitcnt vmcnt(0)
	ds_store_b32 v1, v2
.LBB30_187:
	s_or_b32 exec_lo, exec_lo, s0
	s_waitcnt lgkmcnt(0)
	s_waitcnt_vscnt null, 0x0
	s_barrier
	buffer_gl0_inv
	s_clause 0x6
	scratch_load_b128 v[65:68], off, off offset:12
	scratch_load_b128 v[69:72], off, off offset:28
	;; [unrolled: 1-line block ×7, first 2 shown]
	v_mov_b32_e32 v2, 0
	ds_load_b128 v[93:96], v2 offset:144
	ds_load_b128 v[97:100], v2 offset:160
	s_mov_b32 s0, exec_lo
	s_waitcnt vmcnt(6) lgkmcnt(1)
	v_fma_f32 v93, v66, v93, 0
	s_delay_alu instid0(VALU_DEP_1) | instskip(NEXT) | instid1(VALU_DEP_1)
	v_fmac_f32_e32 v93, v67, v94
	v_fmac_f32_e32 v93, v68, v95
	s_waitcnt vmcnt(5)
	s_delay_alu instid0(VALU_DEP_1) | instskip(SKIP_3) | instid1(VALU_DEP_1)
	v_fmac_f32_e32 v93, v69, v96
	ds_load_b128 v[66:69], v2 offset:176
	s_waitcnt lgkmcnt(1)
	v_fmac_f32_e32 v93, v70, v97
	v_fmac_f32_e32 v93, v71, v98
	s_delay_alu instid0(VALU_DEP_1) | instskip(SKIP_1) | instid1(VALU_DEP_1)
	v_fmac_f32_e32 v93, v72, v99
	s_waitcnt vmcnt(4)
	v_fmac_f32_e32 v93, v73, v100
	ds_load_b128 v[70:73], v2 offset:192
	s_waitcnt lgkmcnt(1)
	v_fmac_f32_e32 v93, v74, v66
	s_delay_alu instid0(VALU_DEP_1) | instskip(NEXT) | instid1(VALU_DEP_1)
	v_fmac_f32_e32 v93, v75, v67
	v_fmac_f32_e32 v93, v76, v68
	s_waitcnt vmcnt(3)
	s_delay_alu instid0(VALU_DEP_1) | instskip(SKIP_3) | instid1(VALU_DEP_1)
	v_fmac_f32_e32 v93, v77, v69
	ds_load_b128 v[66:69], v2 offset:208
	s_waitcnt lgkmcnt(1)
	v_fmac_f32_e32 v93, v78, v70
	v_fmac_f32_e32 v93, v79, v71
	s_delay_alu instid0(VALU_DEP_1) | instskip(SKIP_1) | instid1(VALU_DEP_1)
	v_fmac_f32_e32 v93, v80, v72
	s_waitcnt vmcnt(2)
	v_fmac_f32_e32 v93, v81, v73
	ds_load_b128 v[70:73], v2 offset:224
	s_waitcnt lgkmcnt(1)
	v_fmac_f32_e32 v93, v82, v66
	s_delay_alu instid0(VALU_DEP_1) | instskip(NEXT) | instid1(VALU_DEP_1)
	v_fmac_f32_e32 v93, v83, v67
	v_fmac_f32_e32 v93, v84, v68
	ds_load_b96 v[66:68], v2 offset:240
	s_waitcnt vmcnt(1)
	v_fmac_f32_e32 v93, v85, v69
	s_waitcnt lgkmcnt(1)
	s_delay_alu instid0(VALU_DEP_1) | instskip(NEXT) | instid1(VALU_DEP_1)
	v_fmac_f32_e32 v93, v86, v70
	v_fmac_f32_e32 v93, v87, v71
	s_delay_alu instid0(VALU_DEP_1) | instskip(SKIP_1) | instid1(VALU_DEP_1)
	v_fmac_f32_e32 v93, v88, v72
	s_waitcnt vmcnt(0)
	v_fmac_f32_e32 v93, v89, v73
	s_waitcnt lgkmcnt(0)
	s_delay_alu instid0(VALU_DEP_1) | instskip(NEXT) | instid1(VALU_DEP_1)
	v_fmac_f32_e32 v93, v90, v66
	v_fmac_f32_e32 v93, v91, v67
	s_delay_alu instid0(VALU_DEP_1) | instskip(NEXT) | instid1(VALU_DEP_1)
	v_fmac_f32_e32 v93, v92, v68
	v_sub_f32_e32 v65, v65, v93
	scratch_store_b32 off, v65, off offset:12
	v_cmpx_lt_u32_e32 2, v0
	s_cbranch_execz .LBB30_189
; %bb.188:
	scratch_load_b32 v65, off, off offset:8
	scratch_store_b32 off, v2, off offset:8
	s_waitcnt vmcnt(0)
	ds_store_b32 v1, v65
.LBB30_189:
	s_or_b32 exec_lo, exec_lo, s0
	s_waitcnt lgkmcnt(0)
	s_waitcnt_vscnt null, 0x0
	s_barrier
	buffer_gl0_inv
	s_clause 0x7
	scratch_load_b128 v[65:68], off, off offset:8
	scratch_load_b128 v[69:72], off, off offset:24
	;; [unrolled: 1-line block ×7, first 2 shown]
	scratch_load_b32 v101, off, off offset:120
	ds_load_2addr_b32 v[93:94], v2 offset0:35 offset1:36
	ds_load_2addr_b32 v[95:96], v2 offset0:37 offset1:38
	;; [unrolled: 1-line block ×4, first 2 shown]
	s_mov_b32 s0, exec_lo
	s_waitcnt vmcnt(7) lgkmcnt(3)
	v_fma_f32 v93, v66, v93, 0
	s_delay_alu instid0(VALU_DEP_1) | instskip(SKIP_4) | instid1(VALU_DEP_1)
	v_fmac_f32_e32 v93, v67, v94
	ds_load_2addr_b32 v[66:67], v2 offset0:43 offset1:44
	s_waitcnt lgkmcnt(3)
	v_fmac_f32_e32 v93, v68, v95
	s_waitcnt vmcnt(6)
	v_fmac_f32_e32 v93, v69, v96
	ds_load_2addr_b32 v[68:69], v2 offset0:45 offset1:46
	s_waitcnt lgkmcnt(3)
	v_fmac_f32_e32 v93, v70, v97
	s_delay_alu instid0(VALU_DEP_1) | instskip(SKIP_1) | instid1(VALU_DEP_1)
	v_fmac_f32_e32 v93, v71, v98
	s_waitcnt lgkmcnt(2)
	v_fmac_f32_e32 v93, v72, v99
	s_waitcnt vmcnt(5)
	s_delay_alu instid0(VALU_DEP_1) | instskip(SKIP_4) | instid1(VALU_DEP_1)
	v_fmac_f32_e32 v93, v73, v100
	ds_load_2addr_b32 v[70:71], v2 offset0:47 offset1:48
	ds_load_2addr_b32 v[72:73], v2 offset0:49 offset1:50
	s_waitcnt lgkmcnt(3)
	v_fmac_f32_e32 v93, v74, v66
	v_fmac_f32_e32 v93, v75, v67
	ds_load_2addr_b32 v[66:67], v2 offset0:51 offset1:52
	s_waitcnt lgkmcnt(3)
	v_fmac_f32_e32 v93, v76, v68
	s_waitcnt vmcnt(4)
	s_delay_alu instid0(VALU_DEP_1) | instskip(SKIP_3) | instid1(VALU_DEP_1)
	v_fmac_f32_e32 v93, v77, v69
	ds_load_2addr_b32 v[68:69], v2 offset0:53 offset1:54
	s_waitcnt lgkmcnt(3)
	v_fmac_f32_e32 v93, v78, v70
	v_fmac_f32_e32 v93, v79, v71
	s_waitcnt lgkmcnt(2)
	s_delay_alu instid0(VALU_DEP_1) | instskip(SKIP_1) | instid1(VALU_DEP_1)
	v_fmac_f32_e32 v93, v80, v72
	s_waitcnt vmcnt(3)
	v_fmac_f32_e32 v93, v81, v73
	ds_load_2addr_b32 v[70:71], v2 offset0:55 offset1:56
	ds_load_2addr_b32 v[72:73], v2 offset0:57 offset1:58
	s_waitcnt lgkmcnt(3)
	v_fmac_f32_e32 v93, v82, v66
	s_delay_alu instid0(VALU_DEP_1) | instskip(SKIP_4) | instid1(VALU_DEP_1)
	v_fmac_f32_e32 v93, v83, v67
	ds_load_2addr_b32 v[66:67], v2 offset0:59 offset1:60
	s_waitcnt lgkmcnt(3)
	v_fmac_f32_e32 v93, v84, v68
	s_waitcnt vmcnt(2)
	v_fmac_f32_e32 v93, v85, v69
	ds_load_2addr_b32 v[68:69], v2 offset0:61 offset1:62
	s_waitcnt lgkmcnt(3)
	v_fmac_f32_e32 v93, v86, v70
	s_delay_alu instid0(VALU_DEP_1) | instskip(SKIP_1) | instid1(VALU_DEP_1)
	v_fmac_f32_e32 v93, v87, v71
	s_waitcnt lgkmcnt(2)
	v_fmac_f32_e32 v93, v88, v72
	s_waitcnt vmcnt(1)
	s_delay_alu instid0(VALU_DEP_1) | instskip(SKIP_1) | instid1(VALU_DEP_1)
	v_fmac_f32_e32 v93, v89, v73
	s_waitcnt lgkmcnt(1)
	v_fmac_f32_e32 v93, v90, v66
	s_delay_alu instid0(VALU_DEP_1) | instskip(SKIP_1) | instid1(VALU_DEP_1)
	v_fmac_f32_e32 v93, v91, v67
	s_waitcnt lgkmcnt(0)
	v_fmac_f32_e32 v93, v92, v68
	s_waitcnt vmcnt(0)
	s_delay_alu instid0(VALU_DEP_1) | instskip(NEXT) | instid1(VALU_DEP_1)
	v_fmac_f32_e32 v93, v101, v69
	v_sub_f32_e32 v2, v65, v93
	scratch_store_b32 off, v2, off offset:8
	v_cmpx_lt_u32_e32 1, v0
	s_cbranch_execz .LBB30_191
; %bb.190:
	scratch_load_b32 v2, off, off offset:4
	v_mov_b32_e32 v65, 0
	scratch_store_b32 off, v65, off offset:4
	s_waitcnt vmcnt(0)
	ds_store_b32 v1, v2
.LBB30_191:
	s_or_b32 exec_lo, exec_lo, s0
	s_waitcnt lgkmcnt(0)
	s_waitcnt_vscnt null, 0x0
	s_barrier
	buffer_gl0_inv
	s_clause 0x7
	scratch_load_b128 v[66:69], off, off offset:4
	scratch_load_b128 v[70:73], off, off offset:20
	scratch_load_b128 v[74:77], off, off offset:36
	scratch_load_b128 v[78:81], off, off offset:52
	scratch_load_b128 v[82:85], off, off offset:68
	scratch_load_b128 v[86:89], off, off offset:84
	scratch_load_b128 v[90:93], off, off offset:100
	scratch_load_b64 v[102:103], off, off offset:116
	v_mov_b32_e32 v65, 0
	ds_load_2addr_b64 v[94:97], v65 offset0:17 offset1:18
	ds_load_2addr_b64 v[98:101], v65 offset0:19 offset1:20
	s_mov_b32 s0, exec_lo
	s_waitcnt vmcnt(7) lgkmcnt(1)
	v_fma_f32 v2, v67, v94, 0
	s_delay_alu instid0(VALU_DEP_1) | instskip(NEXT) | instid1(VALU_DEP_1)
	v_fmac_f32_e32 v2, v68, v95
	v_fmac_f32_e32 v2, v69, v96
	s_waitcnt vmcnt(6)
	s_delay_alu instid0(VALU_DEP_1) | instskip(SKIP_3) | instid1(VALU_DEP_1)
	v_fmac_f32_e32 v2, v70, v97
	ds_load_2addr_b64 v[67:70], v65 offset0:21 offset1:22
	s_waitcnt lgkmcnt(1)
	v_fmac_f32_e32 v2, v71, v98
	v_fmac_f32_e32 v2, v72, v99
	s_delay_alu instid0(VALU_DEP_1) | instskip(SKIP_1) | instid1(VALU_DEP_1)
	v_fmac_f32_e32 v2, v73, v100
	s_waitcnt vmcnt(5)
	v_fmac_f32_e32 v2, v74, v101
	ds_load_2addr_b64 v[71:74], v65 offset0:23 offset1:24
	s_waitcnt lgkmcnt(1)
	v_fmac_f32_e32 v2, v75, v67
	s_delay_alu instid0(VALU_DEP_1) | instskip(NEXT) | instid1(VALU_DEP_1)
	v_fmac_f32_e32 v2, v76, v68
	v_fmac_f32_e32 v2, v77, v69
	s_waitcnt vmcnt(4)
	s_delay_alu instid0(VALU_DEP_1) | instskip(SKIP_3) | instid1(VALU_DEP_1)
	v_fmac_f32_e32 v2, v78, v70
	ds_load_2addr_b64 v[67:70], v65 offset0:25 offset1:26
	s_waitcnt lgkmcnt(1)
	v_fmac_f32_e32 v2, v79, v71
	v_fmac_f32_e32 v2, v80, v72
	s_delay_alu instid0(VALU_DEP_1) | instskip(SKIP_1) | instid1(VALU_DEP_1)
	v_fmac_f32_e32 v2, v81, v73
	s_waitcnt vmcnt(3)
	v_fmac_f32_e32 v2, v82, v74
	ds_load_2addr_b64 v[71:74], v65 offset0:27 offset1:28
	s_waitcnt lgkmcnt(1)
	v_fmac_f32_e32 v2, v83, v67
	s_delay_alu instid0(VALU_DEP_1) | instskip(NEXT) | instid1(VALU_DEP_1)
	v_fmac_f32_e32 v2, v84, v68
	v_fmac_f32_e32 v2, v85, v69
	s_waitcnt vmcnt(2)
	s_delay_alu instid0(VALU_DEP_1)
	v_fmac_f32_e32 v2, v86, v70
	ds_load_2addr_b64 v[67:70], v65 offset0:29 offset1:30
	s_waitcnt lgkmcnt(1)
	v_fmac_f32_e32 v2, v87, v71
	ds_load_b32 v71, v65 offset:248
	v_fmac_f32_e32 v2, v88, v72
	s_delay_alu instid0(VALU_DEP_1) | instskip(SKIP_1) | instid1(VALU_DEP_1)
	v_fmac_f32_e32 v2, v89, v73
	s_waitcnt vmcnt(1)
	v_fmac_f32_e32 v2, v90, v74
	s_waitcnt lgkmcnt(1)
	s_delay_alu instid0(VALU_DEP_1) | instskip(NEXT) | instid1(VALU_DEP_1)
	v_fmac_f32_e32 v2, v91, v67
	v_fmac_f32_e32 v2, v92, v68
	s_delay_alu instid0(VALU_DEP_1) | instskip(SKIP_1) | instid1(VALU_DEP_1)
	v_fmac_f32_e32 v2, v93, v69
	s_waitcnt vmcnt(0)
	v_fmac_f32_e32 v2, v102, v70
	s_waitcnt lgkmcnt(0)
	s_delay_alu instid0(VALU_DEP_1) | instskip(NEXT) | instid1(VALU_DEP_1)
	v_fmac_f32_e32 v2, v103, v71
	v_sub_f32_e32 v2, v66, v2
	scratch_store_b32 off, v2, off offset:4
	v_cmpx_ne_u32_e32 0, v0
	s_cbranch_execz .LBB30_193
; %bb.192:
	scratch_load_b32 v0, off, off
	scratch_store_b32 off, v65, off
	s_waitcnt vmcnt(0)
	ds_store_b32 v1, v0
.LBB30_193:
	s_or_b32 exec_lo, exec_lo, s0
	s_waitcnt lgkmcnt(0)
	s_waitcnt_vscnt null, 0x0
	s_barrier
	buffer_gl0_inv
	s_clause 0x7
	scratch_load_b128 v[66:69], off, off
	scratch_load_b128 v[70:73], off, off offset:16
	scratch_load_b128 v[74:77], off, off offset:32
	scratch_load_b128 v[78:81], off, off offset:48
	scratch_load_b128 v[82:85], off, off offset:64
	scratch_load_b128 v[86:89], off, off offset:80
	scratch_load_b128 v[90:93], off, off offset:96
	scratch_load_b96 v[0:2], off, off offset:112
	ds_load_2addr_b32 v[94:95], v65 offset0:33 offset1:34
	ds_load_2addr_b32 v[96:97], v65 offset0:35 offset1:36
	ds_load_2addr_b32 v[98:99], v65 offset0:37 offset1:38
	ds_load_2addr_b32 v[100:101], v65 offset0:39 offset1:40
	s_and_b32 vcc_lo, exec_lo, s16
	s_waitcnt vmcnt(7) lgkmcnt(3)
	v_fma_f32 v94, v67, v94, 0
	s_delay_alu instid0(VALU_DEP_1) | instskip(SKIP_4) | instid1(VALU_DEP_1)
	v_fmac_f32_e32 v94, v68, v95
	ds_load_2addr_b32 v[67:68], v65 offset0:41 offset1:42
	s_waitcnt lgkmcnt(3)
	v_fmac_f32_e32 v94, v69, v96
	s_waitcnt vmcnt(6)
	v_fmac_f32_e32 v94, v70, v97
	ds_load_2addr_b32 v[69:70], v65 offset0:43 offset1:44
	s_waitcnt lgkmcnt(3)
	v_fmac_f32_e32 v94, v71, v98
	s_delay_alu instid0(VALU_DEP_1) | instskip(SKIP_1) | instid1(VALU_DEP_1)
	v_fmac_f32_e32 v94, v72, v99
	s_waitcnt lgkmcnt(2)
	v_fmac_f32_e32 v94, v73, v100
	s_waitcnt vmcnt(5)
	s_delay_alu instid0(VALU_DEP_1) | instskip(SKIP_4) | instid1(VALU_DEP_1)
	v_fmac_f32_e32 v94, v74, v101
	ds_load_2addr_b32 v[71:72], v65 offset0:45 offset1:46
	ds_load_2addr_b32 v[73:74], v65 offset0:47 offset1:48
	s_waitcnt lgkmcnt(3)
	v_fmac_f32_e32 v94, v75, v67
	v_fmac_f32_e32 v94, v76, v68
	ds_load_2addr_b32 v[67:68], v65 offset0:49 offset1:50
	s_waitcnt lgkmcnt(3)
	v_fmac_f32_e32 v94, v77, v69
	s_waitcnt vmcnt(4)
	s_delay_alu instid0(VALU_DEP_1) | instskip(SKIP_3) | instid1(VALU_DEP_1)
	v_fmac_f32_e32 v94, v78, v70
	ds_load_2addr_b32 v[69:70], v65 offset0:51 offset1:52
	s_waitcnt lgkmcnt(3)
	v_fmac_f32_e32 v94, v79, v71
	v_fmac_f32_e32 v94, v80, v72
	s_waitcnt lgkmcnt(2)
	s_delay_alu instid0(VALU_DEP_1) | instskip(SKIP_1) | instid1(VALU_DEP_1)
	v_fmac_f32_e32 v94, v81, v73
	s_waitcnt vmcnt(3)
	v_fmac_f32_e32 v94, v82, v74
	ds_load_2addr_b32 v[71:72], v65 offset0:53 offset1:54
	ds_load_2addr_b32 v[73:74], v65 offset0:55 offset1:56
	s_waitcnt lgkmcnt(3)
	v_fmac_f32_e32 v94, v83, v67
	s_delay_alu instid0(VALU_DEP_1) | instskip(SKIP_4) | instid1(VALU_DEP_1)
	v_fmac_f32_e32 v94, v84, v68
	ds_load_2addr_b32 v[67:68], v65 offset0:57 offset1:58
	s_waitcnt lgkmcnt(3)
	v_fmac_f32_e32 v94, v85, v69
	s_waitcnt vmcnt(2)
	v_fmac_f32_e32 v94, v86, v70
	ds_load_2addr_b32 v[69:70], v65 offset0:59 offset1:60
	s_waitcnt lgkmcnt(3)
	v_fmac_f32_e32 v94, v87, v71
	s_delay_alu instid0(VALU_DEP_1) | instskip(SKIP_4) | instid1(VALU_DEP_1)
	v_fmac_f32_e32 v94, v88, v72
	ds_load_2addr_b32 v[71:72], v65 offset0:61 offset1:62
	s_waitcnt lgkmcnt(3)
	v_fmac_f32_e32 v94, v89, v73
	s_waitcnt vmcnt(1)
	v_fmac_f32_e32 v94, v90, v74
	s_waitcnt lgkmcnt(2)
	s_delay_alu instid0(VALU_DEP_1) | instskip(NEXT) | instid1(VALU_DEP_1)
	v_fmac_f32_e32 v94, v91, v67
	v_fmac_f32_e32 v94, v92, v68
	s_waitcnt lgkmcnt(1)
	s_delay_alu instid0(VALU_DEP_1) | instskip(SKIP_1) | instid1(VALU_DEP_1)
	v_fmac_f32_e32 v94, v93, v69
	s_waitcnt vmcnt(0)
	v_fmac_f32_e32 v94, v0, v70
	s_waitcnt lgkmcnt(0)
	s_delay_alu instid0(VALU_DEP_1) | instskip(NEXT) | instid1(VALU_DEP_1)
	v_fmac_f32_e32 v94, v1, v71
	v_fmac_f32_e32 v94, v2, v72
	s_delay_alu instid0(VALU_DEP_1)
	v_sub_f32_e32 v0, v66, v94
	scratch_store_b32 off, v0, off
	s_cbranch_vccz .LBB30_255
; %bb.194:
	v_dual_mov_b32 v66, s13 :: v_dual_mov_b32 v65, s12
	s_mov_b32 s0, exec_lo
	flat_load_b32 v0, v[65:66] offset:116
	s_waitcnt vmcnt(0) lgkmcnt(0)
	v_cmpx_ne_u32_e32 30, v0
	s_cbranch_execz .LBB30_196
; %bb.195:
	v_lshl_add_u32 v0, v0, 2, 0
	scratch_load_b32 v2, v0, off offset:-4
	s_waitcnt vmcnt(0)
	scratch_store_b32 off, v2, off offset:116
	scratch_store_b32 v0, v1, off offset:-4
.LBB30_196:
	s_or_b32 exec_lo, exec_lo, s0
	v_dual_mov_b32 v0, s12 :: v_dual_mov_b32 v1, s13
	s_mov_b32 s0, exec_lo
	flat_load_b32 v0, v[0:1] offset:112
	s_waitcnt vmcnt(0) lgkmcnt(0)
	v_cmpx_ne_u32_e32 29, v0
	s_cbranch_execz .LBB30_198
; %bb.197:
	v_lshl_add_u32 v0, v0, 2, 0
	scratch_load_b32 v1, v0, off offset:-4
	scratch_load_b32 v2, off, off offset:112
	s_waitcnt vmcnt(1)
	scratch_store_b32 off, v1, off offset:112
	s_waitcnt vmcnt(0)
	scratch_store_b32 v0, v2, off offset:-4
.LBB30_198:
	s_or_b32 exec_lo, exec_lo, s0
	v_dual_mov_b32 v0, s12 :: v_dual_mov_b32 v1, s13
	s_mov_b32 s0, exec_lo
	flat_load_b32 v0, v[0:1] offset:108
	s_waitcnt vmcnt(0) lgkmcnt(0)
	v_cmpx_ne_u32_e32 28, v0
	s_cbranch_execz .LBB30_200
; %bb.199:
	v_lshl_add_u32 v0, v0, 2, 0
	scratch_load_b32 v1, v0, off offset:-4
	scratch_load_b32 v2, off, off offset:108
	s_waitcnt vmcnt(1)
	scratch_store_b32 off, v1, off offset:108
	s_waitcnt vmcnt(0)
	scratch_store_b32 v0, v2, off offset:-4
.LBB30_200:
	;; [unrolled: 16-line block ×28, first 2 shown]
	s_or_b32 exec_lo, exec_lo, s0
	v_dual_mov_b32 v0, s12 :: v_dual_mov_b32 v1, s13
	s_mov_b32 s0, exec_lo
	flat_load_b32 v1, v[0:1]
	scratch_load_b32 v0, off, off
	s_waitcnt vmcnt(1) lgkmcnt(0)
	v_cmpx_ne_u32_e32 1, v1
	s_cbranch_execz .LBB30_254
; %bb.253:
	v_lshl_add_u32 v1, v1, 2, 0
	scratch_load_b32 v2, v1, off offset:-4
	s_waitcnt vmcnt(0)
	scratch_store_b32 off, v2, off
	scratch_store_b32 v1, v0, off offset:-4
	scratch_load_b32 v0, off, off
.LBB30_254:
	s_or_b32 exec_lo, exec_lo, s0
.LBB30_255:
	s_clause 0x7
	scratch_load_b128 v[65:68], off, off offset:4
	scratch_load_b128 v[69:72], off, off offset:20
	;; [unrolled: 1-line block ×7, first 2 shown]
	scratch_load_b64 v[1:2], off, off offset:116
	s_waitcnt vmcnt(8)
	global_store_b32 v[3:4], v0, off
	s_waitcnt vmcnt(7)
	s_clause 0x3
	global_store_b32 v[5:6], v65, off
	global_store_b32 v[7:8], v66, off
	global_store_b32 v[9:10], v67, off
	global_store_b32 v[11:12], v68, off
	s_waitcnt vmcnt(6)
	s_clause 0x3
	global_store_b32 v[13:14], v69, off
	global_store_b32 v[15:16], v70, off
	global_store_b32 v[17:18], v71, off
	;; [unrolled: 6-line block ×7, first 2 shown]
	global_store_b32 v[59:60], v92, off
	s_waitcnt vmcnt(0)
	s_clause 0x1
	global_store_b32 v[63:64], v1, off
	global_store_b32 v[61:62], v2, off
	s_endpgm
	.section	.rodata,"a",@progbits
	.p2align	6, 0x0
	.amdhsa_kernel _ZN9rocsolver6v33100L18getri_kernel_smallILi31EfPfEEvT1_iilPiilS4_bb
		.amdhsa_group_segment_fixed_size 252
		.amdhsa_private_segment_fixed_size 128
		.amdhsa_kernarg_size 60
		.amdhsa_user_sgpr_count 15
		.amdhsa_user_sgpr_dispatch_ptr 0
		.amdhsa_user_sgpr_queue_ptr 0
		.amdhsa_user_sgpr_kernarg_segment_ptr 1
		.amdhsa_user_sgpr_dispatch_id 0
		.amdhsa_user_sgpr_private_segment_size 0
		.amdhsa_wavefront_size32 1
		.amdhsa_uses_dynamic_stack 0
		.amdhsa_enable_private_segment 1
		.amdhsa_system_sgpr_workgroup_id_x 1
		.amdhsa_system_sgpr_workgroup_id_y 0
		.amdhsa_system_sgpr_workgroup_id_z 0
		.amdhsa_system_sgpr_workgroup_info 0
		.amdhsa_system_vgpr_workitem_id 0
		.amdhsa_next_free_vgpr 104
		.amdhsa_next_free_sgpr 18
		.amdhsa_reserve_vcc 1
		.amdhsa_float_round_mode_32 0
		.amdhsa_float_round_mode_16_64 0
		.amdhsa_float_denorm_mode_32 3
		.amdhsa_float_denorm_mode_16_64 3
		.amdhsa_dx10_clamp 1
		.amdhsa_ieee_mode 1
		.amdhsa_fp16_overflow 0
		.amdhsa_workgroup_processor_mode 1
		.amdhsa_memory_ordered 1
		.amdhsa_forward_progress 0
		.amdhsa_shared_vgpr_count 0
		.amdhsa_exception_fp_ieee_invalid_op 0
		.amdhsa_exception_fp_denorm_src 0
		.amdhsa_exception_fp_ieee_div_zero 0
		.amdhsa_exception_fp_ieee_overflow 0
		.amdhsa_exception_fp_ieee_underflow 0
		.amdhsa_exception_fp_ieee_inexact 0
		.amdhsa_exception_int_div_zero 0
	.end_amdhsa_kernel
	.section	.text._ZN9rocsolver6v33100L18getri_kernel_smallILi31EfPfEEvT1_iilPiilS4_bb,"axG",@progbits,_ZN9rocsolver6v33100L18getri_kernel_smallILi31EfPfEEvT1_iilPiilS4_bb,comdat
.Lfunc_end30:
	.size	_ZN9rocsolver6v33100L18getri_kernel_smallILi31EfPfEEvT1_iilPiilS4_bb, .Lfunc_end30-_ZN9rocsolver6v33100L18getri_kernel_smallILi31EfPfEEvT1_iilPiilS4_bb
                                        ; -- End function
	.section	.AMDGPU.csdata,"",@progbits
; Kernel info:
; codeLenInByte = 19152
; NumSgprs: 20
; NumVgprs: 104
; ScratchSize: 128
; MemoryBound: 0
; FloatMode: 240
; IeeeMode: 1
; LDSByteSize: 252 bytes/workgroup (compile time only)
; SGPRBlocks: 2
; VGPRBlocks: 12
; NumSGPRsForWavesPerEU: 20
; NumVGPRsForWavesPerEU: 104
; Occupancy: 12
; WaveLimiterHint : 1
; COMPUTE_PGM_RSRC2:SCRATCH_EN: 1
; COMPUTE_PGM_RSRC2:USER_SGPR: 15
; COMPUTE_PGM_RSRC2:TRAP_HANDLER: 0
; COMPUTE_PGM_RSRC2:TGID_X_EN: 1
; COMPUTE_PGM_RSRC2:TGID_Y_EN: 0
; COMPUTE_PGM_RSRC2:TGID_Z_EN: 0
; COMPUTE_PGM_RSRC2:TIDIG_COMP_CNT: 0
	.section	.text._ZN9rocsolver6v33100L18getri_kernel_smallILi32EfPfEEvT1_iilPiilS4_bb,"axG",@progbits,_ZN9rocsolver6v33100L18getri_kernel_smallILi32EfPfEEvT1_iilPiilS4_bb,comdat
	.globl	_ZN9rocsolver6v33100L18getri_kernel_smallILi32EfPfEEvT1_iilPiilS4_bb ; -- Begin function _ZN9rocsolver6v33100L18getri_kernel_smallILi32EfPfEEvT1_iilPiilS4_bb
	.p2align	8
	.type	_ZN9rocsolver6v33100L18getri_kernel_smallILi32EfPfEEvT1_iilPiilS4_bb,@function
_ZN9rocsolver6v33100L18getri_kernel_smallILi32EfPfEEvT1_iilPiilS4_bb: ; @_ZN9rocsolver6v33100L18getri_kernel_smallILi32EfPfEEvT1_iilPiilS4_bb
; %bb.0:
	s_mov_b32 s2, exec_lo
	v_cmpx_gt_u32_e32 32, v0
	s_cbranch_execz .LBB31_136
; %bb.1:
	s_clause 0x2
	s_load_b32 s17, s[0:1], 0x38
	s_load_b128 s[8:11], s[0:1], 0x10
	s_load_b128 s[4:7], s[0:1], 0x28
	s_mov_b32 s14, s15
                                        ; implicit-def: $sgpr12_sgpr13
	s_waitcnt lgkmcnt(0)
	s_bitcmp1_b32 s17, 8
	s_cselect_b32 s16, -1, 0
	s_bfe_u32 s2, s17, 0x10008
	s_ashr_i32 s15, s15, 31
	s_cmp_eq_u32 s2, 0
	s_cbranch_scc1 .LBB31_3
; %bb.2:
	s_load_b32 s2, s[0:1], 0x20
	s_mul_i32 s3, s14, s5
	s_mul_hi_u32 s5, s14, s4
	s_mul_i32 s12, s15, s4
	s_add_i32 s3, s5, s3
	s_mul_i32 s4, s14, s4
	s_add_i32 s5, s3, s12
	s_delay_alu instid0(SALU_CYCLE_1)
	s_lshl_b64 s[4:5], s[4:5], 2
	s_waitcnt lgkmcnt(0)
	s_ashr_i32 s3, s2, 31
	s_add_u32 s4, s10, s4
	s_addc_u32 s5, s11, s5
	s_lshl_b64 s[2:3], s[2:3], 2
	s_delay_alu instid0(SALU_CYCLE_1)
	s_add_u32 s12, s4, s2
	s_addc_u32 s13, s5, s3
.LBB31_3:
	s_load_b128 s[0:3], s[0:1], 0x0
	s_mul_i32 s4, s14, s9
	s_mul_hi_u32 s5, s14, s8
	s_mul_i32 s9, s15, s8
	s_add_i32 s5, s5, s4
	s_mul_i32 s4, s14, s8
	s_add_i32 s5, s5, s9
	v_lshlrev_b32_e32 v1, 2, v0
	s_lshl_b64 s[4:5], s[4:5], 2
	s_waitcnt lgkmcnt(0)
	v_add3_u32 v2, s3, s3, v0
	s_ashr_i32 s9, s2, 31
	s_mov_b32 s8, s2
	s_add_u32 s2, s0, s4
	s_addc_u32 s4, s1, s5
	v_add_nc_u32_e32 v8, s3, v2
	s_lshl_b64 s[0:1], s[8:9], 2
	v_ashrrev_i32_e32 v3, 31, v2
	s_add_u32 s0, s2, s0
	s_addc_u32 s1, s4, s1
	v_add_nc_u32_e32 v10, s3, v8
	v_add_co_u32 v4, s2, s0, v1
	s_mov_b32 s10, s3
	s_ashr_i32 s11, s3, 31
	s_delay_alu instid0(VALU_DEP_2) | instskip(SKIP_3) | instid1(VALU_DEP_4)
	v_add_nc_u32_e32 v12, s3, v10
	v_add_co_ci_u32_e64 v5, null, s1, 0, s2
	v_lshlrev_b64 v[2:3], 2, v[2:3]
	v_ashrrev_i32_e32 v9, 31, v8
	v_add_nc_u32_e32 v14, s3, v12
	s_lshl_b64 s[4:5], s[10:11], 2
	v_ashrrev_i32_e32 v11, 31, v10
	v_add_co_u32 v6, vcc_lo, v4, s4
	s_delay_alu instid0(VALU_DEP_3) | instskip(SKIP_3) | instid1(VALU_DEP_4)
	v_add_nc_u32_e32 v16, s3, v14
	v_add_co_ci_u32_e32 v7, vcc_lo, s5, v5, vcc_lo
	v_lshlrev_b64 v[21:22], 2, v[8:9]
	v_add_co_u32 v8, vcc_lo, s0, v2
	v_add_nc_u32_e32 v18, s3, v16
	v_add_co_ci_u32_e32 v9, vcc_lo, s1, v3, vcc_lo
	v_lshlrev_b64 v[2:3], 2, v[10:11]
	v_ashrrev_i32_e32 v13, 31, v12
	s_delay_alu instid0(VALU_DEP_4) | instskip(SKIP_3) | instid1(VALU_DEP_4)
	v_add_nc_u32_e32 v20, s3, v18
	v_add_co_u32 v10, vcc_lo, s0, v21
	v_ashrrev_i32_e32 v15, 31, v14
	v_add_co_ci_u32_e32 v11, vcc_lo, s1, v22, vcc_lo
	v_add_nc_u32_e32 v23, s3, v20
	v_lshlrev_b64 v[21:22], 2, v[12:13]
	v_add_co_u32 v12, vcc_lo, s0, v2
	v_add_co_ci_u32_e32 v13, vcc_lo, s1, v3, vcc_lo
	s_delay_alu instid0(VALU_DEP_4) | instskip(SKIP_3) | instid1(VALU_DEP_4)
	v_add_nc_u32_e32 v25, s3, v23
	v_lshlrev_b64 v[2:3], 2, v[14:15]
	v_ashrrev_i32_e32 v17, 31, v16
	v_add_co_u32 v14, vcc_lo, s0, v21
	v_add_nc_u32_e32 v27, s3, v25
	v_ashrrev_i32_e32 v19, 31, v18
	v_add_co_ci_u32_e32 v15, vcc_lo, s1, v22, vcc_lo
	v_lshlrev_b64 v[30:31], 2, v[16:17]
	s_delay_alu instid0(VALU_DEP_4) | instskip(SKIP_2) | instid1(VALU_DEP_3)
	v_add_nc_u32_e32 v29, s3, v27
	v_add_co_u32 v16, vcc_lo, s0, v2
	v_add_co_ci_u32_e32 v17, vcc_lo, s1, v3, vcc_lo
	v_add_nc_u32_e32 v32, s3, v29
	v_lshlrev_b64 v[2:3], 2, v[18:19]
	v_ashrrev_i32_e32 v21, 31, v20
	v_add_co_u32 v18, vcc_lo, s0, v30
	s_delay_alu instid0(VALU_DEP_4) | instskip(SKIP_3) | instid1(VALU_DEP_4)
	v_add_nc_u32_e32 v34, s3, v32
	v_ashrrev_i32_e32 v24, 31, v23
	v_add_co_ci_u32_e32 v19, vcc_lo, s1, v31, vcc_lo
	v_lshlrev_b64 v[30:31], 2, v[20:21]
	v_add_nc_u32_e32 v36, s3, v34
	v_add_co_u32 v20, vcc_lo, s0, v2
	v_add_co_ci_u32_e32 v21, vcc_lo, s1, v3, vcc_lo
	s_delay_alu instid0(VALU_DEP_3) | instskip(SKIP_3) | instid1(VALU_DEP_4)
	v_add_nc_u32_e32 v38, s3, v36
	v_lshlrev_b64 v[2:3], 2, v[23:24]
	v_ashrrev_i32_e32 v26, 31, v25
	v_add_co_u32 v22, vcc_lo, s0, v30
	v_add_nc_u32_e32 v40, s3, v38
	v_ashrrev_i32_e32 v28, 31, v27
	v_add_co_ci_u32_e32 v23, vcc_lo, s1, v31, vcc_lo
	v_lshlrev_b64 v[41:42], 2, v[25:26]
	s_delay_alu instid0(VALU_DEP_4) | instskip(SKIP_2) | instid1(VALU_DEP_3)
	v_add_nc_u32_e32 v43, s3, v40
	v_add_co_u32 v24, vcc_lo, s0, v2
	v_add_co_ci_u32_e32 v25, vcc_lo, s1, v3, vcc_lo
	v_add_nc_u32_e32 v45, s3, v43
	v_lshlrev_b64 v[2:3], 2, v[27:28]
	v_ashrrev_i32_e32 v30, 31, v29
	v_add_co_u32 v26, vcc_lo, s0, v41
	s_delay_alu instid0(VALU_DEP_4) | instskip(SKIP_3) | instid1(VALU_DEP_4)
	v_add_nc_u32_e32 v47, s3, v45
	v_ashrrev_i32_e32 v33, 31, v32
	v_add_co_ci_u32_e32 v27, vcc_lo, s1, v42, vcc_lo
	v_lshlrev_b64 v[30:31], 2, v[29:30]
	v_add_nc_u32_e32 v49, s3, v47
	v_add_co_u32 v28, vcc_lo, s0, v2
	v_add_co_ci_u32_e32 v29, vcc_lo, s1, v3, vcc_lo
	s_delay_alu instid0(VALU_DEP_3) | instskip(SKIP_3) | instid1(VALU_DEP_4)
	v_add_nc_u32_e32 v51, s3, v49
	v_lshlrev_b64 v[2:3], 2, v[32:33]
	v_ashrrev_i32_e32 v35, 31, v34
	v_add_co_u32 v30, vcc_lo, s0, v30
	v_add_nc_u32_e32 v53, s3, v51
	v_ashrrev_i32_e32 v37, 31, v36
	v_add_co_ci_u32_e32 v31, vcc_lo, s1, v31, vcc_lo
	v_lshlrev_b64 v[34:35], 2, v[34:35]
	s_delay_alu instid0(VALU_DEP_4) | instskip(SKIP_2) | instid1(VALU_DEP_3)
	v_add_nc_u32_e32 v55, s3, v53
	v_add_co_u32 v32, vcc_lo, s0, v2
	v_add_co_ci_u32_e32 v33, vcc_lo, s1, v3, vcc_lo
	v_add_nc_u32_e32 v57, s3, v55
	v_lshlrev_b64 v[2:3], 2, v[36:37]
	v_ashrrev_i32_e32 v39, 31, v38
	v_add_co_u32 v34, vcc_lo, s0, v34
	v_ashrrev_i32_e32 v41, 31, v40
	v_add_nc_u32_e32 v59, s3, v57
	v_add_co_ci_u32_e32 v35, vcc_lo, s1, v35, vcc_lo
	v_lshlrev_b64 v[38:39], 2, v[38:39]
	v_add_co_u32 v36, vcc_lo, s0, v2
	v_add_co_ci_u32_e32 v37, vcc_lo, s1, v3, vcc_lo
	v_lshlrev_b64 v[2:3], 2, v[40:41]
	v_ashrrev_i32_e32 v44, 31, v43
	v_add_nc_u32_e32 v61, s3, v59
	v_add_co_u32 v38, vcc_lo, s0, v38
	v_ashrrev_i32_e32 v46, 31, v45
	v_add_co_ci_u32_e32 v39, vcc_lo, s1, v39, vcc_lo
	v_lshlrev_b64 v[42:43], 2, v[43:44]
	v_add_co_u32 v40, vcc_lo, s0, v2
	v_add_nc_u32_e32 v63, s3, v61
	v_add_co_ci_u32_e32 v41, vcc_lo, s1, v3, vcc_lo
	v_lshlrev_b64 v[2:3], 2, v[45:46]
	v_add_co_u32 v42, vcc_lo, s0, v42
	v_ashrrev_i32_e32 v50, 31, v49
	v_add_nc_u32_e32 v65, s3, v63
	v_ashrrev_i32_e32 v48, 31, v47
	v_add_co_ci_u32_e32 v43, vcc_lo, s1, v43, vcc_lo
	v_add_co_u32 v44, vcc_lo, s0, v2
	v_add_co_ci_u32_e32 v45, vcc_lo, s1, v3, vcc_lo
	v_lshlrev_b64 v[2:3], 2, v[49:50]
	v_ashrrev_i32_e32 v52, 31, v51
	v_add_nc_u32_e32 v50, s3, v65
	v_lshlrev_b64 v[46:47], 2, v[47:48]
	v_ashrrev_i32_e32 v54, 31, v53
	v_ashrrev_i32_e32 v56, 31, v55
	v_lshlrev_b64 v[66:67], 2, v[51:52]
	v_ashrrev_i32_e32 v51, 31, v50
	v_ashrrev_i32_e32 v58, 31, v57
	v_add_co_u32 v46, vcc_lo, s0, v46
	v_add_co_ci_u32_e32 v47, vcc_lo, s1, v47, vcc_lo
	v_add_co_u32 v48, vcc_lo, s0, v2
	v_lshlrev_b64 v[50:51], 2, v[50:51]
	v_add_co_ci_u32_e32 v49, vcc_lo, s1, v3, vcc_lo
	v_lshlrev_b64 v[2:3], 2, v[53:54]
	v_add_co_u32 v52, vcc_lo, s0, v66
	v_add_co_ci_u32_e32 v53, vcc_lo, s1, v67, vcc_lo
	v_add_co_u32 v50, vcc_lo, s0, v50
	v_lshlrev_b64 v[66:67], 2, v[55:56]
	v_add_co_ci_u32_e32 v51, vcc_lo, s1, v51, vcc_lo
	v_add_co_u32 v54, vcc_lo, s0, v2
	v_add_co_ci_u32_e32 v55, vcc_lo, s1, v3, vcc_lo
	v_lshlrev_b64 v[2:3], 2, v[57:58]
	v_ashrrev_i32_e32 v60, 31, v59
	v_add_co_u32 v56, vcc_lo, s0, v66
	v_ashrrev_i32_e32 v62, 31, v61
	v_add_co_ci_u32_e32 v57, vcc_lo, s1, v67, vcc_lo
	s_delay_alu instid0(VALU_DEP_4)
	v_lshlrev_b64 v[66:67], 2, v[59:60]
	v_add_co_u32 v58, vcc_lo, s0, v2
	v_add_co_ci_u32_e32 v59, vcc_lo, s1, v3, vcc_lo
	v_lshlrev_b64 v[2:3], 2, v[61:62]
	v_ashrrev_i32_e32 v64, 31, v63
	v_add_co_u32 v60, vcc_lo, s0, v66
	v_ashrrev_i32_e32 v66, 31, v65
	v_add_co_ci_u32_e32 v61, vcc_lo, s1, v67, vcc_lo
	s_delay_alu instid0(VALU_DEP_4) | instskip(SKIP_3) | instid1(VALU_DEP_4)
	v_lshlrev_b64 v[93:94], 2, v[63:64]
	v_add_co_u32 v62, vcc_lo, s0, v2
	v_add_co_ci_u32_e32 v63, vcc_lo, s1, v3, vcc_lo
	v_lshlrev_b64 v[2:3], 2, v[65:66]
	v_add_co_u32 v64, vcc_lo, s0, v93
	v_add_co_ci_u32_e32 v65, vcc_lo, s1, v94, vcc_lo
	global_load_b32 v68, v1, s[0:1]
	v_add_co_u32 v66, vcc_lo, s0, v2
	s_clause 0x17
	global_load_b32 v69, v[6:7], off
	global_load_b32 v70, v[8:9], off
	;; [unrolled: 1-line block ×24, first 2 shown]
	v_add_co_ci_u32_e32 v67, vcc_lo, s1, v3, vcc_lo
	s_clause 0x6
	global_load_b32 v93, v[56:57], off
	global_load_b32 v94, v[58:59], off
	;; [unrolled: 1-line block ×7, first 2 shown]
	s_mov_b32 s1, -1
	s_bitcmp0_b32 s17, 0
	s_waitcnt vmcnt(28)
	scratch_store_b128 off, v[68:71], off
	s_waitcnt vmcnt(24)
	scratch_store_b128 off, v[72:75], off offset:16
	s_waitcnt vmcnt(20)
	scratch_store_b128 off, v[76:79], off offset:32
	;; [unrolled: 2-line block ×7, first 2 shown]
	s_cbranch_scc1 .LBB31_134
; %bb.4:
	v_cmp_eq_u32_e64 s0, 0, v0
	s_delay_alu instid0(VALU_DEP_1)
	s_and_saveexec_b32 s1, s0
	s_cbranch_execz .LBB31_6
; %bb.5:
	v_mov_b32_e32 v2, 0
	ds_store_b32 v2, v2 offset:256
.LBB31_6:
	s_or_b32 exec_lo, exec_lo, s1
	s_waitcnt lgkmcnt(0)
	s_waitcnt_vscnt null, 0x0
	s_barrier
	buffer_gl0_inv
	scratch_load_b32 v2, v1, off
	s_mov_b32 s2, exec_lo
	s_waitcnt vmcnt(0)
	v_cmpx_eq_f32_e32 0, v2
	s_cbranch_execz .LBB31_10
; %bb.7:
	v_mov_b32_e32 v2, 0
	s_mov_b32 s3, 0
	ds_load_b32 v3, v2 offset:256
	s_waitcnt lgkmcnt(0)
	v_readfirstlane_b32 s1, v3
	v_add_nc_u32_e32 v3, 1, v0
	s_delay_alu instid0(VALU_DEP_2) | instskip(NEXT) | instid1(VALU_DEP_1)
	s_cmp_eq_u32 s1, 0
	v_cmp_gt_i32_e32 vcc_lo, s1, v3
	s_cselect_b32 s4, -1, 0
	s_delay_alu instid0(SALU_CYCLE_1) | instskip(NEXT) | instid1(SALU_CYCLE_1)
	s_or_b32 s4, s4, vcc_lo
	s_and_b32 exec_lo, exec_lo, s4
	s_cbranch_execz .LBB31_10
; %bb.8:
	v_mov_b32_e32 v68, s1
.LBB31_9:                               ; =>This Inner Loop Header: Depth=1
	ds_cmpstore_rtn_b32 v68, v2, v3, v68 offset:256
	s_waitcnt lgkmcnt(0)
	v_cmp_ne_u32_e32 vcc_lo, 0, v68
	v_cmp_le_i32_e64 s1, v68, v3
	s_delay_alu instid0(VALU_DEP_1) | instskip(NEXT) | instid1(SALU_CYCLE_1)
	s_and_b32 s1, vcc_lo, s1
	s_and_b32 s1, exec_lo, s1
	s_delay_alu instid0(SALU_CYCLE_1) | instskip(NEXT) | instid1(SALU_CYCLE_1)
	s_or_b32 s3, s1, s3
	s_and_not1_b32 exec_lo, exec_lo, s3
	s_cbranch_execnz .LBB31_9
.LBB31_10:
	s_or_b32 exec_lo, exec_lo, s2
	v_mov_b32_e32 v2, 0
	s_barrier
	buffer_gl0_inv
	ds_load_b32 v3, v2 offset:256
	s_and_saveexec_b32 s1, s0
	s_cbranch_execz .LBB31_12
; %bb.11:
	s_lshl_b64 s[2:3], s[14:15], 2
	s_delay_alu instid0(SALU_CYCLE_1)
	s_add_u32 s2, s6, s2
	s_addc_u32 s3, s7, s3
	s_waitcnt lgkmcnt(0)
	global_store_b32 v2, v3, s[2:3]
.LBB31_12:
	s_or_b32 exec_lo, exec_lo, s1
	s_waitcnt lgkmcnt(0)
	v_cmp_ne_u32_e32 vcc_lo, 0, v3
	s_mov_b32 s1, 0
	s_cbranch_vccnz .LBB31_134
; %bb.13:
	v_add_nc_u32_e32 v2, 0, v1
	scratch_load_b32 v3, v2, off
	s_waitcnt vmcnt(0)
	v_div_scale_f32 v68, null, v3, v3, 1.0
	v_div_scale_f32 v71, vcc_lo, 1.0, v3, 1.0
	s_delay_alu instid0(VALU_DEP_2) | instskip(SKIP_2) | instid1(VALU_DEP_1)
	v_rcp_f32_e32 v69, v68
	s_waitcnt_depctr 0xfff
	v_fma_f32 v70, -v68, v69, 1.0
	v_fmac_f32_e32 v69, v70, v69
	s_delay_alu instid0(VALU_DEP_1) | instskip(NEXT) | instid1(VALU_DEP_1)
	v_mul_f32_e32 v70, v71, v69
	v_fma_f32 v72, -v68, v70, v71
	s_delay_alu instid0(VALU_DEP_1) | instskip(NEXT) | instid1(VALU_DEP_1)
	v_fmac_f32_e32 v70, v72, v69
	v_fma_f32 v68, -v68, v70, v71
	s_delay_alu instid0(VALU_DEP_1) | instskip(NEXT) | instid1(VALU_DEP_1)
	v_div_fmas_f32 v68, v68, v69, v70
	v_div_fixup_f32 v3, v68, v3, 1.0
	scratch_store_b32 v2, v3, off
	scratch_load_b32 v68, off, off offset:4
	v_xor_b32_e32 v69, 0x80000000, v3
	v_add_nc_u32_e32 v3, 0x80, v1
	s_waitcnt vmcnt(0)
	ds_store_2addr_b32 v1, v69, v68 offset1:32
	s_waitcnt lgkmcnt(0)
	s_waitcnt_vscnt null, 0x0
	s_barrier
	buffer_gl0_inv
	s_and_saveexec_b32 s1, s0
	s_cbranch_execz .LBB31_15
; %bb.14:
	scratch_load_b32 v68, v2, off
	ds_load_b32 v69, v3
	v_mov_b32_e32 v70, 0
	ds_load_b32 v70, v70 offset:4
	s_waitcnt vmcnt(0) lgkmcnt(1)
	v_fma_f32 v68, v68, v69, 0
	s_waitcnt lgkmcnt(0)
	s_delay_alu instid0(VALU_DEP_1)
	v_mul_f32_e32 v68, v68, v70
	scratch_store_b32 off, v68, off offset:4
.LBB31_15:
	s_or_b32 exec_lo, exec_lo, s1
	s_waitcnt_vscnt null, 0x0
	s_barrier
	buffer_gl0_inv
	scratch_load_b32 v68, off, off offset:8
	s_mov_b32 s1, exec_lo
	s_waitcnt vmcnt(0)
	ds_store_b32 v3, v68
	s_waitcnt lgkmcnt(0)
	s_barrier
	buffer_gl0_inv
	v_cmpx_gt_u32_e32 2, v0
	s_cbranch_execz .LBB31_17
; %bb.16:
	scratch_load_b32 v70, v2, off
	scratch_load_b32 v71, off, off offset:4
	ds_load_b32 v72, v3
	v_mov_b32_e32 v68, 0
	ds_load_2addr_b32 v[68:69], v68 offset0:2 offset1:33
	s_waitcnt vmcnt(1) lgkmcnt(1)
	v_fma_f32 v70, v70, v72, 0
	s_waitcnt vmcnt(0) lgkmcnt(0)
	s_delay_alu instid0(VALU_DEP_1) | instskip(NEXT) | instid1(VALU_DEP_1)
	v_fma_f32 v69, v71, v69, v70
	v_cndmask_b32_e64 v69, v70, v69, s0
	s_delay_alu instid0(VALU_DEP_1)
	v_mul_f32_e32 v68, v69, v68
	scratch_store_b32 off, v68, off offset:8
.LBB31_17:
	s_or_b32 exec_lo, exec_lo, s1
	s_waitcnt_vscnt null, 0x0
	s_barrier
	buffer_gl0_inv
	scratch_load_b32 v69, off, off offset:12
	v_add_nc_u32_e32 v68, -1, v0
	s_mov_b32 s0, exec_lo
	s_waitcnt vmcnt(0)
	ds_store_b32 v3, v69
	s_waitcnt lgkmcnt(0)
	s_barrier
	buffer_gl0_inv
	v_cmpx_gt_u32_e32 3, v0
	s_cbranch_execz .LBB31_21
; %bb.18:
	v_dual_mov_b32 v69, 0 :: v_dual_add_nc_u32 v70, -1, v0
	v_add_nc_u32_e32 v71, 0x80, v1
	v_add_nc_u32_e32 v72, 0, v1
	s_mov_b32 s1, 0
.LBB31_19:                              ; =>This Inner Loop Header: Depth=1
	scratch_load_b32 v73, v72, off
	ds_load_b32 v74, v71
	v_add_nc_u32_e32 v70, 1, v70
	v_add_nc_u32_e32 v71, 4, v71
	v_add_nc_u32_e32 v72, 4, v72
	s_delay_alu instid0(VALU_DEP_3)
	v_cmp_lt_u32_e32 vcc_lo, 1, v70
	s_or_b32 s1, vcc_lo, s1
	s_waitcnt vmcnt(0) lgkmcnt(0)
	v_fmac_f32_e32 v69, v73, v74
	s_and_not1_b32 exec_lo, exec_lo, s1
	s_cbranch_execnz .LBB31_19
; %bb.20:
	s_or_b32 exec_lo, exec_lo, s1
	v_mov_b32_e32 v70, 0
	ds_load_b32 v70, v70 offset:12
	s_waitcnt lgkmcnt(0)
	v_mul_f32_e32 v69, v69, v70
	scratch_store_b32 off, v69, off offset:12
.LBB31_21:
	s_or_b32 exec_lo, exec_lo, s0
	s_waitcnt_vscnt null, 0x0
	s_barrier
	buffer_gl0_inv
	scratch_load_b32 v69, off, off offset:16
	s_mov_b32 s0, exec_lo
	s_waitcnt vmcnt(0)
	ds_store_b32 v3, v69
	s_waitcnt lgkmcnt(0)
	s_barrier
	buffer_gl0_inv
	v_cmpx_gt_u32_e32 4, v0
	s_cbranch_execz .LBB31_25
; %bb.22:
	v_dual_mov_b32 v69, 0 :: v_dual_add_nc_u32 v70, -1, v0
	v_add_nc_u32_e32 v71, 0x80, v1
	v_add_nc_u32_e32 v72, 0, v1
	s_mov_b32 s1, 0
.LBB31_23:                              ; =>This Inner Loop Header: Depth=1
	scratch_load_b32 v73, v72, off
	ds_load_b32 v74, v71
	v_add_nc_u32_e32 v70, 1, v70
	v_add_nc_u32_e32 v71, 4, v71
	v_add_nc_u32_e32 v72, 4, v72
	s_delay_alu instid0(VALU_DEP_3)
	v_cmp_lt_u32_e32 vcc_lo, 2, v70
	s_or_b32 s1, vcc_lo, s1
	s_waitcnt vmcnt(0) lgkmcnt(0)
	v_fmac_f32_e32 v69, v73, v74
	s_and_not1_b32 exec_lo, exec_lo, s1
	s_cbranch_execnz .LBB31_23
; %bb.24:
	s_or_b32 exec_lo, exec_lo, s1
	v_mov_b32_e32 v70, 0
	ds_load_b32 v70, v70 offset:16
	s_waitcnt lgkmcnt(0)
	v_mul_f32_e32 v69, v69, v70
	scratch_store_b32 off, v69, off offset:16
.LBB31_25:
	s_or_b32 exec_lo, exec_lo, s0
	s_waitcnt_vscnt null, 0x0
	s_barrier
	buffer_gl0_inv
	scratch_load_b32 v69, off, off offset:20
	;; [unrolled: 39-line block ×21, first 2 shown]
	s_mov_b32 s0, exec_lo
	s_waitcnt vmcnt(0)
	ds_store_b32 v3, v69
	s_waitcnt lgkmcnt(0)
	s_barrier
	buffer_gl0_inv
	v_cmpx_gt_u32_e32 24, v0
	s_cbranch_execz .LBB31_105
; %bb.102:
	v_dual_mov_b32 v69, 0 :: v_dual_add_nc_u32 v70, -1, v0
	v_add_nc_u32_e32 v71, 0x80, v1
	v_add_nc_u32_e32 v72, 0, v1
	s_mov_b32 s1, 0
.LBB31_103:                             ; =>This Inner Loop Header: Depth=1
	scratch_load_b32 v73, v72, off
	ds_load_b32 v74, v71
	v_add_nc_u32_e32 v70, 1, v70
	v_add_nc_u32_e32 v71, 4, v71
	v_add_nc_u32_e32 v72, 4, v72
	s_delay_alu instid0(VALU_DEP_3)
	v_cmp_lt_u32_e32 vcc_lo, 22, v70
	s_or_b32 s1, vcc_lo, s1
	s_waitcnt vmcnt(0) lgkmcnt(0)
	v_fmac_f32_e32 v69, v73, v74
	s_and_not1_b32 exec_lo, exec_lo, s1
	s_cbranch_execnz .LBB31_103
; %bb.104:
	s_or_b32 exec_lo, exec_lo, s1
	v_mov_b32_e32 v70, 0
	ds_load_b32 v70, v70 offset:96
	s_waitcnt lgkmcnt(0)
	v_mul_f32_e32 v69, v69, v70
	scratch_store_b32 off, v69, off offset:96
.LBB31_105:
	s_or_b32 exec_lo, exec_lo, s0
	s_waitcnt_vscnt null, 0x0
	s_barrier
	buffer_gl0_inv
	scratch_load_b32 v69, off, off offset:100
	s_mov_b32 s0, exec_lo
	s_waitcnt vmcnt(0)
	ds_store_b32 v3, v69
	s_waitcnt lgkmcnt(0)
	s_barrier
	buffer_gl0_inv
	v_cmpx_gt_u32_e32 25, v0
	s_cbranch_execz .LBB31_109
; %bb.106:
	v_dual_mov_b32 v69, 0 :: v_dual_add_nc_u32 v70, -1, v0
	v_add_nc_u32_e32 v71, 0x80, v1
	v_add_nc_u32_e32 v72, 0, v1
	s_mov_b32 s1, 0
.LBB31_107:                             ; =>This Inner Loop Header: Depth=1
	scratch_load_b32 v73, v72, off
	ds_load_b32 v74, v71
	v_add_nc_u32_e32 v70, 1, v70
	v_add_nc_u32_e32 v71, 4, v71
	v_add_nc_u32_e32 v72, 4, v72
	s_delay_alu instid0(VALU_DEP_3)
	v_cmp_lt_u32_e32 vcc_lo, 23, v70
	s_or_b32 s1, vcc_lo, s1
	s_waitcnt vmcnt(0) lgkmcnt(0)
	v_fmac_f32_e32 v69, v73, v74
	s_and_not1_b32 exec_lo, exec_lo, s1
	s_cbranch_execnz .LBB31_107
; %bb.108:
	s_or_b32 exec_lo, exec_lo, s1
	v_mov_b32_e32 v70, 0
	ds_load_b32 v70, v70 offset:100
	s_waitcnt lgkmcnt(0)
	v_mul_f32_e32 v69, v69, v70
	scratch_store_b32 off, v69, off offset:100
.LBB31_109:
	s_or_b32 exec_lo, exec_lo, s0
	s_waitcnt_vscnt null, 0x0
	s_barrier
	buffer_gl0_inv
	scratch_load_b32 v69, off, off offset:104
	;; [unrolled: 39-line block ×6, first 2 shown]
	s_mov_b32 s0, exec_lo
	s_waitcnt vmcnt(0)
	ds_store_b32 v3, v69
	s_waitcnt lgkmcnt(0)
	s_barrier
	buffer_gl0_inv
	v_cmpx_gt_u32_e32 30, v0
	s_cbranch_execz .LBB31_129
; %bb.126:
	v_add_nc_u32_e32 v69, -1, v0
	v_add_nc_u32_e32 v70, 0x80, v1
	v_add_nc_u32_e32 v71, 0, v1
	v_mov_b32_e32 v1, 0
	s_mov_b32 s1, 0
.LBB31_127:                             ; =>This Inner Loop Header: Depth=1
	scratch_load_b32 v72, v71, off
	ds_load_b32 v73, v70
	v_add_nc_u32_e32 v69, 1, v69
	v_add_nc_u32_e32 v70, 4, v70
	;; [unrolled: 1-line block ×3, first 2 shown]
	s_delay_alu instid0(VALU_DEP_3)
	v_cmp_lt_u32_e32 vcc_lo, 28, v69
	s_or_b32 s1, vcc_lo, s1
	s_waitcnt vmcnt(0) lgkmcnt(0)
	v_fmac_f32_e32 v1, v72, v73
	s_and_not1_b32 exec_lo, exec_lo, s1
	s_cbranch_execnz .LBB31_127
; %bb.128:
	s_or_b32 exec_lo, exec_lo, s1
	v_mov_b32_e32 v69, 0
	ds_load_b32 v69, v69 offset:120
	s_waitcnt lgkmcnt(0)
	v_mul_f32_e32 v1, v1, v69
	scratch_store_b32 off, v1, off offset:120
.LBB31_129:
	s_or_b32 exec_lo, exec_lo, s0
	s_waitcnt_vscnt null, 0x0
	s_barrier
	buffer_gl0_inv
	scratch_load_b32 v1, off, off offset:124
	s_mov_b32 s0, exec_lo
	s_waitcnt vmcnt(0)
	ds_store_b32 v3, v1
	s_waitcnt lgkmcnt(0)
	s_barrier
	buffer_gl0_inv
	v_cmpx_ne_u32_e32 31, v0
	s_cbranch_execz .LBB31_133
; %bb.130:
	v_mov_b32_e32 v1, 0
	s_mov_b32 s1, 0
.LBB31_131:                             ; =>This Inner Loop Header: Depth=1
	scratch_load_b32 v69, v2, off
	ds_load_b32 v70, v3
	v_add_nc_u32_e32 v68, 1, v68
	v_add_nc_u32_e32 v3, 4, v3
	;; [unrolled: 1-line block ×3, first 2 shown]
	s_waitcnt vmcnt(0) lgkmcnt(0)
	v_fmac_f32_e32 v1, v69, v70
	v_cmp_lt_u32_e32 vcc_lo, 29, v68
	s_or_b32 s1, vcc_lo, s1
	s_delay_alu instid0(SALU_CYCLE_1)
	s_and_not1_b32 exec_lo, exec_lo, s1
	s_cbranch_execnz .LBB31_131
; %bb.132:
	s_or_b32 exec_lo, exec_lo, s1
	v_mov_b32_e32 v2, 0
	ds_load_b32 v2, v2 offset:124
	s_waitcnt lgkmcnt(0)
	v_mul_f32_e32 v1, v1, v2
	scratch_store_b32 off, v1, off offset:124
.LBB31_133:
	s_or_b32 exec_lo, exec_lo, s0
	s_mov_b32 s1, -1
	s_waitcnt_vscnt null, 0x0
	s_barrier
	buffer_gl0_inv
.LBB31_134:
	s_and_b32 vcc_lo, exec_lo, s1
	s_cbranch_vccz .LBB31_136
; %bb.135:
	s_lshl_b64 s[0:1], s[14:15], 2
	v_mov_b32_e32 v1, 0
	s_add_u32 s0, s6, s0
	s_addc_u32 s1, s7, s1
	global_load_b32 v1, v1, s[0:1]
	s_waitcnt vmcnt(0)
	v_cmp_ne_u32_e32 vcc_lo, 0, v1
	s_cbranch_vccz .LBB31_137
.LBB31_136:
	s_endpgm
.LBB31_137:
	v_lshl_add_u32 v1, v0, 2, 0x80
	s_mov_b32 s0, exec_lo
	v_cmpx_eq_u32_e32 31, v0
	s_cbranch_execz .LBB31_139
; %bb.138:
	scratch_load_b32 v2, off, off offset:120
	v_mov_b32_e32 v3, 0
	scratch_store_b32 off, v3, off offset:120
	s_waitcnt vmcnt(0)
	ds_store_b32 v1, v2
.LBB31_139:
	s_or_b32 exec_lo, exec_lo, s0
	s_waitcnt lgkmcnt(0)
	s_waitcnt_vscnt null, 0x0
	s_barrier
	buffer_gl0_inv
	scratch_load_b64 v[68:69], off, off offset:120
	v_mov_b32_e32 v2, 0
	s_mov_b32 s0, exec_lo
	ds_load_b32 v3, v2 offset:252
	s_waitcnt vmcnt(0) lgkmcnt(0)
	v_fma_f32 v3, v69, v3, 0
	s_delay_alu instid0(VALU_DEP_1)
	v_sub_f32_e32 v3, v68, v3
	scratch_store_b32 off, v3, off offset:120
	v_cmpx_lt_u32_e32 29, v0
	s_cbranch_execz .LBB31_141
; %bb.140:
	scratch_load_b32 v3, off, off offset:116
	scratch_store_b32 off, v2, off offset:116
	s_waitcnt vmcnt(0)
	ds_store_b32 v1, v3
.LBB31_141:
	s_or_b32 exec_lo, exec_lo, s0
	s_waitcnt lgkmcnt(0)
	s_waitcnt_vscnt null, 0x0
	s_barrier
	buffer_gl0_inv
	scratch_load_b96 v[68:70], off, off offset:116
	ds_load_b64 v[2:3], v2 offset:248
	s_mov_b32 s0, exec_lo
	s_waitcnt vmcnt(0) lgkmcnt(0)
	v_fma_f32 v2, v69, v2, 0
	s_delay_alu instid0(VALU_DEP_1) | instskip(NEXT) | instid1(VALU_DEP_1)
	v_fmac_f32_e32 v2, v70, v3
	v_sub_f32_e32 v2, v68, v2
	scratch_store_b32 off, v2, off offset:116
	v_cmpx_lt_u32_e32 28, v0
	s_cbranch_execz .LBB31_143
; %bb.142:
	scratch_load_b32 v2, off, off offset:112
	v_mov_b32_e32 v3, 0
	scratch_store_b32 off, v3, off offset:112
	s_waitcnt vmcnt(0)
	ds_store_b32 v1, v2
.LBB31_143:
	s_or_b32 exec_lo, exec_lo, s0
	s_waitcnt lgkmcnt(0)
	s_waitcnt_vscnt null, 0x0
	s_barrier
	buffer_gl0_inv
	scratch_load_b128 v[68:71], off, off offset:112
	v_mov_b32_e32 v2, 0
	ds_load_2addr_b32 v[72:73], v2 offset0:61 offset1:62
	ds_load_b32 v3, v2 offset:252
	s_mov_b32 s0, exec_lo
	s_waitcnt vmcnt(0) lgkmcnt(1)
	v_fma_f32 v69, v69, v72, 0
	s_delay_alu instid0(VALU_DEP_1) | instskip(SKIP_1) | instid1(VALU_DEP_1)
	v_fmac_f32_e32 v69, v70, v73
	s_waitcnt lgkmcnt(0)
	v_fmac_f32_e32 v69, v71, v3
	s_delay_alu instid0(VALU_DEP_1)
	v_sub_f32_e32 v3, v68, v69
	scratch_store_b32 off, v3, off offset:112
	v_cmpx_lt_u32_e32 27, v0
	s_cbranch_execz .LBB31_145
; %bb.144:
	scratch_load_b32 v3, off, off offset:108
	scratch_store_b32 off, v2, off offset:108
	s_waitcnt vmcnt(0)
	ds_store_b32 v1, v3
.LBB31_145:
	s_or_b32 exec_lo, exec_lo, s0
	s_waitcnt lgkmcnt(0)
	s_waitcnt_vscnt null, 0x0
	s_barrier
	buffer_gl0_inv
	s_clause 0x1
	scratch_load_b128 v[68:71], off, off offset:108
	scratch_load_b32 v3, off, off offset:124
	ds_load_b128 v[72:75], v2 offset:240
	s_mov_b32 s0, exec_lo
	s_waitcnt vmcnt(1) lgkmcnt(0)
	v_fma_f32 v2, v69, v72, 0
	s_delay_alu instid0(VALU_DEP_1) | instskip(NEXT) | instid1(VALU_DEP_1)
	v_fmac_f32_e32 v2, v70, v73
	v_fmac_f32_e32 v2, v71, v74
	s_waitcnt vmcnt(0)
	s_delay_alu instid0(VALU_DEP_1) | instskip(NEXT) | instid1(VALU_DEP_1)
	v_fmac_f32_e32 v2, v3, v75
	v_sub_f32_e32 v2, v68, v2
	scratch_store_b32 off, v2, off offset:108
	v_cmpx_lt_u32_e32 26, v0
	s_cbranch_execz .LBB31_147
; %bb.146:
	scratch_load_b32 v2, off, off offset:104
	v_mov_b32_e32 v3, 0
	scratch_store_b32 off, v3, off offset:104
	s_waitcnt vmcnt(0)
	ds_store_b32 v1, v2
.LBB31_147:
	s_or_b32 exec_lo, exec_lo, s0
	s_waitcnt lgkmcnt(0)
	s_waitcnt_vscnt null, 0x0
	s_barrier
	buffer_gl0_inv
	s_clause 0x1
	scratch_load_b128 v[68:71], off, off offset:104
	scratch_load_b64 v[72:73], off, off offset:120
	v_mov_b32_e32 v2, 0
	ds_load_2addr_b32 v[74:75], v2 offset0:59 offset1:60
	ds_load_2addr_b32 v[76:77], v2 offset0:61 offset1:62
	ds_load_b32 v3, v2 offset:252
	s_mov_b32 s0, exec_lo
	s_waitcnt vmcnt(1) lgkmcnt(2)
	v_fma_f32 v69, v69, v74, 0
	s_delay_alu instid0(VALU_DEP_1) | instskip(SKIP_1) | instid1(VALU_DEP_1)
	v_fmac_f32_e32 v69, v70, v75
	s_waitcnt lgkmcnt(1)
	v_fmac_f32_e32 v69, v71, v76
	s_waitcnt vmcnt(0)
	s_delay_alu instid0(VALU_DEP_1) | instskip(SKIP_1) | instid1(VALU_DEP_1)
	v_fmac_f32_e32 v69, v72, v77
	s_waitcnt lgkmcnt(0)
	v_fmac_f32_e32 v69, v73, v3
	s_delay_alu instid0(VALU_DEP_1)
	v_sub_f32_e32 v3, v68, v69
	scratch_store_b32 off, v3, off offset:104
	v_cmpx_lt_u32_e32 25, v0
	s_cbranch_execz .LBB31_149
; %bb.148:
	scratch_load_b32 v3, off, off offset:100
	scratch_store_b32 off, v2, off offset:100
	s_waitcnt vmcnt(0)
	ds_store_b32 v1, v3
.LBB31_149:
	s_or_b32 exec_lo, exec_lo, s0
	s_waitcnt lgkmcnt(0)
	s_waitcnt_vscnt null, 0x0
	s_barrier
	buffer_gl0_inv
	s_clause 0x1
	scratch_load_b128 v[68:71], off, off offset:100
	scratch_load_b96 v[76:78], off, off offset:116
	ds_load_2addr_b64 v[72:75], v2 offset0:29 offset1:30
	ds_load_b64 v[2:3], v2 offset:248
	s_mov_b32 s0, exec_lo
	s_waitcnt vmcnt(1) lgkmcnt(1)
	v_fma_f32 v69, v69, v72, 0
	s_delay_alu instid0(VALU_DEP_1) | instskip(NEXT) | instid1(VALU_DEP_1)
	v_fmac_f32_e32 v69, v70, v73
	v_fmac_f32_e32 v69, v71, v74
	s_waitcnt vmcnt(0)
	s_delay_alu instid0(VALU_DEP_1) | instskip(SKIP_1) | instid1(VALU_DEP_1)
	v_fmac_f32_e32 v69, v76, v75
	s_waitcnt lgkmcnt(0)
	v_fmac_f32_e32 v69, v77, v2
	s_delay_alu instid0(VALU_DEP_1) | instskip(NEXT) | instid1(VALU_DEP_1)
	v_fmac_f32_e32 v69, v78, v3
	v_sub_f32_e32 v2, v68, v69
	scratch_store_b32 off, v2, off offset:100
	v_cmpx_lt_u32_e32 24, v0
	s_cbranch_execz .LBB31_151
; %bb.150:
	scratch_load_b32 v2, off, off offset:96
	v_mov_b32_e32 v3, 0
	scratch_store_b32 off, v3, off offset:96
	s_waitcnt vmcnt(0)
	ds_store_b32 v1, v2
.LBB31_151:
	s_or_b32 exec_lo, exec_lo, s0
	s_waitcnt lgkmcnt(0)
	s_waitcnt_vscnt null, 0x0
	s_barrier
	buffer_gl0_inv
	s_clause 0x1
	scratch_load_b128 v[68:71], off, off offset:96
	scratch_load_b128 v[72:75], off, off offset:112
	v_mov_b32_e32 v2, 0
	ds_load_2addr_b32 v[76:77], v2 offset0:57 offset1:58
	ds_load_2addr_b32 v[78:79], v2 offset0:59 offset1:60
	;; [unrolled: 1-line block ×3, first 2 shown]
	ds_load_b32 v3, v2 offset:252
	s_mov_b32 s0, exec_lo
	s_waitcnt vmcnt(1) lgkmcnt(3)
	v_fma_f32 v69, v69, v76, 0
	s_delay_alu instid0(VALU_DEP_1) | instskip(SKIP_1) | instid1(VALU_DEP_1)
	v_fmac_f32_e32 v69, v70, v77
	s_waitcnt lgkmcnt(2)
	v_fmac_f32_e32 v69, v71, v78
	s_waitcnt vmcnt(0)
	s_delay_alu instid0(VALU_DEP_1) | instskip(SKIP_1) | instid1(VALU_DEP_1)
	v_fmac_f32_e32 v69, v72, v79
	s_waitcnt lgkmcnt(1)
	v_fmac_f32_e32 v69, v73, v80
	s_delay_alu instid0(VALU_DEP_1) | instskip(SKIP_1) | instid1(VALU_DEP_1)
	v_fmac_f32_e32 v69, v74, v81
	s_waitcnt lgkmcnt(0)
	v_fmac_f32_e32 v69, v75, v3
	s_delay_alu instid0(VALU_DEP_1)
	v_sub_f32_e32 v3, v68, v69
	scratch_store_b32 off, v3, off offset:96
	v_cmpx_lt_u32_e32 23, v0
	s_cbranch_execz .LBB31_153
; %bb.152:
	scratch_load_b32 v3, off, off offset:92
	scratch_store_b32 off, v2, off offset:92
	s_waitcnt vmcnt(0)
	ds_store_b32 v1, v3
.LBB31_153:
	s_or_b32 exec_lo, exec_lo, s0
	s_waitcnt lgkmcnt(0)
	s_waitcnt_vscnt null, 0x0
	s_barrier
	buffer_gl0_inv
	s_clause 0x2
	scratch_load_b128 v[68:71], off, off offset:92
	scratch_load_b128 v[72:75], off, off offset:108
	scratch_load_b32 v3, off, off offset:124
	ds_load_b128 v[76:79], v2 offset:224
	ds_load_b128 v[80:83], v2 offset:240
	s_mov_b32 s0, exec_lo
	s_waitcnt vmcnt(2) lgkmcnt(1)
	v_fma_f32 v2, v69, v76, 0
	s_delay_alu instid0(VALU_DEP_1) | instskip(NEXT) | instid1(VALU_DEP_1)
	v_fmac_f32_e32 v2, v70, v77
	v_fmac_f32_e32 v2, v71, v78
	s_waitcnt vmcnt(1)
	s_delay_alu instid0(VALU_DEP_1) | instskip(SKIP_1) | instid1(VALU_DEP_1)
	v_fmac_f32_e32 v2, v72, v79
	s_waitcnt lgkmcnt(0)
	v_fmac_f32_e32 v2, v73, v80
	s_delay_alu instid0(VALU_DEP_1) | instskip(NEXT) | instid1(VALU_DEP_1)
	v_fmac_f32_e32 v2, v74, v81
	v_fmac_f32_e32 v2, v75, v82
	s_waitcnt vmcnt(0)
	s_delay_alu instid0(VALU_DEP_1) | instskip(NEXT) | instid1(VALU_DEP_1)
	v_fmac_f32_e32 v2, v3, v83
	v_sub_f32_e32 v2, v68, v2
	scratch_store_b32 off, v2, off offset:92
	v_cmpx_lt_u32_e32 22, v0
	s_cbranch_execz .LBB31_155
; %bb.154:
	scratch_load_b32 v2, off, off offset:88
	v_mov_b32_e32 v3, 0
	scratch_store_b32 off, v3, off offset:88
	s_waitcnt vmcnt(0)
	ds_store_b32 v1, v2
.LBB31_155:
	s_or_b32 exec_lo, exec_lo, s0
	s_waitcnt lgkmcnt(0)
	s_waitcnt_vscnt null, 0x0
	s_barrier
	buffer_gl0_inv
	s_clause 0x2
	scratch_load_b128 v[68:71], off, off offset:88
	scratch_load_b128 v[72:75], off, off offset:104
	scratch_load_b64 v[76:77], off, off offset:120
	v_mov_b32_e32 v2, 0
	ds_load_2addr_b32 v[78:79], v2 offset0:55 offset1:56
	ds_load_2addr_b32 v[80:81], v2 offset0:57 offset1:58
	;; [unrolled: 1-line block ×4, first 2 shown]
	s_mov_b32 s0, exec_lo
	s_waitcnt vmcnt(2) lgkmcnt(3)
	v_fma_f32 v3, v69, v78, 0
	s_delay_alu instid0(VALU_DEP_1) | instskip(SKIP_4) | instid1(VALU_DEP_1)
	v_fmac_f32_e32 v3, v70, v79
	ds_load_b32 v69, v2 offset:252
	s_waitcnt lgkmcnt(3)
	v_fmac_f32_e32 v3, v71, v80
	s_waitcnt vmcnt(1)
	v_fmac_f32_e32 v3, v72, v81
	s_waitcnt lgkmcnt(2)
	s_delay_alu instid0(VALU_DEP_1) | instskip(NEXT) | instid1(VALU_DEP_1)
	v_fmac_f32_e32 v3, v73, v82
	v_fmac_f32_e32 v3, v74, v83
	s_waitcnt lgkmcnt(1)
	s_delay_alu instid0(VALU_DEP_1) | instskip(SKIP_1) | instid1(VALU_DEP_1)
	v_fmac_f32_e32 v3, v75, v84
	s_waitcnt vmcnt(0)
	v_fmac_f32_e32 v3, v76, v85
	s_waitcnt lgkmcnt(0)
	s_delay_alu instid0(VALU_DEP_1) | instskip(NEXT) | instid1(VALU_DEP_1)
	v_fmac_f32_e32 v3, v77, v69
	v_sub_f32_e32 v3, v68, v3
	scratch_store_b32 off, v3, off offset:88
	v_cmpx_lt_u32_e32 21, v0
	s_cbranch_execz .LBB31_157
; %bb.156:
	scratch_load_b32 v3, off, off offset:84
	scratch_store_b32 off, v2, off offset:84
	s_waitcnt vmcnt(0)
	ds_store_b32 v1, v3
.LBB31_157:
	s_or_b32 exec_lo, exec_lo, s0
	s_waitcnt lgkmcnt(0)
	s_waitcnt_vscnt null, 0x0
	s_barrier
	buffer_gl0_inv
	s_clause 0x2
	scratch_load_b128 v[68:71], off, off offset:84
	scratch_load_b128 v[72:75], off, off offset:100
	scratch_load_b96 v[84:86], off, off offset:116
	ds_load_2addr_b64 v[76:79], v2 offset0:27 offset1:28
	ds_load_2addr_b64 v[80:83], v2 offset0:29 offset1:30
	ds_load_b64 v[2:3], v2 offset:248
	s_mov_b32 s0, exec_lo
	s_waitcnt vmcnt(2) lgkmcnt(2)
	v_fma_f32 v69, v69, v76, 0
	s_delay_alu instid0(VALU_DEP_1) | instskip(NEXT) | instid1(VALU_DEP_1)
	v_fmac_f32_e32 v69, v70, v77
	v_fmac_f32_e32 v69, v71, v78
	s_waitcnt vmcnt(1)
	s_delay_alu instid0(VALU_DEP_1) | instskip(SKIP_1) | instid1(VALU_DEP_1)
	v_fmac_f32_e32 v69, v72, v79
	s_waitcnt lgkmcnt(1)
	v_fmac_f32_e32 v69, v73, v80
	s_delay_alu instid0(VALU_DEP_1) | instskip(NEXT) | instid1(VALU_DEP_1)
	v_fmac_f32_e32 v69, v74, v81
	v_fmac_f32_e32 v69, v75, v82
	s_waitcnt vmcnt(0)
	s_delay_alu instid0(VALU_DEP_1) | instskip(SKIP_1) | instid1(VALU_DEP_1)
	v_fmac_f32_e32 v69, v84, v83
	s_waitcnt lgkmcnt(0)
	v_fmac_f32_e32 v69, v85, v2
	s_delay_alu instid0(VALU_DEP_1) | instskip(NEXT) | instid1(VALU_DEP_1)
	v_fmac_f32_e32 v69, v86, v3
	v_sub_f32_e32 v2, v68, v69
	scratch_store_b32 off, v2, off offset:84
	v_cmpx_lt_u32_e32 20, v0
	s_cbranch_execz .LBB31_159
; %bb.158:
	scratch_load_b32 v2, off, off offset:80
	v_mov_b32_e32 v3, 0
	scratch_store_b32 off, v3, off offset:80
	s_waitcnt vmcnt(0)
	ds_store_b32 v1, v2
.LBB31_159:
	s_or_b32 exec_lo, exec_lo, s0
	s_waitcnt lgkmcnt(0)
	s_waitcnt_vscnt null, 0x0
	s_barrier
	buffer_gl0_inv
	s_clause 0x2
	scratch_load_b128 v[68:71], off, off offset:80
	scratch_load_b128 v[72:75], off, off offset:96
	;; [unrolled: 1-line block ×3, first 2 shown]
	v_mov_b32_e32 v2, 0
	ds_load_2addr_b32 v[80:81], v2 offset0:53 offset1:54
	ds_load_2addr_b32 v[82:83], v2 offset0:55 offset1:56
	;; [unrolled: 1-line block ×4, first 2 shown]
	s_mov_b32 s0, exec_lo
	s_waitcnt vmcnt(2) lgkmcnt(3)
	v_fma_f32 v3, v69, v80, 0
	s_delay_alu instid0(VALU_DEP_1)
	v_fmac_f32_e32 v3, v70, v81
	ds_load_2addr_b32 v[69:70], v2 offset0:61 offset1:62
	s_waitcnt lgkmcnt(3)
	v_fmac_f32_e32 v3, v71, v82
	ds_load_b32 v71, v2 offset:252
	s_waitcnt vmcnt(1)
	v_fmac_f32_e32 v3, v72, v83
	s_waitcnt lgkmcnt(3)
	s_delay_alu instid0(VALU_DEP_1) | instskip(NEXT) | instid1(VALU_DEP_1)
	v_fmac_f32_e32 v3, v73, v84
	v_fmac_f32_e32 v3, v74, v85
	s_waitcnt lgkmcnt(2)
	s_delay_alu instid0(VALU_DEP_1) | instskip(SKIP_1) | instid1(VALU_DEP_1)
	v_fmac_f32_e32 v3, v75, v86
	s_waitcnt vmcnt(0)
	v_fmac_f32_e32 v3, v76, v87
	s_waitcnt lgkmcnt(1)
	s_delay_alu instid0(VALU_DEP_1) | instskip(NEXT) | instid1(VALU_DEP_1)
	v_fmac_f32_e32 v3, v77, v69
	v_fmac_f32_e32 v3, v78, v70
	s_waitcnt lgkmcnt(0)
	s_delay_alu instid0(VALU_DEP_1) | instskip(NEXT) | instid1(VALU_DEP_1)
	v_fmac_f32_e32 v3, v79, v71
	v_sub_f32_e32 v3, v68, v3
	scratch_store_b32 off, v3, off offset:80
	v_cmpx_lt_u32_e32 19, v0
	s_cbranch_execz .LBB31_161
; %bb.160:
	scratch_load_b32 v3, off, off offset:76
	scratch_store_b32 off, v2, off offset:76
	s_waitcnt vmcnt(0)
	ds_store_b32 v1, v3
.LBB31_161:
	s_or_b32 exec_lo, exec_lo, s0
	s_waitcnt lgkmcnt(0)
	s_waitcnt_vscnt null, 0x0
	s_barrier
	buffer_gl0_inv
	s_clause 0x3
	scratch_load_b128 v[68:71], off, off offset:76
	scratch_load_b128 v[72:75], off, off offset:92
	;; [unrolled: 1-line block ×3, first 2 shown]
	scratch_load_b32 v3, off, off offset:124
	ds_load_b128 v[80:83], v2 offset:208
	ds_load_b128 v[84:87], v2 offset:224
	s_mov_b32 s0, exec_lo
	s_waitcnt vmcnt(3) lgkmcnt(1)
	v_fma_f32 v80, v69, v80, 0
	s_delay_alu instid0(VALU_DEP_1) | instskip(NEXT) | instid1(VALU_DEP_1)
	v_fmac_f32_e32 v80, v70, v81
	v_fmac_f32_e32 v80, v71, v82
	s_waitcnt vmcnt(2)
	s_delay_alu instid0(VALU_DEP_1) | instskip(SKIP_3) | instid1(VALU_DEP_1)
	v_fmac_f32_e32 v80, v72, v83
	ds_load_b128 v[69:72], v2 offset:240
	s_waitcnt lgkmcnt(1)
	v_fmac_f32_e32 v80, v73, v84
	v_fmac_f32_e32 v80, v74, v85
	s_delay_alu instid0(VALU_DEP_1) | instskip(SKIP_1) | instid1(VALU_DEP_1)
	v_fmac_f32_e32 v80, v75, v86
	s_waitcnt vmcnt(1)
	v_fmac_f32_e32 v80, v76, v87
	s_waitcnt lgkmcnt(0)
	s_delay_alu instid0(VALU_DEP_1) | instskip(NEXT) | instid1(VALU_DEP_1)
	v_fmac_f32_e32 v80, v77, v69
	v_fmac_f32_e32 v80, v78, v70
	s_delay_alu instid0(VALU_DEP_1) | instskip(SKIP_1) | instid1(VALU_DEP_1)
	v_fmac_f32_e32 v80, v79, v71
	s_waitcnt vmcnt(0)
	v_fmac_f32_e32 v80, v3, v72
	s_delay_alu instid0(VALU_DEP_1)
	v_sub_f32_e32 v2, v68, v80
	scratch_store_b32 off, v2, off offset:76
	v_cmpx_lt_u32_e32 18, v0
	s_cbranch_execz .LBB31_163
; %bb.162:
	scratch_load_b32 v2, off, off offset:72
	v_mov_b32_e32 v3, 0
	scratch_store_b32 off, v3, off offset:72
	s_waitcnt vmcnt(0)
	ds_store_b32 v1, v2
.LBB31_163:
	s_or_b32 exec_lo, exec_lo, s0
	s_waitcnt lgkmcnt(0)
	s_waitcnt_vscnt null, 0x0
	s_barrier
	buffer_gl0_inv
	s_clause 0x3
	scratch_load_b128 v[68:71], off, off offset:72
	scratch_load_b128 v[72:75], off, off offset:88
	;; [unrolled: 1-line block ×3, first 2 shown]
	scratch_load_b64 v[80:81], off, off offset:120
	v_mov_b32_e32 v2, 0
	ds_load_2addr_b32 v[82:83], v2 offset0:51 offset1:52
	ds_load_2addr_b32 v[84:85], v2 offset0:53 offset1:54
	;; [unrolled: 1-line block ×4, first 2 shown]
	s_mov_b32 s0, exec_lo
	s_waitcnt vmcnt(3) lgkmcnt(3)
	v_fma_f32 v3, v69, v82, 0
	s_delay_alu instid0(VALU_DEP_1) | instskip(SKIP_4) | instid1(VALU_DEP_1)
	v_fmac_f32_e32 v3, v70, v83
	ds_load_2addr_b32 v[69:70], v2 offset0:59 offset1:60
	s_waitcnt lgkmcnt(3)
	v_fmac_f32_e32 v3, v71, v84
	s_waitcnt vmcnt(2)
	v_fmac_f32_e32 v3, v72, v85
	ds_load_2addr_b32 v[71:72], v2 offset0:61 offset1:62
	s_waitcnt lgkmcnt(3)
	v_fmac_f32_e32 v3, v73, v86
	ds_load_b32 v73, v2 offset:252
	v_fmac_f32_e32 v3, v74, v87
	s_waitcnt lgkmcnt(3)
	s_delay_alu instid0(VALU_DEP_1) | instskip(SKIP_1) | instid1(VALU_DEP_1)
	v_fmac_f32_e32 v3, v75, v88
	s_waitcnt vmcnt(1)
	v_fmac_f32_e32 v3, v76, v89
	s_waitcnt lgkmcnt(2)
	s_delay_alu instid0(VALU_DEP_1) | instskip(NEXT) | instid1(VALU_DEP_1)
	v_fmac_f32_e32 v3, v77, v69
	v_fmac_f32_e32 v3, v78, v70
	s_waitcnt lgkmcnt(1)
	s_delay_alu instid0(VALU_DEP_1) | instskip(SKIP_1) | instid1(VALU_DEP_1)
	v_fmac_f32_e32 v3, v79, v71
	s_waitcnt vmcnt(0)
	v_fmac_f32_e32 v3, v80, v72
	s_waitcnt lgkmcnt(0)
	s_delay_alu instid0(VALU_DEP_1) | instskip(NEXT) | instid1(VALU_DEP_1)
	v_fmac_f32_e32 v3, v81, v73
	v_sub_f32_e32 v3, v68, v3
	scratch_store_b32 off, v3, off offset:72
	v_cmpx_lt_u32_e32 17, v0
	s_cbranch_execz .LBB31_165
; %bb.164:
	scratch_load_b32 v3, off, off offset:68
	scratch_store_b32 off, v2, off offset:68
	s_waitcnt vmcnt(0)
	ds_store_b32 v1, v3
.LBB31_165:
	s_or_b32 exec_lo, exec_lo, s0
	s_waitcnt lgkmcnt(0)
	s_waitcnt_vscnt null, 0x0
	s_barrier
	buffer_gl0_inv
	s_clause 0x3
	scratch_load_b128 v[68:71], off, off offset:68
	scratch_load_b128 v[72:75], off, off offset:84
	;; [unrolled: 1-line block ×3, first 2 shown]
	scratch_load_b96 v[88:90], off, off offset:116
	ds_load_2addr_b64 v[80:83], v2 offset0:25 offset1:26
	ds_load_2addr_b64 v[84:87], v2 offset0:27 offset1:28
	s_mov_b32 s0, exec_lo
	s_waitcnt vmcnt(3) lgkmcnt(1)
	v_fma_f32 v80, v69, v80, 0
	s_delay_alu instid0(VALU_DEP_1) | instskip(NEXT) | instid1(VALU_DEP_1)
	v_fmac_f32_e32 v80, v70, v81
	v_fmac_f32_e32 v80, v71, v82
	s_waitcnt vmcnt(2)
	s_delay_alu instid0(VALU_DEP_1) | instskip(SKIP_4) | instid1(VALU_DEP_1)
	v_fmac_f32_e32 v80, v72, v83
	ds_load_2addr_b64 v[69:72], v2 offset0:29 offset1:30
	ds_load_b64 v[2:3], v2 offset:248
	s_waitcnt lgkmcnt(2)
	v_fmac_f32_e32 v80, v73, v84
	v_fmac_f32_e32 v80, v74, v85
	s_delay_alu instid0(VALU_DEP_1) | instskip(SKIP_1) | instid1(VALU_DEP_1)
	v_fmac_f32_e32 v80, v75, v86
	s_waitcnt vmcnt(1)
	v_fmac_f32_e32 v80, v76, v87
	s_waitcnt lgkmcnt(1)
	s_delay_alu instid0(VALU_DEP_1) | instskip(NEXT) | instid1(VALU_DEP_1)
	v_fmac_f32_e32 v80, v77, v69
	v_fmac_f32_e32 v80, v78, v70
	s_delay_alu instid0(VALU_DEP_1) | instskip(SKIP_1) | instid1(VALU_DEP_1)
	v_fmac_f32_e32 v80, v79, v71
	s_waitcnt vmcnt(0)
	v_fmac_f32_e32 v80, v88, v72
	s_waitcnt lgkmcnt(0)
	s_delay_alu instid0(VALU_DEP_1) | instskip(NEXT) | instid1(VALU_DEP_1)
	v_fmac_f32_e32 v80, v89, v2
	v_fmac_f32_e32 v80, v90, v3
	s_delay_alu instid0(VALU_DEP_1)
	v_sub_f32_e32 v2, v68, v80
	scratch_store_b32 off, v2, off offset:68
	v_cmpx_lt_u32_e32 16, v0
	s_cbranch_execz .LBB31_167
; %bb.166:
	scratch_load_b32 v2, off, off offset:64
	v_mov_b32_e32 v3, 0
	scratch_store_b32 off, v3, off offset:64
	s_waitcnt vmcnt(0)
	ds_store_b32 v1, v2
.LBB31_167:
	s_or_b32 exec_lo, exec_lo, s0
	s_waitcnt lgkmcnt(0)
	s_waitcnt_vscnt null, 0x0
	s_barrier
	buffer_gl0_inv
	s_clause 0x3
	scratch_load_b128 v[68:71], off, off offset:64
	scratch_load_b128 v[72:75], off, off offset:80
	;; [unrolled: 1-line block ×4, first 2 shown]
	v_mov_b32_e32 v2, 0
	ds_load_2addr_b32 v[84:85], v2 offset0:49 offset1:50
	ds_load_2addr_b32 v[86:87], v2 offset0:51 offset1:52
	;; [unrolled: 1-line block ×4, first 2 shown]
	s_mov_b32 s0, exec_lo
	s_waitcnt vmcnt(3) lgkmcnt(3)
	v_fma_f32 v3, v69, v84, 0
	s_delay_alu instid0(VALU_DEP_1) | instskip(SKIP_4) | instid1(VALU_DEP_1)
	v_fmac_f32_e32 v3, v70, v85
	ds_load_2addr_b32 v[69:70], v2 offset0:57 offset1:58
	s_waitcnt lgkmcnt(3)
	v_fmac_f32_e32 v3, v71, v86
	s_waitcnt vmcnt(2)
	v_fmac_f32_e32 v3, v72, v87
	ds_load_2addr_b32 v[71:72], v2 offset0:59 offset1:60
	s_waitcnt lgkmcnt(3)
	v_fmac_f32_e32 v3, v73, v88
	s_delay_alu instid0(VALU_DEP_1) | instskip(SKIP_1) | instid1(VALU_DEP_1)
	v_fmac_f32_e32 v3, v74, v89
	s_waitcnt lgkmcnt(2)
	v_fmac_f32_e32 v3, v75, v90
	ds_load_2addr_b32 v[73:74], v2 offset0:61 offset1:62
	ds_load_b32 v75, v2 offset:252
	s_waitcnt vmcnt(1)
	v_fmac_f32_e32 v3, v76, v91
	s_waitcnt lgkmcnt(3)
	s_delay_alu instid0(VALU_DEP_1) | instskip(NEXT) | instid1(VALU_DEP_1)
	v_fmac_f32_e32 v3, v77, v69
	v_fmac_f32_e32 v3, v78, v70
	s_waitcnt lgkmcnt(2)
	s_delay_alu instid0(VALU_DEP_1) | instskip(SKIP_1) | instid1(VALU_DEP_1)
	v_fmac_f32_e32 v3, v79, v71
	s_waitcnt vmcnt(0)
	v_fmac_f32_e32 v3, v80, v72
	s_waitcnt lgkmcnt(1)
	s_delay_alu instid0(VALU_DEP_1) | instskip(NEXT) | instid1(VALU_DEP_1)
	v_fmac_f32_e32 v3, v81, v73
	v_fmac_f32_e32 v3, v82, v74
	s_waitcnt lgkmcnt(0)
	s_delay_alu instid0(VALU_DEP_1) | instskip(NEXT) | instid1(VALU_DEP_1)
	v_fmac_f32_e32 v3, v83, v75
	v_sub_f32_e32 v3, v68, v3
	scratch_store_b32 off, v3, off offset:64
	v_cmpx_lt_u32_e32 15, v0
	s_cbranch_execz .LBB31_169
; %bb.168:
	scratch_load_b32 v3, off, off offset:60
	scratch_store_b32 off, v2, off offset:60
	s_waitcnt vmcnt(0)
	ds_store_b32 v1, v3
.LBB31_169:
	s_or_b32 exec_lo, exec_lo, s0
	s_waitcnt lgkmcnt(0)
	s_waitcnt_vscnt null, 0x0
	s_barrier
	buffer_gl0_inv
	s_clause 0x4
	scratch_load_b128 v[68:71], off, off offset:60
	scratch_load_b128 v[72:75], off, off offset:76
	;; [unrolled: 1-line block ×4, first 2 shown]
	scratch_load_b32 v3, off, off offset:124
	ds_load_b128 v[84:87], v2 offset:192
	ds_load_b128 v[88:91], v2 offset:208
	s_mov_b32 s0, exec_lo
	s_waitcnt vmcnt(4) lgkmcnt(1)
	v_fma_f32 v84, v69, v84, 0
	s_delay_alu instid0(VALU_DEP_1) | instskip(NEXT) | instid1(VALU_DEP_1)
	v_fmac_f32_e32 v84, v70, v85
	v_fmac_f32_e32 v84, v71, v86
	s_waitcnt vmcnt(3)
	s_delay_alu instid0(VALU_DEP_1) | instskip(SKIP_3) | instid1(VALU_DEP_1)
	v_fmac_f32_e32 v84, v72, v87
	ds_load_b128 v[69:72], v2 offset:224
	s_waitcnt lgkmcnt(1)
	v_fmac_f32_e32 v84, v73, v88
	v_fmac_f32_e32 v84, v74, v89
	s_delay_alu instid0(VALU_DEP_1) | instskip(SKIP_1) | instid1(VALU_DEP_1)
	v_fmac_f32_e32 v84, v75, v90
	s_waitcnt vmcnt(2)
	v_fmac_f32_e32 v84, v76, v91
	ds_load_b128 v[73:76], v2 offset:240
	s_waitcnt lgkmcnt(1)
	v_fmac_f32_e32 v84, v77, v69
	s_delay_alu instid0(VALU_DEP_1) | instskip(NEXT) | instid1(VALU_DEP_1)
	v_fmac_f32_e32 v84, v78, v70
	v_fmac_f32_e32 v84, v79, v71
	s_waitcnt vmcnt(1)
	s_delay_alu instid0(VALU_DEP_1) | instskip(SKIP_1) | instid1(VALU_DEP_1)
	v_fmac_f32_e32 v84, v80, v72
	s_waitcnt lgkmcnt(0)
	v_fmac_f32_e32 v84, v81, v73
	s_delay_alu instid0(VALU_DEP_1) | instskip(NEXT) | instid1(VALU_DEP_1)
	v_fmac_f32_e32 v84, v82, v74
	v_fmac_f32_e32 v84, v83, v75
	s_waitcnt vmcnt(0)
	s_delay_alu instid0(VALU_DEP_1) | instskip(NEXT) | instid1(VALU_DEP_1)
	v_fmac_f32_e32 v84, v3, v76
	v_sub_f32_e32 v2, v68, v84
	scratch_store_b32 off, v2, off offset:60
	v_cmpx_lt_u32_e32 14, v0
	s_cbranch_execz .LBB31_171
; %bb.170:
	scratch_load_b32 v2, off, off offset:56
	v_mov_b32_e32 v3, 0
	scratch_store_b32 off, v3, off offset:56
	s_waitcnt vmcnt(0)
	ds_store_b32 v1, v2
.LBB31_171:
	s_or_b32 exec_lo, exec_lo, s0
	s_waitcnt lgkmcnt(0)
	s_waitcnt_vscnt null, 0x0
	s_barrier
	buffer_gl0_inv
	s_clause 0x4
	scratch_load_b128 v[68:71], off, off offset:56
	scratch_load_b128 v[72:75], off, off offset:72
	;; [unrolled: 1-line block ×4, first 2 shown]
	scratch_load_b64 v[84:85], off, off offset:120
	v_mov_b32_e32 v2, 0
	ds_load_2addr_b32 v[86:87], v2 offset0:47 offset1:48
	ds_load_2addr_b32 v[88:89], v2 offset0:49 offset1:50
	;; [unrolled: 1-line block ×4, first 2 shown]
	s_mov_b32 s0, exec_lo
	s_waitcnt vmcnt(4) lgkmcnt(3)
	v_fma_f32 v3, v69, v86, 0
	s_delay_alu instid0(VALU_DEP_1) | instskip(SKIP_4) | instid1(VALU_DEP_1)
	v_fmac_f32_e32 v3, v70, v87
	ds_load_2addr_b32 v[69:70], v2 offset0:55 offset1:56
	s_waitcnt lgkmcnt(3)
	v_fmac_f32_e32 v3, v71, v88
	s_waitcnt vmcnt(3)
	v_fmac_f32_e32 v3, v72, v89
	ds_load_2addr_b32 v[71:72], v2 offset0:57 offset1:58
	s_waitcnt lgkmcnt(3)
	v_fmac_f32_e32 v3, v73, v90
	s_delay_alu instid0(VALU_DEP_1) | instskip(SKIP_1) | instid1(VALU_DEP_1)
	v_fmac_f32_e32 v3, v74, v91
	s_waitcnt lgkmcnt(2)
	v_fmac_f32_e32 v3, v75, v92
	s_waitcnt vmcnt(2)
	s_delay_alu instid0(VALU_DEP_1)
	v_fmac_f32_e32 v3, v76, v93
	ds_load_2addr_b32 v[73:74], v2 offset0:59 offset1:60
	ds_load_2addr_b32 v[75:76], v2 offset0:61 offset1:62
	s_waitcnt lgkmcnt(3)
	v_fmac_f32_e32 v3, v77, v69
	ds_load_b32 v69, v2 offset:252
	v_fmac_f32_e32 v3, v78, v70
	s_waitcnt lgkmcnt(3)
	s_delay_alu instid0(VALU_DEP_1) | instskip(SKIP_1) | instid1(VALU_DEP_1)
	v_fmac_f32_e32 v3, v79, v71
	s_waitcnt vmcnt(1)
	v_fmac_f32_e32 v3, v80, v72
	s_waitcnt lgkmcnt(2)
	s_delay_alu instid0(VALU_DEP_1) | instskip(NEXT) | instid1(VALU_DEP_1)
	v_fmac_f32_e32 v3, v81, v73
	v_fmac_f32_e32 v3, v82, v74
	s_waitcnt lgkmcnt(1)
	s_delay_alu instid0(VALU_DEP_1) | instskip(SKIP_1) | instid1(VALU_DEP_1)
	v_fmac_f32_e32 v3, v83, v75
	s_waitcnt vmcnt(0)
	v_fmac_f32_e32 v3, v84, v76
	s_waitcnt lgkmcnt(0)
	s_delay_alu instid0(VALU_DEP_1) | instskip(NEXT) | instid1(VALU_DEP_1)
	v_fmac_f32_e32 v3, v85, v69
	v_sub_f32_e32 v3, v68, v3
	scratch_store_b32 off, v3, off offset:56
	v_cmpx_lt_u32_e32 13, v0
	s_cbranch_execz .LBB31_173
; %bb.172:
	scratch_load_b32 v3, off, off offset:52
	scratch_store_b32 off, v2, off offset:52
	s_waitcnt vmcnt(0)
	ds_store_b32 v1, v3
.LBB31_173:
	s_or_b32 exec_lo, exec_lo, s0
	s_waitcnt lgkmcnt(0)
	s_waitcnt_vscnt null, 0x0
	s_barrier
	buffer_gl0_inv
	s_clause 0x4
	scratch_load_b128 v[68:71], off, off offset:52
	scratch_load_b128 v[72:75], off, off offset:68
	;; [unrolled: 1-line block ×4, first 2 shown]
	scratch_load_b96 v[92:94], off, off offset:116
	ds_load_2addr_b64 v[84:87], v2 offset0:23 offset1:24
	ds_load_2addr_b64 v[88:91], v2 offset0:25 offset1:26
	s_mov_b32 s0, exec_lo
	s_waitcnt vmcnt(4) lgkmcnt(1)
	v_fma_f32 v84, v69, v84, 0
	s_delay_alu instid0(VALU_DEP_1) | instskip(NEXT) | instid1(VALU_DEP_1)
	v_fmac_f32_e32 v84, v70, v85
	v_fmac_f32_e32 v84, v71, v86
	s_waitcnt vmcnt(3)
	s_delay_alu instid0(VALU_DEP_1) | instskip(SKIP_3) | instid1(VALU_DEP_1)
	v_fmac_f32_e32 v84, v72, v87
	ds_load_2addr_b64 v[69:72], v2 offset0:27 offset1:28
	s_waitcnt lgkmcnt(1)
	v_fmac_f32_e32 v84, v73, v88
	v_fmac_f32_e32 v84, v74, v89
	s_delay_alu instid0(VALU_DEP_1) | instskip(SKIP_1) | instid1(VALU_DEP_1)
	v_fmac_f32_e32 v84, v75, v90
	s_waitcnt vmcnt(2)
	v_fmac_f32_e32 v84, v76, v91
	ds_load_2addr_b64 v[73:76], v2 offset0:29 offset1:30
	ds_load_b64 v[2:3], v2 offset:248
	s_waitcnt lgkmcnt(2)
	v_fmac_f32_e32 v84, v77, v69
	s_delay_alu instid0(VALU_DEP_1) | instskip(NEXT) | instid1(VALU_DEP_1)
	v_fmac_f32_e32 v84, v78, v70
	v_fmac_f32_e32 v84, v79, v71
	s_waitcnt vmcnt(1)
	s_delay_alu instid0(VALU_DEP_1) | instskip(SKIP_1) | instid1(VALU_DEP_1)
	v_fmac_f32_e32 v84, v80, v72
	s_waitcnt lgkmcnt(1)
	v_fmac_f32_e32 v84, v81, v73
	s_delay_alu instid0(VALU_DEP_1) | instskip(NEXT) | instid1(VALU_DEP_1)
	v_fmac_f32_e32 v84, v82, v74
	v_fmac_f32_e32 v84, v83, v75
	s_waitcnt vmcnt(0)
	s_delay_alu instid0(VALU_DEP_1) | instskip(SKIP_1) | instid1(VALU_DEP_1)
	v_fmac_f32_e32 v84, v92, v76
	s_waitcnt lgkmcnt(0)
	v_fmac_f32_e32 v84, v93, v2
	s_delay_alu instid0(VALU_DEP_1) | instskip(NEXT) | instid1(VALU_DEP_1)
	v_fmac_f32_e32 v84, v94, v3
	v_sub_f32_e32 v2, v68, v84
	scratch_store_b32 off, v2, off offset:52
	v_cmpx_lt_u32_e32 12, v0
	s_cbranch_execz .LBB31_175
; %bb.174:
	scratch_load_b32 v2, off, off offset:48
	v_mov_b32_e32 v3, 0
	scratch_store_b32 off, v3, off offset:48
	s_waitcnt vmcnt(0)
	ds_store_b32 v1, v2
.LBB31_175:
	s_or_b32 exec_lo, exec_lo, s0
	s_waitcnt lgkmcnt(0)
	s_waitcnt_vscnt null, 0x0
	s_barrier
	buffer_gl0_inv
	s_clause 0x4
	scratch_load_b128 v[68:71], off, off offset:48
	scratch_load_b128 v[72:75], off, off offset:64
	;; [unrolled: 1-line block ×5, first 2 shown]
	v_mov_b32_e32 v2, 0
	ds_load_2addr_b32 v[88:89], v2 offset0:45 offset1:46
	ds_load_2addr_b32 v[90:91], v2 offset0:47 offset1:48
	;; [unrolled: 1-line block ×4, first 2 shown]
	s_mov_b32 s0, exec_lo
	s_waitcnt vmcnt(4) lgkmcnt(3)
	v_fma_f32 v3, v69, v88, 0
	s_delay_alu instid0(VALU_DEP_1) | instskip(SKIP_4) | instid1(VALU_DEP_1)
	v_fmac_f32_e32 v3, v70, v89
	ds_load_2addr_b32 v[69:70], v2 offset0:53 offset1:54
	s_waitcnt lgkmcnt(3)
	v_fmac_f32_e32 v3, v71, v90
	s_waitcnt vmcnt(3)
	v_fmac_f32_e32 v3, v72, v91
	ds_load_2addr_b32 v[71:72], v2 offset0:55 offset1:56
	s_waitcnt lgkmcnt(3)
	v_fmac_f32_e32 v3, v73, v92
	s_delay_alu instid0(VALU_DEP_1) | instskip(SKIP_1) | instid1(VALU_DEP_1)
	v_fmac_f32_e32 v3, v74, v93
	s_waitcnt lgkmcnt(2)
	v_fmac_f32_e32 v3, v75, v94
	s_waitcnt vmcnt(2)
	s_delay_alu instid0(VALU_DEP_1) | instskip(SKIP_4) | instid1(VALU_DEP_1)
	v_fmac_f32_e32 v3, v76, v95
	ds_load_2addr_b32 v[73:74], v2 offset0:57 offset1:58
	ds_load_2addr_b32 v[75:76], v2 offset0:59 offset1:60
	s_waitcnt lgkmcnt(3)
	v_fmac_f32_e32 v3, v77, v69
	v_fmac_f32_e32 v3, v78, v70
	ds_load_2addr_b32 v[69:70], v2 offset0:61 offset1:62
	s_waitcnt lgkmcnt(3)
	v_fmac_f32_e32 v3, v79, v71
	ds_load_b32 v71, v2 offset:252
	s_waitcnt vmcnt(1)
	v_fmac_f32_e32 v3, v80, v72
	s_waitcnt lgkmcnt(3)
	s_delay_alu instid0(VALU_DEP_1) | instskip(NEXT) | instid1(VALU_DEP_1)
	v_fmac_f32_e32 v3, v81, v73
	v_fmac_f32_e32 v3, v82, v74
	s_waitcnt lgkmcnt(2)
	s_delay_alu instid0(VALU_DEP_1) | instskip(SKIP_1) | instid1(VALU_DEP_1)
	v_fmac_f32_e32 v3, v83, v75
	s_waitcnt vmcnt(0)
	v_fmac_f32_e32 v3, v84, v76
	s_waitcnt lgkmcnt(1)
	s_delay_alu instid0(VALU_DEP_1) | instskip(NEXT) | instid1(VALU_DEP_1)
	v_fmac_f32_e32 v3, v85, v69
	v_fmac_f32_e32 v3, v86, v70
	s_waitcnt lgkmcnt(0)
	s_delay_alu instid0(VALU_DEP_1) | instskip(NEXT) | instid1(VALU_DEP_1)
	v_fmac_f32_e32 v3, v87, v71
	v_sub_f32_e32 v3, v68, v3
	scratch_store_b32 off, v3, off offset:48
	v_cmpx_lt_u32_e32 11, v0
	s_cbranch_execz .LBB31_177
; %bb.176:
	scratch_load_b32 v3, off, off offset:44
	scratch_store_b32 off, v2, off offset:44
	s_waitcnt vmcnt(0)
	ds_store_b32 v1, v3
.LBB31_177:
	s_or_b32 exec_lo, exec_lo, s0
	s_waitcnt lgkmcnt(0)
	s_waitcnt_vscnt null, 0x0
	s_barrier
	buffer_gl0_inv
	s_clause 0x5
	scratch_load_b128 v[68:71], off, off offset:44
	scratch_load_b128 v[72:75], off, off offset:60
	;; [unrolled: 1-line block ×5, first 2 shown]
	scratch_load_b32 v3, off, off offset:124
	ds_load_b128 v[88:91], v2 offset:176
	ds_load_b128 v[92:95], v2 offset:192
	s_mov_b32 s0, exec_lo
	s_waitcnt vmcnt(5) lgkmcnt(1)
	v_fma_f32 v88, v69, v88, 0
	s_delay_alu instid0(VALU_DEP_1) | instskip(NEXT) | instid1(VALU_DEP_1)
	v_fmac_f32_e32 v88, v70, v89
	v_fmac_f32_e32 v88, v71, v90
	s_waitcnt vmcnt(4)
	s_delay_alu instid0(VALU_DEP_1) | instskip(SKIP_3) | instid1(VALU_DEP_1)
	v_fmac_f32_e32 v88, v72, v91
	ds_load_b128 v[69:72], v2 offset:208
	s_waitcnt lgkmcnt(1)
	v_fmac_f32_e32 v88, v73, v92
	v_fmac_f32_e32 v88, v74, v93
	s_delay_alu instid0(VALU_DEP_1) | instskip(SKIP_1) | instid1(VALU_DEP_1)
	v_fmac_f32_e32 v88, v75, v94
	s_waitcnt vmcnt(3)
	v_fmac_f32_e32 v88, v76, v95
	ds_load_b128 v[73:76], v2 offset:224
	s_waitcnt lgkmcnt(1)
	v_fmac_f32_e32 v88, v77, v69
	s_delay_alu instid0(VALU_DEP_1) | instskip(NEXT) | instid1(VALU_DEP_1)
	v_fmac_f32_e32 v88, v78, v70
	v_fmac_f32_e32 v88, v79, v71
	s_waitcnt vmcnt(2)
	s_delay_alu instid0(VALU_DEP_1) | instskip(SKIP_3) | instid1(VALU_DEP_1)
	v_fmac_f32_e32 v88, v80, v72
	ds_load_b128 v[69:72], v2 offset:240
	s_waitcnt lgkmcnt(1)
	v_fmac_f32_e32 v88, v81, v73
	v_fmac_f32_e32 v88, v82, v74
	s_delay_alu instid0(VALU_DEP_1) | instskip(SKIP_1) | instid1(VALU_DEP_1)
	v_fmac_f32_e32 v88, v83, v75
	s_waitcnt vmcnt(1)
	v_fmac_f32_e32 v88, v84, v76
	s_waitcnt lgkmcnt(0)
	s_delay_alu instid0(VALU_DEP_1) | instskip(NEXT) | instid1(VALU_DEP_1)
	v_fmac_f32_e32 v88, v85, v69
	v_fmac_f32_e32 v88, v86, v70
	s_delay_alu instid0(VALU_DEP_1) | instskip(SKIP_1) | instid1(VALU_DEP_1)
	v_fmac_f32_e32 v88, v87, v71
	s_waitcnt vmcnt(0)
	v_fmac_f32_e32 v88, v3, v72
	s_delay_alu instid0(VALU_DEP_1)
	v_sub_f32_e32 v2, v68, v88
	scratch_store_b32 off, v2, off offset:44
	v_cmpx_lt_u32_e32 10, v0
	s_cbranch_execz .LBB31_179
; %bb.178:
	scratch_load_b32 v2, off, off offset:40
	v_mov_b32_e32 v3, 0
	scratch_store_b32 off, v3, off offset:40
	s_waitcnt vmcnt(0)
	ds_store_b32 v1, v2
.LBB31_179:
	s_or_b32 exec_lo, exec_lo, s0
	s_waitcnt lgkmcnt(0)
	s_waitcnt_vscnt null, 0x0
	s_barrier
	buffer_gl0_inv
	s_clause 0x5
	scratch_load_b128 v[68:71], off, off offset:40
	scratch_load_b128 v[72:75], off, off offset:56
	;; [unrolled: 1-line block ×5, first 2 shown]
	scratch_load_b64 v[88:89], off, off offset:120
	v_mov_b32_e32 v2, 0
	ds_load_2addr_b32 v[90:91], v2 offset0:43 offset1:44
	ds_load_2addr_b32 v[92:93], v2 offset0:45 offset1:46
	;; [unrolled: 1-line block ×4, first 2 shown]
	s_mov_b32 s0, exec_lo
	s_waitcnt vmcnt(5) lgkmcnt(3)
	v_fma_f32 v3, v69, v90, 0
	s_delay_alu instid0(VALU_DEP_1) | instskip(SKIP_4) | instid1(VALU_DEP_1)
	v_fmac_f32_e32 v3, v70, v91
	ds_load_2addr_b32 v[69:70], v2 offset0:51 offset1:52
	s_waitcnt lgkmcnt(3)
	v_fmac_f32_e32 v3, v71, v92
	s_waitcnt vmcnt(4)
	v_fmac_f32_e32 v3, v72, v93
	ds_load_2addr_b32 v[71:72], v2 offset0:53 offset1:54
	s_waitcnt lgkmcnt(3)
	v_fmac_f32_e32 v3, v73, v94
	s_delay_alu instid0(VALU_DEP_1) | instskip(SKIP_1) | instid1(VALU_DEP_1)
	v_fmac_f32_e32 v3, v74, v95
	s_waitcnt lgkmcnt(2)
	v_fmac_f32_e32 v3, v75, v96
	s_waitcnt vmcnt(3)
	s_delay_alu instid0(VALU_DEP_1) | instskip(SKIP_4) | instid1(VALU_DEP_1)
	v_fmac_f32_e32 v3, v76, v97
	ds_load_2addr_b32 v[73:74], v2 offset0:55 offset1:56
	ds_load_2addr_b32 v[75:76], v2 offset0:57 offset1:58
	s_waitcnt lgkmcnt(3)
	v_fmac_f32_e32 v3, v77, v69
	v_fmac_f32_e32 v3, v78, v70
	ds_load_2addr_b32 v[69:70], v2 offset0:59 offset1:60
	s_waitcnt lgkmcnt(3)
	v_fmac_f32_e32 v3, v79, v71
	s_waitcnt vmcnt(2)
	s_delay_alu instid0(VALU_DEP_1)
	v_fmac_f32_e32 v3, v80, v72
	ds_load_2addr_b32 v[71:72], v2 offset0:61 offset1:62
	s_waitcnt lgkmcnt(3)
	v_fmac_f32_e32 v3, v81, v73
	ds_load_b32 v73, v2 offset:252
	v_fmac_f32_e32 v3, v82, v74
	s_waitcnt lgkmcnt(3)
	s_delay_alu instid0(VALU_DEP_1) | instskip(SKIP_1) | instid1(VALU_DEP_1)
	v_fmac_f32_e32 v3, v83, v75
	s_waitcnt vmcnt(1)
	v_fmac_f32_e32 v3, v84, v76
	s_waitcnt lgkmcnt(2)
	s_delay_alu instid0(VALU_DEP_1) | instskip(NEXT) | instid1(VALU_DEP_1)
	v_fmac_f32_e32 v3, v85, v69
	v_fmac_f32_e32 v3, v86, v70
	s_waitcnt lgkmcnt(1)
	s_delay_alu instid0(VALU_DEP_1) | instskip(SKIP_1) | instid1(VALU_DEP_1)
	v_fmac_f32_e32 v3, v87, v71
	s_waitcnt vmcnt(0)
	v_fmac_f32_e32 v3, v88, v72
	s_waitcnt lgkmcnt(0)
	s_delay_alu instid0(VALU_DEP_1) | instskip(NEXT) | instid1(VALU_DEP_1)
	v_fmac_f32_e32 v3, v89, v73
	v_sub_f32_e32 v3, v68, v3
	scratch_store_b32 off, v3, off offset:40
	v_cmpx_lt_u32_e32 9, v0
	s_cbranch_execz .LBB31_181
; %bb.180:
	scratch_load_b32 v3, off, off offset:36
	scratch_store_b32 off, v2, off offset:36
	s_waitcnt vmcnt(0)
	ds_store_b32 v1, v3
.LBB31_181:
	s_or_b32 exec_lo, exec_lo, s0
	s_waitcnt lgkmcnt(0)
	s_waitcnt_vscnt null, 0x0
	s_barrier
	buffer_gl0_inv
	s_clause 0x5
	scratch_load_b128 v[68:71], off, off offset:36
	scratch_load_b128 v[72:75], off, off offset:52
	scratch_load_b128 v[76:79], off, off offset:68
	scratch_load_b128 v[80:83], off, off offset:84
	scratch_load_b128 v[84:87], off, off offset:100
	scratch_load_b96 v[96:98], off, off offset:116
	ds_load_2addr_b64 v[88:91], v2 offset0:21 offset1:22
	ds_load_2addr_b64 v[92:95], v2 offset0:23 offset1:24
	s_mov_b32 s0, exec_lo
	s_waitcnt vmcnt(5) lgkmcnt(1)
	v_fma_f32 v88, v69, v88, 0
	s_delay_alu instid0(VALU_DEP_1) | instskip(NEXT) | instid1(VALU_DEP_1)
	v_fmac_f32_e32 v88, v70, v89
	v_fmac_f32_e32 v88, v71, v90
	s_waitcnt vmcnt(4)
	s_delay_alu instid0(VALU_DEP_1) | instskip(SKIP_3) | instid1(VALU_DEP_1)
	v_fmac_f32_e32 v88, v72, v91
	ds_load_2addr_b64 v[69:72], v2 offset0:25 offset1:26
	s_waitcnt lgkmcnt(1)
	v_fmac_f32_e32 v88, v73, v92
	v_fmac_f32_e32 v88, v74, v93
	s_delay_alu instid0(VALU_DEP_1) | instskip(SKIP_1) | instid1(VALU_DEP_1)
	v_fmac_f32_e32 v88, v75, v94
	s_waitcnt vmcnt(3)
	v_fmac_f32_e32 v88, v76, v95
	ds_load_2addr_b64 v[73:76], v2 offset0:27 offset1:28
	s_waitcnt lgkmcnt(1)
	v_fmac_f32_e32 v88, v77, v69
	s_delay_alu instid0(VALU_DEP_1) | instskip(NEXT) | instid1(VALU_DEP_1)
	v_fmac_f32_e32 v88, v78, v70
	v_fmac_f32_e32 v88, v79, v71
	s_waitcnt vmcnt(2)
	s_delay_alu instid0(VALU_DEP_1) | instskip(SKIP_4) | instid1(VALU_DEP_1)
	v_fmac_f32_e32 v88, v80, v72
	ds_load_2addr_b64 v[69:72], v2 offset0:29 offset1:30
	ds_load_b64 v[2:3], v2 offset:248
	s_waitcnt lgkmcnt(2)
	v_fmac_f32_e32 v88, v81, v73
	v_fmac_f32_e32 v88, v82, v74
	s_delay_alu instid0(VALU_DEP_1) | instskip(SKIP_1) | instid1(VALU_DEP_1)
	v_fmac_f32_e32 v88, v83, v75
	s_waitcnt vmcnt(1)
	v_fmac_f32_e32 v88, v84, v76
	s_waitcnt lgkmcnt(1)
	s_delay_alu instid0(VALU_DEP_1) | instskip(NEXT) | instid1(VALU_DEP_1)
	v_fmac_f32_e32 v88, v85, v69
	v_fmac_f32_e32 v88, v86, v70
	s_delay_alu instid0(VALU_DEP_1) | instskip(SKIP_1) | instid1(VALU_DEP_1)
	v_fmac_f32_e32 v88, v87, v71
	s_waitcnt vmcnt(0)
	v_fmac_f32_e32 v88, v96, v72
	s_waitcnt lgkmcnt(0)
	s_delay_alu instid0(VALU_DEP_1) | instskip(NEXT) | instid1(VALU_DEP_1)
	v_fmac_f32_e32 v88, v97, v2
	v_fmac_f32_e32 v88, v98, v3
	s_delay_alu instid0(VALU_DEP_1)
	v_sub_f32_e32 v2, v68, v88
	scratch_store_b32 off, v2, off offset:36
	v_cmpx_lt_u32_e32 8, v0
	s_cbranch_execz .LBB31_183
; %bb.182:
	scratch_load_b32 v2, off, off offset:32
	v_mov_b32_e32 v3, 0
	scratch_store_b32 off, v3, off offset:32
	s_waitcnt vmcnt(0)
	ds_store_b32 v1, v2
.LBB31_183:
	s_or_b32 exec_lo, exec_lo, s0
	s_waitcnt lgkmcnt(0)
	s_waitcnt_vscnt null, 0x0
	s_barrier
	buffer_gl0_inv
	s_clause 0x5
	scratch_load_b128 v[68:71], off, off offset:32
	scratch_load_b128 v[72:75], off, off offset:48
	;; [unrolled: 1-line block ×6, first 2 shown]
	v_mov_b32_e32 v2, 0
	ds_load_2addr_b32 v[92:93], v2 offset0:41 offset1:42
	ds_load_2addr_b32 v[94:95], v2 offset0:43 offset1:44
	;; [unrolled: 1-line block ×4, first 2 shown]
	s_mov_b32 s0, exec_lo
	s_waitcnt vmcnt(5) lgkmcnt(3)
	v_fma_f32 v3, v69, v92, 0
	s_delay_alu instid0(VALU_DEP_1) | instskip(SKIP_4) | instid1(VALU_DEP_1)
	v_fmac_f32_e32 v3, v70, v93
	ds_load_2addr_b32 v[69:70], v2 offset0:49 offset1:50
	s_waitcnt lgkmcnt(3)
	v_fmac_f32_e32 v3, v71, v94
	s_waitcnt vmcnt(4)
	v_fmac_f32_e32 v3, v72, v95
	ds_load_2addr_b32 v[71:72], v2 offset0:51 offset1:52
	s_waitcnt lgkmcnt(3)
	v_fmac_f32_e32 v3, v73, v96
	s_delay_alu instid0(VALU_DEP_1) | instskip(SKIP_1) | instid1(VALU_DEP_1)
	v_fmac_f32_e32 v3, v74, v97
	s_waitcnt lgkmcnt(2)
	v_fmac_f32_e32 v3, v75, v98
	s_waitcnt vmcnt(3)
	s_delay_alu instid0(VALU_DEP_1) | instskip(SKIP_4) | instid1(VALU_DEP_1)
	v_fmac_f32_e32 v3, v76, v99
	ds_load_2addr_b32 v[73:74], v2 offset0:53 offset1:54
	ds_load_2addr_b32 v[75:76], v2 offset0:55 offset1:56
	s_waitcnt lgkmcnt(3)
	v_fmac_f32_e32 v3, v77, v69
	v_fmac_f32_e32 v3, v78, v70
	ds_load_2addr_b32 v[69:70], v2 offset0:57 offset1:58
	s_waitcnt lgkmcnt(3)
	v_fmac_f32_e32 v3, v79, v71
	s_waitcnt vmcnt(2)
	s_delay_alu instid0(VALU_DEP_1) | instskip(SKIP_3) | instid1(VALU_DEP_1)
	v_fmac_f32_e32 v3, v80, v72
	ds_load_2addr_b32 v[71:72], v2 offset0:59 offset1:60
	s_waitcnt lgkmcnt(3)
	v_fmac_f32_e32 v3, v81, v73
	v_fmac_f32_e32 v3, v82, v74
	s_waitcnt lgkmcnt(2)
	s_delay_alu instid0(VALU_DEP_1)
	v_fmac_f32_e32 v3, v83, v75
	ds_load_2addr_b32 v[73:74], v2 offset0:61 offset1:62
	ds_load_b32 v75, v2 offset:252
	s_waitcnt vmcnt(1)
	v_fmac_f32_e32 v3, v84, v76
	s_waitcnt lgkmcnt(3)
	s_delay_alu instid0(VALU_DEP_1) | instskip(NEXT) | instid1(VALU_DEP_1)
	v_fmac_f32_e32 v3, v85, v69
	v_fmac_f32_e32 v3, v86, v70
	s_waitcnt lgkmcnt(2)
	s_delay_alu instid0(VALU_DEP_1) | instskip(SKIP_1) | instid1(VALU_DEP_1)
	v_fmac_f32_e32 v3, v87, v71
	s_waitcnt vmcnt(0)
	v_fmac_f32_e32 v3, v88, v72
	s_waitcnt lgkmcnt(1)
	s_delay_alu instid0(VALU_DEP_1) | instskip(NEXT) | instid1(VALU_DEP_1)
	v_fmac_f32_e32 v3, v89, v73
	v_fmac_f32_e32 v3, v90, v74
	s_waitcnt lgkmcnt(0)
	s_delay_alu instid0(VALU_DEP_1) | instskip(NEXT) | instid1(VALU_DEP_1)
	v_fmac_f32_e32 v3, v91, v75
	v_sub_f32_e32 v3, v68, v3
	scratch_store_b32 off, v3, off offset:32
	v_cmpx_lt_u32_e32 7, v0
	s_cbranch_execz .LBB31_185
; %bb.184:
	scratch_load_b32 v3, off, off offset:28
	scratch_store_b32 off, v2, off offset:28
	s_waitcnt vmcnt(0)
	ds_store_b32 v1, v3
.LBB31_185:
	s_or_b32 exec_lo, exec_lo, s0
	s_waitcnt lgkmcnt(0)
	s_waitcnt_vscnt null, 0x0
	s_barrier
	buffer_gl0_inv
	s_clause 0x6
	scratch_load_b128 v[68:71], off, off offset:28
	scratch_load_b128 v[72:75], off, off offset:44
	;; [unrolled: 1-line block ×6, first 2 shown]
	scratch_load_b32 v3, off, off offset:124
	ds_load_b128 v[92:95], v2 offset:160
	ds_load_b128 v[96:99], v2 offset:176
	s_mov_b32 s0, exec_lo
	s_waitcnt vmcnt(6) lgkmcnt(1)
	v_fma_f32 v92, v69, v92, 0
	s_delay_alu instid0(VALU_DEP_1) | instskip(NEXT) | instid1(VALU_DEP_1)
	v_fmac_f32_e32 v92, v70, v93
	v_fmac_f32_e32 v92, v71, v94
	s_waitcnt vmcnt(5)
	s_delay_alu instid0(VALU_DEP_1) | instskip(SKIP_3) | instid1(VALU_DEP_1)
	v_fmac_f32_e32 v92, v72, v95
	ds_load_b128 v[69:72], v2 offset:192
	s_waitcnt lgkmcnt(1)
	v_fmac_f32_e32 v92, v73, v96
	v_fmac_f32_e32 v92, v74, v97
	s_delay_alu instid0(VALU_DEP_1) | instskip(SKIP_1) | instid1(VALU_DEP_1)
	v_fmac_f32_e32 v92, v75, v98
	s_waitcnt vmcnt(4)
	v_fmac_f32_e32 v92, v76, v99
	ds_load_b128 v[73:76], v2 offset:208
	s_waitcnt lgkmcnt(1)
	v_fmac_f32_e32 v92, v77, v69
	s_delay_alu instid0(VALU_DEP_1) | instskip(NEXT) | instid1(VALU_DEP_1)
	v_fmac_f32_e32 v92, v78, v70
	v_fmac_f32_e32 v92, v79, v71
	s_waitcnt vmcnt(3)
	s_delay_alu instid0(VALU_DEP_1) | instskip(SKIP_3) | instid1(VALU_DEP_1)
	v_fmac_f32_e32 v92, v80, v72
	ds_load_b128 v[69:72], v2 offset:224
	s_waitcnt lgkmcnt(1)
	v_fmac_f32_e32 v92, v81, v73
	v_fmac_f32_e32 v92, v82, v74
	s_delay_alu instid0(VALU_DEP_1) | instskip(SKIP_1) | instid1(VALU_DEP_1)
	v_fmac_f32_e32 v92, v83, v75
	s_waitcnt vmcnt(2)
	v_fmac_f32_e32 v92, v84, v76
	ds_load_b128 v[73:76], v2 offset:240
	s_waitcnt lgkmcnt(1)
	v_fmac_f32_e32 v92, v85, v69
	s_delay_alu instid0(VALU_DEP_1) | instskip(NEXT) | instid1(VALU_DEP_1)
	v_fmac_f32_e32 v92, v86, v70
	v_fmac_f32_e32 v92, v87, v71
	s_waitcnt vmcnt(1)
	s_delay_alu instid0(VALU_DEP_1) | instskip(SKIP_1) | instid1(VALU_DEP_1)
	v_fmac_f32_e32 v92, v88, v72
	s_waitcnt lgkmcnt(0)
	v_fmac_f32_e32 v92, v89, v73
	s_delay_alu instid0(VALU_DEP_1) | instskip(NEXT) | instid1(VALU_DEP_1)
	v_fmac_f32_e32 v92, v90, v74
	v_fmac_f32_e32 v92, v91, v75
	s_waitcnt vmcnt(0)
	s_delay_alu instid0(VALU_DEP_1) | instskip(NEXT) | instid1(VALU_DEP_1)
	v_fmac_f32_e32 v92, v3, v76
	v_sub_f32_e32 v2, v68, v92
	scratch_store_b32 off, v2, off offset:28
	v_cmpx_lt_u32_e32 6, v0
	s_cbranch_execz .LBB31_187
; %bb.186:
	scratch_load_b32 v2, off, off offset:24
	v_mov_b32_e32 v3, 0
	scratch_store_b32 off, v3, off offset:24
	s_waitcnt vmcnt(0)
	ds_store_b32 v1, v2
.LBB31_187:
	s_or_b32 exec_lo, exec_lo, s0
	s_waitcnt lgkmcnt(0)
	s_waitcnt_vscnt null, 0x0
	s_barrier
	buffer_gl0_inv
	s_clause 0x6
	scratch_load_b128 v[68:71], off, off offset:24
	scratch_load_b128 v[72:75], off, off offset:40
	scratch_load_b128 v[76:79], off, off offset:56
	scratch_load_b128 v[80:83], off, off offset:72
	scratch_load_b128 v[84:87], off, off offset:88
	scratch_load_b128 v[88:91], off, off offset:104
	scratch_load_b64 v[92:93], off, off offset:120
	v_mov_b32_e32 v2, 0
	ds_load_2addr_b32 v[94:95], v2 offset0:39 offset1:40
	ds_load_2addr_b32 v[96:97], v2 offset0:41 offset1:42
	;; [unrolled: 1-line block ×4, first 2 shown]
	s_mov_b32 s0, exec_lo
	s_waitcnt vmcnt(6) lgkmcnt(3)
	v_fma_f32 v3, v69, v94, 0
	s_delay_alu instid0(VALU_DEP_1) | instskip(SKIP_4) | instid1(VALU_DEP_1)
	v_fmac_f32_e32 v3, v70, v95
	ds_load_2addr_b32 v[69:70], v2 offset0:47 offset1:48
	s_waitcnt lgkmcnt(3)
	v_fmac_f32_e32 v3, v71, v96
	s_waitcnt vmcnt(5)
	v_fmac_f32_e32 v3, v72, v97
	ds_load_2addr_b32 v[71:72], v2 offset0:49 offset1:50
	s_waitcnt lgkmcnt(3)
	v_fmac_f32_e32 v3, v73, v98
	s_delay_alu instid0(VALU_DEP_1) | instskip(SKIP_1) | instid1(VALU_DEP_1)
	v_fmac_f32_e32 v3, v74, v99
	s_waitcnt lgkmcnt(2)
	v_fmac_f32_e32 v3, v75, v100
	s_waitcnt vmcnt(4)
	s_delay_alu instid0(VALU_DEP_1) | instskip(SKIP_4) | instid1(VALU_DEP_1)
	v_fmac_f32_e32 v3, v76, v101
	ds_load_2addr_b32 v[73:74], v2 offset0:51 offset1:52
	ds_load_2addr_b32 v[75:76], v2 offset0:53 offset1:54
	s_waitcnt lgkmcnt(3)
	v_fmac_f32_e32 v3, v77, v69
	v_fmac_f32_e32 v3, v78, v70
	ds_load_2addr_b32 v[69:70], v2 offset0:55 offset1:56
	s_waitcnt lgkmcnt(3)
	v_fmac_f32_e32 v3, v79, v71
	s_waitcnt vmcnt(3)
	s_delay_alu instid0(VALU_DEP_1) | instskip(SKIP_3) | instid1(VALU_DEP_1)
	v_fmac_f32_e32 v3, v80, v72
	ds_load_2addr_b32 v[71:72], v2 offset0:57 offset1:58
	s_waitcnt lgkmcnt(3)
	v_fmac_f32_e32 v3, v81, v73
	v_fmac_f32_e32 v3, v82, v74
	s_waitcnt lgkmcnt(2)
	s_delay_alu instid0(VALU_DEP_1) | instskip(SKIP_1) | instid1(VALU_DEP_1)
	v_fmac_f32_e32 v3, v83, v75
	s_waitcnt vmcnt(2)
	v_fmac_f32_e32 v3, v84, v76
	ds_load_2addr_b32 v[73:74], v2 offset0:59 offset1:60
	ds_load_2addr_b32 v[75:76], v2 offset0:61 offset1:62
	s_waitcnt lgkmcnt(3)
	v_fmac_f32_e32 v3, v85, v69
	ds_load_b32 v69, v2 offset:252
	v_fmac_f32_e32 v3, v86, v70
	s_waitcnt lgkmcnt(3)
	s_delay_alu instid0(VALU_DEP_1) | instskip(SKIP_1) | instid1(VALU_DEP_1)
	v_fmac_f32_e32 v3, v87, v71
	s_waitcnt vmcnt(1)
	v_fmac_f32_e32 v3, v88, v72
	s_waitcnt lgkmcnt(2)
	s_delay_alu instid0(VALU_DEP_1) | instskip(NEXT) | instid1(VALU_DEP_1)
	v_fmac_f32_e32 v3, v89, v73
	v_fmac_f32_e32 v3, v90, v74
	s_waitcnt lgkmcnt(1)
	s_delay_alu instid0(VALU_DEP_1) | instskip(SKIP_1) | instid1(VALU_DEP_1)
	v_fmac_f32_e32 v3, v91, v75
	s_waitcnt vmcnt(0)
	v_fmac_f32_e32 v3, v92, v76
	s_waitcnt lgkmcnt(0)
	s_delay_alu instid0(VALU_DEP_1) | instskip(NEXT) | instid1(VALU_DEP_1)
	v_fmac_f32_e32 v3, v93, v69
	v_sub_f32_e32 v3, v68, v3
	scratch_store_b32 off, v3, off offset:24
	v_cmpx_lt_u32_e32 5, v0
	s_cbranch_execz .LBB31_189
; %bb.188:
	scratch_load_b32 v3, off, off offset:20
	scratch_store_b32 off, v2, off offset:20
	s_waitcnt vmcnt(0)
	ds_store_b32 v1, v3
.LBB31_189:
	s_or_b32 exec_lo, exec_lo, s0
	s_waitcnt lgkmcnt(0)
	s_waitcnt_vscnt null, 0x0
	s_barrier
	buffer_gl0_inv
	s_clause 0x6
	scratch_load_b128 v[68:71], off, off offset:20
	scratch_load_b128 v[72:75], off, off offset:36
	;; [unrolled: 1-line block ×6, first 2 shown]
	scratch_load_b96 v[100:102], off, off offset:116
	ds_load_2addr_b64 v[92:95], v2 offset0:19 offset1:20
	ds_load_2addr_b64 v[96:99], v2 offset0:21 offset1:22
	s_mov_b32 s0, exec_lo
	s_waitcnt vmcnt(6) lgkmcnt(1)
	v_fma_f32 v92, v69, v92, 0
	s_delay_alu instid0(VALU_DEP_1) | instskip(NEXT) | instid1(VALU_DEP_1)
	v_fmac_f32_e32 v92, v70, v93
	v_fmac_f32_e32 v92, v71, v94
	s_waitcnt vmcnt(5)
	s_delay_alu instid0(VALU_DEP_1) | instskip(SKIP_3) | instid1(VALU_DEP_1)
	v_fmac_f32_e32 v92, v72, v95
	ds_load_2addr_b64 v[69:72], v2 offset0:23 offset1:24
	s_waitcnt lgkmcnt(1)
	v_fmac_f32_e32 v92, v73, v96
	v_fmac_f32_e32 v92, v74, v97
	s_delay_alu instid0(VALU_DEP_1) | instskip(SKIP_1) | instid1(VALU_DEP_1)
	v_fmac_f32_e32 v92, v75, v98
	s_waitcnt vmcnt(4)
	v_fmac_f32_e32 v92, v76, v99
	ds_load_2addr_b64 v[73:76], v2 offset0:25 offset1:26
	s_waitcnt lgkmcnt(1)
	v_fmac_f32_e32 v92, v77, v69
	s_delay_alu instid0(VALU_DEP_1) | instskip(NEXT) | instid1(VALU_DEP_1)
	v_fmac_f32_e32 v92, v78, v70
	v_fmac_f32_e32 v92, v79, v71
	s_waitcnt vmcnt(3)
	s_delay_alu instid0(VALU_DEP_1) | instskip(SKIP_3) | instid1(VALU_DEP_1)
	v_fmac_f32_e32 v92, v80, v72
	ds_load_2addr_b64 v[69:72], v2 offset0:27 offset1:28
	s_waitcnt lgkmcnt(1)
	v_fmac_f32_e32 v92, v81, v73
	v_fmac_f32_e32 v92, v82, v74
	s_delay_alu instid0(VALU_DEP_1) | instskip(SKIP_1) | instid1(VALU_DEP_1)
	v_fmac_f32_e32 v92, v83, v75
	s_waitcnt vmcnt(2)
	v_fmac_f32_e32 v92, v84, v76
	ds_load_2addr_b64 v[73:76], v2 offset0:29 offset1:30
	ds_load_b64 v[2:3], v2 offset:248
	s_waitcnt lgkmcnt(2)
	v_fmac_f32_e32 v92, v85, v69
	s_delay_alu instid0(VALU_DEP_1) | instskip(NEXT) | instid1(VALU_DEP_1)
	v_fmac_f32_e32 v92, v86, v70
	v_fmac_f32_e32 v92, v87, v71
	s_waitcnt vmcnt(1)
	s_delay_alu instid0(VALU_DEP_1) | instskip(SKIP_1) | instid1(VALU_DEP_1)
	v_fmac_f32_e32 v92, v88, v72
	s_waitcnt lgkmcnt(1)
	v_fmac_f32_e32 v92, v89, v73
	s_delay_alu instid0(VALU_DEP_1) | instskip(NEXT) | instid1(VALU_DEP_1)
	v_fmac_f32_e32 v92, v90, v74
	v_fmac_f32_e32 v92, v91, v75
	s_waitcnt vmcnt(0)
	s_delay_alu instid0(VALU_DEP_1) | instskip(SKIP_1) | instid1(VALU_DEP_1)
	v_fmac_f32_e32 v92, v100, v76
	s_waitcnt lgkmcnt(0)
	v_fmac_f32_e32 v92, v101, v2
	s_delay_alu instid0(VALU_DEP_1) | instskip(NEXT) | instid1(VALU_DEP_1)
	v_fmac_f32_e32 v92, v102, v3
	v_sub_f32_e32 v2, v68, v92
	scratch_store_b32 off, v2, off offset:20
	v_cmpx_lt_u32_e32 4, v0
	s_cbranch_execz .LBB31_191
; %bb.190:
	scratch_load_b32 v2, off, off offset:16
	v_mov_b32_e32 v3, 0
	scratch_store_b32 off, v3, off offset:16
	s_waitcnt vmcnt(0)
	ds_store_b32 v1, v2
.LBB31_191:
	s_or_b32 exec_lo, exec_lo, s0
	s_waitcnt lgkmcnt(0)
	s_waitcnt_vscnt null, 0x0
	s_barrier
	buffer_gl0_inv
	s_clause 0x6
	scratch_load_b128 v[68:71], off, off offset:16
	scratch_load_b128 v[72:75], off, off offset:32
	;; [unrolled: 1-line block ×7, first 2 shown]
	v_mov_b32_e32 v2, 0
	ds_load_2addr_b32 v[96:97], v2 offset0:37 offset1:38
	ds_load_2addr_b32 v[98:99], v2 offset0:39 offset1:40
	;; [unrolled: 1-line block ×4, first 2 shown]
	s_mov_b32 s0, exec_lo
	s_waitcnt vmcnt(6) lgkmcnt(3)
	v_fma_f32 v3, v69, v96, 0
	s_delay_alu instid0(VALU_DEP_1) | instskip(SKIP_4) | instid1(VALU_DEP_1)
	v_fmac_f32_e32 v3, v70, v97
	ds_load_2addr_b32 v[69:70], v2 offset0:45 offset1:46
	s_waitcnt lgkmcnt(3)
	v_fmac_f32_e32 v3, v71, v98
	s_waitcnt vmcnt(5)
	v_fmac_f32_e32 v3, v72, v99
	ds_load_2addr_b32 v[71:72], v2 offset0:47 offset1:48
	s_waitcnt lgkmcnt(3)
	v_fmac_f32_e32 v3, v73, v100
	s_delay_alu instid0(VALU_DEP_1) | instskip(SKIP_1) | instid1(VALU_DEP_1)
	v_fmac_f32_e32 v3, v74, v101
	s_waitcnt lgkmcnt(2)
	v_fmac_f32_e32 v3, v75, v102
	s_waitcnt vmcnt(4)
	s_delay_alu instid0(VALU_DEP_1) | instskip(SKIP_4) | instid1(VALU_DEP_1)
	v_fmac_f32_e32 v3, v76, v103
	ds_load_2addr_b32 v[73:74], v2 offset0:49 offset1:50
	ds_load_2addr_b32 v[75:76], v2 offset0:51 offset1:52
	s_waitcnt lgkmcnt(3)
	v_fmac_f32_e32 v3, v77, v69
	v_fmac_f32_e32 v3, v78, v70
	ds_load_2addr_b32 v[69:70], v2 offset0:53 offset1:54
	s_waitcnt lgkmcnt(3)
	v_fmac_f32_e32 v3, v79, v71
	s_waitcnt vmcnt(3)
	s_delay_alu instid0(VALU_DEP_1) | instskip(SKIP_3) | instid1(VALU_DEP_1)
	v_fmac_f32_e32 v3, v80, v72
	ds_load_2addr_b32 v[71:72], v2 offset0:55 offset1:56
	s_waitcnt lgkmcnt(3)
	v_fmac_f32_e32 v3, v81, v73
	v_fmac_f32_e32 v3, v82, v74
	s_waitcnt lgkmcnt(2)
	s_delay_alu instid0(VALU_DEP_1) | instskip(SKIP_1) | instid1(VALU_DEP_1)
	v_fmac_f32_e32 v3, v83, v75
	s_waitcnt vmcnt(2)
	v_fmac_f32_e32 v3, v84, v76
	ds_load_2addr_b32 v[73:74], v2 offset0:57 offset1:58
	ds_load_2addr_b32 v[75:76], v2 offset0:59 offset1:60
	s_waitcnt lgkmcnt(3)
	v_fmac_f32_e32 v3, v85, v69
	s_delay_alu instid0(VALU_DEP_1)
	v_fmac_f32_e32 v3, v86, v70
	ds_load_2addr_b32 v[69:70], v2 offset0:61 offset1:62
	s_waitcnt lgkmcnt(3)
	v_fmac_f32_e32 v3, v87, v71
	ds_load_b32 v71, v2 offset:252
	s_waitcnt vmcnt(1)
	v_fmac_f32_e32 v3, v88, v72
	s_waitcnt lgkmcnt(3)
	s_delay_alu instid0(VALU_DEP_1) | instskip(NEXT) | instid1(VALU_DEP_1)
	v_fmac_f32_e32 v3, v89, v73
	v_fmac_f32_e32 v3, v90, v74
	s_waitcnt lgkmcnt(2)
	s_delay_alu instid0(VALU_DEP_1) | instskip(SKIP_1) | instid1(VALU_DEP_1)
	v_fmac_f32_e32 v3, v91, v75
	s_waitcnt vmcnt(0)
	v_fmac_f32_e32 v3, v92, v76
	s_waitcnt lgkmcnt(1)
	s_delay_alu instid0(VALU_DEP_1) | instskip(NEXT) | instid1(VALU_DEP_1)
	v_fmac_f32_e32 v3, v93, v69
	v_fmac_f32_e32 v3, v94, v70
	s_waitcnt lgkmcnt(0)
	s_delay_alu instid0(VALU_DEP_1) | instskip(NEXT) | instid1(VALU_DEP_1)
	v_fmac_f32_e32 v3, v95, v71
	v_sub_f32_e32 v3, v68, v3
	scratch_store_b32 off, v3, off offset:16
	v_cmpx_lt_u32_e32 3, v0
	s_cbranch_execz .LBB31_193
; %bb.192:
	scratch_load_b32 v3, off, off offset:12
	scratch_store_b32 off, v2, off offset:12
	s_waitcnt vmcnt(0)
	ds_store_b32 v1, v3
.LBB31_193:
	s_or_b32 exec_lo, exec_lo, s0
	s_waitcnt lgkmcnt(0)
	s_waitcnt_vscnt null, 0x0
	s_barrier
	buffer_gl0_inv
	s_clause 0x7
	scratch_load_b128 v[68:71], off, off offset:12
	scratch_load_b128 v[72:75], off, off offset:28
	;; [unrolled: 1-line block ×7, first 2 shown]
	scratch_load_b32 v3, off, off offset:124
	ds_load_b128 v[96:99], v2 offset:144
	ds_load_b128 v[100:103], v2 offset:160
	s_mov_b32 s0, exec_lo
	s_waitcnt vmcnt(7) lgkmcnt(1)
	v_fma_f32 v96, v69, v96, 0
	s_delay_alu instid0(VALU_DEP_1) | instskip(NEXT) | instid1(VALU_DEP_1)
	v_fmac_f32_e32 v96, v70, v97
	v_fmac_f32_e32 v96, v71, v98
	s_waitcnt vmcnt(6)
	s_delay_alu instid0(VALU_DEP_1) | instskip(SKIP_3) | instid1(VALU_DEP_1)
	v_fmac_f32_e32 v96, v72, v99
	ds_load_b128 v[69:72], v2 offset:176
	s_waitcnt lgkmcnt(1)
	v_fmac_f32_e32 v96, v73, v100
	v_fmac_f32_e32 v96, v74, v101
	s_delay_alu instid0(VALU_DEP_1) | instskip(SKIP_1) | instid1(VALU_DEP_1)
	v_fmac_f32_e32 v96, v75, v102
	s_waitcnt vmcnt(5)
	v_fmac_f32_e32 v96, v76, v103
	ds_load_b128 v[73:76], v2 offset:192
	s_waitcnt lgkmcnt(1)
	v_fmac_f32_e32 v96, v77, v69
	s_delay_alu instid0(VALU_DEP_1) | instskip(NEXT) | instid1(VALU_DEP_1)
	v_fmac_f32_e32 v96, v78, v70
	v_fmac_f32_e32 v96, v79, v71
	s_waitcnt vmcnt(4)
	s_delay_alu instid0(VALU_DEP_1) | instskip(SKIP_3) | instid1(VALU_DEP_1)
	v_fmac_f32_e32 v96, v80, v72
	ds_load_b128 v[69:72], v2 offset:208
	s_waitcnt lgkmcnt(1)
	v_fmac_f32_e32 v96, v81, v73
	v_fmac_f32_e32 v96, v82, v74
	s_delay_alu instid0(VALU_DEP_1) | instskip(SKIP_1) | instid1(VALU_DEP_1)
	v_fmac_f32_e32 v96, v83, v75
	s_waitcnt vmcnt(3)
	v_fmac_f32_e32 v96, v84, v76
	ds_load_b128 v[73:76], v2 offset:224
	s_waitcnt lgkmcnt(1)
	v_fmac_f32_e32 v96, v85, v69
	s_delay_alu instid0(VALU_DEP_1) | instskip(NEXT) | instid1(VALU_DEP_1)
	v_fmac_f32_e32 v96, v86, v70
	v_fmac_f32_e32 v96, v87, v71
	s_waitcnt vmcnt(2)
	s_delay_alu instid0(VALU_DEP_1) | instskip(SKIP_3) | instid1(VALU_DEP_1)
	v_fmac_f32_e32 v96, v88, v72
	ds_load_b128 v[69:72], v2 offset:240
	s_waitcnt lgkmcnt(1)
	v_fmac_f32_e32 v96, v89, v73
	v_fmac_f32_e32 v96, v90, v74
	s_delay_alu instid0(VALU_DEP_1) | instskip(SKIP_1) | instid1(VALU_DEP_1)
	v_fmac_f32_e32 v96, v91, v75
	s_waitcnt vmcnt(1)
	v_fmac_f32_e32 v96, v92, v76
	s_waitcnt lgkmcnt(0)
	s_delay_alu instid0(VALU_DEP_1) | instskip(NEXT) | instid1(VALU_DEP_1)
	v_fmac_f32_e32 v96, v93, v69
	v_fmac_f32_e32 v96, v94, v70
	s_delay_alu instid0(VALU_DEP_1) | instskip(SKIP_1) | instid1(VALU_DEP_1)
	v_fmac_f32_e32 v96, v95, v71
	s_waitcnt vmcnt(0)
	v_fmac_f32_e32 v96, v3, v72
	s_delay_alu instid0(VALU_DEP_1)
	v_sub_f32_e32 v2, v68, v96
	scratch_store_b32 off, v2, off offset:12
	v_cmpx_lt_u32_e32 2, v0
	s_cbranch_execz .LBB31_195
; %bb.194:
	scratch_load_b32 v2, off, off offset:8
	v_mov_b32_e32 v3, 0
	scratch_store_b32 off, v3, off offset:8
	s_waitcnt vmcnt(0)
	ds_store_b32 v1, v2
.LBB31_195:
	s_or_b32 exec_lo, exec_lo, s0
	s_waitcnt lgkmcnt(0)
	s_waitcnt_vscnt null, 0x0
	s_barrier
	buffer_gl0_inv
	s_clause 0x7
	scratch_load_b128 v[68:71], off, off offset:8
	scratch_load_b128 v[72:75], off, off offset:24
	;; [unrolled: 1-line block ×7, first 2 shown]
	scratch_load_b64 v[96:97], off, off offset:120
	v_mov_b32_e32 v2, 0
	ds_load_2addr_b32 v[98:99], v2 offset0:35 offset1:36
	ds_load_2addr_b32 v[100:101], v2 offset0:37 offset1:38
	;; [unrolled: 1-line block ×4, first 2 shown]
	s_mov_b32 s0, exec_lo
	s_waitcnt vmcnt(7) lgkmcnt(3)
	v_fma_f32 v3, v69, v98, 0
	s_delay_alu instid0(VALU_DEP_1) | instskip(SKIP_4) | instid1(VALU_DEP_1)
	v_fmac_f32_e32 v3, v70, v99
	ds_load_2addr_b32 v[69:70], v2 offset0:43 offset1:44
	s_waitcnt lgkmcnt(3)
	v_fmac_f32_e32 v3, v71, v100
	s_waitcnt vmcnt(6)
	v_fmac_f32_e32 v3, v72, v101
	ds_load_2addr_b32 v[71:72], v2 offset0:45 offset1:46
	s_waitcnt lgkmcnt(3)
	v_fmac_f32_e32 v3, v73, v102
	s_delay_alu instid0(VALU_DEP_1) | instskip(SKIP_1) | instid1(VALU_DEP_1)
	v_fmac_f32_e32 v3, v74, v103
	s_waitcnt lgkmcnt(2)
	v_fmac_f32_e32 v3, v75, v104
	s_waitcnt vmcnt(5)
	s_delay_alu instid0(VALU_DEP_1) | instskip(SKIP_4) | instid1(VALU_DEP_1)
	v_fmac_f32_e32 v3, v76, v105
	ds_load_2addr_b32 v[73:74], v2 offset0:47 offset1:48
	ds_load_2addr_b32 v[75:76], v2 offset0:49 offset1:50
	s_waitcnt lgkmcnt(3)
	v_fmac_f32_e32 v3, v77, v69
	v_fmac_f32_e32 v3, v78, v70
	ds_load_2addr_b32 v[69:70], v2 offset0:51 offset1:52
	s_waitcnt lgkmcnt(3)
	v_fmac_f32_e32 v3, v79, v71
	s_waitcnt vmcnt(4)
	s_delay_alu instid0(VALU_DEP_1) | instskip(SKIP_3) | instid1(VALU_DEP_1)
	v_fmac_f32_e32 v3, v80, v72
	ds_load_2addr_b32 v[71:72], v2 offset0:53 offset1:54
	s_waitcnt lgkmcnt(3)
	v_fmac_f32_e32 v3, v81, v73
	v_fmac_f32_e32 v3, v82, v74
	s_waitcnt lgkmcnt(2)
	s_delay_alu instid0(VALU_DEP_1) | instskip(SKIP_1) | instid1(VALU_DEP_1)
	v_fmac_f32_e32 v3, v83, v75
	s_waitcnt vmcnt(3)
	v_fmac_f32_e32 v3, v84, v76
	ds_load_2addr_b32 v[73:74], v2 offset0:55 offset1:56
	ds_load_2addr_b32 v[75:76], v2 offset0:57 offset1:58
	s_waitcnt lgkmcnt(3)
	v_fmac_f32_e32 v3, v85, v69
	s_delay_alu instid0(VALU_DEP_1) | instskip(SKIP_4) | instid1(VALU_DEP_1)
	v_fmac_f32_e32 v3, v86, v70
	ds_load_2addr_b32 v[69:70], v2 offset0:59 offset1:60
	s_waitcnt lgkmcnt(3)
	v_fmac_f32_e32 v3, v87, v71
	s_waitcnt vmcnt(2)
	v_fmac_f32_e32 v3, v88, v72
	ds_load_2addr_b32 v[71:72], v2 offset0:61 offset1:62
	s_waitcnt lgkmcnt(3)
	v_fmac_f32_e32 v3, v89, v73
	ds_load_b32 v73, v2 offset:252
	v_fmac_f32_e32 v3, v90, v74
	s_waitcnt lgkmcnt(3)
	s_delay_alu instid0(VALU_DEP_1) | instskip(SKIP_1) | instid1(VALU_DEP_1)
	v_fmac_f32_e32 v3, v91, v75
	s_waitcnt vmcnt(1)
	v_fmac_f32_e32 v3, v92, v76
	s_waitcnt lgkmcnt(2)
	s_delay_alu instid0(VALU_DEP_1) | instskip(NEXT) | instid1(VALU_DEP_1)
	v_fmac_f32_e32 v3, v93, v69
	v_fmac_f32_e32 v3, v94, v70
	s_waitcnt lgkmcnt(1)
	s_delay_alu instid0(VALU_DEP_1) | instskip(SKIP_1) | instid1(VALU_DEP_1)
	v_fmac_f32_e32 v3, v95, v71
	s_waitcnt vmcnt(0)
	v_fmac_f32_e32 v3, v96, v72
	s_waitcnt lgkmcnt(0)
	s_delay_alu instid0(VALU_DEP_1) | instskip(NEXT) | instid1(VALU_DEP_1)
	v_fmac_f32_e32 v3, v97, v73
	v_sub_f32_e32 v3, v68, v3
	scratch_store_b32 off, v3, off offset:8
	v_cmpx_lt_u32_e32 1, v0
	s_cbranch_execz .LBB31_197
; %bb.196:
	scratch_load_b32 v3, off, off offset:4
	scratch_store_b32 off, v2, off offset:4
	s_waitcnt vmcnt(0)
	ds_store_b32 v1, v3
.LBB31_197:
	s_or_b32 exec_lo, exec_lo, s0
	s_waitcnt lgkmcnt(0)
	s_waitcnt_vscnt null, 0x0
	s_barrier
	buffer_gl0_inv
	s_clause 0x7
	scratch_load_b128 v[68:71], off, off offset:4
	scratch_load_b128 v[72:75], off, off offset:20
	;; [unrolled: 1-line block ×7, first 2 shown]
	scratch_load_b96 v[104:106], off, off offset:116
	ds_load_2addr_b64 v[96:99], v2 offset0:17 offset1:18
	ds_load_2addr_b64 v[100:103], v2 offset0:19 offset1:20
	s_mov_b32 s0, exec_lo
	s_waitcnt vmcnt(7) lgkmcnt(1)
	v_fma_f32 v96, v69, v96, 0
	s_delay_alu instid0(VALU_DEP_1) | instskip(NEXT) | instid1(VALU_DEP_1)
	v_fmac_f32_e32 v96, v70, v97
	v_fmac_f32_e32 v96, v71, v98
	s_waitcnt vmcnt(6)
	s_delay_alu instid0(VALU_DEP_1) | instskip(SKIP_3) | instid1(VALU_DEP_1)
	v_fmac_f32_e32 v96, v72, v99
	ds_load_2addr_b64 v[69:72], v2 offset0:21 offset1:22
	s_waitcnt lgkmcnt(1)
	v_fmac_f32_e32 v96, v73, v100
	v_fmac_f32_e32 v96, v74, v101
	s_delay_alu instid0(VALU_DEP_1) | instskip(SKIP_1) | instid1(VALU_DEP_1)
	v_fmac_f32_e32 v96, v75, v102
	s_waitcnt vmcnt(5)
	v_fmac_f32_e32 v96, v76, v103
	ds_load_2addr_b64 v[73:76], v2 offset0:23 offset1:24
	s_waitcnt lgkmcnt(1)
	v_fmac_f32_e32 v96, v77, v69
	s_delay_alu instid0(VALU_DEP_1) | instskip(NEXT) | instid1(VALU_DEP_1)
	v_fmac_f32_e32 v96, v78, v70
	v_fmac_f32_e32 v96, v79, v71
	s_waitcnt vmcnt(4)
	s_delay_alu instid0(VALU_DEP_1) | instskip(SKIP_3) | instid1(VALU_DEP_1)
	v_fmac_f32_e32 v96, v80, v72
	ds_load_2addr_b64 v[69:72], v2 offset0:25 offset1:26
	s_waitcnt lgkmcnt(1)
	v_fmac_f32_e32 v96, v81, v73
	v_fmac_f32_e32 v96, v82, v74
	s_delay_alu instid0(VALU_DEP_1) | instskip(SKIP_1) | instid1(VALU_DEP_1)
	v_fmac_f32_e32 v96, v83, v75
	s_waitcnt vmcnt(3)
	v_fmac_f32_e32 v96, v84, v76
	ds_load_2addr_b64 v[73:76], v2 offset0:27 offset1:28
	s_waitcnt lgkmcnt(1)
	v_fmac_f32_e32 v96, v85, v69
	s_delay_alu instid0(VALU_DEP_1) | instskip(NEXT) | instid1(VALU_DEP_1)
	v_fmac_f32_e32 v96, v86, v70
	v_fmac_f32_e32 v96, v87, v71
	s_waitcnt vmcnt(2)
	s_delay_alu instid0(VALU_DEP_1) | instskip(SKIP_4) | instid1(VALU_DEP_1)
	v_fmac_f32_e32 v96, v88, v72
	ds_load_2addr_b64 v[69:72], v2 offset0:29 offset1:30
	ds_load_b64 v[2:3], v2 offset:248
	s_waitcnt lgkmcnt(2)
	v_fmac_f32_e32 v96, v89, v73
	v_fmac_f32_e32 v96, v90, v74
	s_delay_alu instid0(VALU_DEP_1) | instskip(SKIP_1) | instid1(VALU_DEP_1)
	v_fmac_f32_e32 v96, v91, v75
	s_waitcnt vmcnt(1)
	v_fmac_f32_e32 v96, v92, v76
	s_waitcnt lgkmcnt(1)
	s_delay_alu instid0(VALU_DEP_1) | instskip(NEXT) | instid1(VALU_DEP_1)
	v_fmac_f32_e32 v96, v93, v69
	v_fmac_f32_e32 v96, v94, v70
	s_delay_alu instid0(VALU_DEP_1) | instskip(SKIP_1) | instid1(VALU_DEP_1)
	v_fmac_f32_e32 v96, v95, v71
	s_waitcnt vmcnt(0)
	v_fmac_f32_e32 v96, v104, v72
	s_waitcnt lgkmcnt(0)
	s_delay_alu instid0(VALU_DEP_1) | instskip(NEXT) | instid1(VALU_DEP_1)
	v_fmac_f32_e32 v96, v105, v2
	v_fmac_f32_e32 v96, v106, v3
	s_delay_alu instid0(VALU_DEP_1)
	v_sub_f32_e32 v2, v68, v96
	scratch_store_b32 off, v2, off offset:4
	v_cmpx_ne_u32_e32 0, v0
	s_cbranch_execz .LBB31_199
; %bb.198:
	scratch_load_b32 v0, off, off
	v_mov_b32_e32 v2, 0
	scratch_store_b32 off, v2, off
	s_waitcnt vmcnt(0)
	ds_store_b32 v1, v0
.LBB31_199:
	s_or_b32 exec_lo, exec_lo, s0
	s_waitcnt lgkmcnt(0)
	s_waitcnt_vscnt null, 0x0
	s_barrier
	buffer_gl0_inv
	s_clause 0x7
	scratch_load_b128 v[68:71], off, off
	scratch_load_b128 v[72:75], off, off offset:16
	scratch_load_b128 v[76:79], off, off offset:32
	scratch_load_b128 v[80:83], off, off offset:48
	scratch_load_b128 v[84:87], off, off offset:64
	scratch_load_b128 v[88:91], off, off offset:80
	scratch_load_b128 v[92:95], off, off offset:96
	scratch_load_b128 v[0:3], off, off offset:112
	v_mov_b32_e32 v104, 0
	ds_load_2addr_b32 v[96:97], v104 offset0:33 offset1:34
	ds_load_2addr_b32 v[98:99], v104 offset0:35 offset1:36
	;; [unrolled: 1-line block ×4, first 2 shown]
	s_and_b32 vcc_lo, exec_lo, s16
	s_waitcnt vmcnt(7) lgkmcnt(3)
	v_fma_f32 v96, v69, v96, 0
	s_delay_alu instid0(VALU_DEP_1) | instskip(SKIP_4) | instid1(VALU_DEP_1)
	v_fmac_f32_e32 v96, v70, v97
	ds_load_2addr_b32 v[69:70], v104 offset0:41 offset1:42
	s_waitcnt lgkmcnt(3)
	v_fmac_f32_e32 v96, v71, v98
	s_waitcnt vmcnt(6)
	v_fmac_f32_e32 v96, v72, v99
	ds_load_2addr_b32 v[71:72], v104 offset0:43 offset1:44
	s_waitcnt lgkmcnt(3)
	v_fmac_f32_e32 v96, v73, v100
	s_delay_alu instid0(VALU_DEP_1) | instskip(SKIP_1) | instid1(VALU_DEP_1)
	v_fmac_f32_e32 v96, v74, v101
	s_waitcnt lgkmcnt(2)
	v_fmac_f32_e32 v96, v75, v102
	s_waitcnt vmcnt(5)
	s_delay_alu instid0(VALU_DEP_1) | instskip(SKIP_4) | instid1(VALU_DEP_1)
	v_fmac_f32_e32 v96, v76, v103
	ds_load_2addr_b32 v[73:74], v104 offset0:45 offset1:46
	ds_load_2addr_b32 v[75:76], v104 offset0:47 offset1:48
	s_waitcnt lgkmcnt(3)
	v_fmac_f32_e32 v96, v77, v69
	v_fmac_f32_e32 v96, v78, v70
	ds_load_2addr_b32 v[69:70], v104 offset0:49 offset1:50
	s_waitcnt lgkmcnt(3)
	v_fmac_f32_e32 v96, v79, v71
	s_waitcnt vmcnt(4)
	s_delay_alu instid0(VALU_DEP_1) | instskip(SKIP_3) | instid1(VALU_DEP_1)
	v_fmac_f32_e32 v96, v80, v72
	ds_load_2addr_b32 v[71:72], v104 offset0:51 offset1:52
	s_waitcnt lgkmcnt(3)
	v_fmac_f32_e32 v96, v81, v73
	v_fmac_f32_e32 v96, v82, v74
	s_waitcnt lgkmcnt(2)
	s_delay_alu instid0(VALU_DEP_1) | instskip(SKIP_1) | instid1(VALU_DEP_1)
	v_fmac_f32_e32 v96, v83, v75
	s_waitcnt vmcnt(3)
	v_fmac_f32_e32 v96, v84, v76
	ds_load_2addr_b32 v[73:74], v104 offset0:53 offset1:54
	ds_load_2addr_b32 v[75:76], v104 offset0:55 offset1:56
	s_waitcnt lgkmcnt(3)
	v_fmac_f32_e32 v96, v85, v69
	s_delay_alu instid0(VALU_DEP_1) | instskip(SKIP_4) | instid1(VALU_DEP_1)
	v_fmac_f32_e32 v96, v86, v70
	ds_load_2addr_b32 v[69:70], v104 offset0:57 offset1:58
	s_waitcnt lgkmcnt(3)
	v_fmac_f32_e32 v96, v87, v71
	s_waitcnt vmcnt(2)
	v_fmac_f32_e32 v96, v88, v72
	ds_load_2addr_b32 v[71:72], v104 offset0:59 offset1:60
	s_waitcnt lgkmcnt(3)
	v_fmac_f32_e32 v96, v89, v73
	s_delay_alu instid0(VALU_DEP_1) | instskip(SKIP_1) | instid1(VALU_DEP_1)
	v_fmac_f32_e32 v96, v90, v74
	s_waitcnt lgkmcnt(2)
	v_fmac_f32_e32 v96, v91, v75
	ds_load_2addr_b32 v[73:74], v104 offset0:61 offset1:62
	ds_load_b32 v75, v104 offset:252
	s_waitcnt vmcnt(1)
	v_fmac_f32_e32 v96, v92, v76
	s_waitcnt lgkmcnt(3)
	s_delay_alu instid0(VALU_DEP_1) | instskip(NEXT) | instid1(VALU_DEP_1)
	v_fmac_f32_e32 v96, v93, v69
	v_fmac_f32_e32 v96, v94, v70
	s_waitcnt lgkmcnt(2)
	s_delay_alu instid0(VALU_DEP_1) | instskip(SKIP_1) | instid1(VALU_DEP_1)
	v_fmac_f32_e32 v96, v95, v71
	s_waitcnt vmcnt(0)
	v_fmac_f32_e32 v96, v0, v72
	s_waitcnt lgkmcnt(1)
	s_delay_alu instid0(VALU_DEP_1) | instskip(NEXT) | instid1(VALU_DEP_1)
	v_fmac_f32_e32 v96, v1, v73
	v_fmac_f32_e32 v96, v2, v74
	s_waitcnt lgkmcnt(0)
	s_delay_alu instid0(VALU_DEP_1) | instskip(NEXT) | instid1(VALU_DEP_1)
	v_fmac_f32_e32 v96, v3, v75
	v_sub_f32_e32 v0, v68, v96
	scratch_store_b32 off, v0, off
	s_cbranch_vccz .LBB31_263
; %bb.200:
	v_dual_mov_b32 v0, s12 :: v_dual_mov_b32 v1, s13
	s_mov_b32 s0, exec_lo
	flat_load_b32 v0, v[0:1] offset:120
	s_waitcnt vmcnt(0) lgkmcnt(0)
	v_cmpx_ne_u32_e32 31, v0
	s_cbranch_execz .LBB31_202
; %bb.201:
	v_lshl_add_u32 v0, v0, 2, 0
	scratch_load_b32 v1, v0, off offset:-4
	s_waitcnt vmcnt(0)
	scratch_store_b32 off, v1, off offset:120
	scratch_store_b32 v0, v2, off offset:-4
.LBB31_202:
	s_or_b32 exec_lo, exec_lo, s0
	v_dual_mov_b32 v0, s12 :: v_dual_mov_b32 v1, s13
	s_mov_b32 s0, exec_lo
	flat_load_b32 v0, v[0:1] offset:116
	s_waitcnt vmcnt(0) lgkmcnt(0)
	v_cmpx_ne_u32_e32 30, v0
	s_cbranch_execz .LBB31_204
; %bb.203:
	v_lshl_add_u32 v0, v0, 2, 0
	scratch_load_b32 v1, v0, off offset:-4
	scratch_load_b32 v2, off, off offset:116
	s_waitcnt vmcnt(1)
	scratch_store_b32 off, v1, off offset:116
	s_waitcnt vmcnt(0)
	scratch_store_b32 v0, v2, off offset:-4
.LBB31_204:
	s_or_b32 exec_lo, exec_lo, s0
	v_dual_mov_b32 v0, s12 :: v_dual_mov_b32 v1, s13
	s_mov_b32 s0, exec_lo
	flat_load_b32 v0, v[0:1] offset:112
	s_waitcnt vmcnt(0) lgkmcnt(0)
	v_cmpx_ne_u32_e32 29, v0
	s_cbranch_execz .LBB31_206
; %bb.205:
	v_lshl_add_u32 v0, v0, 2, 0
	scratch_load_b32 v1, v0, off offset:-4
	scratch_load_b32 v2, off, off offset:112
	s_waitcnt vmcnt(1)
	scratch_store_b32 off, v1, off offset:112
	s_waitcnt vmcnt(0)
	scratch_store_b32 v0, v2, off offset:-4
.LBB31_206:
	;; [unrolled: 16-line block ×29, first 2 shown]
	s_or_b32 exec_lo, exec_lo, s0
	v_dual_mov_b32 v0, s12 :: v_dual_mov_b32 v1, s13
	s_mov_b32 s0, exec_lo
	flat_load_b32 v1, v[0:1]
	scratch_load_b32 v0, off, off
	s_waitcnt vmcnt(1) lgkmcnt(0)
	v_cmpx_ne_u32_e32 1, v1
	s_cbranch_execz .LBB31_262
; %bb.261:
	v_lshl_add_u32 v1, v1, 2, 0
	scratch_load_b32 v2, v1, off offset:-4
	s_waitcnt vmcnt(0)
	scratch_store_b32 off, v2, off
	scratch_store_b32 v1, v0, off offset:-4
	scratch_load_b32 v0, off, off
.LBB31_262:
	s_or_b32 exec_lo, exec_lo, s0
.LBB31_263:
	s_clause 0x7
	scratch_load_b128 v[68:71], off, off offset:4
	scratch_load_b128 v[72:75], off, off offset:20
	scratch_load_b128 v[76:79], off, off offset:36
	scratch_load_b128 v[80:83], off, off offset:52
	scratch_load_b128 v[84:87], off, off offset:68
	scratch_load_b128 v[88:91], off, off offset:84
	scratch_load_b128 v[92:95], off, off offset:100
	scratch_load_b96 v[1:3], off, off offset:116
	s_waitcnt vmcnt(8)
	global_store_b32 v[4:5], v0, off
	s_waitcnt vmcnt(7)
	s_clause 0x3
	global_store_b32 v[6:7], v68, off
	global_store_b32 v[8:9], v69, off
	global_store_b32 v[10:11], v70, off
	global_store_b32 v[12:13], v71, off
	s_waitcnt vmcnt(6)
	s_clause 0x3
	global_store_b32 v[14:15], v72, off
	global_store_b32 v[16:17], v73, off
	global_store_b32 v[18:19], v74, off
	;; [unrolled: 6-line block ×8, first 2 shown]
	s_endpgm
	.section	.rodata,"a",@progbits
	.p2align	6, 0x0
	.amdhsa_kernel _ZN9rocsolver6v33100L18getri_kernel_smallILi32EfPfEEvT1_iilPiilS4_bb
		.amdhsa_group_segment_fixed_size 260
		.amdhsa_private_segment_fixed_size 144
		.amdhsa_kernarg_size 60
		.amdhsa_user_sgpr_count 15
		.amdhsa_user_sgpr_dispatch_ptr 0
		.amdhsa_user_sgpr_queue_ptr 0
		.amdhsa_user_sgpr_kernarg_segment_ptr 1
		.amdhsa_user_sgpr_dispatch_id 0
		.amdhsa_user_sgpr_private_segment_size 0
		.amdhsa_wavefront_size32 1
		.amdhsa_uses_dynamic_stack 0
		.amdhsa_enable_private_segment 1
		.amdhsa_system_sgpr_workgroup_id_x 1
		.amdhsa_system_sgpr_workgroup_id_y 0
		.amdhsa_system_sgpr_workgroup_id_z 0
		.amdhsa_system_sgpr_workgroup_info 0
		.amdhsa_system_vgpr_workitem_id 0
		.amdhsa_next_free_vgpr 107
		.amdhsa_next_free_sgpr 18
		.amdhsa_reserve_vcc 1
		.amdhsa_float_round_mode_32 0
		.amdhsa_float_round_mode_16_64 0
		.amdhsa_float_denorm_mode_32 3
		.amdhsa_float_denorm_mode_16_64 3
		.amdhsa_dx10_clamp 1
		.amdhsa_ieee_mode 1
		.amdhsa_fp16_overflow 0
		.amdhsa_workgroup_processor_mode 1
		.amdhsa_memory_ordered 1
		.amdhsa_forward_progress 0
		.amdhsa_shared_vgpr_count 0
		.amdhsa_exception_fp_ieee_invalid_op 0
		.amdhsa_exception_fp_denorm_src 0
		.amdhsa_exception_fp_ieee_div_zero 0
		.amdhsa_exception_fp_ieee_overflow 0
		.amdhsa_exception_fp_ieee_underflow 0
		.amdhsa_exception_fp_ieee_inexact 0
		.amdhsa_exception_int_div_zero 0
	.end_amdhsa_kernel
	.section	.text._ZN9rocsolver6v33100L18getri_kernel_smallILi32EfPfEEvT1_iilPiilS4_bb,"axG",@progbits,_ZN9rocsolver6v33100L18getri_kernel_smallILi32EfPfEEvT1_iilPiilS4_bb,comdat
.Lfunc_end31:
	.size	_ZN9rocsolver6v33100L18getri_kernel_smallILi32EfPfEEvT1_iilPiilS4_bb, .Lfunc_end31-_ZN9rocsolver6v33100L18getri_kernel_smallILi32EfPfEEvT1_iilPiilS4_bb
                                        ; -- End function
	.section	.AMDGPU.csdata,"",@progbits
; Kernel info:
; codeLenInByte = 20028
; NumSgprs: 20
; NumVgprs: 107
; ScratchSize: 144
; MemoryBound: 0
; FloatMode: 240
; IeeeMode: 1
; LDSByteSize: 260 bytes/workgroup (compile time only)
; SGPRBlocks: 2
; VGPRBlocks: 13
; NumSGPRsForWavesPerEU: 20
; NumVGPRsForWavesPerEU: 107
; Occupancy: 12
; WaveLimiterHint : 1
; COMPUTE_PGM_RSRC2:SCRATCH_EN: 1
; COMPUTE_PGM_RSRC2:USER_SGPR: 15
; COMPUTE_PGM_RSRC2:TRAP_HANDLER: 0
; COMPUTE_PGM_RSRC2:TGID_X_EN: 1
; COMPUTE_PGM_RSRC2:TGID_Y_EN: 0
; COMPUTE_PGM_RSRC2:TGID_Z_EN: 0
; COMPUTE_PGM_RSRC2:TIDIG_COMP_CNT: 0
	.section	.text._ZN9rocsolver6v33100L18getri_kernel_smallILi33EfPfEEvT1_iilPiilS4_bb,"axG",@progbits,_ZN9rocsolver6v33100L18getri_kernel_smallILi33EfPfEEvT1_iilPiilS4_bb,comdat
	.globl	_ZN9rocsolver6v33100L18getri_kernel_smallILi33EfPfEEvT1_iilPiilS4_bb ; -- Begin function _ZN9rocsolver6v33100L18getri_kernel_smallILi33EfPfEEvT1_iilPiilS4_bb
	.p2align	8
	.type	_ZN9rocsolver6v33100L18getri_kernel_smallILi33EfPfEEvT1_iilPiilS4_bb,@function
_ZN9rocsolver6v33100L18getri_kernel_smallILi33EfPfEEvT1_iilPiilS4_bb: ; @_ZN9rocsolver6v33100L18getri_kernel_smallILi33EfPfEEvT1_iilPiilS4_bb
; %bb.0:
	s_mov_b32 s2, exec_lo
	v_cmpx_gt_u32_e32 33, v0
	s_cbranch_execz .LBB32_140
; %bb.1:
	s_clause 0x2
	s_load_b32 s17, s[0:1], 0x38
	s_load_b128 s[8:11], s[0:1], 0x10
	s_load_b128 s[4:7], s[0:1], 0x28
	s_mov_b32 s14, s15
                                        ; implicit-def: $sgpr12_sgpr13
	s_waitcnt lgkmcnt(0)
	s_bitcmp1_b32 s17, 8
	s_cselect_b32 s16, -1, 0
	s_bfe_u32 s2, s17, 0x10008
	s_ashr_i32 s15, s15, 31
	s_cmp_eq_u32 s2, 0
	s_cbranch_scc1 .LBB32_3
; %bb.2:
	s_load_b32 s2, s[0:1], 0x20
	s_mul_i32 s3, s14, s5
	s_mul_hi_u32 s5, s14, s4
	s_mul_i32 s12, s15, s4
	s_add_i32 s3, s5, s3
	s_mul_i32 s4, s14, s4
	s_add_i32 s5, s3, s12
	s_delay_alu instid0(SALU_CYCLE_1)
	s_lshl_b64 s[4:5], s[4:5], 2
	s_waitcnt lgkmcnt(0)
	s_ashr_i32 s3, s2, 31
	s_add_u32 s4, s10, s4
	s_addc_u32 s5, s11, s5
	s_lshl_b64 s[2:3], s[2:3], 2
	s_delay_alu instid0(SALU_CYCLE_1)
	s_add_u32 s12, s4, s2
	s_addc_u32 s13, s5, s3
.LBB32_3:
	s_load_b128 s[0:3], s[0:1], 0x0
	s_mul_i32 s4, s14, s9
	s_mul_hi_u32 s5, s14, s8
	s_mul_i32 s9, s15, s8
	s_add_i32 s5, s5, s4
	s_mul_i32 s4, s14, s8
	s_add_i32 s5, s5, s9
	v_lshlrev_b32_e32 v1, 2, v0
	s_lshl_b64 s[4:5], s[4:5], 2
	s_waitcnt lgkmcnt(0)
	v_add3_u32 v2, s3, s3, v0
	s_ashr_i32 s9, s2, 31
	s_mov_b32 s8, s2
	s_add_u32 s2, s0, s4
	s_addc_u32 s5, s1, s5
	v_add_nc_u32_e32 v8, s3, v2
	s_lshl_b64 s[0:1], s[8:9], 2
	v_ashrrev_i32_e32 v3, 31, v2
	s_add_u32 s0, s2, s0
	s_addc_u32 s1, s5, s1
	v_add_nc_u32_e32 v10, s3, v8
	v_add_co_u32 v4, s2, s0, v1
	s_mov_b32 s4, s3
	s_ashr_i32 s5, s3, 31
	s_delay_alu instid0(VALU_DEP_2)
	v_add_nc_u32_e32 v14, s3, v10
	v_add_co_ci_u32_e64 v5, null, s1, 0, s2
	v_lshlrev_b64 v[2:3], 2, v[2:3]
	v_ashrrev_i32_e32 v9, 31, v8
	s_lshl_b64 s[4:5], s[4:5], 2
	v_add_nc_u32_e32 v16, s3, v14
	v_add_co_u32 v6, vcc_lo, v4, s4
	v_ashrrev_i32_e32 v11, 31, v10
	v_add_co_ci_u32_e32 v7, vcc_lo, s5, v5, vcc_lo
	v_lshlrev_b64 v[12:13], 2, v[8:9]
	v_add_co_u32 v8, vcc_lo, s0, v2
	v_add_nc_u32_e32 v18, s3, v16
	v_add_co_ci_u32_e32 v9, vcc_lo, s1, v3, vcc_lo
	v_lshlrev_b64 v[2:3], 2, v[10:11]
	v_ashrrev_i32_e32 v15, 31, v14
	v_add_co_u32 v10, vcc_lo, s0, v12
	v_ashrrev_i32_e32 v17, 31, v16
	v_add_nc_u32_e32 v20, s3, v18
	v_add_co_ci_u32_e32 v11, vcc_lo, s1, v13, vcc_lo
	v_lshlrev_b64 v[14:15], 2, v[14:15]
	v_add_co_u32 v12, vcc_lo, s0, v2
	v_add_co_ci_u32_e32 v13, vcc_lo, s1, v3, vcc_lo
	v_lshlrev_b64 v[2:3], 2, v[16:17]
	v_ashrrev_i32_e32 v19, 31, v18
	v_add_nc_u32_e32 v22, s3, v20
	v_add_co_u32 v14, vcc_lo, s0, v14
	v_ashrrev_i32_e32 v21, 31, v20
	v_add_co_ci_u32_e32 v15, vcc_lo, s1, v15, vcc_lo
	v_lshlrev_b64 v[18:19], 2, v[18:19]
	v_add_co_u32 v16, vcc_lo, s0, v2
	v_add_nc_u32_e32 v24, s3, v22
	v_add_co_ci_u32_e32 v17, vcc_lo, s1, v3, vcc_lo
	v_lshlrev_b64 v[2:3], 2, v[20:21]
	v_ashrrev_i32_e32 v23, 31, v22
	v_add_co_u32 v18, vcc_lo, s0, v18
	v_ashrrev_i32_e32 v25, 31, v24
	v_add_nc_u32_e32 v26, s3, v24
	v_add_co_ci_u32_e32 v19, vcc_lo, s1, v19, vcc_lo
	v_lshlrev_b64 v[22:23], 2, v[22:23]
	v_add_co_u32 v20, vcc_lo, s0, v2
	v_add_co_ci_u32_e32 v21, vcc_lo, s1, v3, vcc_lo
	v_lshlrev_b64 v[2:3], 2, v[24:25]
	v_add_nc_u32_e32 v29, s3, v26
	v_add_co_u32 v22, vcc_lo, s0, v22
	v_ashrrev_i32_e32 v27, 31, v26
	v_add_co_ci_u32_e32 v23, vcc_lo, s1, v23, vcc_lo
	v_add_co_u32 v24, vcc_lo, s0, v2
	v_add_nc_u32_e32 v2, s3, v29
	s_delay_alu instid0(VALU_DEP_4) | instskip(SKIP_2) | instid1(VALU_DEP_4)
	v_lshlrev_b64 v[27:28], 2, v[26:27]
	v_ashrrev_i32_e32 v30, 31, v29
	v_add_co_ci_u32_e32 v25, vcc_lo, s1, v3, vcc_lo
	v_add_nc_u32_e32 v31, s3, v2
	v_ashrrev_i32_e32 v3, 31, v2
	v_add_co_u32 v26, vcc_lo, s0, v27
	v_add_co_ci_u32_e32 v27, vcc_lo, s1, v28, vcc_lo
	s_delay_alu instid0(VALU_DEP_4)
	v_add_nc_u32_e32 v33, s3, v31
	v_lshlrev_b64 v[28:29], 2, v[29:30]
	v_ashrrev_i32_e32 v32, 31, v31
	v_lshlrev_b64 v[2:3], 2, v[2:3]
	global_load_b32 v70, v1, s[0:1]
	v_add_nc_u32_e32 v37, s3, v33
	v_ashrrev_i32_e32 v34, 31, v33
	v_add_co_u32 v28, vcc_lo, s0, v28
	v_lshlrev_b64 v[35:36], 2, v[31:32]
	v_add_co_ci_u32_e32 v29, vcc_lo, s1, v29, vcc_lo
	v_add_co_u32 v30, vcc_lo, s0, v2
	v_ashrrev_i32_e32 v38, 31, v37
	v_add_nc_u32_e32 v39, s3, v37
	v_add_co_ci_u32_e32 v31, vcc_lo, s1, v3, vcc_lo
	v_lshlrev_b64 v[2:3], 2, v[33:34]
	v_add_co_u32 v32, vcc_lo, s0, v35
	v_add_co_ci_u32_e32 v33, vcc_lo, s1, v36, vcc_lo
	v_lshlrev_b64 v[36:37], 2, v[37:38]
	v_ashrrev_i32_e32 v40, 31, v39
	v_add_nc_u32_e32 v38, s3, v39
	v_add_co_u32 v34, vcc_lo, s0, v2
	v_add_co_ci_u32_e32 v35, vcc_lo, s1, v3, vcc_lo
	s_delay_alu instid0(VALU_DEP_4) | instskip(NEXT) | instid1(VALU_DEP_4)
	v_lshlrev_b64 v[2:3], 2, v[39:40]
	v_add_nc_u32_e32 v40, s3, v38
	v_ashrrev_i32_e32 v39, 31, v38
	v_add_co_u32 v36, vcc_lo, s0, v36
	v_add_co_ci_u32_e32 v37, vcc_lo, s1, v37, vcc_lo
	s_delay_alu instid0(VALU_DEP_4) | instskip(SKIP_3) | instid1(VALU_DEP_4)
	v_add_nc_u32_e32 v44, s3, v40
	v_ashrrev_i32_e32 v41, 31, v40
	v_lshlrev_b64 v[42:43], 2, v[38:39]
	v_add_co_u32 v38, vcc_lo, s0, v2
	v_add_nc_u32_e32 v46, s3, v44
	v_add_co_ci_u32_e32 v39, vcc_lo, s1, v3, vcc_lo
	v_lshlrev_b64 v[2:3], 2, v[40:41]
	v_ashrrev_i32_e32 v45, 31, v44
	s_delay_alu instid0(VALU_DEP_4) | instskip(SKIP_3) | instid1(VALU_DEP_4)
	v_add_nc_u32_e32 v48, s3, v46
	v_add_co_u32 v40, vcc_lo, s0, v42
	v_ashrrev_i32_e32 v47, 31, v46
	v_add_co_ci_u32_e32 v41, vcc_lo, s1, v43, vcc_lo
	v_add_nc_u32_e32 v50, s3, v48
	v_lshlrev_b64 v[44:45], 2, v[44:45]
	v_add_co_u32 v42, vcc_lo, s0, v2
	v_add_co_ci_u32_e32 v43, vcc_lo, s1, v3, vcc_lo
	s_delay_alu instid0(VALU_DEP_4) | instskip(SKIP_3) | instid1(VALU_DEP_4)
	v_add_nc_u32_e32 v52, s3, v50
	v_lshlrev_b64 v[2:3], 2, v[46:47]
	v_ashrrev_i32_e32 v49, 31, v48
	v_add_co_u32 v44, vcc_lo, s0, v44
	v_add_nc_u32_e32 v54, s3, v52
	v_ashrrev_i32_e32 v51, 31, v50
	v_add_co_ci_u32_e32 v45, vcc_lo, s1, v45, vcc_lo
	v_lshlrev_b64 v[48:49], 2, v[48:49]
	s_delay_alu instid0(VALU_DEP_4)
	v_add_nc_u32_e32 v56, s3, v54
	v_add_co_u32 v46, vcc_lo, s0, v2
	v_add_co_ci_u32_e32 v47, vcc_lo, s1, v3, vcc_lo
	v_lshlrev_b64 v[2:3], 2, v[50:51]
	v_ashrrev_i32_e32 v53, 31, v52
	v_add_nc_u32_e32 v58, s3, v56
	v_add_co_u32 v48, vcc_lo, s0, v48
	v_ashrrev_i32_e32 v55, 31, v54
	v_add_co_ci_u32_e32 v49, vcc_lo, s1, v49, vcc_lo
	v_lshlrev_b64 v[52:53], 2, v[52:53]
	v_add_nc_u32_e32 v60, s3, v58
	v_add_co_u32 v50, vcc_lo, s0, v2
	v_add_co_ci_u32_e32 v51, vcc_lo, s1, v3, vcc_lo
	v_lshlrev_b64 v[2:3], 2, v[54:55]
	v_ashrrev_i32_e32 v57, 31, v56
	v_add_nc_u32_e32 v62, s3, v60
	v_add_co_u32 v52, vcc_lo, s0, v52
	v_ashrrev_i32_e32 v59, 31, v58
	v_add_co_ci_u32_e32 v53, vcc_lo, s1, v53, vcc_lo
	v_lshlrev_b64 v[56:57], 2, v[56:57]
	v_add_co_u32 v54, vcc_lo, s0, v2
	v_add_nc_u32_e32 v64, s3, v62
	v_add_co_ci_u32_e32 v55, vcc_lo, s1, v3, vcc_lo
	v_lshlrev_b64 v[2:3], 2, v[58:59]
	v_ashrrev_i32_e32 v61, 31, v60
	v_add_co_u32 v56, vcc_lo, s0, v56
	v_ashrrev_i32_e32 v63, 31, v62
	v_add_nc_u32_e32 v66, s3, v64
	v_add_co_ci_u32_e32 v57, vcc_lo, s1, v57, vcc_lo
	v_lshlrev_b64 v[60:61], 2, v[60:61]
	v_add_co_u32 v58, vcc_lo, s0, v2
	v_add_co_ci_u32_e32 v59, vcc_lo, s1, v3, vcc_lo
	v_lshlrev_b64 v[2:3], 2, v[62:63]
	v_ashrrev_i32_e32 v65, 31, v64
	v_add_nc_u32_e32 v68, s3, v66
	v_add_co_u32 v60, vcc_lo, s0, v60
	v_ashrrev_i32_e32 v67, 31, v66
	v_add_co_ci_u32_e32 v61, vcc_lo, s1, v61, vcc_lo
	v_lshlrev_b64 v[64:65], 2, v[64:65]
	v_add_co_u32 v62, vcc_lo, s0, v2
	v_ashrrev_i32_e32 v69, 31, v68
	v_add_co_ci_u32_e32 v63, vcc_lo, s1, v3, vcc_lo
	v_lshlrev_b64 v[2:3], 2, v[66:67]
	v_add_co_u32 v64, vcc_lo, s0, v64
	s_delay_alu instid0(VALU_DEP_4) | instskip(SKIP_1) | instid1(VALU_DEP_4)
	v_lshlrev_b64 v[68:69], 2, v[68:69]
	v_add_co_ci_u32_e32 v65, vcc_lo, s1, v65, vcc_lo
	v_add_co_u32 v66, vcc_lo, s0, v2
	v_add_co_ci_u32_e32 v67, vcc_lo, s1, v3, vcc_lo
	s_delay_alu instid0(VALU_DEP_4)
	v_add_co_u32 v68, vcc_lo, s0, v68
	s_clause 0xf
	global_load_b32 v71, v[6:7], off
	global_load_b32 v72, v[8:9], off
	;; [unrolled: 1-line block ×16, first 2 shown]
	v_add_co_ci_u32_e32 v69, vcc_lo, s1, v69, vcc_lo
	s_clause 0xf
	global_load_b32 v87, v[38:39], off
	global_load_b32 v88, v[40:41], off
	;; [unrolled: 1-line block ×16, first 2 shown]
	s_bitcmp0_b32 s17, 0
	s_mov_b32 s1, -1
	s_waitcnt vmcnt(29)
	scratch_store_b128 off, v[70:73], off
	s_waitcnt vmcnt(25)
	scratch_store_b128 off, v[74:77], off offset:16
	s_waitcnt vmcnt(21)
	scratch_store_b128 off, v[78:81], off offset:32
	;; [unrolled: 2-line block ×7, first 2 shown]
	s_waitcnt vmcnt(0)
	scratch_store_b32 off, v2, off offset:128
	s_cbranch_scc1 .LBB32_138
; %bb.4:
	v_cmp_eq_u32_e64 s0, 0, v0
	s_delay_alu instid0(VALU_DEP_1)
	s_and_saveexec_b32 s1, s0
	s_cbranch_execz .LBB32_6
; %bb.5:
	v_mov_b32_e32 v2, 0
	ds_store_b32 v2, v2 offset:132
.LBB32_6:
	s_or_b32 exec_lo, exec_lo, s1
	s_waitcnt lgkmcnt(0)
	s_waitcnt_vscnt null, 0x0
	s_barrier
	buffer_gl0_inv
	scratch_load_b32 v2, v1, off
	s_mov_b32 s2, exec_lo
	s_waitcnt vmcnt(0)
	v_cmpx_eq_f32_e32 0, v2
	s_cbranch_execz .LBB32_10
; %bb.7:
	v_mov_b32_e32 v2, 0
	s_mov_b32 s3, 0
	ds_load_b32 v3, v2 offset:132
	s_waitcnt lgkmcnt(0)
	v_readfirstlane_b32 s1, v3
	v_add_nc_u32_e32 v3, 1, v0
	s_delay_alu instid0(VALU_DEP_2) | instskip(NEXT) | instid1(VALU_DEP_1)
	s_cmp_eq_u32 s1, 0
	v_cmp_gt_i32_e32 vcc_lo, s1, v3
	s_cselect_b32 s4, -1, 0
	s_delay_alu instid0(SALU_CYCLE_1) | instskip(NEXT) | instid1(SALU_CYCLE_1)
	s_or_b32 s4, s4, vcc_lo
	s_and_b32 exec_lo, exec_lo, s4
	s_cbranch_execz .LBB32_10
; %bb.8:
	v_mov_b32_e32 v70, s1
.LBB32_9:                               ; =>This Inner Loop Header: Depth=1
	ds_cmpstore_rtn_b32 v70, v2, v3, v70 offset:132
	s_waitcnt lgkmcnt(0)
	v_cmp_ne_u32_e32 vcc_lo, 0, v70
	v_cmp_le_i32_e64 s1, v70, v3
	s_delay_alu instid0(VALU_DEP_1) | instskip(NEXT) | instid1(SALU_CYCLE_1)
	s_and_b32 s1, vcc_lo, s1
	s_and_b32 s1, exec_lo, s1
	s_delay_alu instid0(SALU_CYCLE_1) | instskip(NEXT) | instid1(SALU_CYCLE_1)
	s_or_b32 s3, s1, s3
	s_and_not1_b32 exec_lo, exec_lo, s3
	s_cbranch_execnz .LBB32_9
.LBB32_10:
	s_or_b32 exec_lo, exec_lo, s2
	v_mov_b32_e32 v2, 0
	s_barrier
	buffer_gl0_inv
	ds_load_b32 v3, v2 offset:132
	s_and_saveexec_b32 s1, s0
	s_cbranch_execz .LBB32_12
; %bb.11:
	s_lshl_b64 s[2:3], s[14:15], 2
	s_delay_alu instid0(SALU_CYCLE_1)
	s_add_u32 s2, s6, s2
	s_addc_u32 s3, s7, s3
	s_waitcnt lgkmcnt(0)
	global_store_b32 v2, v3, s[2:3]
.LBB32_12:
	s_or_b32 exec_lo, exec_lo, s1
	s_waitcnt lgkmcnt(0)
	v_cmp_ne_u32_e32 vcc_lo, 0, v3
	s_mov_b32 s1, 0
	s_cbranch_vccnz .LBB32_138
; %bb.13:
	v_add_nc_u32_e32 v2, 0, v1
	scratch_load_b32 v3, v2, off
	s_waitcnt vmcnt(0)
	v_div_scale_f32 v70, null, v3, v3, 1.0
	v_div_scale_f32 v73, vcc_lo, 1.0, v3, 1.0
	s_delay_alu instid0(VALU_DEP_2) | instskip(SKIP_2) | instid1(VALU_DEP_1)
	v_rcp_f32_e32 v71, v70
	s_waitcnt_depctr 0xfff
	v_fma_f32 v72, -v70, v71, 1.0
	v_fmac_f32_e32 v71, v72, v71
	s_delay_alu instid0(VALU_DEP_1) | instskip(NEXT) | instid1(VALU_DEP_1)
	v_mul_f32_e32 v72, v73, v71
	v_fma_f32 v74, -v70, v72, v73
	s_delay_alu instid0(VALU_DEP_1) | instskip(NEXT) | instid1(VALU_DEP_1)
	v_fmac_f32_e32 v72, v74, v71
	v_fma_f32 v70, -v70, v72, v73
	s_delay_alu instid0(VALU_DEP_1) | instskip(NEXT) | instid1(VALU_DEP_1)
	v_div_fmas_f32 v70, v70, v71, v72
	v_div_fixup_f32 v3, v70, v3, 1.0
	scratch_store_b32 v2, v3, off
	scratch_load_b32 v70, off, off offset:4
	v_xor_b32_e32 v71, 0x80000000, v3
	v_add_nc_u32_e32 v3, 0x90, v1
	s_waitcnt vmcnt(0)
	ds_store_2addr_b32 v1, v71, v70 offset1:36
	s_waitcnt lgkmcnt(0)
	s_waitcnt_vscnt null, 0x0
	s_barrier
	buffer_gl0_inv
	s_and_saveexec_b32 s1, s0
	s_cbranch_execz .LBB32_15
; %bb.14:
	scratch_load_b32 v70, v2, off
	ds_load_b32 v71, v3
	v_mov_b32_e32 v72, 0
	ds_load_b32 v72, v72 offset:4
	s_waitcnt vmcnt(0) lgkmcnt(1)
	v_fma_f32 v70, v70, v71, 0
	s_waitcnt lgkmcnt(0)
	s_delay_alu instid0(VALU_DEP_1)
	v_mul_f32_e32 v70, v70, v72
	scratch_store_b32 off, v70, off offset:4
.LBB32_15:
	s_or_b32 exec_lo, exec_lo, s1
	s_waitcnt_vscnt null, 0x0
	s_barrier
	buffer_gl0_inv
	scratch_load_b32 v70, off, off offset:8
	s_mov_b32 s1, exec_lo
	s_waitcnt vmcnt(0)
	ds_store_b32 v3, v70
	s_waitcnt lgkmcnt(0)
	s_barrier
	buffer_gl0_inv
	v_cmpx_gt_u32_e32 2, v0
	s_cbranch_execz .LBB32_17
; %bb.16:
	scratch_load_b32 v72, v2, off
	scratch_load_b32 v73, off, off offset:4
	ds_load_b32 v74, v3
	v_mov_b32_e32 v70, 0
	ds_load_2addr_b32 v[70:71], v70 offset0:2 offset1:37
	s_waitcnt vmcnt(1) lgkmcnt(1)
	v_fma_f32 v72, v72, v74, 0
	s_waitcnt vmcnt(0) lgkmcnt(0)
	s_delay_alu instid0(VALU_DEP_1) | instskip(NEXT) | instid1(VALU_DEP_1)
	v_fma_f32 v71, v73, v71, v72
	v_cndmask_b32_e64 v71, v72, v71, s0
	s_delay_alu instid0(VALU_DEP_1)
	v_mul_f32_e32 v70, v71, v70
	scratch_store_b32 off, v70, off offset:8
.LBB32_17:
	s_or_b32 exec_lo, exec_lo, s1
	s_waitcnt_vscnt null, 0x0
	s_barrier
	buffer_gl0_inv
	scratch_load_b32 v71, off, off offset:12
	v_add_nc_u32_e32 v70, -1, v0
	s_mov_b32 s0, exec_lo
	s_waitcnt vmcnt(0)
	ds_store_b32 v3, v71
	s_waitcnt lgkmcnt(0)
	s_barrier
	buffer_gl0_inv
	v_cmpx_gt_u32_e32 3, v0
	s_cbranch_execz .LBB32_21
; %bb.18:
	v_dual_mov_b32 v71, 0 :: v_dual_add_nc_u32 v72, -1, v0
	v_add_nc_u32_e32 v73, 0x90, v1
	v_add_nc_u32_e32 v74, 0, v1
	s_mov_b32 s1, 0
.LBB32_19:                              ; =>This Inner Loop Header: Depth=1
	scratch_load_b32 v75, v74, off
	ds_load_b32 v76, v73
	v_add_nc_u32_e32 v72, 1, v72
	v_add_nc_u32_e32 v73, 4, v73
	v_add_nc_u32_e32 v74, 4, v74
	s_delay_alu instid0(VALU_DEP_3)
	v_cmp_lt_u32_e32 vcc_lo, 1, v72
	s_or_b32 s1, vcc_lo, s1
	s_waitcnt vmcnt(0) lgkmcnt(0)
	v_fmac_f32_e32 v71, v75, v76
	s_and_not1_b32 exec_lo, exec_lo, s1
	s_cbranch_execnz .LBB32_19
; %bb.20:
	s_or_b32 exec_lo, exec_lo, s1
	v_mov_b32_e32 v72, 0
	ds_load_b32 v72, v72 offset:12
	s_waitcnt lgkmcnt(0)
	v_mul_f32_e32 v71, v71, v72
	scratch_store_b32 off, v71, off offset:12
.LBB32_21:
	s_or_b32 exec_lo, exec_lo, s0
	s_waitcnt_vscnt null, 0x0
	s_barrier
	buffer_gl0_inv
	scratch_load_b32 v71, off, off offset:16
	s_mov_b32 s0, exec_lo
	s_waitcnt vmcnt(0)
	ds_store_b32 v3, v71
	s_waitcnt lgkmcnt(0)
	s_barrier
	buffer_gl0_inv
	v_cmpx_gt_u32_e32 4, v0
	s_cbranch_execz .LBB32_25
; %bb.22:
	v_dual_mov_b32 v71, 0 :: v_dual_add_nc_u32 v72, -1, v0
	v_add_nc_u32_e32 v73, 0x90, v1
	v_add_nc_u32_e32 v74, 0, v1
	s_mov_b32 s1, 0
.LBB32_23:                              ; =>This Inner Loop Header: Depth=1
	scratch_load_b32 v75, v74, off
	ds_load_b32 v76, v73
	v_add_nc_u32_e32 v72, 1, v72
	v_add_nc_u32_e32 v73, 4, v73
	v_add_nc_u32_e32 v74, 4, v74
	s_delay_alu instid0(VALU_DEP_3)
	v_cmp_lt_u32_e32 vcc_lo, 2, v72
	s_or_b32 s1, vcc_lo, s1
	s_waitcnt vmcnt(0) lgkmcnt(0)
	v_fmac_f32_e32 v71, v75, v76
	s_and_not1_b32 exec_lo, exec_lo, s1
	s_cbranch_execnz .LBB32_23
; %bb.24:
	s_or_b32 exec_lo, exec_lo, s1
	v_mov_b32_e32 v72, 0
	ds_load_b32 v72, v72 offset:16
	s_waitcnt lgkmcnt(0)
	v_mul_f32_e32 v71, v71, v72
	scratch_store_b32 off, v71, off offset:16
.LBB32_25:
	s_or_b32 exec_lo, exec_lo, s0
	s_waitcnt_vscnt null, 0x0
	s_barrier
	buffer_gl0_inv
	scratch_load_b32 v71, off, off offset:20
	;; [unrolled: 39-line block ×21, first 2 shown]
	s_mov_b32 s0, exec_lo
	s_waitcnt vmcnt(0)
	ds_store_b32 v3, v71
	s_waitcnt lgkmcnt(0)
	s_barrier
	buffer_gl0_inv
	v_cmpx_gt_u32_e32 24, v0
	s_cbranch_execz .LBB32_105
; %bb.102:
	v_dual_mov_b32 v71, 0 :: v_dual_add_nc_u32 v72, -1, v0
	v_add_nc_u32_e32 v73, 0x90, v1
	v_add_nc_u32_e32 v74, 0, v1
	s_mov_b32 s1, 0
.LBB32_103:                             ; =>This Inner Loop Header: Depth=1
	scratch_load_b32 v75, v74, off
	ds_load_b32 v76, v73
	v_add_nc_u32_e32 v72, 1, v72
	v_add_nc_u32_e32 v73, 4, v73
	v_add_nc_u32_e32 v74, 4, v74
	s_delay_alu instid0(VALU_DEP_3)
	v_cmp_lt_u32_e32 vcc_lo, 22, v72
	s_or_b32 s1, vcc_lo, s1
	s_waitcnt vmcnt(0) lgkmcnt(0)
	v_fmac_f32_e32 v71, v75, v76
	s_and_not1_b32 exec_lo, exec_lo, s1
	s_cbranch_execnz .LBB32_103
; %bb.104:
	s_or_b32 exec_lo, exec_lo, s1
	v_mov_b32_e32 v72, 0
	ds_load_b32 v72, v72 offset:96
	s_waitcnt lgkmcnt(0)
	v_mul_f32_e32 v71, v71, v72
	scratch_store_b32 off, v71, off offset:96
.LBB32_105:
	s_or_b32 exec_lo, exec_lo, s0
	s_waitcnt_vscnt null, 0x0
	s_barrier
	buffer_gl0_inv
	scratch_load_b32 v71, off, off offset:100
	s_mov_b32 s0, exec_lo
	s_waitcnt vmcnt(0)
	ds_store_b32 v3, v71
	s_waitcnt lgkmcnt(0)
	s_barrier
	buffer_gl0_inv
	v_cmpx_gt_u32_e32 25, v0
	s_cbranch_execz .LBB32_109
; %bb.106:
	v_dual_mov_b32 v71, 0 :: v_dual_add_nc_u32 v72, -1, v0
	v_add_nc_u32_e32 v73, 0x90, v1
	v_add_nc_u32_e32 v74, 0, v1
	s_mov_b32 s1, 0
.LBB32_107:                             ; =>This Inner Loop Header: Depth=1
	scratch_load_b32 v75, v74, off
	ds_load_b32 v76, v73
	v_add_nc_u32_e32 v72, 1, v72
	v_add_nc_u32_e32 v73, 4, v73
	v_add_nc_u32_e32 v74, 4, v74
	s_delay_alu instid0(VALU_DEP_3)
	v_cmp_lt_u32_e32 vcc_lo, 23, v72
	s_or_b32 s1, vcc_lo, s1
	s_waitcnt vmcnt(0) lgkmcnt(0)
	v_fmac_f32_e32 v71, v75, v76
	s_and_not1_b32 exec_lo, exec_lo, s1
	s_cbranch_execnz .LBB32_107
; %bb.108:
	s_or_b32 exec_lo, exec_lo, s1
	v_mov_b32_e32 v72, 0
	ds_load_b32 v72, v72 offset:100
	s_waitcnt lgkmcnt(0)
	v_mul_f32_e32 v71, v71, v72
	scratch_store_b32 off, v71, off offset:100
.LBB32_109:
	s_or_b32 exec_lo, exec_lo, s0
	s_waitcnt_vscnt null, 0x0
	s_barrier
	buffer_gl0_inv
	scratch_load_b32 v71, off, off offset:104
	;; [unrolled: 39-line block ×7, first 2 shown]
	s_mov_b32 s0, exec_lo
	s_waitcnt vmcnt(0)
	ds_store_b32 v3, v71
	s_waitcnt lgkmcnt(0)
	s_barrier
	buffer_gl0_inv
	v_cmpx_gt_u32_e32 31, v0
	s_cbranch_execz .LBB32_133
; %bb.130:
	v_add_nc_u32_e32 v71, -1, v0
	v_add_nc_u32_e32 v72, 0x90, v1
	v_add_nc_u32_e32 v73, 0, v1
	v_mov_b32_e32 v1, 0
	s_mov_b32 s1, 0
.LBB32_131:                             ; =>This Inner Loop Header: Depth=1
	scratch_load_b32 v74, v73, off
	ds_load_b32 v75, v72
	v_add_nc_u32_e32 v71, 1, v71
	v_add_nc_u32_e32 v72, 4, v72
	;; [unrolled: 1-line block ×3, first 2 shown]
	s_delay_alu instid0(VALU_DEP_3)
	v_cmp_lt_u32_e32 vcc_lo, 29, v71
	s_or_b32 s1, vcc_lo, s1
	s_waitcnt vmcnt(0) lgkmcnt(0)
	v_fmac_f32_e32 v1, v74, v75
	s_and_not1_b32 exec_lo, exec_lo, s1
	s_cbranch_execnz .LBB32_131
; %bb.132:
	s_or_b32 exec_lo, exec_lo, s1
	v_mov_b32_e32 v71, 0
	ds_load_b32 v71, v71 offset:124
	s_waitcnt lgkmcnt(0)
	v_mul_f32_e32 v1, v1, v71
	scratch_store_b32 off, v1, off offset:124
.LBB32_133:
	s_or_b32 exec_lo, exec_lo, s0
	s_waitcnt_vscnt null, 0x0
	s_barrier
	buffer_gl0_inv
	scratch_load_b32 v1, off, off offset:128
	s_mov_b32 s0, exec_lo
	s_waitcnt vmcnt(0)
	ds_store_b32 v3, v1
	s_waitcnt lgkmcnt(0)
	s_barrier
	buffer_gl0_inv
	v_cmpx_ne_u32_e32 32, v0
	s_cbranch_execz .LBB32_137
; %bb.134:
	v_mov_b32_e32 v1, 0
	s_mov_b32 s1, 0
.LBB32_135:                             ; =>This Inner Loop Header: Depth=1
	scratch_load_b32 v71, v2, off
	ds_load_b32 v72, v3
	v_add_nc_u32_e32 v70, 1, v70
	v_add_nc_u32_e32 v3, 4, v3
	s_waitcnt vmcnt(0) lgkmcnt(0)
	v_dual_fmac_f32 v1, v71, v72 :: v_dual_add_nc_u32 v2, 4, v2
	s_delay_alu instid0(VALU_DEP_3) | instskip(SKIP_1) | instid1(SALU_CYCLE_1)
	v_cmp_lt_u32_e32 vcc_lo, 30, v70
	s_or_b32 s1, vcc_lo, s1
	s_and_not1_b32 exec_lo, exec_lo, s1
	s_cbranch_execnz .LBB32_135
; %bb.136:
	s_or_b32 exec_lo, exec_lo, s1
	v_mov_b32_e32 v2, 0
	ds_load_b32 v2, v2 offset:128
	s_waitcnt lgkmcnt(0)
	v_mul_f32_e32 v1, v1, v2
	scratch_store_b32 off, v1, off offset:128
.LBB32_137:
	s_or_b32 exec_lo, exec_lo, s0
	s_mov_b32 s1, -1
	s_waitcnt_vscnt null, 0x0
	s_barrier
	buffer_gl0_inv
.LBB32_138:
	s_and_b32 vcc_lo, exec_lo, s1
	s_cbranch_vccz .LBB32_140
; %bb.139:
	s_lshl_b64 s[0:1], s[14:15], 2
	v_mov_b32_e32 v1, 0
	s_add_u32 s0, s6, s0
	s_addc_u32 s1, s7, s1
	global_load_b32 v1, v1, s[0:1]
	s_waitcnt vmcnt(0)
	v_cmp_ne_u32_e32 vcc_lo, 0, v1
	s_cbranch_vccz .LBB32_141
.LBB32_140:
	s_endpgm
.LBB32_141:
	v_lshl_add_u32 v1, v0, 2, 0x90
	s_mov_b32 s0, exec_lo
	v_cmpx_eq_u32_e32 32, v0
	s_cbranch_execz .LBB32_143
; %bb.142:
	scratch_load_b32 v2, off, off offset:124
	v_mov_b32_e32 v3, 0
	scratch_store_b32 off, v3, off offset:124
	s_waitcnt vmcnt(0)
	ds_store_b32 v1, v2
.LBB32_143:
	s_or_b32 exec_lo, exec_lo, s0
	s_waitcnt lgkmcnt(0)
	s_waitcnt_vscnt null, 0x0
	s_barrier
	buffer_gl0_inv
	scratch_load_b64 v[70:71], off, off offset:124
	v_mov_b32_e32 v2, 0
	s_mov_b32 s0, exec_lo
	ds_load_b32 v3, v2 offset:272
	s_waitcnt vmcnt(0) lgkmcnt(0)
	v_fma_f32 v3, v71, v3, 0
	s_delay_alu instid0(VALU_DEP_1)
	v_sub_f32_e32 v3, v70, v3
	scratch_store_b32 off, v3, off offset:124
	v_cmpx_lt_u32_e32 30, v0
	s_cbranch_execz .LBB32_145
; %bb.144:
	scratch_load_b32 v3, off, off offset:120
	scratch_store_b32 off, v2, off offset:120
	s_waitcnt vmcnt(0)
	ds_store_b32 v1, v3
.LBB32_145:
	s_or_b32 exec_lo, exec_lo, s0
	s_waitcnt lgkmcnt(0)
	s_waitcnt_vscnt null, 0x0
	s_barrier
	buffer_gl0_inv
	scratch_load_b96 v[70:72], off, off offset:120
	ds_load_2addr_b32 v[2:3], v2 offset0:67 offset1:68
	s_mov_b32 s0, exec_lo
	s_waitcnt vmcnt(0) lgkmcnt(0)
	v_fma_f32 v2, v71, v2, 0
	s_delay_alu instid0(VALU_DEP_1) | instskip(NEXT) | instid1(VALU_DEP_1)
	v_fmac_f32_e32 v2, v72, v3
	v_sub_f32_e32 v2, v70, v2
	scratch_store_b32 off, v2, off offset:120
	v_cmpx_lt_u32_e32 29, v0
	s_cbranch_execz .LBB32_147
; %bb.146:
	scratch_load_b32 v2, off, off offset:116
	v_mov_b32_e32 v3, 0
	scratch_store_b32 off, v3, off offset:116
	s_waitcnt vmcnt(0)
	ds_store_b32 v1, v2
.LBB32_147:
	s_or_b32 exec_lo, exec_lo, s0
	s_waitcnt lgkmcnt(0)
	s_waitcnt_vscnt null, 0x0
	s_barrier
	buffer_gl0_inv
	scratch_load_b128 v[70:73], off, off offset:116
	v_mov_b32_e32 v2, 0
	ds_load_b64 v[74:75], v2 offset:264
	ds_load_b32 v3, v2 offset:272
	s_mov_b32 s0, exec_lo
	s_waitcnt vmcnt(0) lgkmcnt(1)
	v_fma_f32 v71, v71, v74, 0
	s_delay_alu instid0(VALU_DEP_1) | instskip(SKIP_1) | instid1(VALU_DEP_1)
	v_fmac_f32_e32 v71, v72, v75
	s_waitcnt lgkmcnt(0)
	v_fmac_f32_e32 v71, v73, v3
	s_delay_alu instid0(VALU_DEP_1)
	v_sub_f32_e32 v3, v70, v71
	scratch_store_b32 off, v3, off offset:116
	v_cmpx_lt_u32_e32 28, v0
	s_cbranch_execz .LBB32_149
; %bb.148:
	scratch_load_b32 v3, off, off offset:112
	scratch_store_b32 off, v2, off offset:112
	s_waitcnt vmcnt(0)
	ds_store_b32 v1, v3
.LBB32_149:
	s_or_b32 exec_lo, exec_lo, s0
	s_waitcnt lgkmcnt(0)
	s_waitcnt_vscnt null, 0x0
	s_barrier
	buffer_gl0_inv
	s_clause 0x1
	scratch_load_b128 v[70:73], off, off offset:112
	scratch_load_b32 v76, off, off offset:128
	ds_load_2addr_b32 v[74:75], v2 offset0:65 offset1:66
	ds_load_2addr_b32 v[2:3], v2 offset0:67 offset1:68
	s_mov_b32 s0, exec_lo
	s_waitcnt vmcnt(1) lgkmcnt(1)
	v_fma_f32 v71, v71, v74, 0
	s_delay_alu instid0(VALU_DEP_1) | instskip(SKIP_1) | instid1(VALU_DEP_1)
	v_fmac_f32_e32 v71, v72, v75
	s_waitcnt lgkmcnt(0)
	v_fmac_f32_e32 v71, v73, v2
	s_waitcnt vmcnt(0)
	s_delay_alu instid0(VALU_DEP_1) | instskip(NEXT) | instid1(VALU_DEP_1)
	v_fmac_f32_e32 v71, v76, v3
	v_sub_f32_e32 v2, v70, v71
	scratch_store_b32 off, v2, off offset:112
	v_cmpx_lt_u32_e32 27, v0
	s_cbranch_execz .LBB32_151
; %bb.150:
	scratch_load_b32 v2, off, off offset:108
	v_mov_b32_e32 v3, 0
	scratch_store_b32 off, v3, off offset:108
	s_waitcnt vmcnt(0)
	ds_store_b32 v1, v2
.LBB32_151:
	s_or_b32 exec_lo, exec_lo, s0
	s_waitcnt lgkmcnt(0)
	s_waitcnt_vscnt null, 0x0
	s_barrier
	buffer_gl0_inv
	s_clause 0x1
	scratch_load_b128 v[70:73], off, off offset:108
	scratch_load_b64 v[78:79], off, off offset:124
	v_mov_b32_e32 v2, 0
	ds_load_b128 v[74:77], v2 offset:256
	ds_load_b32 v3, v2 offset:272
	s_mov_b32 s0, exec_lo
	s_waitcnt vmcnt(1) lgkmcnt(1)
	v_fma_f32 v71, v71, v74, 0
	s_delay_alu instid0(VALU_DEP_1) | instskip(NEXT) | instid1(VALU_DEP_1)
	v_fmac_f32_e32 v71, v72, v75
	v_fmac_f32_e32 v71, v73, v76
	s_waitcnt vmcnt(0)
	s_delay_alu instid0(VALU_DEP_1) | instskip(SKIP_1) | instid1(VALU_DEP_1)
	v_fmac_f32_e32 v71, v78, v77
	s_waitcnt lgkmcnt(0)
	v_fmac_f32_e32 v71, v79, v3
	s_delay_alu instid0(VALU_DEP_1)
	v_sub_f32_e32 v3, v70, v71
	scratch_store_b32 off, v3, off offset:108
	v_cmpx_lt_u32_e32 26, v0
	s_cbranch_execz .LBB32_153
; %bb.152:
	scratch_load_b32 v3, off, off offset:104
	scratch_store_b32 off, v2, off offset:104
	s_waitcnt vmcnt(0)
	ds_store_b32 v1, v3
.LBB32_153:
	s_or_b32 exec_lo, exec_lo, s0
	s_waitcnt lgkmcnt(0)
	s_waitcnt_vscnt null, 0x0
	s_barrier
	buffer_gl0_inv
	s_clause 0x1
	scratch_load_b128 v[70:73], off, off offset:104
	scratch_load_b96 v[74:76], off, off offset:120
	ds_load_2addr_b32 v[77:78], v2 offset0:63 offset1:64
	ds_load_2addr_b32 v[79:80], v2 offset0:65 offset1:66
	;; [unrolled: 1-line block ×3, first 2 shown]
	s_mov_b32 s0, exec_lo
	s_waitcnt vmcnt(1) lgkmcnt(2)
	v_fma_f32 v71, v71, v77, 0
	s_delay_alu instid0(VALU_DEP_1) | instskip(SKIP_1) | instid1(VALU_DEP_1)
	v_fmac_f32_e32 v71, v72, v78
	s_waitcnt lgkmcnt(1)
	v_fmac_f32_e32 v71, v73, v79
	s_waitcnt vmcnt(0)
	s_delay_alu instid0(VALU_DEP_1) | instskip(SKIP_1) | instid1(VALU_DEP_1)
	v_fmac_f32_e32 v71, v74, v80
	s_waitcnt lgkmcnt(0)
	v_fmac_f32_e32 v71, v75, v2
	s_delay_alu instid0(VALU_DEP_1) | instskip(NEXT) | instid1(VALU_DEP_1)
	v_fmac_f32_e32 v71, v76, v3
	v_sub_f32_e32 v2, v70, v71
	scratch_store_b32 off, v2, off offset:104
	v_cmpx_lt_u32_e32 25, v0
	s_cbranch_execz .LBB32_155
; %bb.154:
	scratch_load_b32 v2, off, off offset:100
	v_mov_b32_e32 v3, 0
	scratch_store_b32 off, v3, off offset:100
	s_waitcnt vmcnt(0)
	ds_store_b32 v1, v2
.LBB32_155:
	s_or_b32 exec_lo, exec_lo, s0
	s_waitcnt lgkmcnt(0)
	s_waitcnt_vscnt null, 0x0
	s_barrier
	buffer_gl0_inv
	s_clause 0x1
	scratch_load_b128 v[70:73], off, off offset:100
	scratch_load_b128 v[74:77], off, off offset:116
	v_mov_b32_e32 v2, 0
	ds_load_2addr_b64 v[78:81], v2 offset0:31 offset1:32
	ds_load_b64 v[82:83], v2 offset:264
	s_mov_b32 s0, exec_lo
	s_waitcnt vmcnt(1) lgkmcnt(1)
	v_fma_f32 v3, v71, v78, 0
	s_delay_alu instid0(VALU_DEP_1) | instskip(SKIP_3) | instid1(VALU_DEP_1)
	v_fmac_f32_e32 v3, v72, v79
	ds_load_b32 v71, v2 offset:272
	v_fmac_f32_e32 v3, v73, v80
	s_waitcnt vmcnt(0)
	v_fmac_f32_e32 v3, v74, v81
	s_waitcnt lgkmcnt(1)
	s_delay_alu instid0(VALU_DEP_1) | instskip(NEXT) | instid1(VALU_DEP_1)
	v_fmac_f32_e32 v3, v75, v82
	v_fmac_f32_e32 v3, v76, v83
	s_waitcnt lgkmcnt(0)
	s_delay_alu instid0(VALU_DEP_1) | instskip(NEXT) | instid1(VALU_DEP_1)
	v_fmac_f32_e32 v3, v77, v71
	v_sub_f32_e32 v3, v70, v3
	scratch_store_b32 off, v3, off offset:100
	v_cmpx_lt_u32_e32 24, v0
	s_cbranch_execz .LBB32_157
; %bb.156:
	scratch_load_b32 v3, off, off offset:96
	scratch_store_b32 off, v2, off offset:96
	s_waitcnt vmcnt(0)
	ds_store_b32 v1, v3
.LBB32_157:
	s_or_b32 exec_lo, exec_lo, s0
	s_waitcnt lgkmcnt(0)
	s_waitcnt_vscnt null, 0x0
	s_barrier
	buffer_gl0_inv
	s_clause 0x2
	scratch_load_b128 v[70:73], off, off offset:96
	scratch_load_b128 v[74:77], off, off offset:112
	scratch_load_b32 v84, off, off offset:128
	ds_load_2addr_b32 v[78:79], v2 offset0:61 offset1:62
	ds_load_2addr_b32 v[80:81], v2 offset0:63 offset1:64
	ds_load_2addr_b32 v[82:83], v2 offset0:65 offset1:66
	ds_load_2addr_b32 v[2:3], v2 offset0:67 offset1:68
	s_mov_b32 s0, exec_lo
	s_waitcnt vmcnt(2) lgkmcnt(3)
	v_fma_f32 v71, v71, v78, 0
	s_delay_alu instid0(VALU_DEP_1) | instskip(SKIP_1) | instid1(VALU_DEP_1)
	v_fmac_f32_e32 v71, v72, v79
	s_waitcnt lgkmcnt(2)
	v_fmac_f32_e32 v71, v73, v80
	s_waitcnt vmcnt(1)
	s_delay_alu instid0(VALU_DEP_1) | instskip(SKIP_1) | instid1(VALU_DEP_1)
	v_fmac_f32_e32 v71, v74, v81
	s_waitcnt lgkmcnt(1)
	v_fmac_f32_e32 v71, v75, v82
	s_delay_alu instid0(VALU_DEP_1) | instskip(SKIP_1) | instid1(VALU_DEP_1)
	v_fmac_f32_e32 v71, v76, v83
	s_waitcnt lgkmcnt(0)
	v_fmac_f32_e32 v71, v77, v2
	s_waitcnt vmcnt(0)
	s_delay_alu instid0(VALU_DEP_1) | instskip(NEXT) | instid1(VALU_DEP_1)
	v_fmac_f32_e32 v71, v84, v3
	v_sub_f32_e32 v2, v70, v71
	scratch_store_b32 off, v2, off offset:96
	v_cmpx_lt_u32_e32 23, v0
	s_cbranch_execz .LBB32_159
; %bb.158:
	scratch_load_b32 v2, off, off offset:92
	v_mov_b32_e32 v3, 0
	scratch_store_b32 off, v3, off offset:92
	s_waitcnt vmcnt(0)
	ds_store_b32 v1, v2
.LBB32_159:
	s_or_b32 exec_lo, exec_lo, s0
	s_waitcnt lgkmcnt(0)
	s_waitcnt_vscnt null, 0x0
	s_barrier
	buffer_gl0_inv
	s_clause 0x2
	scratch_load_b128 v[70:73], off, off offset:92
	scratch_load_b128 v[74:77], off, off offset:108
	scratch_load_b64 v[86:87], off, off offset:124
	v_mov_b32_e32 v2, 0
	ds_load_b128 v[78:81], v2 offset:240
	ds_load_b128 v[82:85], v2 offset:256
	s_mov_b32 s0, exec_lo
	s_waitcnt vmcnt(2) lgkmcnt(1)
	v_fma_f32 v3, v71, v78, 0
	s_delay_alu instid0(VALU_DEP_1) | instskip(SKIP_3) | instid1(VALU_DEP_1)
	v_fmac_f32_e32 v3, v72, v79
	ds_load_b32 v71, v2 offset:272
	v_fmac_f32_e32 v3, v73, v80
	s_waitcnt vmcnt(1)
	v_fmac_f32_e32 v3, v74, v81
	s_waitcnt lgkmcnt(1)
	s_delay_alu instid0(VALU_DEP_1) | instskip(NEXT) | instid1(VALU_DEP_1)
	v_fmac_f32_e32 v3, v75, v82
	v_fmac_f32_e32 v3, v76, v83
	s_delay_alu instid0(VALU_DEP_1) | instskip(SKIP_1) | instid1(VALU_DEP_1)
	v_fmac_f32_e32 v3, v77, v84
	s_waitcnt vmcnt(0)
	v_fmac_f32_e32 v3, v86, v85
	s_waitcnt lgkmcnt(0)
	s_delay_alu instid0(VALU_DEP_1) | instskip(NEXT) | instid1(VALU_DEP_1)
	v_fmac_f32_e32 v3, v87, v71
	v_sub_f32_e32 v3, v70, v3
	scratch_store_b32 off, v3, off offset:92
	v_cmpx_lt_u32_e32 22, v0
	s_cbranch_execz .LBB32_161
; %bb.160:
	scratch_load_b32 v3, off, off offset:88
	scratch_store_b32 off, v2, off offset:88
	s_waitcnt vmcnt(0)
	ds_store_b32 v1, v3
.LBB32_161:
	s_or_b32 exec_lo, exec_lo, s0
	s_waitcnt lgkmcnt(0)
	s_waitcnt_vscnt null, 0x0
	s_barrier
	buffer_gl0_inv
	s_clause 0x2
	scratch_load_b128 v[70:73], off, off offset:88
	scratch_load_b128 v[74:77], off, off offset:104
	scratch_load_b96 v[78:80], off, off offset:120
	ds_load_2addr_b32 v[81:82], v2 offset0:59 offset1:60
	ds_load_2addr_b32 v[83:84], v2 offset0:61 offset1:62
	;; [unrolled: 1-line block ×5, first 2 shown]
	s_mov_b32 s0, exec_lo
	s_waitcnt vmcnt(2) lgkmcnt(4)
	v_fma_f32 v71, v71, v81, 0
	s_delay_alu instid0(VALU_DEP_1) | instskip(SKIP_1) | instid1(VALU_DEP_1)
	v_fmac_f32_e32 v71, v72, v82
	s_waitcnt lgkmcnt(3)
	v_fmac_f32_e32 v71, v73, v83
	s_waitcnt vmcnt(1)
	s_delay_alu instid0(VALU_DEP_1) | instskip(SKIP_1) | instid1(VALU_DEP_1)
	v_fmac_f32_e32 v71, v74, v84
	s_waitcnt lgkmcnt(2)
	v_fmac_f32_e32 v71, v75, v85
	s_delay_alu instid0(VALU_DEP_1) | instskip(SKIP_1) | instid1(VALU_DEP_1)
	v_fmac_f32_e32 v71, v76, v86
	s_waitcnt lgkmcnt(1)
	v_fmac_f32_e32 v71, v77, v87
	s_waitcnt vmcnt(0)
	s_delay_alu instid0(VALU_DEP_1) | instskip(SKIP_1) | instid1(VALU_DEP_1)
	v_fmac_f32_e32 v71, v78, v88
	s_waitcnt lgkmcnt(0)
	v_fmac_f32_e32 v71, v79, v2
	s_delay_alu instid0(VALU_DEP_1) | instskip(NEXT) | instid1(VALU_DEP_1)
	v_fmac_f32_e32 v71, v80, v3
	v_sub_f32_e32 v2, v70, v71
	scratch_store_b32 off, v2, off offset:88
	v_cmpx_lt_u32_e32 21, v0
	s_cbranch_execz .LBB32_163
; %bb.162:
	scratch_load_b32 v2, off, off offset:84
	v_mov_b32_e32 v3, 0
	scratch_store_b32 off, v3, off offset:84
	s_waitcnt vmcnt(0)
	ds_store_b32 v1, v2
.LBB32_163:
	s_or_b32 exec_lo, exec_lo, s0
	s_waitcnt lgkmcnt(0)
	s_waitcnt_vscnt null, 0x0
	s_barrier
	buffer_gl0_inv
	s_clause 0x2
	scratch_load_b128 v[70:73], off, off offset:84
	scratch_load_b128 v[74:77], off, off offset:100
	;; [unrolled: 1-line block ×3, first 2 shown]
	v_mov_b32_e32 v2, 0
	ds_load_2addr_b64 v[82:85], v2 offset0:29 offset1:30
	ds_load_2addr_b64 v[86:89], v2 offset0:31 offset1:32
	s_mov_b32 s0, exec_lo
	s_waitcnt vmcnt(2) lgkmcnt(1)
	v_fma_f32 v3, v71, v82, 0
	s_delay_alu instid0(VALU_DEP_1)
	v_fmac_f32_e32 v3, v72, v83
	ds_load_b64 v[71:72], v2 offset:264
	v_fmac_f32_e32 v3, v73, v84
	ds_load_b32 v73, v2 offset:272
	s_waitcnt vmcnt(1)
	v_fmac_f32_e32 v3, v74, v85
	s_waitcnt lgkmcnt(2)
	s_delay_alu instid0(VALU_DEP_1) | instskip(NEXT) | instid1(VALU_DEP_1)
	v_fmac_f32_e32 v3, v75, v86
	v_fmac_f32_e32 v3, v76, v87
	s_delay_alu instid0(VALU_DEP_1) | instskip(SKIP_1) | instid1(VALU_DEP_1)
	v_fmac_f32_e32 v3, v77, v88
	s_waitcnt vmcnt(0)
	v_fmac_f32_e32 v3, v78, v89
	s_waitcnt lgkmcnt(1)
	s_delay_alu instid0(VALU_DEP_1) | instskip(NEXT) | instid1(VALU_DEP_1)
	v_fmac_f32_e32 v3, v79, v71
	v_fmac_f32_e32 v3, v80, v72
	s_waitcnt lgkmcnt(0)
	s_delay_alu instid0(VALU_DEP_1) | instskip(NEXT) | instid1(VALU_DEP_1)
	v_fmac_f32_e32 v3, v81, v73
	v_sub_f32_e32 v3, v70, v3
	scratch_store_b32 off, v3, off offset:84
	v_cmpx_lt_u32_e32 20, v0
	s_cbranch_execz .LBB32_165
; %bb.164:
	scratch_load_b32 v3, off, off offset:80
	scratch_store_b32 off, v2, off offset:80
	s_waitcnt vmcnt(0)
	ds_store_b32 v1, v3
.LBB32_165:
	s_or_b32 exec_lo, exec_lo, s0
	s_waitcnt lgkmcnt(0)
	s_waitcnt_vscnt null, 0x0
	s_barrier
	buffer_gl0_inv
	s_clause 0x3
	scratch_load_b128 v[70:73], off, off offset:80
	scratch_load_b128 v[74:77], off, off offset:96
	;; [unrolled: 1-line block ×3, first 2 shown]
	scratch_load_b32 v90, off, off offset:128
	ds_load_2addr_b32 v[82:83], v2 offset0:57 offset1:58
	ds_load_2addr_b32 v[84:85], v2 offset0:59 offset1:60
	;; [unrolled: 1-line block ×4, first 2 shown]
	s_mov_b32 s0, exec_lo
	s_waitcnt vmcnt(3) lgkmcnt(3)
	v_fma_f32 v82, v71, v82, 0
	s_delay_alu instid0(VALU_DEP_1)
	v_fmac_f32_e32 v82, v72, v83
	ds_load_2addr_b32 v[71:72], v2 offset0:65 offset1:66
	ds_load_2addr_b32 v[2:3], v2 offset0:67 offset1:68
	s_waitcnt lgkmcnt(4)
	v_fmac_f32_e32 v82, v73, v84
	s_waitcnt vmcnt(2)
	s_delay_alu instid0(VALU_DEP_1) | instskip(SKIP_1) | instid1(VALU_DEP_1)
	v_fmac_f32_e32 v82, v74, v85
	s_waitcnt lgkmcnt(3)
	v_fmac_f32_e32 v82, v75, v86
	s_delay_alu instid0(VALU_DEP_1) | instskip(SKIP_1) | instid1(VALU_DEP_1)
	v_fmac_f32_e32 v82, v76, v87
	s_waitcnt lgkmcnt(2)
	v_fmac_f32_e32 v82, v77, v88
	s_waitcnt vmcnt(1)
	s_delay_alu instid0(VALU_DEP_1) | instskip(SKIP_1) | instid1(VALU_DEP_1)
	v_fmac_f32_e32 v82, v78, v89
	s_waitcnt lgkmcnt(1)
	v_fmac_f32_e32 v82, v79, v71
	s_delay_alu instid0(VALU_DEP_1) | instskip(SKIP_1) | instid1(VALU_DEP_1)
	v_fmac_f32_e32 v82, v80, v72
	s_waitcnt lgkmcnt(0)
	v_fmac_f32_e32 v82, v81, v2
	s_waitcnt vmcnt(0)
	s_delay_alu instid0(VALU_DEP_1) | instskip(NEXT) | instid1(VALU_DEP_1)
	v_fmac_f32_e32 v82, v90, v3
	v_sub_f32_e32 v2, v70, v82
	scratch_store_b32 off, v2, off offset:80
	v_cmpx_lt_u32_e32 19, v0
	s_cbranch_execz .LBB32_167
; %bb.166:
	scratch_load_b32 v2, off, off offset:76
	v_mov_b32_e32 v3, 0
	scratch_store_b32 off, v3, off offset:76
	s_waitcnt vmcnt(0)
	ds_store_b32 v1, v2
.LBB32_167:
	s_or_b32 exec_lo, exec_lo, s0
	s_waitcnt lgkmcnt(0)
	s_waitcnt_vscnt null, 0x0
	s_barrier
	buffer_gl0_inv
	s_clause 0x3
	scratch_load_b128 v[70:73], off, off offset:76
	scratch_load_b128 v[74:77], off, off offset:92
	;; [unrolled: 1-line block ×3, first 2 shown]
	scratch_load_b64 v[90:91], off, off offset:124
	v_mov_b32_e32 v2, 0
	ds_load_b128 v[82:85], v2 offset:224
	ds_load_b128 v[86:89], v2 offset:240
	s_mov_b32 s0, exec_lo
	s_waitcnt vmcnt(3) lgkmcnt(1)
	v_fma_f32 v3, v71, v82, 0
	s_delay_alu instid0(VALU_DEP_1) | instskip(NEXT) | instid1(VALU_DEP_1)
	v_fmac_f32_e32 v3, v72, v83
	v_fmac_f32_e32 v3, v73, v84
	s_waitcnt vmcnt(2)
	s_delay_alu instid0(VALU_DEP_1)
	v_fmac_f32_e32 v3, v74, v85
	ds_load_b128 v[71:74], v2 offset:256
	s_waitcnt lgkmcnt(1)
	v_fmac_f32_e32 v3, v75, v86
	ds_load_b32 v75, v2 offset:272
	v_fmac_f32_e32 v3, v76, v87
	s_delay_alu instid0(VALU_DEP_1) | instskip(SKIP_1) | instid1(VALU_DEP_1)
	v_fmac_f32_e32 v3, v77, v88
	s_waitcnt vmcnt(1)
	v_fmac_f32_e32 v3, v78, v89
	s_waitcnt lgkmcnt(1)
	s_delay_alu instid0(VALU_DEP_1) | instskip(NEXT) | instid1(VALU_DEP_1)
	v_fmac_f32_e32 v3, v79, v71
	v_fmac_f32_e32 v3, v80, v72
	s_delay_alu instid0(VALU_DEP_1) | instskip(SKIP_1) | instid1(VALU_DEP_1)
	v_fmac_f32_e32 v3, v81, v73
	s_waitcnt vmcnt(0)
	v_fmac_f32_e32 v3, v90, v74
	s_waitcnt lgkmcnt(0)
	s_delay_alu instid0(VALU_DEP_1) | instskip(NEXT) | instid1(VALU_DEP_1)
	v_fmac_f32_e32 v3, v91, v75
	v_sub_f32_e32 v3, v70, v3
	scratch_store_b32 off, v3, off offset:76
	v_cmpx_lt_u32_e32 18, v0
	s_cbranch_execz .LBB32_169
; %bb.168:
	scratch_load_b32 v3, off, off offset:72
	scratch_store_b32 off, v2, off offset:72
	s_waitcnt vmcnt(0)
	ds_store_b32 v1, v3
.LBB32_169:
	s_or_b32 exec_lo, exec_lo, s0
	s_waitcnt lgkmcnt(0)
	s_waitcnt_vscnt null, 0x0
	s_barrier
	buffer_gl0_inv
	s_clause 0x3
	scratch_load_b128 v[70:73], off, off offset:72
	scratch_load_b128 v[74:77], off, off offset:88
	;; [unrolled: 1-line block ×3, first 2 shown]
	scratch_load_b96 v[82:84], off, off offset:120
	ds_load_2addr_b32 v[85:86], v2 offset0:55 offset1:56
	ds_load_2addr_b32 v[87:88], v2 offset0:57 offset1:58
	;; [unrolled: 1-line block ×4, first 2 shown]
	s_mov_b32 s0, exec_lo
	s_waitcnt vmcnt(3) lgkmcnt(3)
	v_fma_f32 v85, v71, v85, 0
	s_delay_alu instid0(VALU_DEP_1) | instskip(SKIP_4) | instid1(VALU_DEP_1)
	v_fmac_f32_e32 v85, v72, v86
	ds_load_2addr_b32 v[71:72], v2 offset0:63 offset1:64
	s_waitcnt lgkmcnt(3)
	v_fmac_f32_e32 v85, v73, v87
	s_waitcnt vmcnt(2)
	v_fmac_f32_e32 v85, v74, v88
	ds_load_2addr_b32 v[73:74], v2 offset0:65 offset1:66
	ds_load_2addr_b32 v[2:3], v2 offset0:67 offset1:68
	s_waitcnt lgkmcnt(4)
	v_fmac_f32_e32 v85, v75, v89
	s_delay_alu instid0(VALU_DEP_1) | instskip(SKIP_1) | instid1(VALU_DEP_1)
	v_fmac_f32_e32 v85, v76, v90
	s_waitcnt lgkmcnt(3)
	v_fmac_f32_e32 v85, v77, v91
	s_waitcnt vmcnt(1)
	s_delay_alu instid0(VALU_DEP_1) | instskip(SKIP_1) | instid1(VALU_DEP_1)
	v_fmac_f32_e32 v85, v78, v92
	s_waitcnt lgkmcnt(2)
	v_fmac_f32_e32 v85, v79, v71
	s_delay_alu instid0(VALU_DEP_1) | instskip(SKIP_1) | instid1(VALU_DEP_1)
	v_fmac_f32_e32 v85, v80, v72
	s_waitcnt lgkmcnt(1)
	v_fmac_f32_e32 v85, v81, v73
	s_waitcnt vmcnt(0)
	s_delay_alu instid0(VALU_DEP_1) | instskip(SKIP_1) | instid1(VALU_DEP_1)
	v_fmac_f32_e32 v85, v82, v74
	s_waitcnt lgkmcnt(0)
	v_fmac_f32_e32 v85, v83, v2
	s_delay_alu instid0(VALU_DEP_1) | instskip(NEXT) | instid1(VALU_DEP_1)
	v_fmac_f32_e32 v85, v84, v3
	v_sub_f32_e32 v2, v70, v85
	scratch_store_b32 off, v2, off offset:72
	v_cmpx_lt_u32_e32 17, v0
	s_cbranch_execz .LBB32_171
; %bb.170:
	scratch_load_b32 v2, off, off offset:68
	v_mov_b32_e32 v3, 0
	scratch_store_b32 off, v3, off offset:68
	s_waitcnt vmcnt(0)
	ds_store_b32 v1, v2
.LBB32_171:
	s_or_b32 exec_lo, exec_lo, s0
	s_waitcnt lgkmcnt(0)
	s_waitcnt_vscnt null, 0x0
	s_barrier
	buffer_gl0_inv
	s_clause 0x3
	scratch_load_b128 v[70:73], off, off offset:68
	scratch_load_b128 v[74:77], off, off offset:84
	scratch_load_b128 v[78:81], off, off offset:100
	scratch_load_b128 v[82:85], off, off offset:116
	v_mov_b32_e32 v2, 0
	ds_load_2addr_b64 v[86:89], v2 offset0:27 offset1:28
	ds_load_2addr_b64 v[90:93], v2 offset0:29 offset1:30
	s_mov_b32 s0, exec_lo
	s_waitcnt vmcnt(3) lgkmcnt(1)
	v_fma_f32 v3, v71, v86, 0
	s_delay_alu instid0(VALU_DEP_1) | instskip(NEXT) | instid1(VALU_DEP_1)
	v_fmac_f32_e32 v3, v72, v87
	v_fmac_f32_e32 v3, v73, v88
	s_waitcnt vmcnt(2)
	s_delay_alu instid0(VALU_DEP_1) | instskip(SKIP_3) | instid1(VALU_DEP_1)
	v_fmac_f32_e32 v3, v74, v89
	ds_load_2addr_b64 v[71:74], v2 offset0:31 offset1:32
	s_waitcnt lgkmcnt(1)
	v_fmac_f32_e32 v3, v75, v90
	v_fmac_f32_e32 v3, v76, v91
	ds_load_b64 v[75:76], v2 offset:264
	v_fmac_f32_e32 v3, v77, v92
	s_waitcnt vmcnt(1)
	s_delay_alu instid0(VALU_DEP_1) | instskip(SKIP_1) | instid1(VALU_DEP_1)
	v_fmac_f32_e32 v3, v78, v93
	s_waitcnt lgkmcnt(1)
	v_fmac_f32_e32 v3, v79, v71
	ds_load_b32 v71, v2 offset:272
	v_fmac_f32_e32 v3, v80, v72
	s_delay_alu instid0(VALU_DEP_1) | instskip(SKIP_1) | instid1(VALU_DEP_1)
	v_fmac_f32_e32 v3, v81, v73
	s_waitcnt vmcnt(0)
	v_fmac_f32_e32 v3, v82, v74
	s_waitcnt lgkmcnt(1)
	s_delay_alu instid0(VALU_DEP_1) | instskip(NEXT) | instid1(VALU_DEP_1)
	v_fmac_f32_e32 v3, v83, v75
	v_fmac_f32_e32 v3, v84, v76
	s_waitcnt lgkmcnt(0)
	s_delay_alu instid0(VALU_DEP_1) | instskip(NEXT) | instid1(VALU_DEP_1)
	v_fmac_f32_e32 v3, v85, v71
	v_sub_f32_e32 v3, v70, v3
	scratch_store_b32 off, v3, off offset:68
	v_cmpx_lt_u32_e32 16, v0
	s_cbranch_execz .LBB32_173
; %bb.172:
	scratch_load_b32 v3, off, off offset:64
	scratch_store_b32 off, v2, off offset:64
	s_waitcnt vmcnt(0)
	ds_store_b32 v1, v3
.LBB32_173:
	s_or_b32 exec_lo, exec_lo, s0
	s_waitcnt lgkmcnt(0)
	s_waitcnt_vscnt null, 0x0
	s_barrier
	buffer_gl0_inv
	s_clause 0x4
	scratch_load_b128 v[70:73], off, off offset:64
	scratch_load_b128 v[74:77], off, off offset:80
	;; [unrolled: 1-line block ×4, first 2 shown]
	scratch_load_b32 v94, off, off offset:128
	ds_load_2addr_b32 v[86:87], v2 offset0:53 offset1:54
	ds_load_2addr_b32 v[88:89], v2 offset0:55 offset1:56
	;; [unrolled: 1-line block ×4, first 2 shown]
	s_mov_b32 s0, exec_lo
	s_waitcnt vmcnt(4) lgkmcnt(3)
	v_fma_f32 v86, v71, v86, 0
	s_delay_alu instid0(VALU_DEP_1) | instskip(SKIP_4) | instid1(VALU_DEP_1)
	v_fmac_f32_e32 v86, v72, v87
	ds_load_2addr_b32 v[71:72], v2 offset0:61 offset1:62
	s_waitcnt lgkmcnt(3)
	v_fmac_f32_e32 v86, v73, v88
	s_waitcnt vmcnt(3)
	v_fmac_f32_e32 v86, v74, v89
	ds_load_2addr_b32 v[73:74], v2 offset0:63 offset1:64
	s_waitcnt lgkmcnt(3)
	v_fmac_f32_e32 v86, v75, v90
	s_delay_alu instid0(VALU_DEP_1)
	v_fmac_f32_e32 v86, v76, v91
	ds_load_2addr_b32 v[75:76], v2 offset0:65 offset1:66
	ds_load_2addr_b32 v[2:3], v2 offset0:67 offset1:68
	s_waitcnt lgkmcnt(4)
	v_fmac_f32_e32 v86, v77, v92
	s_waitcnt vmcnt(2)
	s_delay_alu instid0(VALU_DEP_1) | instskip(SKIP_1) | instid1(VALU_DEP_1)
	v_fmac_f32_e32 v86, v78, v93
	s_waitcnt lgkmcnt(3)
	v_fmac_f32_e32 v86, v79, v71
	s_delay_alu instid0(VALU_DEP_1) | instskip(SKIP_1) | instid1(VALU_DEP_1)
	v_fmac_f32_e32 v86, v80, v72
	s_waitcnt lgkmcnt(2)
	v_fmac_f32_e32 v86, v81, v73
	s_waitcnt vmcnt(1)
	s_delay_alu instid0(VALU_DEP_1) | instskip(SKIP_1) | instid1(VALU_DEP_1)
	v_fmac_f32_e32 v86, v82, v74
	s_waitcnt lgkmcnt(1)
	v_fmac_f32_e32 v86, v83, v75
	s_delay_alu instid0(VALU_DEP_1) | instskip(SKIP_1) | instid1(VALU_DEP_1)
	v_fmac_f32_e32 v86, v84, v76
	s_waitcnt lgkmcnt(0)
	v_fmac_f32_e32 v86, v85, v2
	s_waitcnt vmcnt(0)
	s_delay_alu instid0(VALU_DEP_1) | instskip(NEXT) | instid1(VALU_DEP_1)
	v_fmac_f32_e32 v86, v94, v3
	v_sub_f32_e32 v2, v70, v86
	scratch_store_b32 off, v2, off offset:64
	v_cmpx_lt_u32_e32 15, v0
	s_cbranch_execz .LBB32_175
; %bb.174:
	scratch_load_b32 v2, off, off offset:60
	v_mov_b32_e32 v3, 0
	scratch_store_b32 off, v3, off offset:60
	s_waitcnt vmcnt(0)
	ds_store_b32 v1, v2
.LBB32_175:
	s_or_b32 exec_lo, exec_lo, s0
	s_waitcnt lgkmcnt(0)
	s_waitcnt_vscnt null, 0x0
	s_barrier
	buffer_gl0_inv
	s_clause 0x4
	scratch_load_b128 v[70:73], off, off offset:60
	scratch_load_b128 v[74:77], off, off offset:76
	;; [unrolled: 1-line block ×4, first 2 shown]
	scratch_load_b64 v[94:95], off, off offset:124
	v_mov_b32_e32 v2, 0
	ds_load_b128 v[86:89], v2 offset:208
	ds_load_b128 v[90:93], v2 offset:224
	s_mov_b32 s0, exec_lo
	s_waitcnt vmcnt(4) lgkmcnt(1)
	v_fma_f32 v3, v71, v86, 0
	s_delay_alu instid0(VALU_DEP_1) | instskip(NEXT) | instid1(VALU_DEP_1)
	v_fmac_f32_e32 v3, v72, v87
	v_fmac_f32_e32 v3, v73, v88
	s_waitcnt vmcnt(3)
	s_delay_alu instid0(VALU_DEP_1) | instskip(SKIP_3) | instid1(VALU_DEP_1)
	v_fmac_f32_e32 v3, v74, v89
	ds_load_b128 v[71:74], v2 offset:240
	s_waitcnt lgkmcnt(1)
	v_fmac_f32_e32 v3, v75, v90
	v_fmac_f32_e32 v3, v76, v91
	s_delay_alu instid0(VALU_DEP_1) | instskip(SKIP_1) | instid1(VALU_DEP_1)
	v_fmac_f32_e32 v3, v77, v92
	s_waitcnt vmcnt(2)
	v_fmac_f32_e32 v3, v78, v93
	ds_load_b128 v[75:78], v2 offset:256
	s_waitcnt lgkmcnt(1)
	v_fmac_f32_e32 v3, v79, v71
	ds_load_b32 v71, v2 offset:272
	v_fmac_f32_e32 v3, v80, v72
	s_delay_alu instid0(VALU_DEP_1) | instskip(SKIP_1) | instid1(VALU_DEP_1)
	v_fmac_f32_e32 v3, v81, v73
	s_waitcnt vmcnt(1)
	v_fmac_f32_e32 v3, v82, v74
	s_waitcnt lgkmcnt(1)
	s_delay_alu instid0(VALU_DEP_1) | instskip(NEXT) | instid1(VALU_DEP_1)
	v_fmac_f32_e32 v3, v83, v75
	v_fmac_f32_e32 v3, v84, v76
	s_delay_alu instid0(VALU_DEP_1) | instskip(SKIP_1) | instid1(VALU_DEP_1)
	v_fmac_f32_e32 v3, v85, v77
	s_waitcnt vmcnt(0)
	v_fmac_f32_e32 v3, v94, v78
	s_waitcnt lgkmcnt(0)
	s_delay_alu instid0(VALU_DEP_1) | instskip(NEXT) | instid1(VALU_DEP_1)
	v_fmac_f32_e32 v3, v95, v71
	v_sub_f32_e32 v3, v70, v3
	scratch_store_b32 off, v3, off offset:60
	v_cmpx_lt_u32_e32 14, v0
	s_cbranch_execz .LBB32_177
; %bb.176:
	scratch_load_b32 v3, off, off offset:56
	scratch_store_b32 off, v2, off offset:56
	s_waitcnt vmcnt(0)
	ds_store_b32 v1, v3
.LBB32_177:
	s_or_b32 exec_lo, exec_lo, s0
	s_waitcnt lgkmcnt(0)
	s_waitcnt_vscnt null, 0x0
	s_barrier
	buffer_gl0_inv
	s_clause 0x4
	scratch_load_b128 v[70:73], off, off offset:56
	scratch_load_b128 v[74:77], off, off offset:72
	;; [unrolled: 1-line block ×4, first 2 shown]
	scratch_load_b96 v[86:88], off, off offset:120
	ds_load_2addr_b32 v[89:90], v2 offset0:51 offset1:52
	ds_load_2addr_b32 v[91:92], v2 offset0:53 offset1:54
	;; [unrolled: 1-line block ×3, first 2 shown]
	s_mov_b32 s0, exec_lo
	s_waitcnt vmcnt(4) lgkmcnt(2)
	v_fma_f32 v89, v71, v89, 0
	s_delay_alu instid0(VALU_DEP_1) | instskip(SKIP_4) | instid1(VALU_DEP_1)
	v_fmac_f32_e32 v89, v72, v90
	ds_load_2addr_b32 v[71:72], v2 offset0:57 offset1:58
	s_waitcnt lgkmcnt(2)
	v_fmac_f32_e32 v89, v73, v91
	s_waitcnt vmcnt(3)
	v_fmac_f32_e32 v89, v74, v92
	ds_load_2addr_b32 v[73:74], v2 offset0:59 offset1:60
	s_waitcnt lgkmcnt(2)
	v_fmac_f32_e32 v89, v75, v93
	s_delay_alu instid0(VALU_DEP_1) | instskip(SKIP_4) | instid1(VALU_DEP_1)
	v_fmac_f32_e32 v89, v76, v94
	ds_load_2addr_b32 v[75:76], v2 offset0:61 offset1:62
	s_waitcnt lgkmcnt(2)
	v_fmac_f32_e32 v89, v77, v71
	s_waitcnt vmcnt(2)
	v_fmac_f32_e32 v89, v78, v72
	ds_load_2addr_b32 v[71:72], v2 offset0:63 offset1:64
	s_waitcnt lgkmcnt(2)
	v_fmac_f32_e32 v89, v79, v73
	s_delay_alu instid0(VALU_DEP_1)
	v_fmac_f32_e32 v89, v80, v74
	ds_load_2addr_b32 v[73:74], v2 offset0:65 offset1:66
	ds_load_2addr_b32 v[2:3], v2 offset0:67 offset1:68
	s_waitcnt lgkmcnt(3)
	v_fmac_f32_e32 v89, v81, v75
	s_waitcnt vmcnt(1)
	s_delay_alu instid0(VALU_DEP_1) | instskip(SKIP_1) | instid1(VALU_DEP_1)
	v_fmac_f32_e32 v89, v82, v76
	s_waitcnt lgkmcnt(2)
	v_fmac_f32_e32 v89, v83, v71
	s_delay_alu instid0(VALU_DEP_1) | instskip(SKIP_1) | instid1(VALU_DEP_1)
	v_fmac_f32_e32 v89, v84, v72
	s_waitcnt lgkmcnt(1)
	v_fmac_f32_e32 v89, v85, v73
	s_waitcnt vmcnt(0)
	s_delay_alu instid0(VALU_DEP_1) | instskip(SKIP_1) | instid1(VALU_DEP_1)
	v_fmac_f32_e32 v89, v86, v74
	s_waitcnt lgkmcnt(0)
	v_fmac_f32_e32 v89, v87, v2
	s_delay_alu instid0(VALU_DEP_1) | instskip(NEXT) | instid1(VALU_DEP_1)
	v_fmac_f32_e32 v89, v88, v3
	v_sub_f32_e32 v2, v70, v89
	scratch_store_b32 off, v2, off offset:56
	v_cmpx_lt_u32_e32 13, v0
	s_cbranch_execz .LBB32_179
; %bb.178:
	scratch_load_b32 v2, off, off offset:52
	v_mov_b32_e32 v3, 0
	scratch_store_b32 off, v3, off offset:52
	s_waitcnt vmcnt(0)
	ds_store_b32 v1, v2
.LBB32_179:
	s_or_b32 exec_lo, exec_lo, s0
	s_waitcnt lgkmcnt(0)
	s_waitcnt_vscnt null, 0x0
	s_barrier
	buffer_gl0_inv
	s_clause 0x4
	scratch_load_b128 v[70:73], off, off offset:52
	scratch_load_b128 v[74:77], off, off offset:68
	;; [unrolled: 1-line block ×5, first 2 shown]
	v_mov_b32_e32 v2, 0
	ds_load_2addr_b64 v[90:93], v2 offset0:25 offset1:26
	ds_load_2addr_b64 v[94:97], v2 offset0:27 offset1:28
	s_mov_b32 s0, exec_lo
	s_waitcnt vmcnt(4) lgkmcnt(1)
	v_fma_f32 v3, v71, v90, 0
	s_delay_alu instid0(VALU_DEP_1) | instskip(NEXT) | instid1(VALU_DEP_1)
	v_fmac_f32_e32 v3, v72, v91
	v_fmac_f32_e32 v3, v73, v92
	s_waitcnt vmcnt(3)
	s_delay_alu instid0(VALU_DEP_1) | instskip(SKIP_3) | instid1(VALU_DEP_1)
	v_fmac_f32_e32 v3, v74, v93
	ds_load_2addr_b64 v[71:74], v2 offset0:29 offset1:30
	s_waitcnt lgkmcnt(1)
	v_fmac_f32_e32 v3, v75, v94
	v_fmac_f32_e32 v3, v76, v95
	s_delay_alu instid0(VALU_DEP_1) | instskip(SKIP_1) | instid1(VALU_DEP_1)
	v_fmac_f32_e32 v3, v77, v96
	s_waitcnt vmcnt(2)
	v_fmac_f32_e32 v3, v78, v97
	ds_load_2addr_b64 v[75:78], v2 offset0:31 offset1:32
	s_waitcnt lgkmcnt(1)
	v_fmac_f32_e32 v3, v79, v71
	s_delay_alu instid0(VALU_DEP_1)
	v_fmac_f32_e32 v3, v80, v72
	ds_load_b64 v[71:72], v2 offset:264
	v_fmac_f32_e32 v3, v81, v73
	ds_load_b32 v73, v2 offset:272
	s_waitcnt vmcnt(1)
	v_fmac_f32_e32 v3, v82, v74
	s_waitcnt lgkmcnt(2)
	s_delay_alu instid0(VALU_DEP_1) | instskip(NEXT) | instid1(VALU_DEP_1)
	v_fmac_f32_e32 v3, v83, v75
	v_fmac_f32_e32 v3, v84, v76
	s_delay_alu instid0(VALU_DEP_1) | instskip(SKIP_1) | instid1(VALU_DEP_1)
	v_fmac_f32_e32 v3, v85, v77
	s_waitcnt vmcnt(0)
	v_fmac_f32_e32 v3, v86, v78
	s_waitcnt lgkmcnt(1)
	s_delay_alu instid0(VALU_DEP_1) | instskip(NEXT) | instid1(VALU_DEP_1)
	v_fmac_f32_e32 v3, v87, v71
	v_fmac_f32_e32 v3, v88, v72
	s_waitcnt lgkmcnt(0)
	s_delay_alu instid0(VALU_DEP_1) | instskip(NEXT) | instid1(VALU_DEP_1)
	v_fmac_f32_e32 v3, v89, v73
	v_sub_f32_e32 v3, v70, v3
	scratch_store_b32 off, v3, off offset:52
	v_cmpx_lt_u32_e32 12, v0
	s_cbranch_execz .LBB32_181
; %bb.180:
	scratch_load_b32 v3, off, off offset:48
	scratch_store_b32 off, v2, off offset:48
	s_waitcnt vmcnt(0)
	ds_store_b32 v1, v3
.LBB32_181:
	s_or_b32 exec_lo, exec_lo, s0
	s_waitcnt lgkmcnt(0)
	s_waitcnt_vscnt null, 0x0
	s_barrier
	buffer_gl0_inv
	s_clause 0x5
	scratch_load_b128 v[70:73], off, off offset:48
	scratch_load_b128 v[74:77], off, off offset:64
	;; [unrolled: 1-line block ×5, first 2 shown]
	scratch_load_b32 v98, off, off offset:128
	ds_load_2addr_b32 v[90:91], v2 offset0:49 offset1:50
	ds_load_2addr_b32 v[92:93], v2 offset0:51 offset1:52
	;; [unrolled: 1-line block ×4, first 2 shown]
	s_mov_b32 s0, exec_lo
	s_waitcnt vmcnt(5) lgkmcnt(3)
	v_fma_f32 v90, v71, v90, 0
	s_delay_alu instid0(VALU_DEP_1) | instskip(SKIP_4) | instid1(VALU_DEP_1)
	v_fmac_f32_e32 v90, v72, v91
	ds_load_2addr_b32 v[71:72], v2 offset0:57 offset1:58
	s_waitcnt lgkmcnt(3)
	v_fmac_f32_e32 v90, v73, v92
	s_waitcnt vmcnt(4)
	v_fmac_f32_e32 v90, v74, v93
	ds_load_2addr_b32 v[73:74], v2 offset0:59 offset1:60
	s_waitcnt lgkmcnt(3)
	v_fmac_f32_e32 v90, v75, v94
	s_delay_alu instid0(VALU_DEP_1) | instskip(SKIP_1) | instid1(VALU_DEP_1)
	v_fmac_f32_e32 v90, v76, v95
	s_waitcnt lgkmcnt(2)
	v_fmac_f32_e32 v90, v77, v96
	s_waitcnt vmcnt(3)
	s_delay_alu instid0(VALU_DEP_1) | instskip(SKIP_4) | instid1(VALU_DEP_1)
	v_fmac_f32_e32 v90, v78, v97
	ds_load_2addr_b32 v[75:76], v2 offset0:61 offset1:62
	ds_load_2addr_b32 v[77:78], v2 offset0:63 offset1:64
	s_waitcnt lgkmcnt(3)
	v_fmac_f32_e32 v90, v79, v71
	v_fmac_f32_e32 v90, v80, v72
	ds_load_2addr_b32 v[71:72], v2 offset0:65 offset1:66
	ds_load_2addr_b32 v[2:3], v2 offset0:67 offset1:68
	s_waitcnt lgkmcnt(4)
	v_fmac_f32_e32 v90, v81, v73
	s_waitcnt vmcnt(2)
	s_delay_alu instid0(VALU_DEP_1) | instskip(SKIP_1) | instid1(VALU_DEP_1)
	v_fmac_f32_e32 v90, v82, v74
	s_waitcnt lgkmcnt(3)
	v_fmac_f32_e32 v90, v83, v75
	s_delay_alu instid0(VALU_DEP_1) | instskip(SKIP_1) | instid1(VALU_DEP_1)
	v_fmac_f32_e32 v90, v84, v76
	s_waitcnt lgkmcnt(2)
	v_fmac_f32_e32 v90, v85, v77
	s_waitcnt vmcnt(1)
	s_delay_alu instid0(VALU_DEP_1) | instskip(SKIP_1) | instid1(VALU_DEP_1)
	v_fmac_f32_e32 v90, v86, v78
	s_waitcnt lgkmcnt(1)
	v_fmac_f32_e32 v90, v87, v71
	s_delay_alu instid0(VALU_DEP_1) | instskip(SKIP_1) | instid1(VALU_DEP_1)
	v_fmac_f32_e32 v90, v88, v72
	s_waitcnt lgkmcnt(0)
	v_fmac_f32_e32 v90, v89, v2
	s_waitcnt vmcnt(0)
	s_delay_alu instid0(VALU_DEP_1) | instskip(NEXT) | instid1(VALU_DEP_1)
	v_fmac_f32_e32 v90, v98, v3
	v_sub_f32_e32 v2, v70, v90
	scratch_store_b32 off, v2, off offset:48
	v_cmpx_lt_u32_e32 11, v0
	s_cbranch_execz .LBB32_183
; %bb.182:
	scratch_load_b32 v2, off, off offset:44
	v_mov_b32_e32 v3, 0
	scratch_store_b32 off, v3, off offset:44
	s_waitcnt vmcnt(0)
	ds_store_b32 v1, v2
.LBB32_183:
	s_or_b32 exec_lo, exec_lo, s0
	s_waitcnt lgkmcnt(0)
	s_waitcnt_vscnt null, 0x0
	s_barrier
	buffer_gl0_inv
	s_clause 0x5
	scratch_load_b128 v[70:73], off, off offset:44
	scratch_load_b128 v[74:77], off, off offset:60
	;; [unrolled: 1-line block ×5, first 2 shown]
	scratch_load_b64 v[98:99], off, off offset:124
	v_mov_b32_e32 v2, 0
	ds_load_b128 v[90:93], v2 offset:192
	ds_load_b128 v[94:97], v2 offset:208
	s_mov_b32 s0, exec_lo
	s_waitcnt vmcnt(5) lgkmcnt(1)
	v_fma_f32 v3, v71, v90, 0
	s_delay_alu instid0(VALU_DEP_1) | instskip(NEXT) | instid1(VALU_DEP_1)
	v_fmac_f32_e32 v3, v72, v91
	v_fmac_f32_e32 v3, v73, v92
	s_waitcnt vmcnt(4)
	s_delay_alu instid0(VALU_DEP_1) | instskip(SKIP_3) | instid1(VALU_DEP_1)
	v_fmac_f32_e32 v3, v74, v93
	ds_load_b128 v[71:74], v2 offset:224
	s_waitcnt lgkmcnt(1)
	v_fmac_f32_e32 v3, v75, v94
	v_fmac_f32_e32 v3, v76, v95
	s_delay_alu instid0(VALU_DEP_1) | instskip(SKIP_1) | instid1(VALU_DEP_1)
	v_fmac_f32_e32 v3, v77, v96
	s_waitcnt vmcnt(3)
	v_fmac_f32_e32 v3, v78, v97
	ds_load_b128 v[75:78], v2 offset:240
	s_waitcnt lgkmcnt(1)
	v_fmac_f32_e32 v3, v79, v71
	s_delay_alu instid0(VALU_DEP_1) | instskip(NEXT) | instid1(VALU_DEP_1)
	v_fmac_f32_e32 v3, v80, v72
	v_fmac_f32_e32 v3, v81, v73
	s_waitcnt vmcnt(2)
	s_delay_alu instid0(VALU_DEP_1)
	v_fmac_f32_e32 v3, v82, v74
	ds_load_b128 v[71:74], v2 offset:256
	s_waitcnt lgkmcnt(1)
	v_fmac_f32_e32 v3, v83, v75
	ds_load_b32 v75, v2 offset:272
	v_fmac_f32_e32 v3, v84, v76
	s_delay_alu instid0(VALU_DEP_1) | instskip(SKIP_1) | instid1(VALU_DEP_1)
	v_fmac_f32_e32 v3, v85, v77
	s_waitcnt vmcnt(1)
	v_fmac_f32_e32 v3, v86, v78
	s_waitcnt lgkmcnt(1)
	s_delay_alu instid0(VALU_DEP_1) | instskip(NEXT) | instid1(VALU_DEP_1)
	v_fmac_f32_e32 v3, v87, v71
	v_fmac_f32_e32 v3, v88, v72
	s_delay_alu instid0(VALU_DEP_1) | instskip(SKIP_1) | instid1(VALU_DEP_1)
	v_fmac_f32_e32 v3, v89, v73
	s_waitcnt vmcnt(0)
	v_fmac_f32_e32 v3, v98, v74
	s_waitcnt lgkmcnt(0)
	s_delay_alu instid0(VALU_DEP_1) | instskip(NEXT) | instid1(VALU_DEP_1)
	v_fmac_f32_e32 v3, v99, v75
	v_sub_f32_e32 v3, v70, v3
	scratch_store_b32 off, v3, off offset:44
	v_cmpx_lt_u32_e32 10, v0
	s_cbranch_execz .LBB32_185
; %bb.184:
	scratch_load_b32 v3, off, off offset:40
	scratch_store_b32 off, v2, off offset:40
	s_waitcnt vmcnt(0)
	ds_store_b32 v1, v3
.LBB32_185:
	s_or_b32 exec_lo, exec_lo, s0
	s_waitcnt lgkmcnt(0)
	s_waitcnt_vscnt null, 0x0
	s_barrier
	buffer_gl0_inv
	s_clause 0x5
	scratch_load_b128 v[70:73], off, off offset:40
	scratch_load_b128 v[74:77], off, off offset:56
	;; [unrolled: 1-line block ×5, first 2 shown]
	scratch_load_b96 v[90:92], off, off offset:120
	ds_load_2addr_b32 v[93:94], v2 offset0:47 offset1:48
	ds_load_2addr_b32 v[95:96], v2 offset0:49 offset1:50
	;; [unrolled: 1-line block ×4, first 2 shown]
	s_mov_b32 s0, exec_lo
	s_waitcnt vmcnt(5) lgkmcnt(3)
	v_fma_f32 v93, v71, v93, 0
	s_delay_alu instid0(VALU_DEP_1) | instskip(SKIP_4) | instid1(VALU_DEP_1)
	v_fmac_f32_e32 v93, v72, v94
	ds_load_2addr_b32 v[71:72], v2 offset0:55 offset1:56
	s_waitcnt lgkmcnt(3)
	v_fmac_f32_e32 v93, v73, v95
	s_waitcnt vmcnt(4)
	v_fmac_f32_e32 v93, v74, v96
	ds_load_2addr_b32 v[73:74], v2 offset0:57 offset1:58
	s_waitcnt lgkmcnt(3)
	v_fmac_f32_e32 v93, v75, v97
	s_delay_alu instid0(VALU_DEP_1) | instskip(SKIP_1) | instid1(VALU_DEP_1)
	v_fmac_f32_e32 v93, v76, v98
	s_waitcnt lgkmcnt(2)
	v_fmac_f32_e32 v93, v77, v99
	s_waitcnt vmcnt(3)
	s_delay_alu instid0(VALU_DEP_1) | instskip(SKIP_4) | instid1(VALU_DEP_1)
	v_fmac_f32_e32 v93, v78, v100
	ds_load_2addr_b32 v[75:76], v2 offset0:59 offset1:60
	ds_load_2addr_b32 v[77:78], v2 offset0:61 offset1:62
	s_waitcnt lgkmcnt(3)
	v_fmac_f32_e32 v93, v79, v71
	v_fmac_f32_e32 v93, v80, v72
	ds_load_2addr_b32 v[71:72], v2 offset0:63 offset1:64
	s_waitcnt lgkmcnt(3)
	v_fmac_f32_e32 v93, v81, v73
	s_waitcnt vmcnt(2)
	s_delay_alu instid0(VALU_DEP_1) | instskip(SKIP_4) | instid1(VALU_DEP_1)
	v_fmac_f32_e32 v93, v82, v74
	ds_load_2addr_b32 v[73:74], v2 offset0:65 offset1:66
	ds_load_2addr_b32 v[2:3], v2 offset0:67 offset1:68
	s_waitcnt lgkmcnt(4)
	v_fmac_f32_e32 v93, v83, v75
	v_fmac_f32_e32 v93, v84, v76
	s_waitcnt lgkmcnt(3)
	s_delay_alu instid0(VALU_DEP_1) | instskip(SKIP_1) | instid1(VALU_DEP_1)
	v_fmac_f32_e32 v93, v85, v77
	s_waitcnt vmcnt(1)
	v_fmac_f32_e32 v93, v86, v78
	s_waitcnt lgkmcnt(2)
	s_delay_alu instid0(VALU_DEP_1) | instskip(NEXT) | instid1(VALU_DEP_1)
	v_fmac_f32_e32 v93, v87, v71
	v_fmac_f32_e32 v93, v88, v72
	s_waitcnt lgkmcnt(1)
	s_delay_alu instid0(VALU_DEP_1) | instskip(SKIP_1) | instid1(VALU_DEP_1)
	v_fmac_f32_e32 v93, v89, v73
	s_waitcnt vmcnt(0)
	v_fmac_f32_e32 v93, v90, v74
	s_waitcnt lgkmcnt(0)
	s_delay_alu instid0(VALU_DEP_1) | instskip(NEXT) | instid1(VALU_DEP_1)
	v_fmac_f32_e32 v93, v91, v2
	v_fmac_f32_e32 v93, v92, v3
	s_delay_alu instid0(VALU_DEP_1)
	v_sub_f32_e32 v2, v70, v93
	scratch_store_b32 off, v2, off offset:40
	v_cmpx_lt_u32_e32 9, v0
	s_cbranch_execz .LBB32_187
; %bb.186:
	scratch_load_b32 v2, off, off offset:36
	v_mov_b32_e32 v3, 0
	scratch_store_b32 off, v3, off offset:36
	s_waitcnt vmcnt(0)
	ds_store_b32 v1, v2
.LBB32_187:
	s_or_b32 exec_lo, exec_lo, s0
	s_waitcnt lgkmcnt(0)
	s_waitcnt_vscnt null, 0x0
	s_barrier
	buffer_gl0_inv
	s_clause 0x5
	scratch_load_b128 v[70:73], off, off offset:36
	scratch_load_b128 v[74:77], off, off offset:52
	;; [unrolled: 1-line block ×6, first 2 shown]
	v_mov_b32_e32 v2, 0
	ds_load_2addr_b64 v[94:97], v2 offset0:23 offset1:24
	ds_load_2addr_b64 v[98:101], v2 offset0:25 offset1:26
	s_mov_b32 s0, exec_lo
	s_waitcnt vmcnt(5) lgkmcnt(1)
	v_fma_f32 v3, v71, v94, 0
	s_delay_alu instid0(VALU_DEP_1) | instskip(NEXT) | instid1(VALU_DEP_1)
	v_fmac_f32_e32 v3, v72, v95
	v_fmac_f32_e32 v3, v73, v96
	s_waitcnt vmcnt(4)
	s_delay_alu instid0(VALU_DEP_1) | instskip(SKIP_3) | instid1(VALU_DEP_1)
	v_fmac_f32_e32 v3, v74, v97
	ds_load_2addr_b64 v[71:74], v2 offset0:27 offset1:28
	s_waitcnt lgkmcnt(1)
	v_fmac_f32_e32 v3, v75, v98
	v_fmac_f32_e32 v3, v76, v99
	s_delay_alu instid0(VALU_DEP_1) | instskip(SKIP_1) | instid1(VALU_DEP_1)
	v_fmac_f32_e32 v3, v77, v100
	s_waitcnt vmcnt(3)
	v_fmac_f32_e32 v3, v78, v101
	ds_load_2addr_b64 v[75:78], v2 offset0:29 offset1:30
	s_waitcnt lgkmcnt(1)
	v_fmac_f32_e32 v3, v79, v71
	s_delay_alu instid0(VALU_DEP_1) | instskip(NEXT) | instid1(VALU_DEP_1)
	v_fmac_f32_e32 v3, v80, v72
	v_fmac_f32_e32 v3, v81, v73
	s_waitcnt vmcnt(2)
	s_delay_alu instid0(VALU_DEP_1) | instskip(SKIP_3) | instid1(VALU_DEP_1)
	v_fmac_f32_e32 v3, v82, v74
	ds_load_2addr_b64 v[71:74], v2 offset0:31 offset1:32
	s_waitcnt lgkmcnt(1)
	v_fmac_f32_e32 v3, v83, v75
	v_fmac_f32_e32 v3, v84, v76
	ds_load_b64 v[75:76], v2 offset:264
	v_fmac_f32_e32 v3, v85, v77
	s_waitcnt vmcnt(1)
	s_delay_alu instid0(VALU_DEP_1) | instskip(SKIP_1) | instid1(VALU_DEP_1)
	v_fmac_f32_e32 v3, v86, v78
	s_waitcnt lgkmcnt(1)
	v_fmac_f32_e32 v3, v87, v71
	ds_load_b32 v71, v2 offset:272
	v_fmac_f32_e32 v3, v88, v72
	s_delay_alu instid0(VALU_DEP_1) | instskip(SKIP_1) | instid1(VALU_DEP_1)
	v_fmac_f32_e32 v3, v89, v73
	s_waitcnt vmcnt(0)
	v_fmac_f32_e32 v3, v90, v74
	s_waitcnt lgkmcnt(1)
	s_delay_alu instid0(VALU_DEP_1) | instskip(NEXT) | instid1(VALU_DEP_1)
	v_fmac_f32_e32 v3, v91, v75
	v_fmac_f32_e32 v3, v92, v76
	s_waitcnt lgkmcnt(0)
	s_delay_alu instid0(VALU_DEP_1) | instskip(NEXT) | instid1(VALU_DEP_1)
	v_fmac_f32_e32 v3, v93, v71
	v_sub_f32_e32 v3, v70, v3
	scratch_store_b32 off, v3, off offset:36
	v_cmpx_lt_u32_e32 8, v0
	s_cbranch_execz .LBB32_189
; %bb.188:
	scratch_load_b32 v3, off, off offset:32
	scratch_store_b32 off, v2, off offset:32
	s_waitcnt vmcnt(0)
	ds_store_b32 v1, v3
.LBB32_189:
	s_or_b32 exec_lo, exec_lo, s0
	s_waitcnt lgkmcnt(0)
	s_waitcnt_vscnt null, 0x0
	s_barrier
	buffer_gl0_inv
	s_clause 0x6
	scratch_load_b128 v[70:73], off, off offset:32
	scratch_load_b128 v[74:77], off, off offset:48
	;; [unrolled: 1-line block ×6, first 2 shown]
	scratch_load_b32 v102, off, off offset:128
	ds_load_2addr_b32 v[94:95], v2 offset0:45 offset1:46
	ds_load_2addr_b32 v[96:97], v2 offset0:47 offset1:48
	;; [unrolled: 1-line block ×4, first 2 shown]
	s_mov_b32 s0, exec_lo
	s_waitcnt vmcnt(6) lgkmcnt(3)
	v_fma_f32 v94, v71, v94, 0
	s_delay_alu instid0(VALU_DEP_1) | instskip(SKIP_4) | instid1(VALU_DEP_1)
	v_fmac_f32_e32 v94, v72, v95
	ds_load_2addr_b32 v[71:72], v2 offset0:53 offset1:54
	s_waitcnt lgkmcnt(3)
	v_fmac_f32_e32 v94, v73, v96
	s_waitcnt vmcnt(5)
	v_fmac_f32_e32 v94, v74, v97
	ds_load_2addr_b32 v[73:74], v2 offset0:55 offset1:56
	s_waitcnt lgkmcnt(3)
	v_fmac_f32_e32 v94, v75, v98
	s_delay_alu instid0(VALU_DEP_1) | instskip(SKIP_1) | instid1(VALU_DEP_1)
	v_fmac_f32_e32 v94, v76, v99
	s_waitcnt lgkmcnt(2)
	v_fmac_f32_e32 v94, v77, v100
	s_waitcnt vmcnt(4)
	s_delay_alu instid0(VALU_DEP_1) | instskip(SKIP_4) | instid1(VALU_DEP_1)
	v_fmac_f32_e32 v94, v78, v101
	ds_load_2addr_b32 v[75:76], v2 offset0:57 offset1:58
	ds_load_2addr_b32 v[77:78], v2 offset0:59 offset1:60
	s_waitcnt lgkmcnt(3)
	v_fmac_f32_e32 v94, v79, v71
	v_fmac_f32_e32 v94, v80, v72
	ds_load_2addr_b32 v[71:72], v2 offset0:61 offset1:62
	s_waitcnt lgkmcnt(3)
	v_fmac_f32_e32 v94, v81, v73
	s_waitcnt vmcnt(3)
	s_delay_alu instid0(VALU_DEP_1) | instskip(SKIP_3) | instid1(VALU_DEP_1)
	v_fmac_f32_e32 v94, v82, v74
	ds_load_2addr_b32 v[73:74], v2 offset0:63 offset1:64
	s_waitcnt lgkmcnt(3)
	v_fmac_f32_e32 v94, v83, v75
	v_fmac_f32_e32 v94, v84, v76
	ds_load_2addr_b32 v[75:76], v2 offset0:65 offset1:66
	ds_load_2addr_b32 v[2:3], v2 offset0:67 offset1:68
	s_waitcnt lgkmcnt(4)
	v_fmac_f32_e32 v94, v85, v77
	s_waitcnt vmcnt(2)
	s_delay_alu instid0(VALU_DEP_1) | instskip(SKIP_1) | instid1(VALU_DEP_1)
	v_fmac_f32_e32 v94, v86, v78
	s_waitcnt lgkmcnt(3)
	v_fmac_f32_e32 v94, v87, v71
	s_delay_alu instid0(VALU_DEP_1) | instskip(SKIP_1) | instid1(VALU_DEP_1)
	v_fmac_f32_e32 v94, v88, v72
	s_waitcnt lgkmcnt(2)
	v_fmac_f32_e32 v94, v89, v73
	s_waitcnt vmcnt(1)
	s_delay_alu instid0(VALU_DEP_1) | instskip(SKIP_1) | instid1(VALU_DEP_1)
	v_fmac_f32_e32 v94, v90, v74
	s_waitcnt lgkmcnt(1)
	v_fmac_f32_e32 v94, v91, v75
	s_delay_alu instid0(VALU_DEP_1) | instskip(SKIP_1) | instid1(VALU_DEP_1)
	v_fmac_f32_e32 v94, v92, v76
	s_waitcnt lgkmcnt(0)
	v_fmac_f32_e32 v94, v93, v2
	s_waitcnt vmcnt(0)
	s_delay_alu instid0(VALU_DEP_1) | instskip(NEXT) | instid1(VALU_DEP_1)
	v_fmac_f32_e32 v94, v102, v3
	v_sub_f32_e32 v2, v70, v94
	scratch_store_b32 off, v2, off offset:32
	v_cmpx_lt_u32_e32 7, v0
	s_cbranch_execz .LBB32_191
; %bb.190:
	scratch_load_b32 v2, off, off offset:28
	v_mov_b32_e32 v3, 0
	scratch_store_b32 off, v3, off offset:28
	s_waitcnt vmcnt(0)
	ds_store_b32 v1, v2
.LBB32_191:
	s_or_b32 exec_lo, exec_lo, s0
	s_waitcnt lgkmcnt(0)
	s_waitcnt_vscnt null, 0x0
	s_barrier
	buffer_gl0_inv
	s_clause 0x6
	scratch_load_b128 v[70:73], off, off offset:28
	scratch_load_b128 v[74:77], off, off offset:44
	;; [unrolled: 1-line block ×6, first 2 shown]
	scratch_load_b64 v[102:103], off, off offset:124
	v_mov_b32_e32 v2, 0
	ds_load_b128 v[94:97], v2 offset:176
	ds_load_b128 v[98:101], v2 offset:192
	s_mov_b32 s0, exec_lo
	s_waitcnt vmcnt(6) lgkmcnt(1)
	v_fma_f32 v3, v71, v94, 0
	s_delay_alu instid0(VALU_DEP_1) | instskip(NEXT) | instid1(VALU_DEP_1)
	v_fmac_f32_e32 v3, v72, v95
	v_fmac_f32_e32 v3, v73, v96
	s_waitcnt vmcnt(5)
	s_delay_alu instid0(VALU_DEP_1) | instskip(SKIP_3) | instid1(VALU_DEP_1)
	v_fmac_f32_e32 v3, v74, v97
	ds_load_b128 v[71:74], v2 offset:208
	s_waitcnt lgkmcnt(1)
	v_fmac_f32_e32 v3, v75, v98
	v_fmac_f32_e32 v3, v76, v99
	s_delay_alu instid0(VALU_DEP_1) | instskip(SKIP_1) | instid1(VALU_DEP_1)
	v_fmac_f32_e32 v3, v77, v100
	s_waitcnt vmcnt(4)
	v_fmac_f32_e32 v3, v78, v101
	ds_load_b128 v[75:78], v2 offset:224
	s_waitcnt lgkmcnt(1)
	v_fmac_f32_e32 v3, v79, v71
	s_delay_alu instid0(VALU_DEP_1) | instskip(NEXT) | instid1(VALU_DEP_1)
	v_fmac_f32_e32 v3, v80, v72
	v_fmac_f32_e32 v3, v81, v73
	s_waitcnt vmcnt(3)
	s_delay_alu instid0(VALU_DEP_1) | instskip(SKIP_3) | instid1(VALU_DEP_1)
	v_fmac_f32_e32 v3, v82, v74
	ds_load_b128 v[71:74], v2 offset:240
	s_waitcnt lgkmcnt(1)
	v_fmac_f32_e32 v3, v83, v75
	v_fmac_f32_e32 v3, v84, v76
	s_delay_alu instid0(VALU_DEP_1) | instskip(SKIP_1) | instid1(VALU_DEP_1)
	v_fmac_f32_e32 v3, v85, v77
	s_waitcnt vmcnt(2)
	v_fmac_f32_e32 v3, v86, v78
	ds_load_b128 v[75:78], v2 offset:256
	s_waitcnt lgkmcnt(1)
	v_fmac_f32_e32 v3, v87, v71
	ds_load_b32 v71, v2 offset:272
	v_fmac_f32_e32 v3, v88, v72
	s_delay_alu instid0(VALU_DEP_1) | instskip(SKIP_1) | instid1(VALU_DEP_1)
	v_fmac_f32_e32 v3, v89, v73
	s_waitcnt vmcnt(1)
	v_fmac_f32_e32 v3, v90, v74
	s_waitcnt lgkmcnt(1)
	s_delay_alu instid0(VALU_DEP_1) | instskip(NEXT) | instid1(VALU_DEP_1)
	v_fmac_f32_e32 v3, v91, v75
	v_fmac_f32_e32 v3, v92, v76
	s_delay_alu instid0(VALU_DEP_1) | instskip(SKIP_1) | instid1(VALU_DEP_1)
	v_fmac_f32_e32 v3, v93, v77
	s_waitcnt vmcnt(0)
	v_fmac_f32_e32 v3, v102, v78
	s_waitcnt lgkmcnt(0)
	s_delay_alu instid0(VALU_DEP_1) | instskip(NEXT) | instid1(VALU_DEP_1)
	v_fmac_f32_e32 v3, v103, v71
	v_sub_f32_e32 v3, v70, v3
	scratch_store_b32 off, v3, off offset:28
	v_cmpx_lt_u32_e32 6, v0
	s_cbranch_execz .LBB32_193
; %bb.192:
	scratch_load_b32 v3, off, off offset:24
	scratch_store_b32 off, v2, off offset:24
	s_waitcnt vmcnt(0)
	ds_store_b32 v1, v3
.LBB32_193:
	s_or_b32 exec_lo, exec_lo, s0
	s_waitcnt lgkmcnt(0)
	s_waitcnt_vscnt null, 0x0
	s_barrier
	buffer_gl0_inv
	s_clause 0x6
	scratch_load_b128 v[70:73], off, off offset:24
	scratch_load_b128 v[74:77], off, off offset:40
	;; [unrolled: 1-line block ×6, first 2 shown]
	scratch_load_b96 v[94:96], off, off offset:120
	ds_load_2addr_b32 v[97:98], v2 offset0:43 offset1:44
	ds_load_2addr_b32 v[99:100], v2 offset0:45 offset1:46
	;; [unrolled: 1-line block ×4, first 2 shown]
	s_mov_b32 s0, exec_lo
	s_waitcnt vmcnt(6) lgkmcnt(3)
	v_fma_f32 v97, v71, v97, 0
	s_delay_alu instid0(VALU_DEP_1) | instskip(SKIP_4) | instid1(VALU_DEP_1)
	v_fmac_f32_e32 v97, v72, v98
	ds_load_2addr_b32 v[71:72], v2 offset0:51 offset1:52
	s_waitcnt lgkmcnt(3)
	v_fmac_f32_e32 v97, v73, v99
	s_waitcnt vmcnt(5)
	v_fmac_f32_e32 v97, v74, v100
	ds_load_2addr_b32 v[73:74], v2 offset0:53 offset1:54
	s_waitcnt lgkmcnt(3)
	v_fmac_f32_e32 v97, v75, v101
	s_delay_alu instid0(VALU_DEP_1) | instskip(SKIP_1) | instid1(VALU_DEP_1)
	v_fmac_f32_e32 v97, v76, v102
	s_waitcnt lgkmcnt(2)
	v_fmac_f32_e32 v97, v77, v103
	s_waitcnt vmcnt(4)
	s_delay_alu instid0(VALU_DEP_1) | instskip(SKIP_4) | instid1(VALU_DEP_1)
	v_fmac_f32_e32 v97, v78, v104
	ds_load_2addr_b32 v[75:76], v2 offset0:55 offset1:56
	ds_load_2addr_b32 v[77:78], v2 offset0:57 offset1:58
	s_waitcnt lgkmcnt(3)
	v_fmac_f32_e32 v97, v79, v71
	v_fmac_f32_e32 v97, v80, v72
	ds_load_2addr_b32 v[71:72], v2 offset0:59 offset1:60
	s_waitcnt lgkmcnt(3)
	v_fmac_f32_e32 v97, v81, v73
	s_waitcnt vmcnt(3)
	s_delay_alu instid0(VALU_DEP_1) | instskip(SKIP_3) | instid1(VALU_DEP_1)
	v_fmac_f32_e32 v97, v82, v74
	ds_load_2addr_b32 v[73:74], v2 offset0:61 offset1:62
	s_waitcnt lgkmcnt(3)
	v_fmac_f32_e32 v97, v83, v75
	v_fmac_f32_e32 v97, v84, v76
	s_waitcnt lgkmcnt(2)
	s_delay_alu instid0(VALU_DEP_1) | instskip(SKIP_1) | instid1(VALU_DEP_1)
	v_fmac_f32_e32 v97, v85, v77
	s_waitcnt vmcnt(2)
	v_fmac_f32_e32 v97, v86, v78
	ds_load_2addr_b32 v[75:76], v2 offset0:63 offset1:64
	ds_load_2addr_b32 v[77:78], v2 offset0:65 offset1:66
	;; [unrolled: 1-line block ×3, first 2 shown]
	s_waitcnt lgkmcnt(4)
	v_fmac_f32_e32 v97, v87, v71
	s_delay_alu instid0(VALU_DEP_1) | instskip(SKIP_1) | instid1(VALU_DEP_1)
	v_fmac_f32_e32 v97, v88, v72
	s_waitcnt lgkmcnt(3)
	v_fmac_f32_e32 v97, v89, v73
	s_waitcnt vmcnt(1)
	s_delay_alu instid0(VALU_DEP_1) | instskip(SKIP_1) | instid1(VALU_DEP_1)
	v_fmac_f32_e32 v97, v90, v74
	s_waitcnt lgkmcnt(2)
	v_fmac_f32_e32 v97, v91, v75
	s_delay_alu instid0(VALU_DEP_1) | instskip(SKIP_1) | instid1(VALU_DEP_1)
	v_fmac_f32_e32 v97, v92, v76
	s_waitcnt lgkmcnt(1)
	v_fmac_f32_e32 v97, v93, v77
	s_waitcnt vmcnt(0)
	s_delay_alu instid0(VALU_DEP_1) | instskip(SKIP_1) | instid1(VALU_DEP_1)
	v_fmac_f32_e32 v97, v94, v78
	s_waitcnt lgkmcnt(0)
	v_fmac_f32_e32 v97, v95, v2
	s_delay_alu instid0(VALU_DEP_1) | instskip(NEXT) | instid1(VALU_DEP_1)
	v_fmac_f32_e32 v97, v96, v3
	v_sub_f32_e32 v2, v70, v97
	scratch_store_b32 off, v2, off offset:24
	v_cmpx_lt_u32_e32 5, v0
	s_cbranch_execz .LBB32_195
; %bb.194:
	scratch_load_b32 v2, off, off offset:20
	v_mov_b32_e32 v3, 0
	scratch_store_b32 off, v3, off offset:20
	s_waitcnt vmcnt(0)
	ds_store_b32 v1, v2
.LBB32_195:
	s_or_b32 exec_lo, exec_lo, s0
	s_waitcnt lgkmcnt(0)
	s_waitcnt_vscnt null, 0x0
	s_barrier
	buffer_gl0_inv
	s_clause 0x6
	scratch_load_b128 v[70:73], off, off offset:20
	scratch_load_b128 v[74:77], off, off offset:36
	;; [unrolled: 1-line block ×7, first 2 shown]
	v_mov_b32_e32 v2, 0
	ds_load_2addr_b64 v[98:101], v2 offset0:21 offset1:22
	ds_load_2addr_b64 v[102:105], v2 offset0:23 offset1:24
	s_mov_b32 s0, exec_lo
	s_waitcnt vmcnt(6) lgkmcnt(1)
	v_fma_f32 v3, v71, v98, 0
	s_delay_alu instid0(VALU_DEP_1) | instskip(NEXT) | instid1(VALU_DEP_1)
	v_fmac_f32_e32 v3, v72, v99
	v_fmac_f32_e32 v3, v73, v100
	s_waitcnt vmcnt(5)
	s_delay_alu instid0(VALU_DEP_1) | instskip(SKIP_3) | instid1(VALU_DEP_1)
	v_fmac_f32_e32 v3, v74, v101
	ds_load_2addr_b64 v[71:74], v2 offset0:25 offset1:26
	s_waitcnt lgkmcnt(1)
	v_fmac_f32_e32 v3, v75, v102
	v_fmac_f32_e32 v3, v76, v103
	s_delay_alu instid0(VALU_DEP_1) | instskip(SKIP_1) | instid1(VALU_DEP_1)
	v_fmac_f32_e32 v3, v77, v104
	s_waitcnt vmcnt(4)
	v_fmac_f32_e32 v3, v78, v105
	ds_load_2addr_b64 v[75:78], v2 offset0:27 offset1:28
	s_waitcnt lgkmcnt(1)
	v_fmac_f32_e32 v3, v79, v71
	s_delay_alu instid0(VALU_DEP_1) | instskip(NEXT) | instid1(VALU_DEP_1)
	v_fmac_f32_e32 v3, v80, v72
	v_fmac_f32_e32 v3, v81, v73
	s_waitcnt vmcnt(3)
	s_delay_alu instid0(VALU_DEP_1) | instskip(SKIP_3) | instid1(VALU_DEP_1)
	v_fmac_f32_e32 v3, v82, v74
	ds_load_2addr_b64 v[71:74], v2 offset0:29 offset1:30
	s_waitcnt lgkmcnt(1)
	v_fmac_f32_e32 v3, v83, v75
	v_fmac_f32_e32 v3, v84, v76
	s_delay_alu instid0(VALU_DEP_1) | instskip(SKIP_1) | instid1(VALU_DEP_1)
	v_fmac_f32_e32 v3, v85, v77
	s_waitcnt vmcnt(2)
	v_fmac_f32_e32 v3, v86, v78
	ds_load_2addr_b64 v[75:78], v2 offset0:31 offset1:32
	s_waitcnt lgkmcnt(1)
	v_fmac_f32_e32 v3, v87, v71
	s_delay_alu instid0(VALU_DEP_1)
	v_fmac_f32_e32 v3, v88, v72
	ds_load_b64 v[71:72], v2 offset:264
	v_fmac_f32_e32 v3, v89, v73
	ds_load_b32 v73, v2 offset:272
	s_waitcnt vmcnt(1)
	v_fmac_f32_e32 v3, v90, v74
	s_waitcnt lgkmcnt(2)
	s_delay_alu instid0(VALU_DEP_1) | instskip(NEXT) | instid1(VALU_DEP_1)
	v_fmac_f32_e32 v3, v91, v75
	v_fmac_f32_e32 v3, v92, v76
	s_delay_alu instid0(VALU_DEP_1) | instskip(SKIP_1) | instid1(VALU_DEP_1)
	v_fmac_f32_e32 v3, v93, v77
	s_waitcnt vmcnt(0)
	v_fmac_f32_e32 v3, v94, v78
	s_waitcnt lgkmcnt(1)
	s_delay_alu instid0(VALU_DEP_1) | instskip(NEXT) | instid1(VALU_DEP_1)
	v_fmac_f32_e32 v3, v95, v71
	v_fmac_f32_e32 v3, v96, v72
	s_waitcnt lgkmcnt(0)
	s_delay_alu instid0(VALU_DEP_1) | instskip(NEXT) | instid1(VALU_DEP_1)
	v_fmac_f32_e32 v3, v97, v73
	v_sub_f32_e32 v3, v70, v3
	scratch_store_b32 off, v3, off offset:20
	v_cmpx_lt_u32_e32 4, v0
	s_cbranch_execz .LBB32_197
; %bb.196:
	scratch_load_b32 v3, off, off offset:16
	scratch_store_b32 off, v2, off offset:16
	s_waitcnt vmcnt(0)
	ds_store_b32 v1, v3
.LBB32_197:
	s_or_b32 exec_lo, exec_lo, s0
	s_waitcnt lgkmcnt(0)
	s_waitcnt_vscnt null, 0x0
	s_barrier
	buffer_gl0_inv
	s_clause 0x7
	scratch_load_b128 v[70:73], off, off offset:16
	scratch_load_b128 v[74:77], off, off offset:32
	;; [unrolled: 1-line block ×7, first 2 shown]
	scratch_load_b32 v106, off, off offset:128
	ds_load_2addr_b32 v[98:99], v2 offset0:41 offset1:42
	ds_load_2addr_b32 v[100:101], v2 offset0:43 offset1:44
	;; [unrolled: 1-line block ×4, first 2 shown]
	s_mov_b32 s0, exec_lo
	s_waitcnt vmcnt(7) lgkmcnt(3)
	v_fma_f32 v98, v71, v98, 0
	s_delay_alu instid0(VALU_DEP_1) | instskip(SKIP_4) | instid1(VALU_DEP_1)
	v_fmac_f32_e32 v98, v72, v99
	ds_load_2addr_b32 v[71:72], v2 offset0:49 offset1:50
	s_waitcnt lgkmcnt(3)
	v_fmac_f32_e32 v98, v73, v100
	s_waitcnt vmcnt(6)
	v_fmac_f32_e32 v98, v74, v101
	ds_load_2addr_b32 v[73:74], v2 offset0:51 offset1:52
	s_waitcnt lgkmcnt(3)
	v_fmac_f32_e32 v98, v75, v102
	s_delay_alu instid0(VALU_DEP_1) | instskip(SKIP_1) | instid1(VALU_DEP_1)
	v_fmac_f32_e32 v98, v76, v103
	s_waitcnt lgkmcnt(2)
	v_fmac_f32_e32 v98, v77, v104
	s_waitcnt vmcnt(5)
	s_delay_alu instid0(VALU_DEP_1) | instskip(SKIP_4) | instid1(VALU_DEP_1)
	v_fmac_f32_e32 v98, v78, v105
	ds_load_2addr_b32 v[75:76], v2 offset0:53 offset1:54
	ds_load_2addr_b32 v[77:78], v2 offset0:55 offset1:56
	s_waitcnt lgkmcnt(3)
	v_fmac_f32_e32 v98, v79, v71
	v_fmac_f32_e32 v98, v80, v72
	ds_load_2addr_b32 v[71:72], v2 offset0:57 offset1:58
	s_waitcnt lgkmcnt(3)
	v_fmac_f32_e32 v98, v81, v73
	s_waitcnt vmcnt(4)
	s_delay_alu instid0(VALU_DEP_1) | instskip(SKIP_3) | instid1(VALU_DEP_1)
	v_fmac_f32_e32 v98, v82, v74
	ds_load_2addr_b32 v[73:74], v2 offset0:59 offset1:60
	s_waitcnt lgkmcnt(3)
	v_fmac_f32_e32 v98, v83, v75
	v_fmac_f32_e32 v98, v84, v76
	s_waitcnt lgkmcnt(2)
	s_delay_alu instid0(VALU_DEP_1) | instskip(SKIP_1) | instid1(VALU_DEP_1)
	v_fmac_f32_e32 v98, v85, v77
	s_waitcnt vmcnt(3)
	v_fmac_f32_e32 v98, v86, v78
	ds_load_2addr_b32 v[75:76], v2 offset0:61 offset1:62
	ds_load_2addr_b32 v[77:78], v2 offset0:63 offset1:64
	s_waitcnt lgkmcnt(3)
	v_fmac_f32_e32 v98, v87, v71
	s_delay_alu instid0(VALU_DEP_1)
	v_fmac_f32_e32 v98, v88, v72
	ds_load_2addr_b32 v[71:72], v2 offset0:65 offset1:66
	ds_load_2addr_b32 v[2:3], v2 offset0:67 offset1:68
	s_waitcnt lgkmcnt(4)
	v_fmac_f32_e32 v98, v89, v73
	s_waitcnt vmcnt(2)
	s_delay_alu instid0(VALU_DEP_1) | instskip(SKIP_1) | instid1(VALU_DEP_1)
	v_fmac_f32_e32 v98, v90, v74
	s_waitcnt lgkmcnt(3)
	v_fmac_f32_e32 v98, v91, v75
	s_delay_alu instid0(VALU_DEP_1) | instskip(SKIP_1) | instid1(VALU_DEP_1)
	v_fmac_f32_e32 v98, v92, v76
	s_waitcnt lgkmcnt(2)
	v_fmac_f32_e32 v98, v93, v77
	s_waitcnt vmcnt(1)
	s_delay_alu instid0(VALU_DEP_1) | instskip(SKIP_1) | instid1(VALU_DEP_1)
	v_fmac_f32_e32 v98, v94, v78
	s_waitcnt lgkmcnt(1)
	v_fmac_f32_e32 v98, v95, v71
	s_delay_alu instid0(VALU_DEP_1) | instskip(SKIP_1) | instid1(VALU_DEP_1)
	v_fmac_f32_e32 v98, v96, v72
	s_waitcnt lgkmcnt(0)
	v_fmac_f32_e32 v98, v97, v2
	s_waitcnt vmcnt(0)
	s_delay_alu instid0(VALU_DEP_1) | instskip(NEXT) | instid1(VALU_DEP_1)
	v_fmac_f32_e32 v98, v106, v3
	v_sub_f32_e32 v2, v70, v98
	scratch_store_b32 off, v2, off offset:16
	v_cmpx_lt_u32_e32 3, v0
	s_cbranch_execz .LBB32_199
; %bb.198:
	scratch_load_b32 v2, off, off offset:12
	v_mov_b32_e32 v3, 0
	scratch_store_b32 off, v3, off offset:12
	s_waitcnt vmcnt(0)
	ds_store_b32 v1, v2
.LBB32_199:
	s_or_b32 exec_lo, exec_lo, s0
	s_waitcnt lgkmcnt(0)
	s_waitcnt_vscnt null, 0x0
	s_barrier
	buffer_gl0_inv
	s_clause 0x7
	scratch_load_b128 v[70:73], off, off offset:12
	scratch_load_b128 v[74:77], off, off offset:28
	;; [unrolled: 1-line block ×7, first 2 shown]
	scratch_load_b64 v[106:107], off, off offset:124
	v_mov_b32_e32 v2, 0
	ds_load_b128 v[98:101], v2 offset:160
	ds_load_b128 v[102:105], v2 offset:176
	s_mov_b32 s0, exec_lo
	s_waitcnt vmcnt(7) lgkmcnt(1)
	v_fma_f32 v3, v71, v98, 0
	s_delay_alu instid0(VALU_DEP_1) | instskip(NEXT) | instid1(VALU_DEP_1)
	v_fmac_f32_e32 v3, v72, v99
	v_fmac_f32_e32 v3, v73, v100
	s_waitcnt vmcnt(6)
	s_delay_alu instid0(VALU_DEP_1) | instskip(SKIP_3) | instid1(VALU_DEP_1)
	v_fmac_f32_e32 v3, v74, v101
	ds_load_b128 v[71:74], v2 offset:192
	s_waitcnt lgkmcnt(1)
	v_fmac_f32_e32 v3, v75, v102
	v_fmac_f32_e32 v3, v76, v103
	s_delay_alu instid0(VALU_DEP_1) | instskip(SKIP_1) | instid1(VALU_DEP_1)
	v_fmac_f32_e32 v3, v77, v104
	s_waitcnt vmcnt(5)
	v_fmac_f32_e32 v3, v78, v105
	ds_load_b128 v[75:78], v2 offset:208
	s_waitcnt lgkmcnt(1)
	v_fmac_f32_e32 v3, v79, v71
	s_delay_alu instid0(VALU_DEP_1) | instskip(NEXT) | instid1(VALU_DEP_1)
	v_fmac_f32_e32 v3, v80, v72
	v_fmac_f32_e32 v3, v81, v73
	s_waitcnt vmcnt(4)
	s_delay_alu instid0(VALU_DEP_1) | instskip(SKIP_3) | instid1(VALU_DEP_1)
	v_fmac_f32_e32 v3, v82, v74
	ds_load_b128 v[71:74], v2 offset:224
	s_waitcnt lgkmcnt(1)
	v_fmac_f32_e32 v3, v83, v75
	v_fmac_f32_e32 v3, v84, v76
	s_delay_alu instid0(VALU_DEP_1) | instskip(SKIP_1) | instid1(VALU_DEP_1)
	v_fmac_f32_e32 v3, v85, v77
	s_waitcnt vmcnt(3)
	v_fmac_f32_e32 v3, v86, v78
	ds_load_b128 v[75:78], v2 offset:240
	s_waitcnt lgkmcnt(1)
	v_fmac_f32_e32 v3, v87, v71
	s_delay_alu instid0(VALU_DEP_1) | instskip(NEXT) | instid1(VALU_DEP_1)
	v_fmac_f32_e32 v3, v88, v72
	v_fmac_f32_e32 v3, v89, v73
	s_waitcnt vmcnt(2)
	s_delay_alu instid0(VALU_DEP_1)
	v_fmac_f32_e32 v3, v90, v74
	ds_load_b128 v[71:74], v2 offset:256
	s_waitcnt lgkmcnt(1)
	v_fmac_f32_e32 v3, v91, v75
	ds_load_b32 v75, v2 offset:272
	v_fmac_f32_e32 v3, v92, v76
	s_delay_alu instid0(VALU_DEP_1) | instskip(SKIP_1) | instid1(VALU_DEP_1)
	v_fmac_f32_e32 v3, v93, v77
	s_waitcnt vmcnt(1)
	v_fmac_f32_e32 v3, v94, v78
	s_waitcnt lgkmcnt(1)
	s_delay_alu instid0(VALU_DEP_1) | instskip(NEXT) | instid1(VALU_DEP_1)
	v_fmac_f32_e32 v3, v95, v71
	v_fmac_f32_e32 v3, v96, v72
	s_delay_alu instid0(VALU_DEP_1) | instskip(SKIP_1) | instid1(VALU_DEP_1)
	v_fmac_f32_e32 v3, v97, v73
	s_waitcnt vmcnt(0)
	v_fmac_f32_e32 v3, v106, v74
	s_waitcnt lgkmcnt(0)
	s_delay_alu instid0(VALU_DEP_1) | instskip(NEXT) | instid1(VALU_DEP_1)
	v_fmac_f32_e32 v3, v107, v75
	v_sub_f32_e32 v3, v70, v3
	scratch_store_b32 off, v3, off offset:12
	v_cmpx_lt_u32_e32 2, v0
	s_cbranch_execz .LBB32_201
; %bb.200:
	scratch_load_b32 v3, off, off offset:8
	scratch_store_b32 off, v2, off offset:8
	s_waitcnt vmcnt(0)
	ds_store_b32 v1, v3
.LBB32_201:
	s_or_b32 exec_lo, exec_lo, s0
	s_waitcnt lgkmcnt(0)
	s_waitcnt_vscnt null, 0x0
	s_barrier
	buffer_gl0_inv
	s_clause 0x7
	scratch_load_b128 v[70:73], off, off offset:8
	scratch_load_b128 v[74:77], off, off offset:24
	;; [unrolled: 1-line block ×7, first 2 shown]
	scratch_load_b96 v[98:100], off, off offset:120
	ds_load_2addr_b32 v[101:102], v2 offset0:39 offset1:40
	ds_load_2addr_b32 v[103:104], v2 offset0:41 offset1:42
	ds_load_2addr_b32 v[105:106], v2 offset0:43 offset1:44
	ds_load_2addr_b32 v[107:108], v2 offset0:45 offset1:46
	s_mov_b32 s0, exec_lo
	s_waitcnt vmcnt(7) lgkmcnt(3)
	v_fma_f32 v101, v71, v101, 0
	s_delay_alu instid0(VALU_DEP_1) | instskip(SKIP_4) | instid1(VALU_DEP_1)
	v_fmac_f32_e32 v101, v72, v102
	ds_load_2addr_b32 v[71:72], v2 offset0:47 offset1:48
	s_waitcnt lgkmcnt(3)
	v_fmac_f32_e32 v101, v73, v103
	s_waitcnt vmcnt(6)
	v_fmac_f32_e32 v101, v74, v104
	ds_load_2addr_b32 v[73:74], v2 offset0:49 offset1:50
	s_waitcnt lgkmcnt(3)
	v_fmac_f32_e32 v101, v75, v105
	s_delay_alu instid0(VALU_DEP_1) | instskip(SKIP_1) | instid1(VALU_DEP_1)
	v_fmac_f32_e32 v101, v76, v106
	s_waitcnt lgkmcnt(2)
	v_fmac_f32_e32 v101, v77, v107
	s_waitcnt vmcnt(5)
	s_delay_alu instid0(VALU_DEP_1) | instskip(SKIP_4) | instid1(VALU_DEP_1)
	v_fmac_f32_e32 v101, v78, v108
	ds_load_2addr_b32 v[75:76], v2 offset0:51 offset1:52
	ds_load_2addr_b32 v[77:78], v2 offset0:53 offset1:54
	s_waitcnt lgkmcnt(3)
	v_fmac_f32_e32 v101, v79, v71
	v_fmac_f32_e32 v101, v80, v72
	ds_load_2addr_b32 v[71:72], v2 offset0:55 offset1:56
	s_waitcnt lgkmcnt(3)
	v_fmac_f32_e32 v101, v81, v73
	s_waitcnt vmcnt(4)
	s_delay_alu instid0(VALU_DEP_1) | instskip(SKIP_3) | instid1(VALU_DEP_1)
	v_fmac_f32_e32 v101, v82, v74
	ds_load_2addr_b32 v[73:74], v2 offset0:57 offset1:58
	s_waitcnt lgkmcnt(3)
	v_fmac_f32_e32 v101, v83, v75
	v_fmac_f32_e32 v101, v84, v76
	s_waitcnt lgkmcnt(2)
	s_delay_alu instid0(VALU_DEP_1) | instskip(SKIP_1) | instid1(VALU_DEP_1)
	v_fmac_f32_e32 v101, v85, v77
	s_waitcnt vmcnt(3)
	v_fmac_f32_e32 v101, v86, v78
	ds_load_2addr_b32 v[75:76], v2 offset0:59 offset1:60
	ds_load_2addr_b32 v[77:78], v2 offset0:61 offset1:62
	s_waitcnt lgkmcnt(3)
	v_fmac_f32_e32 v101, v87, v71
	s_delay_alu instid0(VALU_DEP_1) | instskip(SKIP_4) | instid1(VALU_DEP_1)
	v_fmac_f32_e32 v101, v88, v72
	ds_load_2addr_b32 v[71:72], v2 offset0:63 offset1:64
	s_waitcnt lgkmcnt(3)
	v_fmac_f32_e32 v101, v89, v73
	s_waitcnt vmcnt(2)
	v_fmac_f32_e32 v101, v90, v74
	ds_load_2addr_b32 v[73:74], v2 offset0:65 offset1:66
	ds_load_2addr_b32 v[2:3], v2 offset0:67 offset1:68
	s_waitcnt lgkmcnt(4)
	v_fmac_f32_e32 v101, v91, v75
	s_delay_alu instid0(VALU_DEP_1) | instskip(SKIP_1) | instid1(VALU_DEP_1)
	v_fmac_f32_e32 v101, v92, v76
	s_waitcnt lgkmcnt(3)
	v_fmac_f32_e32 v101, v93, v77
	s_waitcnt vmcnt(1)
	s_delay_alu instid0(VALU_DEP_1) | instskip(SKIP_1) | instid1(VALU_DEP_1)
	v_fmac_f32_e32 v101, v94, v78
	s_waitcnt lgkmcnt(2)
	v_fmac_f32_e32 v101, v95, v71
	s_delay_alu instid0(VALU_DEP_1) | instskip(SKIP_1) | instid1(VALU_DEP_1)
	v_fmac_f32_e32 v101, v96, v72
	s_waitcnt lgkmcnt(1)
	v_fmac_f32_e32 v101, v97, v73
	s_waitcnt vmcnt(0)
	s_delay_alu instid0(VALU_DEP_1) | instskip(SKIP_1) | instid1(VALU_DEP_1)
	v_fmac_f32_e32 v101, v98, v74
	s_waitcnt lgkmcnt(0)
	v_fmac_f32_e32 v101, v99, v2
	s_delay_alu instid0(VALU_DEP_1) | instskip(NEXT) | instid1(VALU_DEP_1)
	v_fmac_f32_e32 v101, v100, v3
	v_sub_f32_e32 v2, v70, v101
	scratch_store_b32 off, v2, off offset:8
	v_cmpx_lt_u32_e32 1, v0
	s_cbranch_execz .LBB32_203
; %bb.202:
	scratch_load_b32 v2, off, off offset:4
	v_mov_b32_e32 v3, 0
	scratch_store_b32 off, v3, off offset:4
	s_waitcnt vmcnt(0)
	ds_store_b32 v1, v2
.LBB32_203:
	s_or_b32 exec_lo, exec_lo, s0
	s_waitcnt lgkmcnt(0)
	s_waitcnt_vscnt null, 0x0
	s_barrier
	buffer_gl0_inv
	s_clause 0x7
	scratch_load_b128 v[71:74], off, off offset:4
	scratch_load_b128 v[75:78], off, off offset:20
	;; [unrolled: 1-line block ×8, first 2 shown]
	v_mov_b32_e32 v70, 0
	ds_load_2addr_b64 v[103:106], v70 offset0:19 offset1:20
	ds_load_2addr_b64 v[107:110], v70 offset0:21 offset1:22
	s_mov_b32 s0, exec_lo
	s_waitcnt vmcnt(7) lgkmcnt(1)
	v_fma_f32 v103, v72, v103, 0
	s_delay_alu instid0(VALU_DEP_1) | instskip(SKIP_3) | instid1(VALU_DEP_1)
	v_fmac_f32_e32 v103, v73, v104
	ds_load_b64 v[2:3], v70 offset:264
	v_fmac_f32_e32 v103, v74, v105
	s_waitcnt vmcnt(6)
	v_fmac_f32_e32 v103, v75, v106
	ds_load_2addr_b64 v[72:75], v70 offset0:23 offset1:24
	s_waitcnt lgkmcnt(2)
	v_fmac_f32_e32 v103, v76, v107
	s_delay_alu instid0(VALU_DEP_1) | instskip(NEXT) | instid1(VALU_DEP_1)
	v_fmac_f32_e32 v103, v77, v108
	v_fmac_f32_e32 v103, v78, v109
	s_waitcnt vmcnt(5)
	s_delay_alu instid0(VALU_DEP_1) | instskip(SKIP_3) | instid1(VALU_DEP_1)
	v_fmac_f32_e32 v103, v79, v110
	ds_load_2addr_b64 v[76:79], v70 offset0:25 offset1:26
	s_waitcnt lgkmcnt(1)
	v_fmac_f32_e32 v103, v80, v72
	v_fmac_f32_e32 v103, v81, v73
	s_delay_alu instid0(VALU_DEP_1) | instskip(SKIP_1) | instid1(VALU_DEP_1)
	v_fmac_f32_e32 v103, v82, v74
	s_waitcnt vmcnt(4)
	v_fmac_f32_e32 v103, v83, v75
	ds_load_2addr_b64 v[72:75], v70 offset0:27 offset1:28
	s_waitcnt lgkmcnt(1)
	v_fmac_f32_e32 v103, v84, v76
	s_delay_alu instid0(VALU_DEP_1) | instskip(NEXT) | instid1(VALU_DEP_1)
	v_fmac_f32_e32 v103, v85, v77
	v_fmac_f32_e32 v103, v86, v78
	s_waitcnt vmcnt(3)
	s_delay_alu instid0(VALU_DEP_1) | instskip(SKIP_3) | instid1(VALU_DEP_1)
	v_fmac_f32_e32 v103, v87, v79
	ds_load_2addr_b64 v[76:79], v70 offset0:29 offset1:30
	s_waitcnt lgkmcnt(1)
	v_fmac_f32_e32 v103, v88, v72
	v_fmac_f32_e32 v103, v89, v73
	s_delay_alu instid0(VALU_DEP_1) | instskip(SKIP_1) | instid1(VALU_DEP_1)
	v_fmac_f32_e32 v103, v90, v74
	s_waitcnt vmcnt(2)
	v_fmac_f32_e32 v103, v91, v75
	ds_load_2addr_b64 v[72:75], v70 offset0:31 offset1:32
	s_waitcnt lgkmcnt(1)
	v_fmac_f32_e32 v103, v92, v76
	s_delay_alu instid0(VALU_DEP_1) | instskip(NEXT) | instid1(VALU_DEP_1)
	v_fmac_f32_e32 v103, v93, v77
	v_fmac_f32_e32 v103, v94, v78
	s_waitcnt vmcnt(1)
	s_delay_alu instid0(VALU_DEP_1) | instskip(SKIP_1) | instid1(VALU_DEP_1)
	v_fmac_f32_e32 v103, v95, v79
	s_waitcnt lgkmcnt(0)
	v_fmac_f32_e32 v103, v96, v72
	ds_load_b32 v72, v70 offset:272
	v_fmac_f32_e32 v103, v97, v73
	s_delay_alu instid0(VALU_DEP_1) | instskip(SKIP_1) | instid1(VALU_DEP_1)
	v_fmac_f32_e32 v103, v98, v74
	s_waitcnt vmcnt(0)
	v_fmac_f32_e32 v103, v99, v75
	s_delay_alu instid0(VALU_DEP_1) | instskip(NEXT) | instid1(VALU_DEP_1)
	v_fmac_f32_e32 v103, v100, v2
	v_fmac_f32_e32 v103, v101, v3
	s_waitcnt lgkmcnt(0)
	s_delay_alu instid0(VALU_DEP_1) | instskip(NEXT) | instid1(VALU_DEP_1)
	v_fmac_f32_e32 v103, v102, v72
	v_sub_f32_e32 v2, v71, v103
	scratch_store_b32 off, v2, off offset:4
	v_cmpx_ne_u32_e32 0, v0
	s_cbranch_execz .LBB32_205
; %bb.204:
	scratch_load_b32 v0, off, off
	scratch_store_b32 off, v70, off
	s_waitcnt vmcnt(0)
	ds_store_b32 v1, v0
.LBB32_205:
	s_or_b32 exec_lo, exec_lo, s0
	s_waitcnt lgkmcnt(0)
	s_waitcnt_vscnt null, 0x0
	s_barrier
	buffer_gl0_inv
	s_clause 0x8
	scratch_load_b128 v[71:74], off, off
	scratch_load_b128 v[75:78], off, off offset:16
	scratch_load_b128 v[79:82], off, off offset:32
	;; [unrolled: 1-line block ×7, first 2 shown]
	scratch_load_b32 v107, off, off offset:128
	ds_load_2addr_b32 v[99:100], v70 offset0:37 offset1:38
	ds_load_2addr_b32 v[101:102], v70 offset0:39 offset1:40
	;; [unrolled: 1-line block ×4, first 2 shown]
	s_and_b32 vcc_lo, exec_lo, s16
	s_waitcnt vmcnt(8) lgkmcnt(3)
	v_fma_f32 v99, v72, v99, 0
	s_delay_alu instid0(VALU_DEP_1) | instskip(SKIP_4) | instid1(VALU_DEP_1)
	v_fmac_f32_e32 v99, v73, v100
	ds_load_2addr_b32 v[72:73], v70 offset0:45 offset1:46
	s_waitcnt lgkmcnt(3)
	v_fmac_f32_e32 v99, v74, v101
	s_waitcnt vmcnt(7)
	v_fmac_f32_e32 v99, v75, v102
	ds_load_2addr_b32 v[74:75], v70 offset0:47 offset1:48
	s_waitcnt lgkmcnt(3)
	v_fmac_f32_e32 v99, v76, v103
	s_delay_alu instid0(VALU_DEP_1) | instskip(SKIP_1) | instid1(VALU_DEP_1)
	v_fmac_f32_e32 v99, v77, v104
	s_waitcnt lgkmcnt(2)
	v_fmac_f32_e32 v99, v78, v105
	s_waitcnt vmcnt(6)
	s_delay_alu instid0(VALU_DEP_1) | instskip(SKIP_4) | instid1(VALU_DEP_1)
	v_fmac_f32_e32 v99, v79, v106
	ds_load_2addr_b32 v[76:77], v70 offset0:49 offset1:50
	ds_load_2addr_b32 v[78:79], v70 offset0:51 offset1:52
	s_waitcnt lgkmcnt(3)
	v_fmac_f32_e32 v99, v80, v72
	v_fmac_f32_e32 v99, v81, v73
	ds_load_2addr_b32 v[72:73], v70 offset0:53 offset1:54
	s_waitcnt lgkmcnt(3)
	v_fmac_f32_e32 v99, v82, v74
	s_waitcnt vmcnt(5)
	s_delay_alu instid0(VALU_DEP_1) | instskip(SKIP_3) | instid1(VALU_DEP_1)
	v_fmac_f32_e32 v99, v83, v75
	ds_load_2addr_b32 v[74:75], v70 offset0:55 offset1:56
	s_waitcnt lgkmcnt(3)
	v_fmac_f32_e32 v99, v84, v76
	v_fmac_f32_e32 v99, v85, v77
	s_waitcnt lgkmcnt(2)
	s_delay_alu instid0(VALU_DEP_1) | instskip(SKIP_1) | instid1(VALU_DEP_1)
	v_fmac_f32_e32 v99, v86, v78
	s_waitcnt vmcnt(4)
	v_fmac_f32_e32 v99, v87, v79
	ds_load_2addr_b32 v[76:77], v70 offset0:57 offset1:58
	ds_load_2addr_b32 v[78:79], v70 offset0:59 offset1:60
	s_waitcnt lgkmcnt(3)
	v_fmac_f32_e32 v99, v88, v72
	s_delay_alu instid0(VALU_DEP_1) | instskip(SKIP_4) | instid1(VALU_DEP_1)
	v_fmac_f32_e32 v99, v89, v73
	ds_load_2addr_b32 v[72:73], v70 offset0:61 offset1:62
	s_waitcnt lgkmcnt(3)
	v_fmac_f32_e32 v99, v90, v74
	s_waitcnt vmcnt(3)
	v_fmac_f32_e32 v99, v91, v75
	ds_load_2addr_b32 v[74:75], v70 offset0:63 offset1:64
	s_waitcnt lgkmcnt(3)
	v_fmac_f32_e32 v99, v92, v76
	s_delay_alu instid0(VALU_DEP_1) | instskip(SKIP_1) | instid1(VALU_DEP_1)
	v_fmac_f32_e32 v99, v93, v77
	s_waitcnt lgkmcnt(2)
	v_fmac_f32_e32 v99, v94, v78
	s_waitcnt vmcnt(2)
	s_delay_alu instid0(VALU_DEP_1) | instskip(SKIP_4) | instid1(VALU_DEP_1)
	v_fmac_f32_e32 v99, v95, v79
	ds_load_2addr_b32 v[76:77], v70 offset0:65 offset1:66
	ds_load_2addr_b32 v[78:79], v70 offset0:67 offset1:68
	s_waitcnt lgkmcnt(3)
	v_fmac_f32_e32 v99, v96, v72
	v_fmac_f32_e32 v99, v97, v73
	s_waitcnt lgkmcnt(2)
	s_delay_alu instid0(VALU_DEP_1) | instskip(SKIP_1) | instid1(VALU_DEP_1)
	v_fmac_f32_e32 v99, v98, v74
	s_waitcnt vmcnt(1)
	v_fmac_f32_e32 v99, v0, v75
	s_waitcnt lgkmcnt(1)
	s_delay_alu instid0(VALU_DEP_1) | instskip(NEXT) | instid1(VALU_DEP_1)
	v_fmac_f32_e32 v99, v1, v76
	v_fmac_f32_e32 v99, v2, v77
	s_waitcnt lgkmcnt(0)
	s_delay_alu instid0(VALU_DEP_1) | instskip(SKIP_1) | instid1(VALU_DEP_1)
	v_fmac_f32_e32 v99, v3, v78
	s_waitcnt vmcnt(0)
	v_fmac_f32_e32 v99, v107, v79
	s_delay_alu instid0(VALU_DEP_1)
	v_sub_f32_e32 v0, v71, v99
	scratch_store_b32 off, v0, off
	s_cbranch_vccz .LBB32_271
; %bb.206:
	v_dual_mov_b32 v0, s12 :: v_dual_mov_b32 v1, s13
	s_mov_b32 s0, exec_lo
	flat_load_b32 v0, v[0:1] offset:124
	s_waitcnt vmcnt(0) lgkmcnt(0)
	v_cmpx_ne_u32_e32 32, v0
	s_cbranch_execz .LBB32_208
; %bb.207:
	v_lshl_add_u32 v0, v0, 2, 0
	scratch_load_b32 v1, v0, off offset:-4
	s_waitcnt vmcnt(0)
	scratch_store_b32 off, v1, off offset:124
	scratch_store_b32 v0, v3, off offset:-4
.LBB32_208:
	s_or_b32 exec_lo, exec_lo, s0
	v_dual_mov_b32 v0, s12 :: v_dual_mov_b32 v1, s13
	s_mov_b32 s0, exec_lo
	flat_load_b32 v0, v[0:1] offset:120
	s_waitcnt vmcnt(0) lgkmcnt(0)
	v_cmpx_ne_u32_e32 31, v0
	s_cbranch_execz .LBB32_210
; %bb.209:
	v_lshl_add_u32 v0, v0, 2, 0
	scratch_load_b32 v1, v0, off offset:-4
	scratch_load_b32 v2, off, off offset:120
	s_waitcnt vmcnt(1)
	scratch_store_b32 off, v1, off offset:120
	s_waitcnt vmcnt(0)
	scratch_store_b32 v0, v2, off offset:-4
.LBB32_210:
	s_or_b32 exec_lo, exec_lo, s0
	v_dual_mov_b32 v0, s12 :: v_dual_mov_b32 v1, s13
	s_mov_b32 s0, exec_lo
	flat_load_b32 v0, v[0:1] offset:116
	s_waitcnt vmcnt(0) lgkmcnt(0)
	v_cmpx_ne_u32_e32 30, v0
	s_cbranch_execz .LBB32_212
; %bb.211:
	v_lshl_add_u32 v0, v0, 2, 0
	scratch_load_b32 v1, v0, off offset:-4
	scratch_load_b32 v2, off, off offset:116
	s_waitcnt vmcnt(1)
	scratch_store_b32 off, v1, off offset:116
	s_waitcnt vmcnt(0)
	scratch_store_b32 v0, v2, off offset:-4
.LBB32_212:
	;; [unrolled: 16-line block ×30, first 2 shown]
	s_or_b32 exec_lo, exec_lo, s0
	v_dual_mov_b32 v0, s12 :: v_dual_mov_b32 v1, s13
	s_mov_b32 s0, exec_lo
	flat_load_b32 v1, v[0:1]
	scratch_load_b32 v0, off, off
	s_waitcnt vmcnt(1) lgkmcnt(0)
	v_cmpx_ne_u32_e32 1, v1
	s_cbranch_execz .LBB32_270
; %bb.269:
	v_lshl_add_u32 v1, v1, 2, 0
	scratch_load_b32 v2, v1, off offset:-4
	s_waitcnt vmcnt(0)
	scratch_store_b32 off, v2, off
	scratch_store_b32 v1, v0, off offset:-4
	scratch_load_b32 v0, off, off
.LBB32_270:
	s_or_b32 exec_lo, exec_lo, s0
.LBB32_271:
	s_clause 0x7
	scratch_load_b128 v[70:73], off, off offset:4
	scratch_load_b128 v[74:77], off, off offset:20
	;; [unrolled: 1-line block ×8, first 2 shown]
	s_waitcnt vmcnt(8)
	global_store_b32 v[4:5], v0, off
	s_waitcnt vmcnt(7)
	s_clause 0x3
	global_store_b32 v[6:7], v70, off
	global_store_b32 v[8:9], v71, off
	global_store_b32 v[10:11], v72, off
	global_store_b32 v[12:13], v73, off
	s_waitcnt vmcnt(6)
	s_clause 0x3
	global_store_b32 v[14:15], v74, off
	global_store_b32 v[16:17], v75, off
	global_store_b32 v[18:19], v76, off
	;; [unrolled: 6-line block ×8, first 2 shown]
	global_store_b32 v[68:69], v101, off
	s_endpgm
	.section	.rodata,"a",@progbits
	.p2align	6, 0x0
	.amdhsa_kernel _ZN9rocsolver6v33100L18getri_kernel_smallILi33EfPfEEvT1_iilPiilS4_bb
		.amdhsa_group_segment_fixed_size 276
		.amdhsa_private_segment_fixed_size 144
		.amdhsa_kernarg_size 60
		.amdhsa_user_sgpr_count 15
		.amdhsa_user_sgpr_dispatch_ptr 0
		.amdhsa_user_sgpr_queue_ptr 0
		.amdhsa_user_sgpr_kernarg_segment_ptr 1
		.amdhsa_user_sgpr_dispatch_id 0
		.amdhsa_user_sgpr_private_segment_size 0
		.amdhsa_wavefront_size32 1
		.amdhsa_uses_dynamic_stack 0
		.amdhsa_enable_private_segment 1
		.amdhsa_system_sgpr_workgroup_id_x 1
		.amdhsa_system_sgpr_workgroup_id_y 0
		.amdhsa_system_sgpr_workgroup_id_z 0
		.amdhsa_system_sgpr_workgroup_info 0
		.amdhsa_system_vgpr_workitem_id 0
		.amdhsa_next_free_vgpr 111
		.amdhsa_next_free_sgpr 18
		.amdhsa_reserve_vcc 1
		.amdhsa_float_round_mode_32 0
		.amdhsa_float_round_mode_16_64 0
		.amdhsa_float_denorm_mode_32 3
		.amdhsa_float_denorm_mode_16_64 3
		.amdhsa_dx10_clamp 1
		.amdhsa_ieee_mode 1
		.amdhsa_fp16_overflow 0
		.amdhsa_workgroup_processor_mode 1
		.amdhsa_memory_ordered 1
		.amdhsa_forward_progress 0
		.amdhsa_shared_vgpr_count 0
		.amdhsa_exception_fp_ieee_invalid_op 0
		.amdhsa_exception_fp_denorm_src 0
		.amdhsa_exception_fp_ieee_div_zero 0
		.amdhsa_exception_fp_ieee_overflow 0
		.amdhsa_exception_fp_ieee_underflow 0
		.amdhsa_exception_fp_ieee_inexact 0
		.amdhsa_exception_int_div_zero 0
	.end_amdhsa_kernel
	.section	.text._ZN9rocsolver6v33100L18getri_kernel_smallILi33EfPfEEvT1_iilPiilS4_bb,"axG",@progbits,_ZN9rocsolver6v33100L18getri_kernel_smallILi33EfPfEEvT1_iilPiilS4_bb,comdat
.Lfunc_end32:
	.size	_ZN9rocsolver6v33100L18getri_kernel_smallILi33EfPfEEvT1_iilPiilS4_bb, .Lfunc_end32-_ZN9rocsolver6v33100L18getri_kernel_smallILi33EfPfEEvT1_iilPiilS4_bb
                                        ; -- End function
	.section	.AMDGPU.csdata,"",@progbits
; Kernel info:
; codeLenInByte = 20880
; NumSgprs: 20
; NumVgprs: 111
; ScratchSize: 144
; MemoryBound: 0
; FloatMode: 240
; IeeeMode: 1
; LDSByteSize: 276 bytes/workgroup (compile time only)
; SGPRBlocks: 2
; VGPRBlocks: 13
; NumSGPRsForWavesPerEU: 20
; NumVGPRsForWavesPerEU: 111
; Occupancy: 12
; WaveLimiterHint : 1
; COMPUTE_PGM_RSRC2:SCRATCH_EN: 1
; COMPUTE_PGM_RSRC2:USER_SGPR: 15
; COMPUTE_PGM_RSRC2:TRAP_HANDLER: 0
; COMPUTE_PGM_RSRC2:TGID_X_EN: 1
; COMPUTE_PGM_RSRC2:TGID_Y_EN: 0
; COMPUTE_PGM_RSRC2:TGID_Z_EN: 0
; COMPUTE_PGM_RSRC2:TIDIG_COMP_CNT: 0
	.section	.text._ZN9rocsolver6v33100L18getri_kernel_smallILi34EfPfEEvT1_iilPiilS4_bb,"axG",@progbits,_ZN9rocsolver6v33100L18getri_kernel_smallILi34EfPfEEvT1_iilPiilS4_bb,comdat
	.globl	_ZN9rocsolver6v33100L18getri_kernel_smallILi34EfPfEEvT1_iilPiilS4_bb ; -- Begin function _ZN9rocsolver6v33100L18getri_kernel_smallILi34EfPfEEvT1_iilPiilS4_bb
	.p2align	8
	.type	_ZN9rocsolver6v33100L18getri_kernel_smallILi34EfPfEEvT1_iilPiilS4_bb,@function
_ZN9rocsolver6v33100L18getri_kernel_smallILi34EfPfEEvT1_iilPiilS4_bb: ; @_ZN9rocsolver6v33100L18getri_kernel_smallILi34EfPfEEvT1_iilPiilS4_bb
; %bb.0:
	s_mov_b32 s2, exec_lo
	v_cmpx_gt_u32_e32 34, v0
	s_cbranch_execz .LBB33_144
; %bb.1:
	s_clause 0x2
	s_load_b32 s17, s[0:1], 0x38
	s_load_b128 s[8:11], s[0:1], 0x10
	s_load_b128 s[4:7], s[0:1], 0x28
	s_mov_b32 s14, s15
                                        ; implicit-def: $sgpr12_sgpr13
	s_waitcnt lgkmcnt(0)
	s_bitcmp1_b32 s17, 8
	s_cselect_b32 s16, -1, 0
	s_bfe_u32 s2, s17, 0x10008
	s_ashr_i32 s15, s15, 31
	s_cmp_eq_u32 s2, 0
	s_cbranch_scc1 .LBB33_3
; %bb.2:
	s_load_b32 s2, s[0:1], 0x20
	s_mul_i32 s3, s14, s5
	s_mul_hi_u32 s5, s14, s4
	s_mul_i32 s12, s15, s4
	s_add_i32 s3, s5, s3
	s_mul_i32 s4, s14, s4
	s_add_i32 s5, s3, s12
	s_delay_alu instid0(SALU_CYCLE_1)
	s_lshl_b64 s[4:5], s[4:5], 2
	s_waitcnt lgkmcnt(0)
	s_ashr_i32 s3, s2, 31
	s_add_u32 s4, s10, s4
	s_addc_u32 s5, s11, s5
	s_lshl_b64 s[2:3], s[2:3], 2
	s_delay_alu instid0(SALU_CYCLE_1)
	s_add_u32 s12, s4, s2
	s_addc_u32 s13, s5, s3
.LBB33_3:
	s_load_b128 s[0:3], s[0:1], 0x0
	s_mul_i32 s4, s14, s9
	s_mul_hi_u32 s5, s14, s8
	s_mul_i32 s9, s15, s8
	s_add_i32 s5, s5, s4
	s_mul_i32 s4, s14, s8
	s_add_i32 s5, s5, s9
	v_lshlrev_b32_e32 v73, 2, v0
	s_lshl_b64 s[4:5], s[4:5], 2
	s_waitcnt lgkmcnt(0)
	v_add3_u32 v2, s3, s3, v0
	s_ashr_i32 s9, s2, 31
	s_mov_b32 s8, s2
	s_add_u32 s2, s0, s4
	s_addc_u32 s5, s1, s5
	v_add_nc_u32_e32 v9, s3, v2
	s_lshl_b64 s[0:1], s[8:9], 2
	v_ashrrev_i32_e32 v3, 31, v2
	s_add_u32 s0, s2, s0
	s_addc_u32 s1, s5, s1
	v_add_nc_u32_e32 v11, s3, v9
	v_add_co_u32 v5, s2, s0, v73
	s_mov_b32 s4, s3
	s_ashr_i32 s5, s3, 31
	s_delay_alu instid0(VALU_DEP_2) | instskip(SKIP_3) | instid1(VALU_DEP_4)
	v_add_nc_u32_e32 v15, s3, v11
	v_add_co_ci_u32_e64 v6, null, s1, 0, s2
	v_lshlrev_b64 v[2:3], 2, v[2:3]
	v_ashrrev_i32_e32 v10, 31, v9
	v_add_nc_u32_e32 v17, s3, v15
	s_lshl_b64 s[4:5], s[4:5], 2
	v_ashrrev_i32_e32 v12, 31, v11
	v_add_co_u32 v7, vcc_lo, v5, s4
	s_delay_alu instid0(VALU_DEP_3)
	v_add_nc_u32_e32 v19, s3, v17
	v_add_co_ci_u32_e32 v8, vcc_lo, s5, v6, vcc_lo
	v_lshlrev_b64 v[13:14], 2, v[9:10]
	v_add_co_u32 v9, vcc_lo, s0, v2
	v_add_co_ci_u32_e32 v10, vcc_lo, s1, v3, vcc_lo
	v_lshlrev_b64 v[2:3], 2, v[11:12]
	v_ashrrev_i32_e32 v16, 31, v15
	v_add_nc_u32_e32 v21, s3, v19
	v_add_co_u32 v11, vcc_lo, s0, v13
	v_ashrrev_i32_e32 v18, 31, v17
	v_add_co_ci_u32_e32 v12, vcc_lo, s1, v14, vcc_lo
	v_lshlrev_b64 v[15:16], 2, v[15:16]
	v_add_nc_u32_e32 v23, s3, v21
	v_add_co_u32 v13, vcc_lo, s0, v2
	v_add_co_ci_u32_e32 v14, vcc_lo, s1, v3, vcc_lo
	v_lshlrev_b64 v[2:3], 2, v[17:18]
	v_ashrrev_i32_e32 v20, 31, v19
	v_add_nc_u32_e32 v25, s3, v23
	v_add_co_u32 v15, vcc_lo, s0, v15
	v_ashrrev_i32_e32 v22, 31, v21
	v_add_co_ci_u32_e32 v16, vcc_lo, s1, v16, vcc_lo
	v_lshlrev_b64 v[19:20], 2, v[19:20]
	v_add_co_u32 v17, vcc_lo, s0, v2
	v_add_nc_u32_e32 v27, s3, v25
	v_add_co_ci_u32_e32 v18, vcc_lo, s1, v3, vcc_lo
	v_lshlrev_b64 v[2:3], 2, v[21:22]
	v_ashrrev_i32_e32 v24, 31, v23
	v_add_co_u32 v19, vcc_lo, s0, v19
	v_ashrrev_i32_e32 v26, 31, v25
	v_add_nc_u32_e32 v30, s3, v27
	v_add_co_ci_u32_e32 v20, vcc_lo, s1, v20, vcc_lo
	v_lshlrev_b64 v[23:24], 2, v[23:24]
	v_add_co_u32 v21, vcc_lo, s0, v2
	v_ashrrev_i32_e32 v28, 31, v27
	v_add_co_ci_u32_e32 v22, vcc_lo, s1, v3, vcc_lo
	v_lshlrev_b64 v[2:3], 2, v[25:26]
	v_add_nc_u32_e32 v32, s3, v30
	v_add_co_u32 v23, vcc_lo, s0, v23
	v_lshlrev_b64 v[28:29], 2, v[27:28]
	v_add_co_ci_u32_e32 v24, vcc_lo, s1, v24, vcc_lo
	v_add_co_u32 v25, vcc_lo, s0, v2
	v_ashrrev_i32_e32 v31, 31, v30
	v_ashrrev_i32_e32 v33, 31, v32
	v_add_nc_u32_e32 v34, s3, v32
	v_add_co_ci_u32_e32 v26, vcc_lo, s1, v3, vcc_lo
	v_add_co_u32 v27, vcc_lo, s0, v28
	v_add_co_ci_u32_e32 v28, vcc_lo, s1, v29, vcc_lo
	v_lshlrev_b64 v[29:30], 2, v[30:31]
	v_lshlrev_b64 v[31:32], 2, v[32:33]
	v_add_nc_u32_e32 v33, s3, v34
	v_ashrrev_i32_e32 v35, 31, v34
	s_clause 0x8
	global_load_b32 v1, v73, s[0:1]
	global_load_b32 v2, v[7:8], off
	global_load_b32 v3, v[9:10], off
	;; [unrolled: 1-line block ×8, first 2 shown]
	v_add_co_u32 v29, vcc_lo, s0, v29
	v_add_nc_u32_e32 v37, s3, v33
	v_lshlrev_b64 v[35:36], 2, v[34:35]
	v_ashrrev_i32_e32 v34, 31, v33
	v_add_co_ci_u32_e32 v30, vcc_lo, s1, v30, vcc_lo
	s_delay_alu instid0(VALU_DEP_4) | instskip(SKIP_1) | instid1(VALU_DEP_4)
	v_add_nc_u32_e32 v41, s3, v37
	v_add_co_u32 v31, vcc_lo, s0, v31
	v_lshlrev_b64 v[39:40], 2, v[33:34]
	v_add_co_ci_u32_e32 v32, vcc_lo, s1, v32, vcc_lo
	v_add_co_u32 v33, vcc_lo, s0, v35
	v_ashrrev_i32_e32 v42, 31, v41
	v_add_nc_u32_e32 v43, s3, v41
	v_add_co_ci_u32_e32 v34, vcc_lo, s1, v36, vcc_lo
	v_add_co_u32 v35, vcc_lo, s0, v39
	v_add_co_ci_u32_e32 v36, vcc_lo, s1, v40, vcc_lo
	v_lshlrev_b64 v[39:40], 2, v[41:42]
	v_add_nc_u32_e32 v41, s3, v43
	v_ashrrev_i32_e32 v38, 31, v37
	v_ashrrev_i32_e32 v44, 31, v43
	s_bitcmp0_b32 s17, 0
	s_delay_alu instid0(VALU_DEP_3) | instskip(NEXT) | instid1(VALU_DEP_3)
	v_add_nc_u32_e32 v45, s3, v41
	v_lshlrev_b64 v[37:38], 2, v[37:38]
	v_ashrrev_i32_e32 v42, 31, v41
	v_lshlrev_b64 v[43:44], 2, v[43:44]
	s_delay_alu instid0(VALU_DEP_4) | instskip(SKIP_3) | instid1(VALU_DEP_4)
	v_add_nc_u32_e32 v47, s3, v45
	v_ashrrev_i32_e32 v46, 31, v45
	v_add_co_u32 v37, vcc_lo, s0, v37
	v_add_co_ci_u32_e32 v38, vcc_lo, s1, v38, vcc_lo
	v_add_nc_u32_e32 v51, s3, v47
	v_add_co_u32 v39, vcc_lo, s0, v39
	v_lshlrev_b64 v[49:50], 2, v[41:42]
	v_ashrrev_i32_e32 v48, 31, v47
	s_delay_alu instid0(VALU_DEP_4) | instskip(SKIP_2) | instid1(VALU_DEP_3)
	v_add_nc_u32_e32 v53, s3, v51
	v_add_co_ci_u32_e32 v40, vcc_lo, s1, v40, vcc_lo
	v_add_co_u32 v41, vcc_lo, s0, v43
	v_add_nc_u32_e32 v55, s3, v53
	v_lshlrev_b64 v[45:46], 2, v[45:46]
	v_ashrrev_i32_e32 v52, 31, v51
	v_add_co_ci_u32_e32 v42, vcc_lo, s1, v44, vcc_lo
	s_delay_alu instid0(VALU_DEP_4) | instskip(SKIP_3) | instid1(VALU_DEP_4)
	v_add_nc_u32_e32 v57, s3, v55
	v_add_co_u32 v43, vcc_lo, s0, v49
	v_lshlrev_b64 v[47:48], 2, v[47:48]
	v_ashrrev_i32_e32 v54, 31, v53
	v_add_nc_u32_e32 v59, s3, v57
	v_add_co_ci_u32_e32 v44, vcc_lo, s1, v50, vcc_lo
	v_add_co_u32 v45, vcc_lo, s0, v45
	s_delay_alu instid0(VALU_DEP_3) | instskip(SKIP_3) | instid1(VALU_DEP_4)
	v_add_nc_u32_e32 v61, s3, v59
	v_lshlrev_b64 v[49:50], 2, v[51:52]
	v_ashrrev_i32_e32 v56, 31, v55
	v_add_co_ci_u32_e32 v46, vcc_lo, s1, v46, vcc_lo
	v_add_nc_u32_e32 v63, s3, v61
	v_add_co_u32 v47, vcc_lo, s0, v47
	v_lshlrev_b64 v[51:52], 2, v[53:54]
	v_ashrrev_i32_e32 v58, 31, v57
	s_delay_alu instid0(VALU_DEP_4) | instskip(SKIP_2) | instid1(VALU_DEP_3)
	v_add_nc_u32_e32 v65, s3, v63
	v_add_co_ci_u32_e32 v48, vcc_lo, s1, v48, vcc_lo
	v_add_co_u32 v49, vcc_lo, s0, v49
	v_add_nc_u32_e32 v67, s3, v65
	v_lshlrev_b64 v[53:54], 2, v[55:56]
	v_ashrrev_i32_e32 v60, 31, v59
	v_add_co_ci_u32_e32 v50, vcc_lo, s1, v50, vcc_lo
	v_add_co_u32 v51, vcc_lo, s0, v51
	v_lshlrev_b64 v[55:56], 2, v[57:58]
	v_ashrrev_i32_e32 v62, 31, v61
	v_add_nc_u32_e32 v69, s3, v67
	v_add_co_ci_u32_e32 v52, vcc_lo, s1, v52, vcc_lo
	v_add_co_u32 v53, vcc_lo, s0, v53
	v_lshlrev_b64 v[57:58], 2, v[59:60]
	v_ashrrev_i32_e32 v64, 31, v63
	v_add_co_ci_u32_e32 v54, vcc_lo, s1, v54, vcc_lo
	v_add_co_u32 v55, vcc_lo, s0, v55
	v_lshlrev_b64 v[59:60], 2, v[61:62]
	v_ashrrev_i32_e32 v66, 31, v65
	v_ashrrev_i32_e32 v68, 31, v67
	v_add_nc_u32_e32 v71, s3, v69
	v_add_co_ci_u32_e32 v56, vcc_lo, s1, v56, vcc_lo
	v_add_co_u32 v57, vcc_lo, s0, v57
	v_lshlrev_b64 v[61:62], 2, v[63:64]
	v_add_co_ci_u32_e32 v58, vcc_lo, s1, v58, vcc_lo
	v_lshlrev_b64 v[63:64], 2, v[65:66]
	v_lshlrev_b64 v[65:66], 2, v[67:68]
	v_add_nc_u32_e32 v67, s3, v71
	v_add_co_u32 v59, vcc_lo, s0, v59
	v_ashrrev_i32_e32 v70, 31, v69
	v_add_co_ci_u32_e32 v60, vcc_lo, s1, v60, vcc_lo
	v_add_co_u32 v61, vcc_lo, s0, v61
	v_ashrrev_i32_e32 v68, 31, v67
	v_add_co_ci_u32_e32 v62, vcc_lo, s1, v62, vcc_lo
	v_add_co_u32 v63, vcc_lo, s0, v63
	v_lshlrev_b64 v[69:70], 2, v[69:70]
	v_ashrrev_i32_e32 v72, 31, v71
	v_add_co_ci_u32_e32 v64, vcc_lo, s1, v64, vcc_lo
	v_add_co_u32 v65, vcc_lo, s0, v65
	v_lshlrev_b64 v[87:88], 2, v[67:68]
	v_add_co_ci_u32_e32 v66, vcc_lo, s1, v66, vcc_lo
	v_lshlrev_b64 v[71:72], 2, v[71:72]
	v_add_co_u32 v67, vcc_lo, s0, v69
	v_add_co_ci_u32_e32 v68, vcc_lo, s1, v70, vcc_lo
	v_add_co_u32 v69, vcc_lo, s0, v87
	v_add_co_ci_u32_e32 v70, vcc_lo, s1, v88, vcc_lo
	v_add_co_u32 v71, vcc_lo, s0, v71
	s_clause 0x7
	global_load_b32 v79, v[23:24], off
	global_load_b32 v80, v[25:26], off
	;; [unrolled: 1-line block ×8, first 2 shown]
	v_add_co_ci_u32_e32 v72, vcc_lo, s1, v72, vcc_lo
	s_clause 0x10
	global_load_b32 v87, v[39:40], off
	global_load_b32 v88, v[41:42], off
	;; [unrolled: 1-line block ×17, first 2 shown]
	s_mov_b32 s1, -1
	s_waitcnt vmcnt(30)
	scratch_store_b128 off, v[1:4], off
	s_waitcnt vmcnt(26)
	scratch_store_b128 off, v[74:77], off offset:16
	s_waitcnt vmcnt(22)
	scratch_store_b128 off, v[78:81], off offset:32
	;; [unrolled: 2-line block ×7, first 2 shown]
	s_waitcnt vmcnt(0)
	scratch_store_b64 off, v[102:103], off offset:128
	s_cbranch_scc1 .LBB33_142
; %bb.4:
	v_cmp_eq_u32_e64 s0, 0, v0
	s_delay_alu instid0(VALU_DEP_1)
	s_and_saveexec_b32 s1, s0
	s_cbranch_execz .LBB33_6
; %bb.5:
	v_mov_b32_e32 v1, 0
	ds_store_b32 v1, v1 offset:136
.LBB33_6:
	s_or_b32 exec_lo, exec_lo, s1
	s_waitcnt lgkmcnt(0)
	s_waitcnt_vscnt null, 0x0
	s_barrier
	buffer_gl0_inv
	scratch_load_b32 v1, v73, off
	s_mov_b32 s2, exec_lo
	s_waitcnt vmcnt(0)
	v_cmpx_eq_f32_e32 0, v1
	s_cbranch_execz .LBB33_10
; %bb.7:
	v_mov_b32_e32 v1, 0
	s_mov_b32 s3, 0
	ds_load_b32 v2, v1 offset:136
	s_waitcnt lgkmcnt(0)
	v_readfirstlane_b32 s1, v2
	v_add_nc_u32_e32 v2, 1, v0
	s_delay_alu instid0(VALU_DEP_2) | instskip(NEXT) | instid1(VALU_DEP_1)
	s_cmp_eq_u32 s1, 0
	v_cmp_gt_i32_e32 vcc_lo, s1, v2
	s_cselect_b32 s4, -1, 0
	s_delay_alu instid0(SALU_CYCLE_1) | instskip(NEXT) | instid1(SALU_CYCLE_1)
	s_or_b32 s4, s4, vcc_lo
	s_and_b32 exec_lo, exec_lo, s4
	s_cbranch_execz .LBB33_10
; %bb.8:
	v_mov_b32_e32 v3, s1
.LBB33_9:                               ; =>This Inner Loop Header: Depth=1
	ds_cmpstore_rtn_b32 v3, v1, v2, v3 offset:136
	s_waitcnt lgkmcnt(0)
	v_cmp_ne_u32_e32 vcc_lo, 0, v3
	v_cmp_le_i32_e64 s1, v3, v2
	s_delay_alu instid0(VALU_DEP_1) | instskip(NEXT) | instid1(SALU_CYCLE_1)
	s_and_b32 s1, vcc_lo, s1
	s_and_b32 s1, exec_lo, s1
	s_delay_alu instid0(SALU_CYCLE_1) | instskip(NEXT) | instid1(SALU_CYCLE_1)
	s_or_b32 s3, s1, s3
	s_and_not1_b32 exec_lo, exec_lo, s3
	s_cbranch_execnz .LBB33_9
.LBB33_10:
	s_or_b32 exec_lo, exec_lo, s2
	v_mov_b32_e32 v1, 0
	s_barrier
	buffer_gl0_inv
	ds_load_b32 v2, v1 offset:136
	s_and_saveexec_b32 s1, s0
	s_cbranch_execz .LBB33_12
; %bb.11:
	s_lshl_b64 s[2:3], s[14:15], 2
	s_delay_alu instid0(SALU_CYCLE_1)
	s_add_u32 s2, s6, s2
	s_addc_u32 s3, s7, s3
	s_waitcnt lgkmcnt(0)
	global_store_b32 v1, v2, s[2:3]
.LBB33_12:
	s_or_b32 exec_lo, exec_lo, s1
	s_waitcnt lgkmcnt(0)
	v_cmp_ne_u32_e32 vcc_lo, 0, v2
	s_mov_b32 s1, 0
	s_cbranch_vccnz .LBB33_142
; %bb.13:
	v_add_nc_u32_e32 v1, 0, v73
	scratch_load_b32 v2, v1, off
	s_waitcnt vmcnt(0)
	v_div_scale_f32 v3, null, v2, v2, 1.0
	v_div_scale_f32 v75, vcc_lo, 1.0, v2, 1.0
	s_delay_alu instid0(VALU_DEP_2) | instskip(SKIP_2) | instid1(VALU_DEP_1)
	v_rcp_f32_e32 v4, v3
	s_waitcnt_depctr 0xfff
	v_fma_f32 v74, -v3, v4, 1.0
	v_fmac_f32_e32 v4, v74, v4
	s_delay_alu instid0(VALU_DEP_1) | instskip(NEXT) | instid1(VALU_DEP_1)
	v_mul_f32_e32 v74, v75, v4
	v_fma_f32 v76, -v3, v74, v75
	s_delay_alu instid0(VALU_DEP_1) | instskip(NEXT) | instid1(VALU_DEP_1)
	v_fmac_f32_e32 v74, v76, v4
	v_fma_f32 v3, -v3, v74, v75
	s_delay_alu instid0(VALU_DEP_1) | instskip(NEXT) | instid1(VALU_DEP_1)
	v_div_fmas_f32 v3, v3, v4, v74
	v_div_fixup_f32 v2, v3, v2, 1.0
	scratch_store_b32 v1, v2, off
	scratch_load_b32 v3, off, off offset:4
	v_xor_b32_e32 v4, 0x80000000, v2
	v_add_nc_u32_e32 v2, 0x90, v73
	s_waitcnt vmcnt(0)
	ds_store_2addr_b32 v73, v4, v3 offset1:36
	s_waitcnt lgkmcnt(0)
	s_waitcnt_vscnt null, 0x0
	s_barrier
	buffer_gl0_inv
	s_and_saveexec_b32 s1, s0
	s_cbranch_execz .LBB33_15
; %bb.14:
	scratch_load_b32 v3, v1, off
	ds_load_b32 v4, v2
	v_mov_b32_e32 v74, 0
	ds_load_b32 v74, v74 offset:4
	s_waitcnt vmcnt(0) lgkmcnt(1)
	v_fma_f32 v3, v3, v4, 0
	s_waitcnt lgkmcnt(0)
	s_delay_alu instid0(VALU_DEP_1)
	v_mul_f32_e32 v3, v3, v74
	scratch_store_b32 off, v3, off offset:4
.LBB33_15:
	s_or_b32 exec_lo, exec_lo, s1
	s_waitcnt_vscnt null, 0x0
	s_barrier
	buffer_gl0_inv
	scratch_load_b32 v3, off, off offset:8
	s_mov_b32 s1, exec_lo
	s_waitcnt vmcnt(0)
	ds_store_b32 v2, v3
	s_waitcnt lgkmcnt(0)
	s_barrier
	buffer_gl0_inv
	v_cmpx_gt_u32_e32 2, v0
	s_cbranch_execz .LBB33_17
; %bb.16:
	scratch_load_b32 v74, v1, off
	scratch_load_b32 v75, off, off offset:4
	ds_load_b32 v76, v2
	v_mov_b32_e32 v3, 0
	ds_load_2addr_b32 v[3:4], v3 offset0:2 offset1:37
	s_waitcnt vmcnt(1) lgkmcnt(1)
	v_fma_f32 v74, v74, v76, 0
	s_waitcnt vmcnt(0) lgkmcnt(0)
	s_delay_alu instid0(VALU_DEP_1) | instskip(NEXT) | instid1(VALU_DEP_1)
	v_fma_f32 v4, v75, v4, v74
	v_cndmask_b32_e64 v4, v74, v4, s0
	s_delay_alu instid0(VALU_DEP_1)
	v_mul_f32_e32 v3, v4, v3
	scratch_store_b32 off, v3, off offset:8
.LBB33_17:
	s_or_b32 exec_lo, exec_lo, s1
	s_waitcnt_vscnt null, 0x0
	s_barrier
	buffer_gl0_inv
	scratch_load_b32 v4, off, off offset:12
	v_add_nc_u32_e32 v3, -1, v0
	s_mov_b32 s0, exec_lo
	s_waitcnt vmcnt(0)
	ds_store_b32 v2, v4
	s_waitcnt lgkmcnt(0)
	s_barrier
	buffer_gl0_inv
	v_cmpx_gt_u32_e32 3, v0
	s_cbranch_execz .LBB33_21
; %bb.18:
	v_add_nc_u32_e32 v74, -1, v0
	v_dual_mov_b32 v4, 0 :: v_dual_add_nc_u32 v75, 0x90, v73
	v_add_nc_u32_e32 v76, 0, v73
	s_mov_b32 s1, 0
.LBB33_19:                              ; =>This Inner Loop Header: Depth=1
	scratch_load_b32 v77, v76, off
	ds_load_b32 v78, v75
	v_add_nc_u32_e32 v74, 1, v74
	v_add_nc_u32_e32 v75, 4, v75
	v_add_nc_u32_e32 v76, 4, v76
	s_delay_alu instid0(VALU_DEP_3)
	v_cmp_lt_u32_e32 vcc_lo, 1, v74
	s_or_b32 s1, vcc_lo, s1
	s_waitcnt vmcnt(0) lgkmcnt(0)
	v_fmac_f32_e32 v4, v77, v78
	s_and_not1_b32 exec_lo, exec_lo, s1
	s_cbranch_execnz .LBB33_19
; %bb.20:
	s_or_b32 exec_lo, exec_lo, s1
	v_mov_b32_e32 v74, 0
	ds_load_b32 v74, v74 offset:12
	s_waitcnt lgkmcnt(0)
	v_mul_f32_e32 v4, v4, v74
	scratch_store_b32 off, v4, off offset:12
.LBB33_21:
	s_or_b32 exec_lo, exec_lo, s0
	s_waitcnt_vscnt null, 0x0
	s_barrier
	buffer_gl0_inv
	scratch_load_b32 v4, off, off offset:16
	s_mov_b32 s0, exec_lo
	s_waitcnt vmcnt(0)
	ds_store_b32 v2, v4
	s_waitcnt lgkmcnt(0)
	s_barrier
	buffer_gl0_inv
	v_cmpx_gt_u32_e32 4, v0
	s_cbranch_execz .LBB33_25
; %bb.22:
	v_add_nc_u32_e32 v74, -1, v0
	v_dual_mov_b32 v4, 0 :: v_dual_add_nc_u32 v75, 0x90, v73
	v_add_nc_u32_e32 v76, 0, v73
	s_mov_b32 s1, 0
.LBB33_23:                              ; =>This Inner Loop Header: Depth=1
	scratch_load_b32 v77, v76, off
	ds_load_b32 v78, v75
	v_add_nc_u32_e32 v74, 1, v74
	v_add_nc_u32_e32 v75, 4, v75
	v_add_nc_u32_e32 v76, 4, v76
	s_delay_alu instid0(VALU_DEP_3)
	v_cmp_lt_u32_e32 vcc_lo, 2, v74
	s_or_b32 s1, vcc_lo, s1
	s_waitcnt vmcnt(0) lgkmcnt(0)
	v_fmac_f32_e32 v4, v77, v78
	s_and_not1_b32 exec_lo, exec_lo, s1
	s_cbranch_execnz .LBB33_23
; %bb.24:
	s_or_b32 exec_lo, exec_lo, s1
	v_mov_b32_e32 v74, 0
	ds_load_b32 v74, v74 offset:16
	s_waitcnt lgkmcnt(0)
	v_mul_f32_e32 v4, v4, v74
	scratch_store_b32 off, v4, off offset:16
.LBB33_25:
	s_or_b32 exec_lo, exec_lo, s0
	s_waitcnt_vscnt null, 0x0
	s_barrier
	buffer_gl0_inv
	scratch_load_b32 v4, off, off offset:20
	;; [unrolled: 39-line block ×21, first 2 shown]
	s_mov_b32 s0, exec_lo
	s_waitcnt vmcnt(0)
	ds_store_b32 v2, v4
	s_waitcnt lgkmcnt(0)
	s_barrier
	buffer_gl0_inv
	v_cmpx_gt_u32_e32 24, v0
	s_cbranch_execz .LBB33_105
; %bb.102:
	v_add_nc_u32_e32 v74, -1, v0
	v_dual_mov_b32 v4, 0 :: v_dual_add_nc_u32 v75, 0x90, v73
	v_add_nc_u32_e32 v76, 0, v73
	s_mov_b32 s1, 0
.LBB33_103:                             ; =>This Inner Loop Header: Depth=1
	scratch_load_b32 v77, v76, off
	ds_load_b32 v78, v75
	v_add_nc_u32_e32 v74, 1, v74
	v_add_nc_u32_e32 v75, 4, v75
	v_add_nc_u32_e32 v76, 4, v76
	s_delay_alu instid0(VALU_DEP_3)
	v_cmp_lt_u32_e32 vcc_lo, 22, v74
	s_or_b32 s1, vcc_lo, s1
	s_waitcnt vmcnt(0) lgkmcnt(0)
	v_fmac_f32_e32 v4, v77, v78
	s_and_not1_b32 exec_lo, exec_lo, s1
	s_cbranch_execnz .LBB33_103
; %bb.104:
	s_or_b32 exec_lo, exec_lo, s1
	v_mov_b32_e32 v74, 0
	ds_load_b32 v74, v74 offset:96
	s_waitcnt lgkmcnt(0)
	v_mul_f32_e32 v4, v4, v74
	scratch_store_b32 off, v4, off offset:96
.LBB33_105:
	s_or_b32 exec_lo, exec_lo, s0
	s_waitcnt_vscnt null, 0x0
	s_barrier
	buffer_gl0_inv
	scratch_load_b32 v4, off, off offset:100
	s_mov_b32 s0, exec_lo
	s_waitcnt vmcnt(0)
	ds_store_b32 v2, v4
	s_waitcnt lgkmcnt(0)
	s_barrier
	buffer_gl0_inv
	v_cmpx_gt_u32_e32 25, v0
	s_cbranch_execz .LBB33_109
; %bb.106:
	v_add_nc_u32_e32 v74, -1, v0
	v_dual_mov_b32 v4, 0 :: v_dual_add_nc_u32 v75, 0x90, v73
	v_add_nc_u32_e32 v76, 0, v73
	s_mov_b32 s1, 0
.LBB33_107:                             ; =>This Inner Loop Header: Depth=1
	scratch_load_b32 v77, v76, off
	ds_load_b32 v78, v75
	v_add_nc_u32_e32 v74, 1, v74
	v_add_nc_u32_e32 v75, 4, v75
	v_add_nc_u32_e32 v76, 4, v76
	s_delay_alu instid0(VALU_DEP_3)
	v_cmp_lt_u32_e32 vcc_lo, 23, v74
	s_or_b32 s1, vcc_lo, s1
	s_waitcnt vmcnt(0) lgkmcnt(0)
	v_fmac_f32_e32 v4, v77, v78
	s_and_not1_b32 exec_lo, exec_lo, s1
	s_cbranch_execnz .LBB33_107
; %bb.108:
	s_or_b32 exec_lo, exec_lo, s1
	v_mov_b32_e32 v74, 0
	ds_load_b32 v74, v74 offset:100
	s_waitcnt lgkmcnt(0)
	v_mul_f32_e32 v4, v4, v74
	scratch_store_b32 off, v4, off offset:100
.LBB33_109:
	s_or_b32 exec_lo, exec_lo, s0
	s_waitcnt_vscnt null, 0x0
	s_barrier
	buffer_gl0_inv
	scratch_load_b32 v4, off, off offset:104
	;; [unrolled: 39-line block ×9, first 2 shown]
	s_mov_b32 s0, exec_lo
	s_waitcnt vmcnt(0)
	ds_store_b32 v2, v4
	s_waitcnt lgkmcnt(0)
	s_barrier
	buffer_gl0_inv
	v_cmpx_ne_u32_e32 33, v0
	s_cbranch_execz .LBB33_141
; %bb.138:
	v_mov_b32_e32 v4, 0
	s_mov_b32 s1, 0
.LBB33_139:                             ; =>This Inner Loop Header: Depth=1
	scratch_load_b32 v73, v1, off
	ds_load_b32 v74, v2
	v_add_nc_u32_e32 v3, 1, v3
	v_add_nc_u32_e32 v2, 4, v2
	s_waitcnt vmcnt(0) lgkmcnt(0)
	v_dual_fmac_f32 v4, v73, v74 :: v_dual_add_nc_u32 v1, 4, v1
	s_delay_alu instid0(VALU_DEP_3) | instskip(SKIP_1) | instid1(SALU_CYCLE_1)
	v_cmp_lt_u32_e32 vcc_lo, 31, v3
	s_or_b32 s1, vcc_lo, s1
	s_and_not1_b32 exec_lo, exec_lo, s1
	s_cbranch_execnz .LBB33_139
; %bb.140:
	s_or_b32 exec_lo, exec_lo, s1
	v_mov_b32_e32 v1, 0
	ds_load_b32 v1, v1 offset:132
	s_waitcnt lgkmcnt(0)
	v_mul_f32_e32 v1, v4, v1
	scratch_store_b32 off, v1, off offset:132
.LBB33_141:
	s_or_b32 exec_lo, exec_lo, s0
	s_mov_b32 s1, -1
	s_waitcnt_vscnt null, 0x0
	s_barrier
	buffer_gl0_inv
.LBB33_142:
	s_and_b32 vcc_lo, exec_lo, s1
	s_cbranch_vccz .LBB33_144
; %bb.143:
	s_lshl_b64 s[0:1], s[14:15], 2
	v_mov_b32_e32 v1, 0
	s_add_u32 s0, s6, s0
	s_addc_u32 s1, s7, s1
	global_load_b32 v1, v1, s[0:1]
	s_waitcnt vmcnt(0)
	v_cmp_ne_u32_e32 vcc_lo, 0, v1
	s_cbranch_vccz .LBB33_145
.LBB33_144:
	s_endpgm
.LBB33_145:
	v_lshl_add_u32 v1, v0, 2, 0x90
	s_mov_b32 s0, exec_lo
	v_cmpx_eq_u32_e32 33, v0
	s_cbranch_execz .LBB33_147
; %bb.146:
	scratch_load_b32 v2, off, off offset:128
	v_mov_b32_e32 v3, 0
	scratch_store_b32 off, v3, off offset:128
	s_waitcnt vmcnt(0)
	ds_store_b32 v1, v2
.LBB33_147:
	s_or_b32 exec_lo, exec_lo, s0
	s_waitcnt lgkmcnt(0)
	s_waitcnt_vscnt null, 0x0
	s_barrier
	buffer_gl0_inv
	scratch_load_b64 v[3:4], off, off offset:128
	v_mov_b32_e32 v2, 0
	s_mov_b32 s0, exec_lo
	ds_load_b32 v73, v2 offset:276
	s_waitcnt vmcnt(0) lgkmcnt(0)
	v_fma_f32 v4, v4, v73, 0
	s_delay_alu instid0(VALU_DEP_1)
	v_sub_f32_e32 v3, v3, v4
	scratch_store_b32 off, v3, off offset:128
	v_cmpx_lt_u32_e32 31, v0
	s_cbranch_execz .LBB33_149
; %bb.148:
	scratch_load_b32 v3, off, off offset:124
	scratch_store_b32 off, v2, off offset:124
	s_waitcnt vmcnt(0)
	ds_store_b32 v1, v3
.LBB33_149:
	s_or_b32 exec_lo, exec_lo, s0
	s_waitcnt lgkmcnt(0)
	s_waitcnt_vscnt null, 0x0
	s_barrier
	buffer_gl0_inv
	scratch_load_b96 v[73:75], off, off offset:124
	ds_load_b64 v[2:3], v2 offset:272
	s_mov_b32 s0, exec_lo
	s_waitcnt vmcnt(0) lgkmcnt(0)
	v_fma_f32 v2, v74, v2, 0
	s_delay_alu instid0(VALU_DEP_1) | instskip(NEXT) | instid1(VALU_DEP_1)
	v_fmac_f32_e32 v2, v75, v3
	v_sub_f32_e32 v2, v73, v2
	scratch_store_b32 off, v2, off offset:124
	v_cmpx_lt_u32_e32 30, v0
	s_cbranch_execz .LBB33_151
; %bb.150:
	scratch_load_b32 v2, off, off offset:120
	v_mov_b32_e32 v3, 0
	scratch_store_b32 off, v3, off offset:120
	s_waitcnt vmcnt(0)
	ds_store_b32 v1, v2
.LBB33_151:
	s_or_b32 exec_lo, exec_lo, s0
	s_waitcnt lgkmcnt(0)
	s_waitcnt_vscnt null, 0x0
	s_barrier
	buffer_gl0_inv
	scratch_load_b128 v[73:76], off, off offset:120
	v_mov_b32_e32 v2, 0
	ds_load_2addr_b32 v[3:4], v2 offset0:67 offset1:68
	ds_load_b32 v77, v2 offset:276
	s_mov_b32 s0, exec_lo
	s_waitcnt vmcnt(0) lgkmcnt(1)
	v_fma_f32 v3, v74, v3, 0
	s_delay_alu instid0(VALU_DEP_1) | instskip(SKIP_1) | instid1(VALU_DEP_1)
	v_fmac_f32_e32 v3, v75, v4
	s_waitcnt lgkmcnt(0)
	v_fmac_f32_e32 v3, v76, v77
	s_delay_alu instid0(VALU_DEP_1)
	v_sub_f32_e32 v3, v73, v3
	scratch_store_b32 off, v3, off offset:120
	v_cmpx_lt_u32_e32 29, v0
	s_cbranch_execz .LBB33_153
; %bb.152:
	scratch_load_b32 v3, off, off offset:116
	scratch_store_b32 off, v2, off offset:116
	s_waitcnt vmcnt(0)
	ds_store_b32 v1, v3
.LBB33_153:
	s_or_b32 exec_lo, exec_lo, s0
	s_waitcnt lgkmcnt(0)
	s_waitcnt_vscnt null, 0x0
	s_barrier
	buffer_gl0_inv
	s_clause 0x1
	scratch_load_b128 v[73:76], off, off offset:116
	scratch_load_b32 v3, off, off offset:132
	ds_load_2addr_b64 v[77:80], v2 offset0:33 offset1:34
	s_mov_b32 s0, exec_lo
	s_waitcnt vmcnt(1) lgkmcnt(0)
	v_fma_f32 v2, v74, v77, 0
	s_delay_alu instid0(VALU_DEP_1) | instskip(NEXT) | instid1(VALU_DEP_1)
	v_fmac_f32_e32 v2, v75, v78
	v_fmac_f32_e32 v2, v76, v79
	s_waitcnt vmcnt(0)
	s_delay_alu instid0(VALU_DEP_1) | instskip(NEXT) | instid1(VALU_DEP_1)
	v_fmac_f32_e32 v2, v3, v80
	v_sub_f32_e32 v2, v73, v2
	scratch_store_b32 off, v2, off offset:116
	v_cmpx_lt_u32_e32 28, v0
	s_cbranch_execz .LBB33_155
; %bb.154:
	scratch_load_b32 v2, off, off offset:112
	v_mov_b32_e32 v3, 0
	scratch_store_b32 off, v3, off offset:112
	s_waitcnt vmcnt(0)
	ds_store_b32 v1, v2
.LBB33_155:
	s_or_b32 exec_lo, exec_lo, s0
	s_waitcnt lgkmcnt(0)
	s_waitcnt_vscnt null, 0x0
	s_barrier
	buffer_gl0_inv
	s_clause 0x1
	scratch_load_b128 v[73:76], off, off offset:112
	scratch_load_b64 v[3:4], off, off offset:128
	v_mov_b32_e32 v2, 0
	ds_load_2addr_b32 v[77:78], v2 offset0:65 offset1:66
	ds_load_2addr_b32 v[79:80], v2 offset0:67 offset1:68
	ds_load_b32 v81, v2 offset:276
	s_mov_b32 s0, exec_lo
	s_waitcnt vmcnt(1) lgkmcnt(2)
	v_fma_f32 v74, v74, v77, 0
	s_delay_alu instid0(VALU_DEP_1) | instskip(SKIP_1) | instid1(VALU_DEP_1)
	v_fmac_f32_e32 v74, v75, v78
	s_waitcnt lgkmcnt(1)
	v_fmac_f32_e32 v74, v76, v79
	s_waitcnt vmcnt(0)
	s_delay_alu instid0(VALU_DEP_1) | instskip(SKIP_1) | instid1(VALU_DEP_1)
	v_fmac_f32_e32 v74, v3, v80
	s_waitcnt lgkmcnt(0)
	v_fmac_f32_e32 v74, v4, v81
	s_delay_alu instid0(VALU_DEP_1)
	v_sub_f32_e32 v3, v73, v74
	scratch_store_b32 off, v3, off offset:112
	v_cmpx_lt_u32_e32 27, v0
	s_cbranch_execz .LBB33_157
; %bb.156:
	scratch_load_b32 v3, off, off offset:108
	scratch_store_b32 off, v2, off offset:108
	s_waitcnt vmcnt(0)
	ds_store_b32 v1, v3
.LBB33_157:
	s_or_b32 exec_lo, exec_lo, s0
	s_waitcnt lgkmcnt(0)
	s_waitcnt_vscnt null, 0x0
	s_barrier
	buffer_gl0_inv
	s_clause 0x1
	scratch_load_b128 v[73:76], off, off offset:108
	scratch_load_b96 v[81:83], off, off offset:124
	ds_load_b128 v[77:80], v2 offset:256
	ds_load_b64 v[2:3], v2 offset:272
	s_mov_b32 s0, exec_lo
	s_waitcnt vmcnt(1) lgkmcnt(1)
	v_fma_f32 v4, v74, v77, 0
	s_delay_alu instid0(VALU_DEP_1) | instskip(NEXT) | instid1(VALU_DEP_1)
	v_fmac_f32_e32 v4, v75, v78
	v_fmac_f32_e32 v4, v76, v79
	s_waitcnt vmcnt(0)
	s_delay_alu instid0(VALU_DEP_1) | instskip(SKIP_1) | instid1(VALU_DEP_1)
	v_fmac_f32_e32 v4, v81, v80
	s_waitcnt lgkmcnt(0)
	v_fmac_f32_e32 v4, v82, v2
	s_delay_alu instid0(VALU_DEP_1) | instskip(NEXT) | instid1(VALU_DEP_1)
	v_fmac_f32_e32 v4, v83, v3
	v_sub_f32_e32 v2, v73, v4
	scratch_store_b32 off, v2, off offset:108
	v_cmpx_lt_u32_e32 26, v0
	s_cbranch_execz .LBB33_159
; %bb.158:
	scratch_load_b32 v2, off, off offset:104
	v_mov_b32_e32 v3, 0
	scratch_store_b32 off, v3, off offset:104
	s_waitcnt vmcnt(0)
	ds_store_b32 v1, v2
.LBB33_159:
	s_or_b32 exec_lo, exec_lo, s0
	s_waitcnt lgkmcnt(0)
	s_waitcnt_vscnt null, 0x0
	s_barrier
	buffer_gl0_inv
	s_clause 0x1
	scratch_load_b128 v[73:76], off, off offset:104
	scratch_load_b128 v[77:80], off, off offset:120
	v_mov_b32_e32 v2, 0
	ds_load_2addr_b32 v[3:4], v2 offset0:63 offset1:64
	ds_load_2addr_b32 v[81:82], v2 offset0:65 offset1:66
	;; [unrolled: 1-line block ×3, first 2 shown]
	ds_load_b32 v85, v2 offset:276
	s_mov_b32 s0, exec_lo
	s_waitcnt vmcnt(1) lgkmcnt(3)
	v_fma_f32 v3, v74, v3, 0
	s_delay_alu instid0(VALU_DEP_1) | instskip(SKIP_1) | instid1(VALU_DEP_1)
	v_fmac_f32_e32 v3, v75, v4
	s_waitcnt lgkmcnt(2)
	v_fmac_f32_e32 v3, v76, v81
	s_waitcnt vmcnt(0)
	s_delay_alu instid0(VALU_DEP_1) | instskip(SKIP_1) | instid1(VALU_DEP_1)
	v_fmac_f32_e32 v3, v77, v82
	s_waitcnt lgkmcnt(1)
	v_fmac_f32_e32 v3, v78, v83
	s_delay_alu instid0(VALU_DEP_1) | instskip(SKIP_1) | instid1(VALU_DEP_1)
	v_fmac_f32_e32 v3, v79, v84
	s_waitcnt lgkmcnt(0)
	v_fmac_f32_e32 v3, v80, v85
	s_delay_alu instid0(VALU_DEP_1)
	v_sub_f32_e32 v3, v73, v3
	scratch_store_b32 off, v3, off offset:104
	v_cmpx_lt_u32_e32 25, v0
	s_cbranch_execz .LBB33_161
; %bb.160:
	scratch_load_b32 v3, off, off offset:100
	scratch_store_b32 off, v2, off offset:100
	s_waitcnt vmcnt(0)
	ds_store_b32 v1, v3
.LBB33_161:
	s_or_b32 exec_lo, exec_lo, s0
	s_waitcnt lgkmcnt(0)
	s_waitcnt_vscnt null, 0x0
	s_barrier
	buffer_gl0_inv
	s_clause 0x2
	scratch_load_b128 v[73:76], off, off offset:100
	scratch_load_b128 v[77:80], off, off offset:116
	scratch_load_b32 v3, off, off offset:132
	ds_load_2addr_b64 v[81:84], v2 offset0:31 offset1:32
	ds_load_2addr_b64 v[85:88], v2 offset0:33 offset1:34
	s_mov_b32 s0, exec_lo
	s_waitcnt vmcnt(2) lgkmcnt(1)
	v_fma_f32 v2, v74, v81, 0
	s_delay_alu instid0(VALU_DEP_1) | instskip(NEXT) | instid1(VALU_DEP_1)
	v_fmac_f32_e32 v2, v75, v82
	v_fmac_f32_e32 v2, v76, v83
	s_waitcnt vmcnt(1)
	s_delay_alu instid0(VALU_DEP_1) | instskip(SKIP_1) | instid1(VALU_DEP_1)
	v_fmac_f32_e32 v2, v77, v84
	s_waitcnt lgkmcnt(0)
	v_fmac_f32_e32 v2, v78, v85
	s_delay_alu instid0(VALU_DEP_1) | instskip(NEXT) | instid1(VALU_DEP_1)
	v_fmac_f32_e32 v2, v79, v86
	v_fmac_f32_e32 v2, v80, v87
	s_waitcnt vmcnt(0)
	s_delay_alu instid0(VALU_DEP_1) | instskip(NEXT) | instid1(VALU_DEP_1)
	v_fmac_f32_e32 v2, v3, v88
	v_sub_f32_e32 v2, v73, v2
	scratch_store_b32 off, v2, off offset:100
	v_cmpx_lt_u32_e32 24, v0
	s_cbranch_execz .LBB33_163
; %bb.162:
	scratch_load_b32 v2, off, off offset:96
	v_mov_b32_e32 v3, 0
	scratch_store_b32 off, v3, off offset:96
	s_waitcnt vmcnt(0)
	ds_store_b32 v1, v2
.LBB33_163:
	s_or_b32 exec_lo, exec_lo, s0
	s_waitcnt lgkmcnt(0)
	s_waitcnt_vscnt null, 0x0
	s_barrier
	buffer_gl0_inv
	s_clause 0x2
	scratch_load_b128 v[73:76], off, off offset:96
	scratch_load_b128 v[77:80], off, off offset:112
	scratch_load_b64 v[3:4], off, off offset:128
	v_mov_b32_e32 v2, 0
	ds_load_2addr_b32 v[81:82], v2 offset0:61 offset1:62
	ds_load_2addr_b32 v[83:84], v2 offset0:63 offset1:64
	;; [unrolled: 1-line block ×4, first 2 shown]
	s_mov_b32 s0, exec_lo
	s_waitcnt vmcnt(2) lgkmcnt(3)
	v_fma_f32 v74, v74, v81, 0
	s_delay_alu instid0(VALU_DEP_1) | instskip(SKIP_4) | instid1(VALU_DEP_1)
	v_fmac_f32_e32 v74, v75, v82
	ds_load_b32 v75, v2 offset:276
	s_waitcnt lgkmcnt(3)
	v_fmac_f32_e32 v74, v76, v83
	s_waitcnt vmcnt(1)
	v_fmac_f32_e32 v74, v77, v84
	s_waitcnt lgkmcnt(2)
	s_delay_alu instid0(VALU_DEP_1) | instskip(NEXT) | instid1(VALU_DEP_1)
	v_fmac_f32_e32 v74, v78, v85
	v_fmac_f32_e32 v74, v79, v86
	s_waitcnt lgkmcnt(1)
	s_delay_alu instid0(VALU_DEP_1) | instskip(SKIP_1) | instid1(VALU_DEP_1)
	v_fmac_f32_e32 v74, v80, v87
	s_waitcnt vmcnt(0)
	v_fmac_f32_e32 v74, v3, v88
	s_waitcnt lgkmcnt(0)
	s_delay_alu instid0(VALU_DEP_1) | instskip(NEXT) | instid1(VALU_DEP_1)
	v_fmac_f32_e32 v74, v4, v75
	v_sub_f32_e32 v3, v73, v74
	scratch_store_b32 off, v3, off offset:96
	v_cmpx_lt_u32_e32 23, v0
	s_cbranch_execz .LBB33_165
; %bb.164:
	scratch_load_b32 v3, off, off offset:92
	scratch_store_b32 off, v2, off offset:92
	s_waitcnt vmcnt(0)
	ds_store_b32 v1, v3
.LBB33_165:
	s_or_b32 exec_lo, exec_lo, s0
	s_waitcnt lgkmcnt(0)
	s_waitcnt_vscnt null, 0x0
	s_barrier
	buffer_gl0_inv
	s_clause 0x2
	scratch_load_b128 v[73:76], off, off offset:92
	scratch_load_b128 v[77:80], off, off offset:108
	scratch_load_b96 v[89:91], off, off offset:124
	ds_load_b128 v[81:84], v2 offset:240
	ds_load_b128 v[85:88], v2 offset:256
	ds_load_b64 v[2:3], v2 offset:272
	s_mov_b32 s0, exec_lo
	s_waitcnt vmcnt(2) lgkmcnt(2)
	v_fma_f32 v4, v74, v81, 0
	s_delay_alu instid0(VALU_DEP_1) | instskip(NEXT) | instid1(VALU_DEP_1)
	v_fmac_f32_e32 v4, v75, v82
	v_fmac_f32_e32 v4, v76, v83
	s_waitcnt vmcnt(1)
	s_delay_alu instid0(VALU_DEP_1) | instskip(SKIP_1) | instid1(VALU_DEP_1)
	v_fmac_f32_e32 v4, v77, v84
	s_waitcnt lgkmcnt(1)
	v_fmac_f32_e32 v4, v78, v85
	s_delay_alu instid0(VALU_DEP_1) | instskip(NEXT) | instid1(VALU_DEP_1)
	v_fmac_f32_e32 v4, v79, v86
	v_fmac_f32_e32 v4, v80, v87
	s_waitcnt vmcnt(0)
	s_delay_alu instid0(VALU_DEP_1) | instskip(SKIP_1) | instid1(VALU_DEP_1)
	v_fmac_f32_e32 v4, v89, v88
	s_waitcnt lgkmcnt(0)
	v_fmac_f32_e32 v4, v90, v2
	s_delay_alu instid0(VALU_DEP_1) | instskip(NEXT) | instid1(VALU_DEP_1)
	v_fmac_f32_e32 v4, v91, v3
	v_sub_f32_e32 v2, v73, v4
	scratch_store_b32 off, v2, off offset:92
	v_cmpx_lt_u32_e32 22, v0
	s_cbranch_execz .LBB33_167
; %bb.166:
	scratch_load_b32 v2, off, off offset:88
	v_mov_b32_e32 v3, 0
	scratch_store_b32 off, v3, off offset:88
	s_waitcnt vmcnt(0)
	ds_store_b32 v1, v2
.LBB33_167:
	s_or_b32 exec_lo, exec_lo, s0
	s_waitcnt lgkmcnt(0)
	s_waitcnt_vscnt null, 0x0
	s_barrier
	buffer_gl0_inv
	s_clause 0x2
	scratch_load_b128 v[73:76], off, off offset:88
	scratch_load_b128 v[77:80], off, off offset:104
	;; [unrolled: 1-line block ×3, first 2 shown]
	v_mov_b32_e32 v2, 0
	ds_load_2addr_b32 v[3:4], v2 offset0:59 offset1:60
	ds_load_2addr_b32 v[85:86], v2 offset0:61 offset1:62
	;; [unrolled: 1-line block ×4, first 2 shown]
	s_mov_b32 s0, exec_lo
	s_waitcnt vmcnt(2) lgkmcnt(3)
	v_fma_f32 v74, v74, v3, 0
	s_delay_alu instid0(VALU_DEP_1)
	v_fmac_f32_e32 v74, v75, v4
	ds_load_2addr_b32 v[3:4], v2 offset0:67 offset1:68
	ds_load_b32 v75, v2 offset:276
	s_waitcnt lgkmcnt(4)
	v_fmac_f32_e32 v74, v76, v85
	s_waitcnt vmcnt(1)
	s_delay_alu instid0(VALU_DEP_1) | instskip(SKIP_1) | instid1(VALU_DEP_1)
	v_fmac_f32_e32 v74, v77, v86
	s_waitcnt lgkmcnt(3)
	v_fmac_f32_e32 v74, v78, v87
	s_delay_alu instid0(VALU_DEP_1) | instskip(SKIP_1) | instid1(VALU_DEP_1)
	v_fmac_f32_e32 v74, v79, v88
	s_waitcnt lgkmcnt(2)
	v_fmac_f32_e32 v74, v80, v89
	s_waitcnt vmcnt(0)
	s_delay_alu instid0(VALU_DEP_1) | instskip(SKIP_1) | instid1(VALU_DEP_1)
	v_fmac_f32_e32 v74, v81, v90
	s_waitcnt lgkmcnt(1)
	v_fmac_f32_e32 v74, v82, v3
	s_delay_alu instid0(VALU_DEP_1) | instskip(SKIP_1) | instid1(VALU_DEP_1)
	v_fmac_f32_e32 v74, v83, v4
	s_waitcnt lgkmcnt(0)
	v_fmac_f32_e32 v74, v84, v75
	s_delay_alu instid0(VALU_DEP_1)
	v_sub_f32_e32 v3, v73, v74
	scratch_store_b32 off, v3, off offset:88
	v_cmpx_lt_u32_e32 21, v0
	s_cbranch_execz .LBB33_169
; %bb.168:
	scratch_load_b32 v3, off, off offset:84
	scratch_store_b32 off, v2, off offset:84
	s_waitcnt vmcnt(0)
	ds_store_b32 v1, v3
.LBB33_169:
	s_or_b32 exec_lo, exec_lo, s0
	s_waitcnt lgkmcnt(0)
	s_waitcnt_vscnt null, 0x0
	s_barrier
	buffer_gl0_inv
	s_clause 0x3
	scratch_load_b128 v[73:76], off, off offset:84
	scratch_load_b128 v[77:80], off, off offset:100
	;; [unrolled: 1-line block ×3, first 2 shown]
	scratch_load_b32 v3, off, off offset:132
	ds_load_2addr_b64 v[85:88], v2 offset0:29 offset1:30
	ds_load_2addr_b64 v[89:92], v2 offset0:31 offset1:32
	s_mov_b32 s0, exec_lo
	s_waitcnt vmcnt(3) lgkmcnt(1)
	v_fma_f32 v4, v74, v85, 0
	s_delay_alu instid0(VALU_DEP_1) | instskip(NEXT) | instid1(VALU_DEP_1)
	v_fmac_f32_e32 v4, v75, v86
	v_fmac_f32_e32 v4, v76, v87
	s_waitcnt vmcnt(2)
	s_delay_alu instid0(VALU_DEP_1) | instskip(SKIP_3) | instid1(VALU_DEP_1)
	v_fmac_f32_e32 v4, v77, v88
	ds_load_2addr_b64 v[74:77], v2 offset0:33 offset1:34
	s_waitcnt lgkmcnt(1)
	v_fmac_f32_e32 v4, v78, v89
	v_fmac_f32_e32 v4, v79, v90
	s_delay_alu instid0(VALU_DEP_1) | instskip(SKIP_1) | instid1(VALU_DEP_1)
	v_fmac_f32_e32 v4, v80, v91
	s_waitcnt vmcnt(1)
	v_fmac_f32_e32 v4, v81, v92
	s_waitcnt lgkmcnt(0)
	s_delay_alu instid0(VALU_DEP_1) | instskip(NEXT) | instid1(VALU_DEP_1)
	v_fmac_f32_e32 v4, v82, v74
	v_fmac_f32_e32 v4, v83, v75
	s_delay_alu instid0(VALU_DEP_1) | instskip(SKIP_1) | instid1(VALU_DEP_1)
	v_fmac_f32_e32 v4, v84, v76
	s_waitcnt vmcnt(0)
	v_fmac_f32_e32 v4, v3, v77
	s_delay_alu instid0(VALU_DEP_1)
	v_sub_f32_e32 v2, v73, v4
	scratch_store_b32 off, v2, off offset:84
	v_cmpx_lt_u32_e32 20, v0
	s_cbranch_execz .LBB33_171
; %bb.170:
	scratch_load_b32 v2, off, off offset:80
	v_mov_b32_e32 v3, 0
	scratch_store_b32 off, v3, off offset:80
	s_waitcnt vmcnt(0)
	ds_store_b32 v1, v2
.LBB33_171:
	s_or_b32 exec_lo, exec_lo, s0
	s_waitcnt lgkmcnt(0)
	s_waitcnt_vscnt null, 0x0
	s_barrier
	buffer_gl0_inv
	s_clause 0x3
	scratch_load_b128 v[73:76], off, off offset:80
	scratch_load_b128 v[77:80], off, off offset:96
	scratch_load_b128 v[81:84], off, off offset:112
	scratch_load_b64 v[3:4], off, off offset:128
	v_mov_b32_e32 v2, 0
	ds_load_2addr_b32 v[85:86], v2 offset0:57 offset1:58
	ds_load_2addr_b32 v[87:88], v2 offset0:59 offset1:60
	;; [unrolled: 1-line block ×4, first 2 shown]
	s_mov_b32 s0, exec_lo
	s_waitcnt vmcnt(3) lgkmcnt(3)
	v_fma_f32 v85, v74, v85, 0
	s_delay_alu instid0(VALU_DEP_1) | instskip(SKIP_4) | instid1(VALU_DEP_1)
	v_fmac_f32_e32 v85, v75, v86
	ds_load_2addr_b32 v[74:75], v2 offset0:65 offset1:66
	s_waitcnt lgkmcnt(3)
	v_fmac_f32_e32 v85, v76, v87
	s_waitcnt vmcnt(2)
	v_fmac_f32_e32 v85, v77, v88
	ds_load_2addr_b32 v[76:77], v2 offset0:67 offset1:68
	s_waitcnt lgkmcnt(3)
	v_fmac_f32_e32 v85, v78, v89
	ds_load_b32 v78, v2 offset:276
	v_fmac_f32_e32 v85, v79, v90
	s_waitcnt lgkmcnt(3)
	s_delay_alu instid0(VALU_DEP_1) | instskip(SKIP_1) | instid1(VALU_DEP_1)
	v_fmac_f32_e32 v85, v80, v91
	s_waitcnt vmcnt(1)
	v_fmac_f32_e32 v85, v81, v92
	s_waitcnt lgkmcnt(2)
	s_delay_alu instid0(VALU_DEP_1) | instskip(NEXT) | instid1(VALU_DEP_1)
	v_fmac_f32_e32 v85, v82, v74
	v_fmac_f32_e32 v85, v83, v75
	s_waitcnt lgkmcnt(1)
	s_delay_alu instid0(VALU_DEP_1) | instskip(SKIP_1) | instid1(VALU_DEP_1)
	v_fmac_f32_e32 v85, v84, v76
	s_waitcnt vmcnt(0)
	v_fmac_f32_e32 v85, v3, v77
	s_waitcnt lgkmcnt(0)
	s_delay_alu instid0(VALU_DEP_1) | instskip(NEXT) | instid1(VALU_DEP_1)
	v_fmac_f32_e32 v85, v4, v78
	v_sub_f32_e32 v3, v73, v85
	scratch_store_b32 off, v3, off offset:80
	v_cmpx_lt_u32_e32 19, v0
	s_cbranch_execz .LBB33_173
; %bb.172:
	scratch_load_b32 v3, off, off offset:76
	scratch_store_b32 off, v2, off offset:76
	s_waitcnt vmcnt(0)
	ds_store_b32 v1, v3
.LBB33_173:
	s_or_b32 exec_lo, exec_lo, s0
	s_waitcnt lgkmcnt(0)
	s_waitcnt_vscnt null, 0x0
	s_barrier
	buffer_gl0_inv
	s_clause 0x3
	scratch_load_b128 v[73:76], off, off offset:76
	scratch_load_b128 v[77:80], off, off offset:92
	;; [unrolled: 1-line block ×3, first 2 shown]
	scratch_load_b96 v[93:95], off, off offset:124
	ds_load_b128 v[85:88], v2 offset:224
	ds_load_b128 v[89:92], v2 offset:240
	s_mov_b32 s0, exec_lo
	s_waitcnt vmcnt(3) lgkmcnt(1)
	v_fma_f32 v4, v74, v85, 0
	s_delay_alu instid0(VALU_DEP_1) | instskip(NEXT) | instid1(VALU_DEP_1)
	v_fmac_f32_e32 v4, v75, v86
	v_fmac_f32_e32 v4, v76, v87
	s_waitcnt vmcnt(2)
	s_delay_alu instid0(VALU_DEP_1) | instskip(SKIP_4) | instid1(VALU_DEP_1)
	v_fmac_f32_e32 v4, v77, v88
	ds_load_b128 v[74:77], v2 offset:256
	ds_load_b64 v[2:3], v2 offset:272
	s_waitcnt lgkmcnt(2)
	v_fmac_f32_e32 v4, v78, v89
	v_fmac_f32_e32 v4, v79, v90
	s_delay_alu instid0(VALU_DEP_1) | instskip(SKIP_1) | instid1(VALU_DEP_1)
	v_fmac_f32_e32 v4, v80, v91
	s_waitcnt vmcnt(1)
	v_fmac_f32_e32 v4, v81, v92
	s_waitcnt lgkmcnt(1)
	s_delay_alu instid0(VALU_DEP_1) | instskip(NEXT) | instid1(VALU_DEP_1)
	v_fmac_f32_e32 v4, v82, v74
	v_fmac_f32_e32 v4, v83, v75
	s_delay_alu instid0(VALU_DEP_1) | instskip(SKIP_1) | instid1(VALU_DEP_1)
	v_fmac_f32_e32 v4, v84, v76
	s_waitcnt vmcnt(0)
	v_fmac_f32_e32 v4, v93, v77
	s_waitcnt lgkmcnt(0)
	s_delay_alu instid0(VALU_DEP_1) | instskip(NEXT) | instid1(VALU_DEP_1)
	v_fmac_f32_e32 v4, v94, v2
	v_fmac_f32_e32 v4, v95, v3
	s_delay_alu instid0(VALU_DEP_1)
	v_sub_f32_e32 v2, v73, v4
	scratch_store_b32 off, v2, off offset:76
	v_cmpx_lt_u32_e32 18, v0
	s_cbranch_execz .LBB33_175
; %bb.174:
	scratch_load_b32 v2, off, off offset:72
	v_mov_b32_e32 v3, 0
	scratch_store_b32 off, v3, off offset:72
	s_waitcnt vmcnt(0)
	ds_store_b32 v1, v2
.LBB33_175:
	s_or_b32 exec_lo, exec_lo, s0
	s_waitcnt lgkmcnt(0)
	s_waitcnt_vscnt null, 0x0
	s_barrier
	buffer_gl0_inv
	s_clause 0x3
	scratch_load_b128 v[73:76], off, off offset:72
	scratch_load_b128 v[77:80], off, off offset:88
	;; [unrolled: 1-line block ×4, first 2 shown]
	v_mov_b32_e32 v2, 0
	ds_load_2addr_b32 v[3:4], v2 offset0:55 offset1:56
	ds_load_2addr_b32 v[89:90], v2 offset0:57 offset1:58
	;; [unrolled: 1-line block ×4, first 2 shown]
	s_mov_b32 s0, exec_lo
	s_waitcnt vmcnt(3) lgkmcnt(3)
	v_fma_f32 v95, v74, v3, 0
	s_delay_alu instid0(VALU_DEP_1)
	v_fmac_f32_e32 v95, v75, v4
	ds_load_2addr_b32 v[3:4], v2 offset0:63 offset1:64
	ds_load_2addr_b32 v[74:75], v2 offset0:65 offset1:66
	s_waitcnt lgkmcnt(4)
	v_fmac_f32_e32 v95, v76, v89
	s_waitcnt vmcnt(2)
	s_delay_alu instid0(VALU_DEP_1) | instskip(SKIP_1) | instid1(VALU_DEP_1)
	v_fmac_f32_e32 v95, v77, v90
	s_waitcnt lgkmcnt(3)
	v_fmac_f32_e32 v95, v78, v91
	ds_load_2addr_b32 v[76:77], v2 offset0:67 offset1:68
	ds_load_b32 v78, v2 offset:276
	v_fmac_f32_e32 v95, v79, v92
	s_waitcnt lgkmcnt(4)
	s_delay_alu instid0(VALU_DEP_1) | instskip(SKIP_1) | instid1(VALU_DEP_1)
	v_fmac_f32_e32 v95, v80, v93
	s_waitcnt vmcnt(1)
	v_fmac_f32_e32 v95, v81, v94
	s_waitcnt lgkmcnt(3)
	s_delay_alu instid0(VALU_DEP_1) | instskip(NEXT) | instid1(VALU_DEP_1)
	v_fmac_f32_e32 v95, v82, v3
	v_fmac_f32_e32 v95, v83, v4
	s_waitcnt lgkmcnt(2)
	s_delay_alu instid0(VALU_DEP_1) | instskip(SKIP_1) | instid1(VALU_DEP_1)
	v_fmac_f32_e32 v95, v84, v74
	s_waitcnt vmcnt(0)
	v_fmac_f32_e32 v95, v85, v75
	s_waitcnt lgkmcnt(1)
	s_delay_alu instid0(VALU_DEP_1) | instskip(NEXT) | instid1(VALU_DEP_1)
	v_fmac_f32_e32 v95, v86, v76
	v_fmac_f32_e32 v95, v87, v77
	s_waitcnt lgkmcnt(0)
	s_delay_alu instid0(VALU_DEP_1) | instskip(NEXT) | instid1(VALU_DEP_1)
	v_fmac_f32_e32 v95, v88, v78
	v_sub_f32_e32 v3, v73, v95
	scratch_store_b32 off, v3, off offset:72
	v_cmpx_lt_u32_e32 17, v0
	s_cbranch_execz .LBB33_177
; %bb.176:
	scratch_load_b32 v3, off, off offset:68
	scratch_store_b32 off, v2, off offset:68
	s_waitcnt vmcnt(0)
	ds_store_b32 v1, v3
.LBB33_177:
	s_or_b32 exec_lo, exec_lo, s0
	s_waitcnt lgkmcnt(0)
	s_waitcnt_vscnt null, 0x0
	s_barrier
	buffer_gl0_inv
	s_clause 0x4
	scratch_load_b128 v[73:76], off, off offset:68
	scratch_load_b128 v[77:80], off, off offset:84
	;; [unrolled: 1-line block ×4, first 2 shown]
	scratch_load_b32 v3, off, off offset:132
	ds_load_2addr_b64 v[89:92], v2 offset0:27 offset1:28
	ds_load_2addr_b64 v[93:96], v2 offset0:29 offset1:30
	s_mov_b32 s0, exec_lo
	s_waitcnt vmcnt(4) lgkmcnt(1)
	v_fma_f32 v4, v74, v89, 0
	s_delay_alu instid0(VALU_DEP_1) | instskip(NEXT) | instid1(VALU_DEP_1)
	v_fmac_f32_e32 v4, v75, v90
	v_fmac_f32_e32 v4, v76, v91
	s_waitcnt vmcnt(3)
	s_delay_alu instid0(VALU_DEP_1) | instskip(SKIP_3) | instid1(VALU_DEP_1)
	v_fmac_f32_e32 v4, v77, v92
	ds_load_2addr_b64 v[74:77], v2 offset0:31 offset1:32
	s_waitcnt lgkmcnt(1)
	v_fmac_f32_e32 v4, v78, v93
	v_fmac_f32_e32 v4, v79, v94
	s_delay_alu instid0(VALU_DEP_1) | instskip(SKIP_1) | instid1(VALU_DEP_1)
	v_fmac_f32_e32 v4, v80, v95
	s_waitcnt vmcnt(2)
	v_fmac_f32_e32 v4, v81, v96
	ds_load_2addr_b64 v[78:81], v2 offset0:33 offset1:34
	s_waitcnt lgkmcnt(1)
	v_fmac_f32_e32 v4, v82, v74
	s_delay_alu instid0(VALU_DEP_1) | instskip(NEXT) | instid1(VALU_DEP_1)
	v_fmac_f32_e32 v4, v83, v75
	v_fmac_f32_e32 v4, v84, v76
	s_waitcnt vmcnt(1)
	s_delay_alu instid0(VALU_DEP_1) | instskip(SKIP_1) | instid1(VALU_DEP_1)
	v_fmac_f32_e32 v4, v85, v77
	s_waitcnt lgkmcnt(0)
	v_fmac_f32_e32 v4, v86, v78
	s_delay_alu instid0(VALU_DEP_1) | instskip(NEXT) | instid1(VALU_DEP_1)
	v_fmac_f32_e32 v4, v87, v79
	v_fmac_f32_e32 v4, v88, v80
	s_waitcnt vmcnt(0)
	s_delay_alu instid0(VALU_DEP_1) | instskip(NEXT) | instid1(VALU_DEP_1)
	v_fmac_f32_e32 v4, v3, v81
	v_sub_f32_e32 v2, v73, v4
	scratch_store_b32 off, v2, off offset:68
	v_cmpx_lt_u32_e32 16, v0
	s_cbranch_execz .LBB33_179
; %bb.178:
	scratch_load_b32 v2, off, off offset:64
	v_mov_b32_e32 v3, 0
	scratch_store_b32 off, v3, off offset:64
	s_waitcnt vmcnt(0)
	ds_store_b32 v1, v2
.LBB33_179:
	s_or_b32 exec_lo, exec_lo, s0
	s_waitcnt lgkmcnt(0)
	s_waitcnt_vscnt null, 0x0
	s_barrier
	buffer_gl0_inv
	s_clause 0x4
	scratch_load_b128 v[73:76], off, off offset:64
	scratch_load_b128 v[77:80], off, off offset:80
	;; [unrolled: 1-line block ×4, first 2 shown]
	scratch_load_b64 v[3:4], off, off offset:128
	v_mov_b32_e32 v2, 0
	ds_load_2addr_b32 v[89:90], v2 offset0:53 offset1:54
	ds_load_2addr_b32 v[91:92], v2 offset0:55 offset1:56
	;; [unrolled: 1-line block ×4, first 2 shown]
	s_mov_b32 s0, exec_lo
	s_waitcnt vmcnt(4) lgkmcnt(3)
	v_fma_f32 v89, v74, v89, 0
	s_delay_alu instid0(VALU_DEP_1) | instskip(SKIP_4) | instid1(VALU_DEP_1)
	v_fmac_f32_e32 v89, v75, v90
	ds_load_2addr_b32 v[74:75], v2 offset0:61 offset1:62
	s_waitcnt lgkmcnt(3)
	v_fmac_f32_e32 v89, v76, v91
	s_waitcnt vmcnt(3)
	v_fmac_f32_e32 v89, v77, v92
	ds_load_2addr_b32 v[76:77], v2 offset0:63 offset1:64
	s_waitcnt lgkmcnt(3)
	v_fmac_f32_e32 v89, v78, v93
	s_delay_alu instid0(VALU_DEP_1) | instskip(SKIP_1) | instid1(VALU_DEP_1)
	v_fmac_f32_e32 v89, v79, v94
	s_waitcnt lgkmcnt(2)
	v_fmac_f32_e32 v89, v80, v95
	s_waitcnt vmcnt(2)
	s_delay_alu instid0(VALU_DEP_1)
	v_fmac_f32_e32 v89, v81, v96
	ds_load_2addr_b32 v[78:79], v2 offset0:65 offset1:66
	ds_load_2addr_b32 v[80:81], v2 offset0:67 offset1:68
	s_waitcnt lgkmcnt(3)
	v_fmac_f32_e32 v89, v82, v74
	ds_load_b32 v74, v2 offset:276
	v_fmac_f32_e32 v89, v83, v75
	s_waitcnt lgkmcnt(3)
	s_delay_alu instid0(VALU_DEP_1) | instskip(SKIP_1) | instid1(VALU_DEP_1)
	v_fmac_f32_e32 v89, v84, v76
	s_waitcnt vmcnt(1)
	v_fmac_f32_e32 v89, v85, v77
	s_waitcnt lgkmcnt(2)
	s_delay_alu instid0(VALU_DEP_1) | instskip(NEXT) | instid1(VALU_DEP_1)
	v_fmac_f32_e32 v89, v86, v78
	v_fmac_f32_e32 v89, v87, v79
	s_waitcnt lgkmcnt(1)
	s_delay_alu instid0(VALU_DEP_1) | instskip(SKIP_1) | instid1(VALU_DEP_1)
	v_fmac_f32_e32 v89, v88, v80
	s_waitcnt vmcnt(0)
	v_fmac_f32_e32 v89, v3, v81
	s_waitcnt lgkmcnt(0)
	s_delay_alu instid0(VALU_DEP_1) | instskip(NEXT) | instid1(VALU_DEP_1)
	v_fmac_f32_e32 v89, v4, v74
	v_sub_f32_e32 v3, v73, v89
	scratch_store_b32 off, v3, off offset:64
	v_cmpx_lt_u32_e32 15, v0
	s_cbranch_execz .LBB33_181
; %bb.180:
	scratch_load_b32 v3, off, off offset:60
	scratch_store_b32 off, v2, off offset:60
	s_waitcnt vmcnt(0)
	ds_store_b32 v1, v3
.LBB33_181:
	s_or_b32 exec_lo, exec_lo, s0
	s_waitcnt lgkmcnt(0)
	s_waitcnt_vscnt null, 0x0
	s_barrier
	buffer_gl0_inv
	s_clause 0x4
	scratch_load_b128 v[73:76], off, off offset:60
	scratch_load_b128 v[77:80], off, off offset:76
	;; [unrolled: 1-line block ×4, first 2 shown]
	scratch_load_b96 v[97:99], off, off offset:124
	ds_load_b128 v[89:92], v2 offset:208
	ds_load_b128 v[93:96], v2 offset:224
	s_mov_b32 s0, exec_lo
	s_waitcnt vmcnt(4) lgkmcnt(1)
	v_fma_f32 v4, v74, v89, 0
	s_delay_alu instid0(VALU_DEP_1) | instskip(NEXT) | instid1(VALU_DEP_1)
	v_fmac_f32_e32 v4, v75, v90
	v_fmac_f32_e32 v4, v76, v91
	s_waitcnt vmcnt(3)
	s_delay_alu instid0(VALU_DEP_1) | instskip(SKIP_3) | instid1(VALU_DEP_1)
	v_fmac_f32_e32 v4, v77, v92
	ds_load_b128 v[74:77], v2 offset:240
	s_waitcnt lgkmcnt(1)
	v_fmac_f32_e32 v4, v78, v93
	v_fmac_f32_e32 v4, v79, v94
	s_delay_alu instid0(VALU_DEP_1) | instskip(SKIP_1) | instid1(VALU_DEP_1)
	v_fmac_f32_e32 v4, v80, v95
	s_waitcnt vmcnt(2)
	v_fmac_f32_e32 v4, v81, v96
	ds_load_b128 v[78:81], v2 offset:256
	ds_load_b64 v[2:3], v2 offset:272
	s_waitcnt lgkmcnt(2)
	v_fmac_f32_e32 v4, v82, v74
	s_delay_alu instid0(VALU_DEP_1) | instskip(NEXT) | instid1(VALU_DEP_1)
	v_fmac_f32_e32 v4, v83, v75
	v_fmac_f32_e32 v4, v84, v76
	s_waitcnt vmcnt(1)
	s_delay_alu instid0(VALU_DEP_1) | instskip(SKIP_1) | instid1(VALU_DEP_1)
	v_fmac_f32_e32 v4, v85, v77
	s_waitcnt lgkmcnt(1)
	v_fmac_f32_e32 v4, v86, v78
	s_delay_alu instid0(VALU_DEP_1) | instskip(NEXT) | instid1(VALU_DEP_1)
	v_fmac_f32_e32 v4, v87, v79
	v_fmac_f32_e32 v4, v88, v80
	s_waitcnt vmcnt(0)
	s_delay_alu instid0(VALU_DEP_1) | instskip(SKIP_1) | instid1(VALU_DEP_1)
	v_fmac_f32_e32 v4, v97, v81
	s_waitcnt lgkmcnt(0)
	v_fmac_f32_e32 v4, v98, v2
	s_delay_alu instid0(VALU_DEP_1) | instskip(NEXT) | instid1(VALU_DEP_1)
	v_fmac_f32_e32 v4, v99, v3
	v_sub_f32_e32 v2, v73, v4
	scratch_store_b32 off, v2, off offset:60
	v_cmpx_lt_u32_e32 14, v0
	s_cbranch_execz .LBB33_183
; %bb.182:
	scratch_load_b32 v2, off, off offset:56
	v_mov_b32_e32 v3, 0
	scratch_store_b32 off, v3, off offset:56
	s_waitcnt vmcnt(0)
	ds_store_b32 v1, v2
.LBB33_183:
	s_or_b32 exec_lo, exec_lo, s0
	s_waitcnt lgkmcnt(0)
	s_waitcnt_vscnt null, 0x0
	s_barrier
	buffer_gl0_inv
	s_clause 0x4
	scratch_load_b128 v[73:76], off, off offset:56
	scratch_load_b128 v[77:80], off, off offset:72
	;; [unrolled: 1-line block ×5, first 2 shown]
	v_mov_b32_e32 v2, 0
	ds_load_2addr_b32 v[3:4], v2 offset0:51 offset1:52
	ds_load_2addr_b32 v[93:94], v2 offset0:53 offset1:54
	;; [unrolled: 1-line block ×4, first 2 shown]
	s_mov_b32 s0, exec_lo
	s_waitcnt vmcnt(4) lgkmcnt(3)
	v_fma_f32 v99, v74, v3, 0
	s_delay_alu instid0(VALU_DEP_1)
	v_fmac_f32_e32 v99, v75, v4
	ds_load_2addr_b32 v[3:4], v2 offset0:59 offset1:60
	ds_load_2addr_b32 v[74:75], v2 offset0:61 offset1:62
	s_waitcnt lgkmcnt(4)
	v_fmac_f32_e32 v99, v76, v93
	s_waitcnt vmcnt(3)
	s_delay_alu instid0(VALU_DEP_1) | instskip(SKIP_1) | instid1(VALU_DEP_1)
	v_fmac_f32_e32 v99, v77, v94
	s_waitcnt lgkmcnt(3)
	v_fmac_f32_e32 v99, v78, v95
	s_delay_alu instid0(VALU_DEP_1)
	v_fmac_f32_e32 v99, v79, v96
	ds_load_2addr_b32 v[76:77], v2 offset0:63 offset1:64
	ds_load_2addr_b32 v[78:79], v2 offset0:65 offset1:66
	s_waitcnt lgkmcnt(4)
	v_fmac_f32_e32 v99, v80, v97
	s_waitcnt vmcnt(2)
	s_delay_alu instid0(VALU_DEP_1) | instskip(SKIP_1) | instid1(VALU_DEP_1)
	v_fmac_f32_e32 v99, v81, v98
	s_waitcnt lgkmcnt(3)
	v_fmac_f32_e32 v99, v82, v3
	s_delay_alu instid0(VALU_DEP_1)
	v_fmac_f32_e32 v99, v83, v4
	ds_load_2addr_b32 v[3:4], v2 offset0:67 offset1:68
	s_waitcnt lgkmcnt(3)
	v_fmac_f32_e32 v99, v84, v74
	ds_load_b32 v74, v2 offset:276
	s_waitcnt vmcnt(1)
	v_fmac_f32_e32 v99, v85, v75
	s_waitcnt lgkmcnt(3)
	s_delay_alu instid0(VALU_DEP_1) | instskip(NEXT) | instid1(VALU_DEP_1)
	v_fmac_f32_e32 v99, v86, v76
	v_fmac_f32_e32 v99, v87, v77
	s_waitcnt lgkmcnt(2)
	s_delay_alu instid0(VALU_DEP_1) | instskip(SKIP_1) | instid1(VALU_DEP_1)
	v_fmac_f32_e32 v99, v88, v78
	s_waitcnt vmcnt(0)
	v_fmac_f32_e32 v99, v89, v79
	s_waitcnt lgkmcnt(1)
	s_delay_alu instid0(VALU_DEP_1) | instskip(NEXT) | instid1(VALU_DEP_1)
	v_fmac_f32_e32 v99, v90, v3
	v_fmac_f32_e32 v99, v91, v4
	s_waitcnt lgkmcnt(0)
	s_delay_alu instid0(VALU_DEP_1) | instskip(NEXT) | instid1(VALU_DEP_1)
	v_fmac_f32_e32 v99, v92, v74
	v_sub_f32_e32 v3, v73, v99
	scratch_store_b32 off, v3, off offset:56
	v_cmpx_lt_u32_e32 13, v0
	s_cbranch_execz .LBB33_185
; %bb.184:
	scratch_load_b32 v3, off, off offset:52
	scratch_store_b32 off, v2, off offset:52
	s_waitcnt vmcnt(0)
	ds_store_b32 v1, v3
.LBB33_185:
	s_or_b32 exec_lo, exec_lo, s0
	s_waitcnt lgkmcnt(0)
	s_waitcnt_vscnt null, 0x0
	s_barrier
	buffer_gl0_inv
	s_clause 0x5
	scratch_load_b128 v[73:76], off, off offset:52
	scratch_load_b128 v[77:80], off, off offset:68
	;; [unrolled: 1-line block ×5, first 2 shown]
	scratch_load_b32 v3, off, off offset:132
	ds_load_2addr_b64 v[93:96], v2 offset0:25 offset1:26
	ds_load_2addr_b64 v[97:100], v2 offset0:27 offset1:28
	s_mov_b32 s0, exec_lo
	s_waitcnt vmcnt(5) lgkmcnt(1)
	v_fma_f32 v4, v74, v93, 0
	s_delay_alu instid0(VALU_DEP_1) | instskip(NEXT) | instid1(VALU_DEP_1)
	v_fmac_f32_e32 v4, v75, v94
	v_fmac_f32_e32 v4, v76, v95
	s_waitcnt vmcnt(4)
	s_delay_alu instid0(VALU_DEP_1) | instskip(SKIP_3) | instid1(VALU_DEP_1)
	v_fmac_f32_e32 v4, v77, v96
	ds_load_2addr_b64 v[74:77], v2 offset0:29 offset1:30
	s_waitcnt lgkmcnt(1)
	v_fmac_f32_e32 v4, v78, v97
	v_fmac_f32_e32 v4, v79, v98
	s_delay_alu instid0(VALU_DEP_1) | instskip(SKIP_1) | instid1(VALU_DEP_1)
	v_fmac_f32_e32 v4, v80, v99
	s_waitcnt vmcnt(3)
	v_fmac_f32_e32 v4, v81, v100
	ds_load_2addr_b64 v[78:81], v2 offset0:31 offset1:32
	s_waitcnt lgkmcnt(1)
	v_fmac_f32_e32 v4, v82, v74
	s_delay_alu instid0(VALU_DEP_1) | instskip(NEXT) | instid1(VALU_DEP_1)
	v_fmac_f32_e32 v4, v83, v75
	v_fmac_f32_e32 v4, v84, v76
	s_waitcnt vmcnt(2)
	s_delay_alu instid0(VALU_DEP_1) | instskip(SKIP_3) | instid1(VALU_DEP_1)
	v_fmac_f32_e32 v4, v85, v77
	ds_load_2addr_b64 v[74:77], v2 offset0:33 offset1:34
	s_waitcnt lgkmcnt(1)
	v_fmac_f32_e32 v4, v86, v78
	v_fmac_f32_e32 v4, v87, v79
	s_delay_alu instid0(VALU_DEP_1) | instskip(SKIP_1) | instid1(VALU_DEP_1)
	v_fmac_f32_e32 v4, v88, v80
	s_waitcnt vmcnt(1)
	v_fmac_f32_e32 v4, v89, v81
	s_waitcnt lgkmcnt(0)
	s_delay_alu instid0(VALU_DEP_1) | instskip(NEXT) | instid1(VALU_DEP_1)
	v_fmac_f32_e32 v4, v90, v74
	v_fmac_f32_e32 v4, v91, v75
	s_delay_alu instid0(VALU_DEP_1) | instskip(SKIP_1) | instid1(VALU_DEP_1)
	v_fmac_f32_e32 v4, v92, v76
	s_waitcnt vmcnt(0)
	v_fmac_f32_e32 v4, v3, v77
	s_delay_alu instid0(VALU_DEP_1)
	v_sub_f32_e32 v2, v73, v4
	scratch_store_b32 off, v2, off offset:52
	v_cmpx_lt_u32_e32 12, v0
	s_cbranch_execz .LBB33_187
; %bb.186:
	scratch_load_b32 v2, off, off offset:48
	v_mov_b32_e32 v3, 0
	scratch_store_b32 off, v3, off offset:48
	s_waitcnt vmcnt(0)
	ds_store_b32 v1, v2
.LBB33_187:
	s_or_b32 exec_lo, exec_lo, s0
	s_waitcnt lgkmcnt(0)
	s_waitcnt_vscnt null, 0x0
	s_barrier
	buffer_gl0_inv
	s_clause 0x5
	scratch_load_b128 v[73:76], off, off offset:48
	scratch_load_b128 v[77:80], off, off offset:64
	;; [unrolled: 1-line block ×5, first 2 shown]
	scratch_load_b64 v[3:4], off, off offset:128
	v_mov_b32_e32 v2, 0
	ds_load_2addr_b32 v[93:94], v2 offset0:49 offset1:50
	ds_load_2addr_b32 v[95:96], v2 offset0:51 offset1:52
	;; [unrolled: 1-line block ×4, first 2 shown]
	s_mov_b32 s0, exec_lo
	s_waitcnt vmcnt(5) lgkmcnt(3)
	v_fma_f32 v93, v74, v93, 0
	s_delay_alu instid0(VALU_DEP_1) | instskip(SKIP_4) | instid1(VALU_DEP_1)
	v_fmac_f32_e32 v93, v75, v94
	ds_load_2addr_b32 v[74:75], v2 offset0:57 offset1:58
	s_waitcnt lgkmcnt(3)
	v_fmac_f32_e32 v93, v76, v95
	s_waitcnt vmcnt(4)
	v_fmac_f32_e32 v93, v77, v96
	ds_load_2addr_b32 v[76:77], v2 offset0:59 offset1:60
	s_waitcnt lgkmcnt(3)
	v_fmac_f32_e32 v93, v78, v97
	s_delay_alu instid0(VALU_DEP_1) | instskip(SKIP_1) | instid1(VALU_DEP_1)
	v_fmac_f32_e32 v93, v79, v98
	s_waitcnt lgkmcnt(2)
	v_fmac_f32_e32 v93, v80, v99
	s_waitcnt vmcnt(3)
	s_delay_alu instid0(VALU_DEP_1) | instskip(SKIP_4) | instid1(VALU_DEP_1)
	v_fmac_f32_e32 v93, v81, v100
	ds_load_2addr_b32 v[78:79], v2 offset0:61 offset1:62
	ds_load_2addr_b32 v[80:81], v2 offset0:63 offset1:64
	s_waitcnt lgkmcnt(3)
	v_fmac_f32_e32 v93, v82, v74
	v_fmac_f32_e32 v93, v83, v75
	ds_load_2addr_b32 v[74:75], v2 offset0:65 offset1:66
	s_waitcnt lgkmcnt(3)
	v_fmac_f32_e32 v93, v84, v76
	s_waitcnt vmcnt(2)
	s_delay_alu instid0(VALU_DEP_1)
	v_fmac_f32_e32 v93, v85, v77
	ds_load_2addr_b32 v[76:77], v2 offset0:67 offset1:68
	s_waitcnt lgkmcnt(3)
	v_fmac_f32_e32 v93, v86, v78
	ds_load_b32 v78, v2 offset:276
	v_fmac_f32_e32 v93, v87, v79
	s_waitcnt lgkmcnt(3)
	s_delay_alu instid0(VALU_DEP_1) | instskip(SKIP_1) | instid1(VALU_DEP_1)
	v_fmac_f32_e32 v93, v88, v80
	s_waitcnt vmcnt(1)
	v_fmac_f32_e32 v93, v89, v81
	s_waitcnt lgkmcnt(2)
	s_delay_alu instid0(VALU_DEP_1) | instskip(NEXT) | instid1(VALU_DEP_1)
	v_fmac_f32_e32 v93, v90, v74
	v_fmac_f32_e32 v93, v91, v75
	s_waitcnt lgkmcnt(1)
	s_delay_alu instid0(VALU_DEP_1) | instskip(SKIP_1) | instid1(VALU_DEP_1)
	v_fmac_f32_e32 v93, v92, v76
	s_waitcnt vmcnt(0)
	v_fmac_f32_e32 v93, v3, v77
	s_waitcnt lgkmcnt(0)
	s_delay_alu instid0(VALU_DEP_1) | instskip(NEXT) | instid1(VALU_DEP_1)
	v_fmac_f32_e32 v93, v4, v78
	v_sub_f32_e32 v3, v73, v93
	scratch_store_b32 off, v3, off offset:48
	v_cmpx_lt_u32_e32 11, v0
	s_cbranch_execz .LBB33_189
; %bb.188:
	scratch_load_b32 v3, off, off offset:44
	scratch_store_b32 off, v2, off offset:44
	s_waitcnt vmcnt(0)
	ds_store_b32 v1, v3
.LBB33_189:
	s_or_b32 exec_lo, exec_lo, s0
	s_waitcnt lgkmcnt(0)
	s_waitcnt_vscnt null, 0x0
	s_barrier
	buffer_gl0_inv
	s_clause 0x5
	scratch_load_b128 v[73:76], off, off offset:44
	scratch_load_b128 v[77:80], off, off offset:60
	;; [unrolled: 1-line block ×5, first 2 shown]
	scratch_load_b96 v[101:103], off, off offset:124
	ds_load_b128 v[93:96], v2 offset:192
	ds_load_b128 v[97:100], v2 offset:208
	s_mov_b32 s0, exec_lo
	s_waitcnt vmcnt(5) lgkmcnt(1)
	v_fma_f32 v4, v74, v93, 0
	s_delay_alu instid0(VALU_DEP_1) | instskip(NEXT) | instid1(VALU_DEP_1)
	v_fmac_f32_e32 v4, v75, v94
	v_fmac_f32_e32 v4, v76, v95
	s_waitcnt vmcnt(4)
	s_delay_alu instid0(VALU_DEP_1) | instskip(SKIP_3) | instid1(VALU_DEP_1)
	v_fmac_f32_e32 v4, v77, v96
	ds_load_b128 v[74:77], v2 offset:224
	s_waitcnt lgkmcnt(1)
	v_fmac_f32_e32 v4, v78, v97
	v_fmac_f32_e32 v4, v79, v98
	s_delay_alu instid0(VALU_DEP_1) | instskip(SKIP_1) | instid1(VALU_DEP_1)
	v_fmac_f32_e32 v4, v80, v99
	s_waitcnt vmcnt(3)
	v_fmac_f32_e32 v4, v81, v100
	ds_load_b128 v[78:81], v2 offset:240
	s_waitcnt lgkmcnt(1)
	v_fmac_f32_e32 v4, v82, v74
	s_delay_alu instid0(VALU_DEP_1) | instskip(NEXT) | instid1(VALU_DEP_1)
	v_fmac_f32_e32 v4, v83, v75
	v_fmac_f32_e32 v4, v84, v76
	s_waitcnt vmcnt(2)
	s_delay_alu instid0(VALU_DEP_1) | instskip(SKIP_4) | instid1(VALU_DEP_1)
	v_fmac_f32_e32 v4, v85, v77
	ds_load_b128 v[74:77], v2 offset:256
	ds_load_b64 v[2:3], v2 offset:272
	s_waitcnt lgkmcnt(2)
	v_fmac_f32_e32 v4, v86, v78
	v_fmac_f32_e32 v4, v87, v79
	s_delay_alu instid0(VALU_DEP_1) | instskip(SKIP_1) | instid1(VALU_DEP_1)
	v_fmac_f32_e32 v4, v88, v80
	s_waitcnt vmcnt(1)
	v_fmac_f32_e32 v4, v89, v81
	s_waitcnt lgkmcnt(1)
	s_delay_alu instid0(VALU_DEP_1) | instskip(NEXT) | instid1(VALU_DEP_1)
	v_fmac_f32_e32 v4, v90, v74
	v_fmac_f32_e32 v4, v91, v75
	s_delay_alu instid0(VALU_DEP_1) | instskip(SKIP_1) | instid1(VALU_DEP_1)
	v_fmac_f32_e32 v4, v92, v76
	s_waitcnt vmcnt(0)
	v_fmac_f32_e32 v4, v101, v77
	s_waitcnt lgkmcnt(0)
	s_delay_alu instid0(VALU_DEP_1) | instskip(NEXT) | instid1(VALU_DEP_1)
	v_fmac_f32_e32 v4, v102, v2
	v_fmac_f32_e32 v4, v103, v3
	s_delay_alu instid0(VALU_DEP_1)
	v_sub_f32_e32 v2, v73, v4
	scratch_store_b32 off, v2, off offset:44
	v_cmpx_lt_u32_e32 10, v0
	s_cbranch_execz .LBB33_191
; %bb.190:
	scratch_load_b32 v2, off, off offset:40
	v_mov_b32_e32 v3, 0
	scratch_store_b32 off, v3, off offset:40
	s_waitcnt vmcnt(0)
	ds_store_b32 v1, v2
.LBB33_191:
	s_or_b32 exec_lo, exec_lo, s0
	s_waitcnt lgkmcnt(0)
	s_waitcnt_vscnt null, 0x0
	s_barrier
	buffer_gl0_inv
	s_clause 0x5
	scratch_load_b128 v[73:76], off, off offset:40
	scratch_load_b128 v[77:80], off, off offset:56
	;; [unrolled: 1-line block ×6, first 2 shown]
	v_mov_b32_e32 v2, 0
	ds_load_2addr_b32 v[3:4], v2 offset0:47 offset1:48
	ds_load_2addr_b32 v[97:98], v2 offset0:49 offset1:50
	ds_load_2addr_b32 v[99:100], v2 offset0:51 offset1:52
	ds_load_2addr_b32 v[101:102], v2 offset0:53 offset1:54
	s_mov_b32 s0, exec_lo
	s_waitcnt vmcnt(5) lgkmcnt(3)
	v_fma_f32 v103, v74, v3, 0
	s_delay_alu instid0(VALU_DEP_1)
	v_fmac_f32_e32 v103, v75, v4
	ds_load_2addr_b32 v[3:4], v2 offset0:55 offset1:56
	ds_load_2addr_b32 v[74:75], v2 offset0:57 offset1:58
	s_waitcnt lgkmcnt(4)
	v_fmac_f32_e32 v103, v76, v97
	s_waitcnt vmcnt(4)
	s_delay_alu instid0(VALU_DEP_1) | instskip(SKIP_1) | instid1(VALU_DEP_1)
	v_fmac_f32_e32 v103, v77, v98
	s_waitcnt lgkmcnt(3)
	v_fmac_f32_e32 v103, v78, v99
	s_delay_alu instid0(VALU_DEP_1)
	v_fmac_f32_e32 v103, v79, v100
	ds_load_2addr_b32 v[76:77], v2 offset0:59 offset1:60
	ds_load_2addr_b32 v[78:79], v2 offset0:61 offset1:62
	s_waitcnt lgkmcnt(4)
	v_fmac_f32_e32 v103, v80, v101
	s_waitcnt vmcnt(3)
	s_delay_alu instid0(VALU_DEP_1) | instskip(SKIP_1) | instid1(VALU_DEP_1)
	v_fmac_f32_e32 v103, v81, v102
	s_waitcnt lgkmcnt(3)
	v_fmac_f32_e32 v103, v82, v3
	s_delay_alu instid0(VALU_DEP_1) | instskip(SKIP_4) | instid1(VALU_DEP_1)
	v_fmac_f32_e32 v103, v83, v4
	ds_load_2addr_b32 v[3:4], v2 offset0:63 offset1:64
	s_waitcnt lgkmcnt(3)
	v_fmac_f32_e32 v103, v84, v74
	s_waitcnt vmcnt(2)
	v_fmac_f32_e32 v103, v85, v75
	ds_load_2addr_b32 v[74:75], v2 offset0:65 offset1:66
	s_waitcnt lgkmcnt(3)
	v_fmac_f32_e32 v103, v86, v76
	s_delay_alu instid0(VALU_DEP_1) | instskip(SKIP_1) | instid1(VALU_DEP_1)
	v_fmac_f32_e32 v103, v87, v77
	s_waitcnt lgkmcnt(2)
	v_fmac_f32_e32 v103, v88, v78
	ds_load_2addr_b32 v[76:77], v2 offset0:67 offset1:68
	ds_load_b32 v78, v2 offset:276
	s_waitcnt vmcnt(1)
	v_fmac_f32_e32 v103, v89, v79
	s_waitcnt lgkmcnt(3)
	s_delay_alu instid0(VALU_DEP_1) | instskip(NEXT) | instid1(VALU_DEP_1)
	v_fmac_f32_e32 v103, v90, v3
	v_fmac_f32_e32 v103, v91, v4
	s_waitcnt lgkmcnt(2)
	s_delay_alu instid0(VALU_DEP_1) | instskip(SKIP_1) | instid1(VALU_DEP_1)
	v_fmac_f32_e32 v103, v92, v74
	s_waitcnt vmcnt(0)
	v_fmac_f32_e32 v103, v93, v75
	s_waitcnt lgkmcnt(1)
	s_delay_alu instid0(VALU_DEP_1) | instskip(NEXT) | instid1(VALU_DEP_1)
	v_fmac_f32_e32 v103, v94, v76
	v_fmac_f32_e32 v103, v95, v77
	s_waitcnt lgkmcnt(0)
	s_delay_alu instid0(VALU_DEP_1) | instskip(NEXT) | instid1(VALU_DEP_1)
	v_fmac_f32_e32 v103, v96, v78
	v_sub_f32_e32 v3, v73, v103
	scratch_store_b32 off, v3, off offset:40
	v_cmpx_lt_u32_e32 9, v0
	s_cbranch_execz .LBB33_193
; %bb.192:
	scratch_load_b32 v3, off, off offset:36
	scratch_store_b32 off, v2, off offset:36
	s_waitcnt vmcnt(0)
	ds_store_b32 v1, v3
.LBB33_193:
	s_or_b32 exec_lo, exec_lo, s0
	s_waitcnt lgkmcnt(0)
	s_waitcnt_vscnt null, 0x0
	s_barrier
	buffer_gl0_inv
	s_clause 0x6
	scratch_load_b128 v[73:76], off, off offset:36
	scratch_load_b128 v[77:80], off, off offset:52
	;; [unrolled: 1-line block ×6, first 2 shown]
	scratch_load_b32 v3, off, off offset:132
	ds_load_2addr_b64 v[97:100], v2 offset0:23 offset1:24
	ds_load_2addr_b64 v[101:104], v2 offset0:25 offset1:26
	s_mov_b32 s0, exec_lo
	s_waitcnt vmcnt(6) lgkmcnt(1)
	v_fma_f32 v4, v74, v97, 0
	s_delay_alu instid0(VALU_DEP_1) | instskip(NEXT) | instid1(VALU_DEP_1)
	v_fmac_f32_e32 v4, v75, v98
	v_fmac_f32_e32 v4, v76, v99
	s_waitcnt vmcnt(5)
	s_delay_alu instid0(VALU_DEP_1) | instskip(SKIP_3) | instid1(VALU_DEP_1)
	v_fmac_f32_e32 v4, v77, v100
	ds_load_2addr_b64 v[74:77], v2 offset0:27 offset1:28
	s_waitcnt lgkmcnt(1)
	v_fmac_f32_e32 v4, v78, v101
	v_fmac_f32_e32 v4, v79, v102
	s_delay_alu instid0(VALU_DEP_1) | instskip(SKIP_1) | instid1(VALU_DEP_1)
	v_fmac_f32_e32 v4, v80, v103
	s_waitcnt vmcnt(4)
	v_fmac_f32_e32 v4, v81, v104
	ds_load_2addr_b64 v[78:81], v2 offset0:29 offset1:30
	s_waitcnt lgkmcnt(1)
	v_fmac_f32_e32 v4, v82, v74
	s_delay_alu instid0(VALU_DEP_1) | instskip(NEXT) | instid1(VALU_DEP_1)
	v_fmac_f32_e32 v4, v83, v75
	v_fmac_f32_e32 v4, v84, v76
	s_waitcnt vmcnt(3)
	s_delay_alu instid0(VALU_DEP_1) | instskip(SKIP_3) | instid1(VALU_DEP_1)
	v_fmac_f32_e32 v4, v85, v77
	ds_load_2addr_b64 v[74:77], v2 offset0:31 offset1:32
	s_waitcnt lgkmcnt(1)
	v_fmac_f32_e32 v4, v86, v78
	v_fmac_f32_e32 v4, v87, v79
	s_delay_alu instid0(VALU_DEP_1) | instskip(SKIP_1) | instid1(VALU_DEP_1)
	v_fmac_f32_e32 v4, v88, v80
	s_waitcnt vmcnt(2)
	v_fmac_f32_e32 v4, v89, v81
	ds_load_2addr_b64 v[78:81], v2 offset0:33 offset1:34
	s_waitcnt lgkmcnt(1)
	v_fmac_f32_e32 v4, v90, v74
	s_delay_alu instid0(VALU_DEP_1) | instskip(NEXT) | instid1(VALU_DEP_1)
	v_fmac_f32_e32 v4, v91, v75
	v_fmac_f32_e32 v4, v92, v76
	s_waitcnt vmcnt(1)
	s_delay_alu instid0(VALU_DEP_1) | instskip(SKIP_1) | instid1(VALU_DEP_1)
	v_fmac_f32_e32 v4, v93, v77
	s_waitcnt lgkmcnt(0)
	v_fmac_f32_e32 v4, v94, v78
	s_delay_alu instid0(VALU_DEP_1) | instskip(NEXT) | instid1(VALU_DEP_1)
	v_fmac_f32_e32 v4, v95, v79
	v_fmac_f32_e32 v4, v96, v80
	s_waitcnt vmcnt(0)
	s_delay_alu instid0(VALU_DEP_1) | instskip(NEXT) | instid1(VALU_DEP_1)
	v_fmac_f32_e32 v4, v3, v81
	v_sub_f32_e32 v2, v73, v4
	scratch_store_b32 off, v2, off offset:36
	v_cmpx_lt_u32_e32 8, v0
	s_cbranch_execz .LBB33_195
; %bb.194:
	scratch_load_b32 v2, off, off offset:32
	v_mov_b32_e32 v3, 0
	scratch_store_b32 off, v3, off offset:32
	s_waitcnt vmcnt(0)
	ds_store_b32 v1, v2
.LBB33_195:
	s_or_b32 exec_lo, exec_lo, s0
	s_waitcnt lgkmcnt(0)
	s_waitcnt_vscnt null, 0x0
	s_barrier
	buffer_gl0_inv
	s_clause 0x6
	scratch_load_b128 v[73:76], off, off offset:32
	scratch_load_b128 v[77:80], off, off offset:48
	scratch_load_b128 v[81:84], off, off offset:64
	scratch_load_b128 v[85:88], off, off offset:80
	scratch_load_b128 v[89:92], off, off offset:96
	scratch_load_b128 v[93:96], off, off offset:112
	scratch_load_b64 v[3:4], off, off offset:128
	v_mov_b32_e32 v2, 0
	ds_load_2addr_b32 v[97:98], v2 offset0:45 offset1:46
	ds_load_2addr_b32 v[99:100], v2 offset0:47 offset1:48
	;; [unrolled: 1-line block ×4, first 2 shown]
	s_mov_b32 s0, exec_lo
	s_waitcnt vmcnt(6) lgkmcnt(3)
	v_fma_f32 v97, v74, v97, 0
	s_delay_alu instid0(VALU_DEP_1) | instskip(SKIP_4) | instid1(VALU_DEP_1)
	v_fmac_f32_e32 v97, v75, v98
	ds_load_2addr_b32 v[74:75], v2 offset0:53 offset1:54
	s_waitcnt lgkmcnt(3)
	v_fmac_f32_e32 v97, v76, v99
	s_waitcnt vmcnt(5)
	v_fmac_f32_e32 v97, v77, v100
	ds_load_2addr_b32 v[76:77], v2 offset0:55 offset1:56
	s_waitcnt lgkmcnt(3)
	v_fmac_f32_e32 v97, v78, v101
	s_delay_alu instid0(VALU_DEP_1) | instskip(SKIP_1) | instid1(VALU_DEP_1)
	v_fmac_f32_e32 v97, v79, v102
	s_waitcnt lgkmcnt(2)
	v_fmac_f32_e32 v97, v80, v103
	s_waitcnt vmcnt(4)
	s_delay_alu instid0(VALU_DEP_1) | instskip(SKIP_4) | instid1(VALU_DEP_1)
	v_fmac_f32_e32 v97, v81, v104
	ds_load_2addr_b32 v[78:79], v2 offset0:57 offset1:58
	ds_load_2addr_b32 v[80:81], v2 offset0:59 offset1:60
	s_waitcnt lgkmcnt(3)
	v_fmac_f32_e32 v97, v82, v74
	v_fmac_f32_e32 v97, v83, v75
	ds_load_2addr_b32 v[74:75], v2 offset0:61 offset1:62
	s_waitcnt lgkmcnt(3)
	v_fmac_f32_e32 v97, v84, v76
	s_waitcnt vmcnt(3)
	s_delay_alu instid0(VALU_DEP_1) | instskip(SKIP_3) | instid1(VALU_DEP_1)
	v_fmac_f32_e32 v97, v85, v77
	ds_load_2addr_b32 v[76:77], v2 offset0:63 offset1:64
	s_waitcnt lgkmcnt(3)
	v_fmac_f32_e32 v97, v86, v78
	v_fmac_f32_e32 v97, v87, v79
	s_waitcnt lgkmcnt(2)
	s_delay_alu instid0(VALU_DEP_1) | instskip(SKIP_1) | instid1(VALU_DEP_1)
	v_fmac_f32_e32 v97, v88, v80
	s_waitcnt vmcnt(2)
	v_fmac_f32_e32 v97, v89, v81
	ds_load_2addr_b32 v[78:79], v2 offset0:65 offset1:66
	ds_load_2addr_b32 v[80:81], v2 offset0:67 offset1:68
	s_waitcnt lgkmcnt(3)
	v_fmac_f32_e32 v97, v90, v74
	ds_load_b32 v74, v2 offset:276
	v_fmac_f32_e32 v97, v91, v75
	s_waitcnt lgkmcnt(3)
	s_delay_alu instid0(VALU_DEP_1) | instskip(SKIP_1) | instid1(VALU_DEP_1)
	v_fmac_f32_e32 v97, v92, v76
	s_waitcnt vmcnt(1)
	v_fmac_f32_e32 v97, v93, v77
	s_waitcnt lgkmcnt(2)
	s_delay_alu instid0(VALU_DEP_1) | instskip(NEXT) | instid1(VALU_DEP_1)
	v_fmac_f32_e32 v97, v94, v78
	v_fmac_f32_e32 v97, v95, v79
	s_waitcnt lgkmcnt(1)
	s_delay_alu instid0(VALU_DEP_1) | instskip(SKIP_1) | instid1(VALU_DEP_1)
	v_fmac_f32_e32 v97, v96, v80
	s_waitcnt vmcnt(0)
	v_fmac_f32_e32 v97, v3, v81
	s_waitcnt lgkmcnt(0)
	s_delay_alu instid0(VALU_DEP_1) | instskip(NEXT) | instid1(VALU_DEP_1)
	v_fmac_f32_e32 v97, v4, v74
	v_sub_f32_e32 v3, v73, v97
	scratch_store_b32 off, v3, off offset:32
	v_cmpx_lt_u32_e32 7, v0
	s_cbranch_execz .LBB33_197
; %bb.196:
	scratch_load_b32 v3, off, off offset:28
	scratch_store_b32 off, v2, off offset:28
	s_waitcnt vmcnt(0)
	ds_store_b32 v1, v3
.LBB33_197:
	s_or_b32 exec_lo, exec_lo, s0
	s_waitcnt lgkmcnt(0)
	s_waitcnt_vscnt null, 0x0
	s_barrier
	buffer_gl0_inv
	s_clause 0x6
	scratch_load_b128 v[73:76], off, off offset:28
	scratch_load_b128 v[77:80], off, off offset:44
	;; [unrolled: 1-line block ×6, first 2 shown]
	scratch_load_b96 v[105:107], off, off offset:124
	ds_load_b128 v[97:100], v2 offset:176
	ds_load_b128 v[101:104], v2 offset:192
	s_mov_b32 s0, exec_lo
	s_waitcnt vmcnt(6) lgkmcnt(1)
	v_fma_f32 v4, v74, v97, 0
	s_delay_alu instid0(VALU_DEP_1) | instskip(NEXT) | instid1(VALU_DEP_1)
	v_fmac_f32_e32 v4, v75, v98
	v_fmac_f32_e32 v4, v76, v99
	s_waitcnt vmcnt(5)
	s_delay_alu instid0(VALU_DEP_1) | instskip(SKIP_3) | instid1(VALU_DEP_1)
	v_fmac_f32_e32 v4, v77, v100
	ds_load_b128 v[74:77], v2 offset:208
	s_waitcnt lgkmcnt(1)
	v_fmac_f32_e32 v4, v78, v101
	v_fmac_f32_e32 v4, v79, v102
	s_delay_alu instid0(VALU_DEP_1) | instskip(SKIP_1) | instid1(VALU_DEP_1)
	v_fmac_f32_e32 v4, v80, v103
	s_waitcnt vmcnt(4)
	v_fmac_f32_e32 v4, v81, v104
	ds_load_b128 v[78:81], v2 offset:224
	s_waitcnt lgkmcnt(1)
	v_fmac_f32_e32 v4, v82, v74
	s_delay_alu instid0(VALU_DEP_1) | instskip(NEXT) | instid1(VALU_DEP_1)
	v_fmac_f32_e32 v4, v83, v75
	v_fmac_f32_e32 v4, v84, v76
	s_waitcnt vmcnt(3)
	s_delay_alu instid0(VALU_DEP_1) | instskip(SKIP_3) | instid1(VALU_DEP_1)
	v_fmac_f32_e32 v4, v85, v77
	ds_load_b128 v[74:77], v2 offset:240
	s_waitcnt lgkmcnt(1)
	v_fmac_f32_e32 v4, v86, v78
	v_fmac_f32_e32 v4, v87, v79
	s_delay_alu instid0(VALU_DEP_1) | instskip(SKIP_1) | instid1(VALU_DEP_1)
	v_fmac_f32_e32 v4, v88, v80
	s_waitcnt vmcnt(2)
	v_fmac_f32_e32 v4, v89, v81
	ds_load_b128 v[78:81], v2 offset:256
	ds_load_b64 v[2:3], v2 offset:272
	s_waitcnt lgkmcnt(2)
	v_fmac_f32_e32 v4, v90, v74
	s_delay_alu instid0(VALU_DEP_1) | instskip(NEXT) | instid1(VALU_DEP_1)
	v_fmac_f32_e32 v4, v91, v75
	v_fmac_f32_e32 v4, v92, v76
	s_waitcnt vmcnt(1)
	s_delay_alu instid0(VALU_DEP_1) | instskip(SKIP_1) | instid1(VALU_DEP_1)
	v_fmac_f32_e32 v4, v93, v77
	s_waitcnt lgkmcnt(1)
	v_fmac_f32_e32 v4, v94, v78
	s_delay_alu instid0(VALU_DEP_1) | instskip(NEXT) | instid1(VALU_DEP_1)
	v_fmac_f32_e32 v4, v95, v79
	v_fmac_f32_e32 v4, v96, v80
	s_waitcnt vmcnt(0)
	s_delay_alu instid0(VALU_DEP_1) | instskip(SKIP_1) | instid1(VALU_DEP_1)
	v_fmac_f32_e32 v4, v105, v81
	s_waitcnt lgkmcnt(0)
	v_fmac_f32_e32 v4, v106, v2
	s_delay_alu instid0(VALU_DEP_1) | instskip(NEXT) | instid1(VALU_DEP_1)
	v_fmac_f32_e32 v4, v107, v3
	v_sub_f32_e32 v2, v73, v4
	scratch_store_b32 off, v2, off offset:28
	v_cmpx_lt_u32_e32 6, v0
	s_cbranch_execz .LBB33_199
; %bb.198:
	scratch_load_b32 v2, off, off offset:24
	v_mov_b32_e32 v3, 0
	scratch_store_b32 off, v3, off offset:24
	s_waitcnt vmcnt(0)
	ds_store_b32 v1, v2
.LBB33_199:
	s_or_b32 exec_lo, exec_lo, s0
	s_waitcnt lgkmcnt(0)
	s_waitcnt_vscnt null, 0x0
	s_barrier
	buffer_gl0_inv
	s_clause 0x6
	scratch_load_b128 v[73:76], off, off offset:24
	scratch_load_b128 v[77:80], off, off offset:40
	;; [unrolled: 1-line block ×7, first 2 shown]
	v_mov_b32_e32 v2, 0
	ds_load_2addr_b32 v[3:4], v2 offset0:43 offset1:44
	ds_load_2addr_b32 v[101:102], v2 offset0:45 offset1:46
	;; [unrolled: 1-line block ×4, first 2 shown]
	s_mov_b32 s0, exec_lo
	s_waitcnt vmcnt(6) lgkmcnt(3)
	v_fma_f32 v107, v74, v3, 0
	s_delay_alu instid0(VALU_DEP_1)
	v_fmac_f32_e32 v107, v75, v4
	ds_load_2addr_b32 v[3:4], v2 offset0:51 offset1:52
	ds_load_2addr_b32 v[74:75], v2 offset0:53 offset1:54
	s_waitcnt lgkmcnt(4)
	v_fmac_f32_e32 v107, v76, v101
	s_waitcnt vmcnt(5)
	s_delay_alu instid0(VALU_DEP_1) | instskip(SKIP_1) | instid1(VALU_DEP_1)
	v_fmac_f32_e32 v107, v77, v102
	s_waitcnt lgkmcnt(3)
	v_fmac_f32_e32 v107, v78, v103
	s_delay_alu instid0(VALU_DEP_1)
	v_fmac_f32_e32 v107, v79, v104
	ds_load_2addr_b32 v[76:77], v2 offset0:55 offset1:56
	ds_load_2addr_b32 v[78:79], v2 offset0:57 offset1:58
	s_waitcnt lgkmcnt(4)
	v_fmac_f32_e32 v107, v80, v105
	s_waitcnt vmcnt(4)
	s_delay_alu instid0(VALU_DEP_1) | instskip(SKIP_1) | instid1(VALU_DEP_1)
	v_fmac_f32_e32 v107, v81, v106
	s_waitcnt lgkmcnt(3)
	v_fmac_f32_e32 v107, v82, v3
	s_delay_alu instid0(VALU_DEP_1) | instskip(SKIP_4) | instid1(VALU_DEP_1)
	v_fmac_f32_e32 v107, v83, v4
	ds_load_2addr_b32 v[3:4], v2 offset0:59 offset1:60
	s_waitcnt lgkmcnt(3)
	v_fmac_f32_e32 v107, v84, v74
	s_waitcnt vmcnt(3)
	v_fmac_f32_e32 v107, v85, v75
	ds_load_2addr_b32 v[74:75], v2 offset0:61 offset1:62
	s_waitcnt lgkmcnt(3)
	v_fmac_f32_e32 v107, v86, v76
	s_delay_alu instid0(VALU_DEP_1) | instskip(SKIP_1) | instid1(VALU_DEP_1)
	v_fmac_f32_e32 v107, v87, v77
	s_waitcnt lgkmcnt(2)
	v_fmac_f32_e32 v107, v88, v78
	s_waitcnt vmcnt(2)
	s_delay_alu instid0(VALU_DEP_1) | instskip(SKIP_4) | instid1(VALU_DEP_1)
	v_fmac_f32_e32 v107, v89, v79
	ds_load_2addr_b32 v[76:77], v2 offset0:63 offset1:64
	ds_load_2addr_b32 v[78:79], v2 offset0:65 offset1:66
	s_waitcnt lgkmcnt(3)
	v_fmac_f32_e32 v107, v90, v3
	v_fmac_f32_e32 v107, v91, v4
	ds_load_2addr_b32 v[3:4], v2 offset0:67 offset1:68
	s_waitcnt lgkmcnt(3)
	v_fmac_f32_e32 v107, v92, v74
	ds_load_b32 v74, v2 offset:276
	s_waitcnt vmcnt(1)
	v_fmac_f32_e32 v107, v93, v75
	s_waitcnt lgkmcnt(3)
	s_delay_alu instid0(VALU_DEP_1) | instskip(NEXT) | instid1(VALU_DEP_1)
	v_fmac_f32_e32 v107, v94, v76
	v_fmac_f32_e32 v107, v95, v77
	s_waitcnt lgkmcnt(2)
	s_delay_alu instid0(VALU_DEP_1) | instskip(SKIP_1) | instid1(VALU_DEP_1)
	v_fmac_f32_e32 v107, v96, v78
	s_waitcnt vmcnt(0)
	v_fmac_f32_e32 v107, v97, v79
	s_waitcnt lgkmcnt(1)
	s_delay_alu instid0(VALU_DEP_1) | instskip(NEXT) | instid1(VALU_DEP_1)
	v_fmac_f32_e32 v107, v98, v3
	v_fmac_f32_e32 v107, v99, v4
	s_waitcnt lgkmcnt(0)
	s_delay_alu instid0(VALU_DEP_1) | instskip(NEXT) | instid1(VALU_DEP_1)
	v_fmac_f32_e32 v107, v100, v74
	v_sub_f32_e32 v3, v73, v107
	scratch_store_b32 off, v3, off offset:24
	v_cmpx_lt_u32_e32 5, v0
	s_cbranch_execz .LBB33_201
; %bb.200:
	scratch_load_b32 v3, off, off offset:20
	scratch_store_b32 off, v2, off offset:20
	s_waitcnt vmcnt(0)
	ds_store_b32 v1, v3
.LBB33_201:
	s_or_b32 exec_lo, exec_lo, s0
	s_waitcnt lgkmcnt(0)
	s_waitcnt_vscnt null, 0x0
	s_barrier
	buffer_gl0_inv
	s_clause 0x7
	scratch_load_b128 v[73:76], off, off offset:20
	scratch_load_b128 v[77:80], off, off offset:36
	;; [unrolled: 1-line block ×7, first 2 shown]
	scratch_load_b32 v3, off, off offset:132
	ds_load_2addr_b64 v[101:104], v2 offset0:21 offset1:22
	ds_load_2addr_b64 v[105:108], v2 offset0:23 offset1:24
	s_mov_b32 s0, exec_lo
	s_waitcnt vmcnt(7) lgkmcnt(1)
	v_fma_f32 v4, v74, v101, 0
	s_delay_alu instid0(VALU_DEP_1) | instskip(NEXT) | instid1(VALU_DEP_1)
	v_fmac_f32_e32 v4, v75, v102
	v_fmac_f32_e32 v4, v76, v103
	s_waitcnt vmcnt(6)
	s_delay_alu instid0(VALU_DEP_1) | instskip(SKIP_3) | instid1(VALU_DEP_1)
	v_fmac_f32_e32 v4, v77, v104
	ds_load_2addr_b64 v[74:77], v2 offset0:25 offset1:26
	s_waitcnt lgkmcnt(1)
	v_fmac_f32_e32 v4, v78, v105
	v_fmac_f32_e32 v4, v79, v106
	s_delay_alu instid0(VALU_DEP_1) | instskip(SKIP_1) | instid1(VALU_DEP_1)
	v_fmac_f32_e32 v4, v80, v107
	s_waitcnt vmcnt(5)
	v_fmac_f32_e32 v4, v81, v108
	ds_load_2addr_b64 v[78:81], v2 offset0:27 offset1:28
	s_waitcnt lgkmcnt(1)
	v_fmac_f32_e32 v4, v82, v74
	s_delay_alu instid0(VALU_DEP_1) | instskip(NEXT) | instid1(VALU_DEP_1)
	v_fmac_f32_e32 v4, v83, v75
	v_fmac_f32_e32 v4, v84, v76
	s_waitcnt vmcnt(4)
	s_delay_alu instid0(VALU_DEP_1) | instskip(SKIP_3) | instid1(VALU_DEP_1)
	v_fmac_f32_e32 v4, v85, v77
	ds_load_2addr_b64 v[74:77], v2 offset0:29 offset1:30
	s_waitcnt lgkmcnt(1)
	v_fmac_f32_e32 v4, v86, v78
	v_fmac_f32_e32 v4, v87, v79
	s_delay_alu instid0(VALU_DEP_1) | instskip(SKIP_1) | instid1(VALU_DEP_1)
	v_fmac_f32_e32 v4, v88, v80
	s_waitcnt vmcnt(3)
	v_fmac_f32_e32 v4, v89, v81
	ds_load_2addr_b64 v[78:81], v2 offset0:31 offset1:32
	s_waitcnt lgkmcnt(1)
	v_fmac_f32_e32 v4, v90, v74
	s_delay_alu instid0(VALU_DEP_1) | instskip(NEXT) | instid1(VALU_DEP_1)
	v_fmac_f32_e32 v4, v91, v75
	v_fmac_f32_e32 v4, v92, v76
	s_waitcnt vmcnt(2)
	s_delay_alu instid0(VALU_DEP_1) | instskip(SKIP_3) | instid1(VALU_DEP_1)
	v_fmac_f32_e32 v4, v93, v77
	ds_load_2addr_b64 v[74:77], v2 offset0:33 offset1:34
	s_waitcnt lgkmcnt(1)
	v_fmac_f32_e32 v4, v94, v78
	v_fmac_f32_e32 v4, v95, v79
	s_delay_alu instid0(VALU_DEP_1) | instskip(SKIP_1) | instid1(VALU_DEP_1)
	v_fmac_f32_e32 v4, v96, v80
	s_waitcnt vmcnt(1)
	v_fmac_f32_e32 v4, v97, v81
	s_waitcnt lgkmcnt(0)
	s_delay_alu instid0(VALU_DEP_1) | instskip(NEXT) | instid1(VALU_DEP_1)
	v_fmac_f32_e32 v4, v98, v74
	v_fmac_f32_e32 v4, v99, v75
	s_delay_alu instid0(VALU_DEP_1) | instskip(SKIP_1) | instid1(VALU_DEP_1)
	v_fmac_f32_e32 v4, v100, v76
	s_waitcnt vmcnt(0)
	v_fmac_f32_e32 v4, v3, v77
	s_delay_alu instid0(VALU_DEP_1)
	v_sub_f32_e32 v2, v73, v4
	scratch_store_b32 off, v2, off offset:20
	v_cmpx_lt_u32_e32 4, v0
	s_cbranch_execz .LBB33_203
; %bb.202:
	scratch_load_b32 v2, off, off offset:16
	v_mov_b32_e32 v3, 0
	scratch_store_b32 off, v3, off offset:16
	s_waitcnt vmcnt(0)
	ds_store_b32 v1, v2
.LBB33_203:
	s_or_b32 exec_lo, exec_lo, s0
	s_waitcnt lgkmcnt(0)
	s_waitcnt_vscnt null, 0x0
	s_barrier
	buffer_gl0_inv
	s_clause 0x7
	scratch_load_b128 v[73:76], off, off offset:16
	scratch_load_b128 v[77:80], off, off offset:32
	;; [unrolled: 1-line block ×7, first 2 shown]
	scratch_load_b64 v[3:4], off, off offset:128
	v_mov_b32_e32 v2, 0
	ds_load_2addr_b32 v[101:102], v2 offset0:41 offset1:42
	ds_load_2addr_b32 v[103:104], v2 offset0:43 offset1:44
	;; [unrolled: 1-line block ×4, first 2 shown]
	s_mov_b32 s0, exec_lo
	s_waitcnt vmcnt(7) lgkmcnt(3)
	v_fma_f32 v101, v74, v101, 0
	s_delay_alu instid0(VALU_DEP_1) | instskip(SKIP_4) | instid1(VALU_DEP_1)
	v_fmac_f32_e32 v101, v75, v102
	ds_load_2addr_b32 v[74:75], v2 offset0:49 offset1:50
	s_waitcnt lgkmcnt(3)
	v_fmac_f32_e32 v101, v76, v103
	s_waitcnt vmcnt(6)
	v_fmac_f32_e32 v101, v77, v104
	ds_load_2addr_b32 v[76:77], v2 offset0:51 offset1:52
	s_waitcnt lgkmcnt(3)
	v_fmac_f32_e32 v101, v78, v105
	s_delay_alu instid0(VALU_DEP_1) | instskip(SKIP_1) | instid1(VALU_DEP_1)
	v_fmac_f32_e32 v101, v79, v106
	s_waitcnt lgkmcnt(2)
	v_fmac_f32_e32 v101, v80, v107
	s_waitcnt vmcnt(5)
	s_delay_alu instid0(VALU_DEP_1) | instskip(SKIP_4) | instid1(VALU_DEP_1)
	v_fmac_f32_e32 v101, v81, v108
	ds_load_2addr_b32 v[78:79], v2 offset0:53 offset1:54
	ds_load_2addr_b32 v[80:81], v2 offset0:55 offset1:56
	s_waitcnt lgkmcnt(3)
	v_fmac_f32_e32 v101, v82, v74
	v_fmac_f32_e32 v101, v83, v75
	ds_load_2addr_b32 v[74:75], v2 offset0:57 offset1:58
	s_waitcnt lgkmcnt(3)
	v_fmac_f32_e32 v101, v84, v76
	s_waitcnt vmcnt(4)
	s_delay_alu instid0(VALU_DEP_1) | instskip(SKIP_3) | instid1(VALU_DEP_1)
	v_fmac_f32_e32 v101, v85, v77
	ds_load_2addr_b32 v[76:77], v2 offset0:59 offset1:60
	s_waitcnt lgkmcnt(3)
	v_fmac_f32_e32 v101, v86, v78
	v_fmac_f32_e32 v101, v87, v79
	s_waitcnt lgkmcnt(2)
	s_delay_alu instid0(VALU_DEP_1) | instskip(SKIP_1) | instid1(VALU_DEP_1)
	v_fmac_f32_e32 v101, v88, v80
	s_waitcnt vmcnt(3)
	v_fmac_f32_e32 v101, v89, v81
	ds_load_2addr_b32 v[78:79], v2 offset0:61 offset1:62
	ds_load_2addr_b32 v[80:81], v2 offset0:63 offset1:64
	s_waitcnt lgkmcnt(3)
	v_fmac_f32_e32 v101, v90, v74
	s_delay_alu instid0(VALU_DEP_1) | instskip(SKIP_4) | instid1(VALU_DEP_1)
	v_fmac_f32_e32 v101, v91, v75
	ds_load_2addr_b32 v[74:75], v2 offset0:65 offset1:66
	s_waitcnt lgkmcnt(3)
	v_fmac_f32_e32 v101, v92, v76
	s_waitcnt vmcnt(2)
	v_fmac_f32_e32 v101, v93, v77
	ds_load_2addr_b32 v[76:77], v2 offset0:67 offset1:68
	s_waitcnt lgkmcnt(3)
	v_fmac_f32_e32 v101, v94, v78
	ds_load_b32 v78, v2 offset:276
	v_fmac_f32_e32 v101, v95, v79
	s_waitcnt lgkmcnt(3)
	s_delay_alu instid0(VALU_DEP_1) | instskip(SKIP_1) | instid1(VALU_DEP_1)
	v_fmac_f32_e32 v101, v96, v80
	s_waitcnt vmcnt(1)
	v_fmac_f32_e32 v101, v97, v81
	s_waitcnt lgkmcnt(2)
	s_delay_alu instid0(VALU_DEP_1) | instskip(NEXT) | instid1(VALU_DEP_1)
	v_fmac_f32_e32 v101, v98, v74
	v_fmac_f32_e32 v101, v99, v75
	s_waitcnt lgkmcnt(1)
	s_delay_alu instid0(VALU_DEP_1) | instskip(SKIP_1) | instid1(VALU_DEP_1)
	v_fmac_f32_e32 v101, v100, v76
	s_waitcnt vmcnt(0)
	v_fmac_f32_e32 v101, v3, v77
	s_waitcnt lgkmcnt(0)
	s_delay_alu instid0(VALU_DEP_1) | instskip(NEXT) | instid1(VALU_DEP_1)
	v_fmac_f32_e32 v101, v4, v78
	v_sub_f32_e32 v3, v73, v101
	scratch_store_b32 off, v3, off offset:16
	v_cmpx_lt_u32_e32 3, v0
	s_cbranch_execz .LBB33_205
; %bb.204:
	scratch_load_b32 v3, off, off offset:12
	scratch_store_b32 off, v2, off offset:12
	s_waitcnt vmcnt(0)
	ds_store_b32 v1, v3
.LBB33_205:
	s_or_b32 exec_lo, exec_lo, s0
	s_waitcnt lgkmcnt(0)
	s_waitcnt_vscnt null, 0x0
	s_barrier
	buffer_gl0_inv
	s_clause 0x7
	scratch_load_b128 v[73:76], off, off offset:12
	scratch_load_b128 v[77:80], off, off offset:28
	;; [unrolled: 1-line block ×7, first 2 shown]
	scratch_load_b96 v[109:111], off, off offset:124
	ds_load_b128 v[101:104], v2 offset:160
	ds_load_b128 v[105:108], v2 offset:176
	s_mov_b32 s0, exec_lo
	s_waitcnt vmcnt(7) lgkmcnt(1)
	v_fma_f32 v4, v74, v101, 0
	s_delay_alu instid0(VALU_DEP_1) | instskip(NEXT) | instid1(VALU_DEP_1)
	v_fmac_f32_e32 v4, v75, v102
	v_fmac_f32_e32 v4, v76, v103
	s_waitcnt vmcnt(6)
	s_delay_alu instid0(VALU_DEP_1) | instskip(SKIP_3) | instid1(VALU_DEP_1)
	v_fmac_f32_e32 v4, v77, v104
	ds_load_b128 v[74:77], v2 offset:192
	s_waitcnt lgkmcnt(1)
	v_fmac_f32_e32 v4, v78, v105
	v_fmac_f32_e32 v4, v79, v106
	s_delay_alu instid0(VALU_DEP_1) | instskip(SKIP_1) | instid1(VALU_DEP_1)
	v_fmac_f32_e32 v4, v80, v107
	s_waitcnt vmcnt(5)
	v_fmac_f32_e32 v4, v81, v108
	ds_load_b128 v[78:81], v2 offset:208
	s_waitcnt lgkmcnt(1)
	v_fmac_f32_e32 v4, v82, v74
	s_delay_alu instid0(VALU_DEP_1) | instskip(NEXT) | instid1(VALU_DEP_1)
	v_fmac_f32_e32 v4, v83, v75
	v_fmac_f32_e32 v4, v84, v76
	s_waitcnt vmcnt(4)
	s_delay_alu instid0(VALU_DEP_1) | instskip(SKIP_3) | instid1(VALU_DEP_1)
	v_fmac_f32_e32 v4, v85, v77
	ds_load_b128 v[74:77], v2 offset:224
	s_waitcnt lgkmcnt(1)
	v_fmac_f32_e32 v4, v86, v78
	v_fmac_f32_e32 v4, v87, v79
	s_delay_alu instid0(VALU_DEP_1) | instskip(SKIP_1) | instid1(VALU_DEP_1)
	v_fmac_f32_e32 v4, v88, v80
	s_waitcnt vmcnt(3)
	v_fmac_f32_e32 v4, v89, v81
	ds_load_b128 v[78:81], v2 offset:240
	s_waitcnt lgkmcnt(1)
	v_fmac_f32_e32 v4, v90, v74
	s_delay_alu instid0(VALU_DEP_1) | instskip(NEXT) | instid1(VALU_DEP_1)
	v_fmac_f32_e32 v4, v91, v75
	v_fmac_f32_e32 v4, v92, v76
	s_waitcnt vmcnt(2)
	s_delay_alu instid0(VALU_DEP_1) | instskip(SKIP_4) | instid1(VALU_DEP_1)
	v_fmac_f32_e32 v4, v93, v77
	ds_load_b128 v[74:77], v2 offset:256
	ds_load_b64 v[2:3], v2 offset:272
	s_waitcnt lgkmcnt(2)
	v_fmac_f32_e32 v4, v94, v78
	v_fmac_f32_e32 v4, v95, v79
	s_delay_alu instid0(VALU_DEP_1) | instskip(SKIP_1) | instid1(VALU_DEP_1)
	v_fmac_f32_e32 v4, v96, v80
	s_waitcnt vmcnt(1)
	v_fmac_f32_e32 v4, v97, v81
	s_waitcnt lgkmcnt(1)
	s_delay_alu instid0(VALU_DEP_1) | instskip(NEXT) | instid1(VALU_DEP_1)
	v_fmac_f32_e32 v4, v98, v74
	v_fmac_f32_e32 v4, v99, v75
	s_delay_alu instid0(VALU_DEP_1) | instskip(SKIP_1) | instid1(VALU_DEP_1)
	v_fmac_f32_e32 v4, v100, v76
	s_waitcnt vmcnt(0)
	v_fmac_f32_e32 v4, v109, v77
	s_waitcnt lgkmcnt(0)
	s_delay_alu instid0(VALU_DEP_1) | instskip(NEXT) | instid1(VALU_DEP_1)
	v_fmac_f32_e32 v4, v110, v2
	v_fmac_f32_e32 v4, v111, v3
	s_delay_alu instid0(VALU_DEP_1)
	v_sub_f32_e32 v2, v73, v4
	scratch_store_b32 off, v2, off offset:12
	v_cmpx_lt_u32_e32 2, v0
	s_cbranch_execz .LBB33_207
; %bb.206:
	scratch_load_b32 v2, off, off offset:8
	v_mov_b32_e32 v3, 0
	scratch_store_b32 off, v3, off offset:8
	s_waitcnt vmcnt(0)
	ds_store_b32 v1, v2
.LBB33_207:
	s_or_b32 exec_lo, exec_lo, s0
	s_waitcnt lgkmcnt(0)
	s_waitcnt_vscnt null, 0x0
	s_barrier
	buffer_gl0_inv
	s_clause 0x7
	scratch_load_b128 v[73:76], off, off offset:8
	scratch_load_b128 v[77:80], off, off offset:24
	;; [unrolled: 1-line block ×8, first 2 shown]
	v_mov_b32_e32 v2, 0
	ds_load_2addr_b32 v[3:4], v2 offset0:39 offset1:40
	ds_load_2addr_b32 v[105:106], v2 offset0:41 offset1:42
	;; [unrolled: 1-line block ×4, first 2 shown]
	s_mov_b32 s0, exec_lo
	s_waitcnt vmcnt(7) lgkmcnt(3)
	v_fma_f32 v111, v74, v3, 0
	s_delay_alu instid0(VALU_DEP_1)
	v_fmac_f32_e32 v111, v75, v4
	ds_load_2addr_b32 v[3:4], v2 offset0:47 offset1:48
	ds_load_2addr_b32 v[74:75], v2 offset0:49 offset1:50
	s_waitcnt lgkmcnt(4)
	v_fmac_f32_e32 v111, v76, v105
	s_waitcnt vmcnt(6)
	s_delay_alu instid0(VALU_DEP_1) | instskip(SKIP_1) | instid1(VALU_DEP_1)
	v_fmac_f32_e32 v111, v77, v106
	s_waitcnt lgkmcnt(3)
	v_fmac_f32_e32 v111, v78, v107
	s_delay_alu instid0(VALU_DEP_1)
	v_fmac_f32_e32 v111, v79, v108
	ds_load_2addr_b32 v[76:77], v2 offset0:51 offset1:52
	ds_load_2addr_b32 v[78:79], v2 offset0:53 offset1:54
	s_waitcnt lgkmcnt(4)
	v_fmac_f32_e32 v111, v80, v109
	s_waitcnt vmcnt(5)
	s_delay_alu instid0(VALU_DEP_1) | instskip(SKIP_1) | instid1(VALU_DEP_1)
	v_fmac_f32_e32 v111, v81, v110
	s_waitcnt lgkmcnt(3)
	v_fmac_f32_e32 v111, v82, v3
	s_delay_alu instid0(VALU_DEP_1) | instskip(SKIP_4) | instid1(VALU_DEP_1)
	v_fmac_f32_e32 v111, v83, v4
	ds_load_2addr_b32 v[3:4], v2 offset0:55 offset1:56
	s_waitcnt lgkmcnt(3)
	v_fmac_f32_e32 v111, v84, v74
	s_waitcnt vmcnt(4)
	v_fmac_f32_e32 v111, v85, v75
	ds_load_2addr_b32 v[74:75], v2 offset0:57 offset1:58
	s_waitcnt lgkmcnt(3)
	v_fmac_f32_e32 v111, v86, v76
	s_delay_alu instid0(VALU_DEP_1) | instskip(SKIP_1) | instid1(VALU_DEP_1)
	v_fmac_f32_e32 v111, v87, v77
	s_waitcnt lgkmcnt(2)
	v_fmac_f32_e32 v111, v88, v78
	s_waitcnt vmcnt(3)
	s_delay_alu instid0(VALU_DEP_1) | instskip(SKIP_4) | instid1(VALU_DEP_1)
	v_fmac_f32_e32 v111, v89, v79
	ds_load_2addr_b32 v[76:77], v2 offset0:59 offset1:60
	ds_load_2addr_b32 v[78:79], v2 offset0:61 offset1:62
	s_waitcnt lgkmcnt(3)
	v_fmac_f32_e32 v111, v90, v3
	v_fmac_f32_e32 v111, v91, v4
	ds_load_2addr_b32 v[3:4], v2 offset0:63 offset1:64
	s_waitcnt lgkmcnt(3)
	v_fmac_f32_e32 v111, v92, v74
	s_waitcnt vmcnt(2)
	s_delay_alu instid0(VALU_DEP_1) | instskip(SKIP_3) | instid1(VALU_DEP_1)
	v_fmac_f32_e32 v111, v93, v75
	ds_load_2addr_b32 v[74:75], v2 offset0:65 offset1:66
	s_waitcnt lgkmcnt(3)
	v_fmac_f32_e32 v111, v94, v76
	v_fmac_f32_e32 v111, v95, v77
	s_waitcnt lgkmcnt(2)
	s_delay_alu instid0(VALU_DEP_1)
	v_fmac_f32_e32 v111, v96, v78
	ds_load_2addr_b32 v[76:77], v2 offset0:67 offset1:68
	ds_load_b32 v78, v2 offset:276
	s_waitcnt vmcnt(1)
	v_fmac_f32_e32 v111, v97, v79
	s_waitcnt lgkmcnt(3)
	s_delay_alu instid0(VALU_DEP_1) | instskip(NEXT) | instid1(VALU_DEP_1)
	v_fmac_f32_e32 v111, v98, v3
	v_fmac_f32_e32 v111, v99, v4
	s_waitcnt lgkmcnt(2)
	s_delay_alu instid0(VALU_DEP_1) | instskip(SKIP_1) | instid1(VALU_DEP_1)
	v_fmac_f32_e32 v111, v100, v74
	s_waitcnt vmcnt(0)
	v_fmac_f32_e32 v111, v101, v75
	s_waitcnt lgkmcnt(1)
	s_delay_alu instid0(VALU_DEP_1) | instskip(NEXT) | instid1(VALU_DEP_1)
	v_fmac_f32_e32 v111, v102, v76
	v_fmac_f32_e32 v111, v103, v77
	s_waitcnt lgkmcnt(0)
	s_delay_alu instid0(VALU_DEP_1) | instskip(NEXT) | instid1(VALU_DEP_1)
	v_fmac_f32_e32 v111, v104, v78
	v_sub_f32_e32 v3, v73, v111
	scratch_store_b32 off, v3, off offset:8
	v_cmpx_lt_u32_e32 1, v0
	s_cbranch_execz .LBB33_209
; %bb.208:
	scratch_load_b32 v3, off, off offset:4
	scratch_store_b32 off, v2, off offset:4
	s_waitcnt vmcnt(0)
	ds_store_b32 v1, v3
.LBB33_209:
	s_or_b32 exec_lo, exec_lo, s0
	s_waitcnt lgkmcnt(0)
	s_waitcnt_vscnt null, 0x0
	s_barrier
	buffer_gl0_inv
	s_clause 0x8
	scratch_load_b128 v[73:76], off, off offset:4
	scratch_load_b128 v[77:80], off, off offset:20
	;; [unrolled: 1-line block ×8, first 2 shown]
	scratch_load_b32 v3, off, off offset:132
	ds_load_2addr_b64 v[105:108], v2 offset0:19 offset1:20
	ds_load_2addr_b64 v[109:112], v2 offset0:21 offset1:22
	s_mov_b32 s0, exec_lo
	s_waitcnt vmcnt(8) lgkmcnt(1)
	v_fma_f32 v4, v74, v105, 0
	s_delay_alu instid0(VALU_DEP_1) | instskip(NEXT) | instid1(VALU_DEP_1)
	v_fmac_f32_e32 v4, v75, v106
	v_fmac_f32_e32 v4, v76, v107
	s_waitcnt vmcnt(7)
	s_delay_alu instid0(VALU_DEP_1) | instskip(SKIP_3) | instid1(VALU_DEP_1)
	v_fmac_f32_e32 v4, v77, v108
	ds_load_2addr_b64 v[74:77], v2 offset0:23 offset1:24
	s_waitcnt lgkmcnt(1)
	v_fmac_f32_e32 v4, v78, v109
	v_fmac_f32_e32 v4, v79, v110
	s_delay_alu instid0(VALU_DEP_1) | instskip(SKIP_1) | instid1(VALU_DEP_1)
	v_fmac_f32_e32 v4, v80, v111
	s_waitcnt vmcnt(6)
	v_fmac_f32_e32 v4, v81, v112
	ds_load_2addr_b64 v[78:81], v2 offset0:25 offset1:26
	s_waitcnt lgkmcnt(1)
	v_fmac_f32_e32 v4, v82, v74
	s_delay_alu instid0(VALU_DEP_1) | instskip(NEXT) | instid1(VALU_DEP_1)
	v_fmac_f32_e32 v4, v83, v75
	v_fmac_f32_e32 v4, v84, v76
	s_waitcnt vmcnt(5)
	s_delay_alu instid0(VALU_DEP_1) | instskip(SKIP_3) | instid1(VALU_DEP_1)
	v_fmac_f32_e32 v4, v85, v77
	ds_load_2addr_b64 v[74:77], v2 offset0:27 offset1:28
	s_waitcnt lgkmcnt(1)
	v_fmac_f32_e32 v4, v86, v78
	v_fmac_f32_e32 v4, v87, v79
	s_delay_alu instid0(VALU_DEP_1) | instskip(SKIP_1) | instid1(VALU_DEP_1)
	v_fmac_f32_e32 v4, v88, v80
	s_waitcnt vmcnt(4)
	v_fmac_f32_e32 v4, v89, v81
	ds_load_2addr_b64 v[78:81], v2 offset0:29 offset1:30
	s_waitcnt lgkmcnt(1)
	v_fmac_f32_e32 v4, v90, v74
	;; [unrolled: 17-line block ×3, first 2 shown]
	s_delay_alu instid0(VALU_DEP_1) | instskip(NEXT) | instid1(VALU_DEP_1)
	v_fmac_f32_e32 v4, v99, v75
	v_fmac_f32_e32 v4, v100, v76
	s_waitcnt vmcnt(1)
	s_delay_alu instid0(VALU_DEP_1) | instskip(SKIP_1) | instid1(VALU_DEP_1)
	v_fmac_f32_e32 v4, v101, v77
	s_waitcnt lgkmcnt(0)
	v_fmac_f32_e32 v4, v102, v78
	s_delay_alu instid0(VALU_DEP_1) | instskip(NEXT) | instid1(VALU_DEP_1)
	v_fmac_f32_e32 v4, v103, v79
	v_fmac_f32_e32 v4, v104, v80
	s_waitcnt vmcnt(0)
	s_delay_alu instid0(VALU_DEP_1) | instskip(NEXT) | instid1(VALU_DEP_1)
	v_fmac_f32_e32 v4, v3, v81
	v_sub_f32_e32 v2, v73, v4
	scratch_store_b32 off, v2, off offset:4
	v_cmpx_ne_u32_e32 0, v0
	s_cbranch_execz .LBB33_211
; %bb.210:
	scratch_load_b32 v0, off, off
	v_mov_b32_e32 v2, 0
	scratch_store_b32 off, v2, off
	s_waitcnt vmcnt(0)
	ds_store_b32 v1, v0
.LBB33_211:
	s_or_b32 exec_lo, exec_lo, s0
	s_waitcnt lgkmcnt(0)
	s_waitcnt_vscnt null, 0x0
	s_barrier
	buffer_gl0_inv
	s_clause 0x8
	scratch_load_b128 v[73:76], off, off
	scratch_load_b128 v[77:80], off, off offset:16
	scratch_load_b128 v[81:84], off, off offset:32
	;; [unrolled: 1-line block ×7, first 2 shown]
	scratch_load_b64 v[0:1], off, off offset:128
	v_mov_b32_e32 v4, 0
	ds_load_2addr_b32 v[2:3], v4 offset0:37 offset1:38
	ds_load_2addr_b32 v[105:106], v4 offset0:39 offset1:40
	;; [unrolled: 1-line block ×4, first 2 shown]
	s_and_b32 vcc_lo, exec_lo, s16
	s_waitcnt vmcnt(8) lgkmcnt(3)
	v_fma_f32 v111, v74, v2, 0
	s_delay_alu instid0(VALU_DEP_1)
	v_fmac_f32_e32 v111, v75, v3
	ds_load_2addr_b32 v[2:3], v4 offset0:45 offset1:46
	ds_load_2addr_b32 v[74:75], v4 offset0:47 offset1:48
	s_waitcnt lgkmcnt(4)
	v_fmac_f32_e32 v111, v76, v105
	s_waitcnt vmcnt(7)
	s_delay_alu instid0(VALU_DEP_1) | instskip(SKIP_1) | instid1(VALU_DEP_1)
	v_fmac_f32_e32 v111, v77, v106
	s_waitcnt lgkmcnt(3)
	v_fmac_f32_e32 v111, v78, v107
	s_delay_alu instid0(VALU_DEP_1)
	v_fmac_f32_e32 v111, v79, v108
	ds_load_2addr_b32 v[76:77], v4 offset0:49 offset1:50
	ds_load_2addr_b32 v[78:79], v4 offset0:51 offset1:52
	s_waitcnt lgkmcnt(4)
	v_fmac_f32_e32 v111, v80, v109
	s_waitcnt vmcnt(6)
	s_delay_alu instid0(VALU_DEP_1) | instskip(SKIP_1) | instid1(VALU_DEP_1)
	v_fmac_f32_e32 v111, v81, v110
	s_waitcnt lgkmcnt(3)
	v_fmac_f32_e32 v111, v82, v2
	s_delay_alu instid0(VALU_DEP_1) | instskip(SKIP_4) | instid1(VALU_DEP_1)
	v_fmac_f32_e32 v111, v83, v3
	ds_load_2addr_b32 v[2:3], v4 offset0:53 offset1:54
	s_waitcnt lgkmcnt(3)
	v_fmac_f32_e32 v111, v84, v74
	s_waitcnt vmcnt(5)
	v_fmac_f32_e32 v111, v85, v75
	ds_load_2addr_b32 v[74:75], v4 offset0:55 offset1:56
	s_waitcnt lgkmcnt(3)
	v_fmac_f32_e32 v111, v86, v76
	s_delay_alu instid0(VALU_DEP_1) | instskip(SKIP_1) | instid1(VALU_DEP_1)
	v_fmac_f32_e32 v111, v87, v77
	s_waitcnt lgkmcnt(2)
	v_fmac_f32_e32 v111, v88, v78
	s_waitcnt vmcnt(4)
	s_delay_alu instid0(VALU_DEP_1) | instskip(SKIP_4) | instid1(VALU_DEP_1)
	v_fmac_f32_e32 v111, v89, v79
	ds_load_2addr_b32 v[76:77], v4 offset0:57 offset1:58
	ds_load_2addr_b32 v[78:79], v4 offset0:59 offset1:60
	s_waitcnt lgkmcnt(3)
	v_fmac_f32_e32 v111, v90, v2
	v_fmac_f32_e32 v111, v91, v3
	ds_load_2addr_b32 v[2:3], v4 offset0:61 offset1:62
	s_waitcnt lgkmcnt(3)
	v_fmac_f32_e32 v111, v92, v74
	s_waitcnt vmcnt(3)
	s_delay_alu instid0(VALU_DEP_1) | instskip(SKIP_3) | instid1(VALU_DEP_1)
	v_fmac_f32_e32 v111, v93, v75
	ds_load_2addr_b32 v[74:75], v4 offset0:63 offset1:64
	s_waitcnt lgkmcnt(3)
	v_fmac_f32_e32 v111, v94, v76
	v_fmac_f32_e32 v111, v95, v77
	s_waitcnt lgkmcnt(2)
	s_delay_alu instid0(VALU_DEP_1) | instskip(SKIP_1) | instid1(VALU_DEP_1)
	v_fmac_f32_e32 v111, v96, v78
	s_waitcnt vmcnt(2)
	v_fmac_f32_e32 v111, v97, v79
	ds_load_2addr_b32 v[76:77], v4 offset0:65 offset1:66
	ds_load_2addr_b32 v[78:79], v4 offset0:67 offset1:68
	s_waitcnt lgkmcnt(3)
	v_fmac_f32_e32 v111, v98, v2
	ds_load_b32 v2, v4 offset:276
	v_fmac_f32_e32 v111, v99, v3
	s_waitcnt lgkmcnt(3)
	s_delay_alu instid0(VALU_DEP_1) | instskip(SKIP_1) | instid1(VALU_DEP_1)
	v_fmac_f32_e32 v111, v100, v74
	s_waitcnt vmcnt(1)
	v_fmac_f32_e32 v111, v101, v75
	s_waitcnt lgkmcnt(2)
	s_delay_alu instid0(VALU_DEP_1) | instskip(NEXT) | instid1(VALU_DEP_1)
	v_fmac_f32_e32 v111, v102, v76
	v_fmac_f32_e32 v111, v103, v77
	s_waitcnt lgkmcnt(1)
	s_delay_alu instid0(VALU_DEP_1) | instskip(SKIP_1) | instid1(VALU_DEP_1)
	v_fmac_f32_e32 v111, v104, v78
	s_waitcnt vmcnt(0)
	v_fmac_f32_e32 v111, v0, v79
	s_waitcnt lgkmcnt(0)
	s_delay_alu instid0(VALU_DEP_1) | instskip(NEXT) | instid1(VALU_DEP_1)
	v_fmac_f32_e32 v111, v1, v2
	v_sub_f32_e32 v1, v73, v111
	scratch_store_b32 off, v1, off
	s_cbranch_vccz .LBB33_279
; %bb.212:
	v_dual_mov_b32 v1, s12 :: v_dual_mov_b32 v2, s13
	s_mov_b32 s0, exec_lo
	flat_load_b32 v1, v[1:2] offset:128
	s_waitcnt vmcnt(0) lgkmcnt(0)
	v_cmpx_ne_u32_e32 33, v1
	s_cbranch_execz .LBB33_214
; %bb.213:
	v_lshl_add_u32 v1, v1, 2, 0
	scratch_load_b32 v2, v1, off offset:-4
	s_waitcnt vmcnt(0)
	scratch_store_b32 off, v2, off offset:128
	scratch_store_b32 v1, v0, off offset:-4
.LBB33_214:
	s_or_b32 exec_lo, exec_lo, s0
	v_dual_mov_b32 v0, s12 :: v_dual_mov_b32 v1, s13
	s_mov_b32 s0, exec_lo
	flat_load_b32 v0, v[0:1] offset:124
	s_waitcnt vmcnt(0) lgkmcnt(0)
	v_cmpx_ne_u32_e32 32, v0
	s_cbranch_execz .LBB33_216
; %bb.215:
	v_lshl_add_u32 v0, v0, 2, 0
	scratch_load_b32 v1, v0, off offset:-4
	scratch_load_b32 v2, off, off offset:124
	s_waitcnt vmcnt(1)
	scratch_store_b32 off, v1, off offset:124
	s_waitcnt vmcnt(0)
	scratch_store_b32 v0, v2, off offset:-4
.LBB33_216:
	s_or_b32 exec_lo, exec_lo, s0
	v_dual_mov_b32 v0, s12 :: v_dual_mov_b32 v1, s13
	s_mov_b32 s0, exec_lo
	flat_load_b32 v0, v[0:1] offset:120
	s_waitcnt vmcnt(0) lgkmcnt(0)
	v_cmpx_ne_u32_e32 31, v0
	s_cbranch_execz .LBB33_218
; %bb.217:
	v_lshl_add_u32 v0, v0, 2, 0
	scratch_load_b32 v1, v0, off offset:-4
	scratch_load_b32 v2, off, off offset:120
	s_waitcnt vmcnt(1)
	scratch_store_b32 off, v1, off offset:120
	s_waitcnt vmcnt(0)
	scratch_store_b32 v0, v2, off offset:-4
.LBB33_218:
	;; [unrolled: 16-line block ×31, first 2 shown]
	s_or_b32 exec_lo, exec_lo, s0
	v_dual_mov_b32 v0, s12 :: v_dual_mov_b32 v1, s13
	s_mov_b32 s0, exec_lo
	flat_load_b32 v0, v[0:1]
	scratch_load_b32 v1, off, off
	s_waitcnt vmcnt(1) lgkmcnt(0)
	v_cmpx_ne_u32_e32 1, v0
	s_cbranch_execz .LBB33_278
; %bb.277:
	v_lshl_add_u32 v0, v0, 2, 0
	scratch_load_b32 v2, v0, off offset:-4
	s_waitcnt vmcnt(0)
	scratch_store_b32 off, v2, off
	scratch_store_b32 v0, v1, off offset:-4
	scratch_load_b32 v1, off, off
.LBB33_278:
	s_or_b32 exec_lo, exec_lo, s0
.LBB33_279:
	s_clause 0x8
	scratch_load_b128 v[73:76], off, off offset:4
	scratch_load_b128 v[77:80], off, off offset:20
	;; [unrolled: 1-line block ×8, first 2 shown]
	scratch_load_b32 v0, off, off offset:132
	s_waitcnt vmcnt(9)
	global_store_b32 v[5:6], v1, off
	s_waitcnt vmcnt(8)
	s_clause 0x3
	global_store_b32 v[7:8], v73, off
	global_store_b32 v[9:10], v74, off
	global_store_b32 v[11:12], v75, off
	global_store_b32 v[13:14], v76, off
	s_waitcnt vmcnt(7)
	s_clause 0x3
	global_store_b32 v[15:16], v77, off
	global_store_b32 v[17:18], v78, off
	global_store_b32 v[19:20], v79, off
	;; [unrolled: 6-line block ×8, first 2 shown]
	global_store_b32 v[71:72], v104, off
	s_waitcnt vmcnt(0)
	global_store_b32 v[69:70], v0, off
	s_endpgm
	.section	.rodata,"a",@progbits
	.p2align	6, 0x0
	.amdhsa_kernel _ZN9rocsolver6v33100L18getri_kernel_smallILi34EfPfEEvT1_iilPiilS4_bb
		.amdhsa_group_segment_fixed_size 280
		.amdhsa_private_segment_fixed_size 144
		.amdhsa_kernarg_size 60
		.amdhsa_user_sgpr_count 15
		.amdhsa_user_sgpr_dispatch_ptr 0
		.amdhsa_user_sgpr_queue_ptr 0
		.amdhsa_user_sgpr_kernarg_segment_ptr 1
		.amdhsa_user_sgpr_dispatch_id 0
		.amdhsa_user_sgpr_private_segment_size 0
		.amdhsa_wavefront_size32 1
		.amdhsa_uses_dynamic_stack 0
		.amdhsa_enable_private_segment 1
		.amdhsa_system_sgpr_workgroup_id_x 1
		.amdhsa_system_sgpr_workgroup_id_y 0
		.amdhsa_system_sgpr_workgroup_id_z 0
		.amdhsa_system_sgpr_workgroup_info 0
		.amdhsa_system_vgpr_workitem_id 0
		.amdhsa_next_free_vgpr 113
		.amdhsa_next_free_sgpr 18
		.amdhsa_reserve_vcc 1
		.amdhsa_float_round_mode_32 0
		.amdhsa_float_round_mode_16_64 0
		.amdhsa_float_denorm_mode_32 3
		.amdhsa_float_denorm_mode_16_64 3
		.amdhsa_dx10_clamp 1
		.amdhsa_ieee_mode 1
		.amdhsa_fp16_overflow 0
		.amdhsa_workgroup_processor_mode 1
		.amdhsa_memory_ordered 1
		.amdhsa_forward_progress 0
		.amdhsa_shared_vgpr_count 0
		.amdhsa_exception_fp_ieee_invalid_op 0
		.amdhsa_exception_fp_denorm_src 0
		.amdhsa_exception_fp_ieee_div_zero 0
		.amdhsa_exception_fp_ieee_overflow 0
		.amdhsa_exception_fp_ieee_underflow 0
		.amdhsa_exception_fp_ieee_inexact 0
		.amdhsa_exception_int_div_zero 0
	.end_amdhsa_kernel
	.section	.text._ZN9rocsolver6v33100L18getri_kernel_smallILi34EfPfEEvT1_iilPiilS4_bb,"axG",@progbits,_ZN9rocsolver6v33100L18getri_kernel_smallILi34EfPfEEvT1_iilPiilS4_bb,comdat
.Lfunc_end33:
	.size	_ZN9rocsolver6v33100L18getri_kernel_smallILi34EfPfEEvT1_iilPiilS4_bb, .Lfunc_end33-_ZN9rocsolver6v33100L18getri_kernel_smallILi34EfPfEEvT1_iilPiilS4_bb
                                        ; -- End function
	.section	.AMDGPU.csdata,"",@progbits
; Kernel info:
; codeLenInByte = 21736
; NumSgprs: 20
; NumVgprs: 113
; ScratchSize: 144
; MemoryBound: 0
; FloatMode: 240
; IeeeMode: 1
; LDSByteSize: 280 bytes/workgroup (compile time only)
; SGPRBlocks: 2
; VGPRBlocks: 14
; NumSGPRsForWavesPerEU: 20
; NumVGPRsForWavesPerEU: 113
; Occupancy: 12
; WaveLimiterHint : 1
; COMPUTE_PGM_RSRC2:SCRATCH_EN: 1
; COMPUTE_PGM_RSRC2:USER_SGPR: 15
; COMPUTE_PGM_RSRC2:TRAP_HANDLER: 0
; COMPUTE_PGM_RSRC2:TGID_X_EN: 1
; COMPUTE_PGM_RSRC2:TGID_Y_EN: 0
; COMPUTE_PGM_RSRC2:TGID_Z_EN: 0
; COMPUTE_PGM_RSRC2:TIDIG_COMP_CNT: 0
	.section	.text._ZN9rocsolver6v33100L18getri_kernel_smallILi35EfPfEEvT1_iilPiilS4_bb,"axG",@progbits,_ZN9rocsolver6v33100L18getri_kernel_smallILi35EfPfEEvT1_iilPiilS4_bb,comdat
	.globl	_ZN9rocsolver6v33100L18getri_kernel_smallILi35EfPfEEvT1_iilPiilS4_bb ; -- Begin function _ZN9rocsolver6v33100L18getri_kernel_smallILi35EfPfEEvT1_iilPiilS4_bb
	.p2align	8
	.type	_ZN9rocsolver6v33100L18getri_kernel_smallILi35EfPfEEvT1_iilPiilS4_bb,@function
_ZN9rocsolver6v33100L18getri_kernel_smallILi35EfPfEEvT1_iilPiilS4_bb: ; @_ZN9rocsolver6v33100L18getri_kernel_smallILi35EfPfEEvT1_iilPiilS4_bb
; %bb.0:
	s_mov_b32 s2, exec_lo
	v_cmpx_gt_u32_e32 35, v0
	s_cbranch_execz .LBB34_148
; %bb.1:
	s_clause 0x2
	s_load_b32 s17, s[0:1], 0x38
	s_load_b128 s[8:11], s[0:1], 0x10
	s_load_b128 s[4:7], s[0:1], 0x28
	s_mov_b32 s14, s15
                                        ; implicit-def: $sgpr12_sgpr13
	s_waitcnt lgkmcnt(0)
	s_bitcmp1_b32 s17, 8
	s_cselect_b32 s16, -1, 0
	s_bfe_u32 s2, s17, 0x10008
	s_ashr_i32 s15, s15, 31
	s_cmp_eq_u32 s2, 0
	s_cbranch_scc1 .LBB34_3
; %bb.2:
	s_load_b32 s2, s[0:1], 0x20
	s_mul_i32 s3, s14, s5
	s_mul_hi_u32 s5, s14, s4
	s_mul_i32 s12, s15, s4
	s_add_i32 s3, s5, s3
	s_mul_i32 s4, s14, s4
	s_add_i32 s5, s3, s12
	s_delay_alu instid0(SALU_CYCLE_1)
	s_lshl_b64 s[4:5], s[4:5], 2
	s_waitcnt lgkmcnt(0)
	s_ashr_i32 s3, s2, 31
	s_add_u32 s4, s10, s4
	s_addc_u32 s5, s11, s5
	s_lshl_b64 s[2:3], s[2:3], 2
	s_delay_alu instid0(SALU_CYCLE_1)
	s_add_u32 s12, s4, s2
	s_addc_u32 s13, s5, s3
.LBB34_3:
	s_load_b128 s[0:3], s[0:1], 0x0
	s_mul_i32 s4, s14, s9
	s_mul_hi_u32 s5, s14, s8
	s_mul_i32 s9, s15, s8
	s_add_i32 s5, s5, s4
	s_mul_i32 s4, s14, s8
	s_add_i32 s5, s5, s9
	v_lshlrev_b32_e32 v75, 2, v0
	s_lshl_b64 s[4:5], s[4:5], 2
	s_waitcnt lgkmcnt(0)
	v_add3_u32 v2, s3, s3, v0
	s_ashr_i32 s9, s2, 31
	s_mov_b32 s8, s2
	s_add_u32 s2, s0, s4
	s_addc_u32 s5, s1, s5
	v_add_nc_u32_e32 v9, s3, v2
	s_lshl_b64 s[0:1], s[8:9], 2
	v_ashrrev_i32_e32 v3, 31, v2
	s_add_u32 s0, s2, s0
	s_addc_u32 s1, s5, s1
	v_add_nc_u32_e32 v11, s3, v9
	v_add_co_u32 v5, s2, s0, v75
	s_mov_b32 s4, s3
	s_ashr_i32 s5, s3, 31
	s_delay_alu instid0(VALU_DEP_2) | instskip(SKIP_3) | instid1(VALU_DEP_4)
	v_add_nc_u32_e32 v15, s3, v11
	v_add_co_ci_u32_e64 v6, null, s1, 0, s2
	v_lshlrev_b64 v[2:3], 2, v[2:3]
	v_ashrrev_i32_e32 v10, 31, v9
	v_add_nc_u32_e32 v17, s3, v15
	s_lshl_b64 s[4:5], s[4:5], 2
	v_ashrrev_i32_e32 v12, 31, v11
	v_add_co_u32 v7, vcc_lo, v5, s4
	s_delay_alu instid0(VALU_DEP_3) | instskip(SKIP_3) | instid1(VALU_DEP_4)
	v_add_nc_u32_e32 v19, s3, v17
	v_add_co_ci_u32_e32 v8, vcc_lo, s5, v6, vcc_lo
	v_lshlrev_b64 v[13:14], 2, v[9:10]
	v_add_co_u32 v9, vcc_lo, s0, v2
	v_add_nc_u32_e32 v21, s3, v19
	v_add_co_ci_u32_e32 v10, vcc_lo, s1, v3, vcc_lo
	v_lshlrev_b64 v[2:3], 2, v[11:12]
	v_ashrrev_i32_e32 v16, 31, v15
	s_delay_alu instid0(VALU_DEP_4) | instskip(SKIP_3) | instid1(VALU_DEP_4)
	v_add_nc_u32_e32 v23, s3, v21
	v_add_co_u32 v11, vcc_lo, s0, v13
	v_ashrrev_i32_e32 v18, 31, v17
	v_add_co_ci_u32_e32 v12, vcc_lo, s1, v14, vcc_lo
	v_add_nc_u32_e32 v25, s3, v23
	v_lshlrev_b64 v[15:16], 2, v[15:16]
	v_add_co_u32 v13, vcc_lo, s0, v2
	v_add_co_ci_u32_e32 v14, vcc_lo, s1, v3, vcc_lo
	s_delay_alu instid0(VALU_DEP_4) | instskip(SKIP_3) | instid1(VALU_DEP_4)
	v_add_nc_u32_e32 v27, s3, v25
	v_lshlrev_b64 v[2:3], 2, v[17:18]
	v_ashrrev_i32_e32 v20, 31, v19
	v_add_co_u32 v15, vcc_lo, s0, v15
	v_add_nc_u32_e32 v29, s3, v27
	v_ashrrev_i32_e32 v22, 31, v21
	v_add_co_ci_u32_e32 v16, vcc_lo, s1, v16, vcc_lo
	v_lshlrev_b64 v[19:20], 2, v[19:20]
	s_delay_alu instid0(VALU_DEP_4) | instskip(SKIP_3) | instid1(VALU_DEP_4)
	v_add_nc_u32_e32 v31, s3, v29
	v_add_co_u32 v17, vcc_lo, s0, v2
	v_ashrrev_i32_e32 v24, 31, v23
	v_add_co_ci_u32_e32 v18, vcc_lo, s1, v3, vcc_lo
	v_add_nc_u32_e32 v33, s3, v31
	v_lshlrev_b64 v[2:3], 2, v[21:22]
	v_ashrrev_i32_e32 v26, 31, v25
	v_add_co_u32 v19, vcc_lo, s0, v19
	s_delay_alu instid0(VALU_DEP_4) | instskip(SKIP_3) | instid1(VALU_DEP_4)
	v_add_nc_u32_e32 v35, s3, v33
	v_lshlrev_b64 v[23:24], 2, v[23:24]
	v_ashrrev_i32_e32 v28, 31, v27
	v_add_co_ci_u32_e32 v20, vcc_lo, s1, v20, vcc_lo
	v_add_nc_u32_e32 v37, s3, v35
	v_add_co_u32 v21, vcc_lo, s0, v2
	v_lshlrev_b64 v[25:26], 2, v[25:26]
	v_ashrrev_i32_e32 v30, 31, v29
	s_delay_alu instid0(VALU_DEP_4) | instskip(SKIP_2) | instid1(VALU_DEP_3)
	v_add_nc_u32_e32 v39, s3, v37
	v_add_co_ci_u32_e32 v22, vcc_lo, s1, v3, vcc_lo
	v_add_co_u32 v23, vcc_lo, s0, v23
	v_add_nc_u32_e32 v41, s3, v39
	v_lshlrev_b64 v[27:28], 2, v[27:28]
	v_ashrrev_i32_e32 v32, 31, v31
	v_add_co_ci_u32_e32 v24, vcc_lo, s1, v24, vcc_lo
	s_delay_alu instid0(VALU_DEP_4) | instskip(SKIP_3) | instid1(VALU_DEP_4)
	v_add_nc_u32_e32 v43, s3, v41
	v_add_co_u32 v25, vcc_lo, s0, v25
	v_lshlrev_b64 v[29:30], 2, v[29:30]
	v_ashrrev_i32_e32 v34, 31, v33
	v_add_nc_u32_e32 v45, s3, v43
	v_add_co_ci_u32_e32 v26, vcc_lo, s1, v26, vcc_lo
	v_add_co_u32 v27, vcc_lo, s0, v27
	s_delay_alu instid0(VALU_DEP_3) | instskip(SKIP_3) | instid1(VALU_DEP_4)
	v_add_nc_u32_e32 v47, s3, v45
	v_lshlrev_b64 v[31:32], 2, v[31:32]
	v_ashrrev_i32_e32 v36, 31, v35
	v_add_co_ci_u32_e32 v28, vcc_lo, s1, v28, vcc_lo
	v_add_nc_u32_e32 v49, s3, v47
	v_add_co_u32 v29, vcc_lo, s0, v29
	v_lshlrev_b64 v[33:34], 2, v[33:34]
	v_ashrrev_i32_e32 v38, 31, v37
	s_delay_alu instid0(VALU_DEP_4) | instskip(SKIP_2) | instid1(VALU_DEP_3)
	v_add_nc_u32_e32 v51, s3, v49
	v_add_co_ci_u32_e32 v30, vcc_lo, s1, v30, vcc_lo
	v_add_co_u32 v31, vcc_lo, s0, v31
	v_add_nc_u32_e32 v53, s3, v51
	v_lshlrev_b64 v[35:36], 2, v[35:36]
	v_ashrrev_i32_e32 v40, 31, v39
	v_add_co_ci_u32_e32 v32, vcc_lo, s1, v32, vcc_lo
	s_delay_alu instid0(VALU_DEP_4) | instskip(SKIP_3) | instid1(VALU_DEP_4)
	v_add_nc_u32_e32 v55, s3, v53
	v_add_co_u32 v33, vcc_lo, s0, v33
	v_lshlrev_b64 v[37:38], 2, v[37:38]
	v_ashrrev_i32_e32 v42, 31, v41
	v_add_nc_u32_e32 v57, s3, v55
	v_add_co_ci_u32_e32 v34, vcc_lo, s1, v34, vcc_lo
	v_add_co_u32 v35, vcc_lo, s0, v35
	v_lshlrev_b64 v[39:40], 2, v[39:40]
	v_ashrrev_i32_e32 v44, 31, v43
	v_add_co_ci_u32_e32 v36, vcc_lo, s1, v36, vcc_lo
	v_add_co_u32 v37, vcc_lo, s0, v37
	v_lshlrev_b64 v[41:42], 2, v[41:42]
	v_add_nc_u32_e32 v59, s3, v57
	v_ashrrev_i32_e32 v46, 31, v45
	v_add_co_ci_u32_e32 v38, vcc_lo, s1, v38, vcc_lo
	v_add_co_u32 v39, vcc_lo, s0, v39
	v_lshlrev_b64 v[43:44], 2, v[43:44]
	v_ashrrev_i32_e32 v48, 31, v47
	v_add_co_ci_u32_e32 v40, vcc_lo, s1, v40, vcc_lo
	v_add_nc_u32_e32 v61, s3, v59
	v_add_co_u32 v41, vcc_lo, s0, v41
	v_lshlrev_b64 v[45:46], 2, v[45:46]
	v_ashrrev_i32_e32 v50, 31, v49
	v_add_co_ci_u32_e32 v42, vcc_lo, s1, v42, vcc_lo
	v_add_co_u32 v43, vcc_lo, s0, v43
	v_lshlrev_b64 v[47:48], 2, v[47:48]
	v_ashrrev_i32_e32 v52, 31, v51
	v_add_nc_u32_e32 v63, s3, v61
	v_add_co_ci_u32_e32 v44, vcc_lo, s1, v44, vcc_lo
	v_add_co_u32 v45, vcc_lo, s0, v45
	v_lshlrev_b64 v[49:50], 2, v[49:50]
	v_ashrrev_i32_e32 v54, 31, v53
	v_add_co_ci_u32_e32 v46, vcc_lo, s1, v46, vcc_lo
	v_add_co_u32 v47, vcc_lo, s0, v47
	v_lshlrev_b64 v[51:52], 2, v[51:52]
	v_add_nc_u32_e32 v65, s3, v63
	v_ashrrev_i32_e32 v56, 31, v55
	v_add_co_ci_u32_e32 v48, vcc_lo, s1, v48, vcc_lo
	v_add_co_u32 v49, vcc_lo, s0, v49
	v_lshlrev_b64 v[53:54], 2, v[53:54]
	v_ashrrev_i32_e32 v58, 31, v57
	v_add_co_ci_u32_e32 v50, vcc_lo, s1, v50, vcc_lo
	v_add_nc_u32_e32 v67, s3, v65
	v_add_co_u32 v51, vcc_lo, s0, v51
	v_lshlrev_b64 v[55:56], 2, v[55:56]
	v_ashrrev_i32_e32 v60, 31, v59
	v_add_co_ci_u32_e32 v52, vcc_lo, s1, v52, vcc_lo
	;; [unrolled: 23-line block ×3, first 2 shown]
	v_add_co_u32 v63, vcc_lo, s0, v63
	v_lshlrev_b64 v[67:68], 2, v[67:68]
	v_ashrrev_i32_e32 v72, 31, v71
	v_ashrrev_i32_e32 v74, 31, v73
	v_add_co_ci_u32_e32 v64, vcc_lo, s1, v64, vcc_lo
	v_add_co_u32 v65, vcc_lo, s0, v65
	v_lshlrev_b64 v[69:70], 2, v[69:70]
	v_add_co_ci_u32_e32 v66, vcc_lo, s1, v66, vcc_lo
	v_add_co_u32 v67, vcc_lo, s0, v67
	v_lshlrev_b64 v[81:82], 2, v[71:72]
	v_lshlrev_b64 v[71:72], 2, v[73:74]
	v_add_co_ci_u32_e32 v68, vcc_lo, s1, v68, vcc_lo
	v_add_co_u32 v69, vcc_lo, s0, v69
	v_add_co_ci_u32_e32 v70, vcc_lo, s1, v70, vcc_lo
	s_delay_alu instid0(VALU_DEP_4)
	v_add_co_u32 v71, vcc_lo, s0, v71
	v_add_co_ci_u32_e32 v72, vcc_lo, s1, v72, vcc_lo
	v_add_co_u32 v73, vcc_lo, s0, v81
	s_clause 0x8
	global_load_b32 v1, v75, s[0:1]
	global_load_b32 v2, v[7:8], off
	global_load_b32 v3, v[9:10], off
	;; [unrolled: 1-line block ×8, first 2 shown]
	v_add_co_ci_u32_e32 v74, vcc_lo, s1, v82, vcc_lo
	s_clause 0x19
	global_load_b32 v81, v[23:24], off
	global_load_b32 v82, v[25:26], off
	;; [unrolled: 1-line block ×26, first 2 shown]
	s_bitcmp0_b32 s17, 0
	s_mov_b32 s1, -1
	s_waitcnt vmcnt(31)
	scratch_store_b128 off, v[1:4], off
	s_waitcnt vmcnt(27)
	scratch_store_b128 off, v[76:79], off offset:16
	s_waitcnt vmcnt(23)
	scratch_store_b128 off, v[80:83], off offset:32
	;; [unrolled: 2-line block ×7, first 2 shown]
	s_waitcnt vmcnt(0)
	scratch_store_b96 off, v[104:106], off offset:128
	s_cbranch_scc1 .LBB34_146
; %bb.4:
	v_cmp_eq_u32_e64 s0, 0, v0
	s_delay_alu instid0(VALU_DEP_1)
	s_and_saveexec_b32 s1, s0
	s_cbranch_execz .LBB34_6
; %bb.5:
	v_mov_b32_e32 v1, 0
	ds_store_b32 v1, v1 offset:140
.LBB34_6:
	s_or_b32 exec_lo, exec_lo, s1
	s_waitcnt lgkmcnt(0)
	s_waitcnt_vscnt null, 0x0
	s_barrier
	buffer_gl0_inv
	scratch_load_b32 v1, v75, off
	s_mov_b32 s2, exec_lo
	s_waitcnt vmcnt(0)
	v_cmpx_eq_f32_e32 0, v1
	s_cbranch_execz .LBB34_10
; %bb.7:
	v_mov_b32_e32 v1, 0
	s_mov_b32 s3, 0
	ds_load_b32 v2, v1 offset:140
	s_waitcnt lgkmcnt(0)
	v_readfirstlane_b32 s1, v2
	v_add_nc_u32_e32 v2, 1, v0
	s_delay_alu instid0(VALU_DEP_2) | instskip(NEXT) | instid1(VALU_DEP_1)
	s_cmp_eq_u32 s1, 0
	v_cmp_gt_i32_e32 vcc_lo, s1, v2
	s_cselect_b32 s4, -1, 0
	s_delay_alu instid0(SALU_CYCLE_1) | instskip(NEXT) | instid1(SALU_CYCLE_1)
	s_or_b32 s4, s4, vcc_lo
	s_and_b32 exec_lo, exec_lo, s4
	s_cbranch_execz .LBB34_10
; %bb.8:
	v_mov_b32_e32 v3, s1
.LBB34_9:                               ; =>This Inner Loop Header: Depth=1
	ds_cmpstore_rtn_b32 v3, v1, v2, v3 offset:140
	s_waitcnt lgkmcnt(0)
	v_cmp_ne_u32_e32 vcc_lo, 0, v3
	v_cmp_le_i32_e64 s1, v3, v2
	s_delay_alu instid0(VALU_DEP_1) | instskip(NEXT) | instid1(SALU_CYCLE_1)
	s_and_b32 s1, vcc_lo, s1
	s_and_b32 s1, exec_lo, s1
	s_delay_alu instid0(SALU_CYCLE_1) | instskip(NEXT) | instid1(SALU_CYCLE_1)
	s_or_b32 s3, s1, s3
	s_and_not1_b32 exec_lo, exec_lo, s3
	s_cbranch_execnz .LBB34_9
.LBB34_10:
	s_or_b32 exec_lo, exec_lo, s2
	v_mov_b32_e32 v1, 0
	s_barrier
	buffer_gl0_inv
	ds_load_b32 v2, v1 offset:140
	s_and_saveexec_b32 s1, s0
	s_cbranch_execz .LBB34_12
; %bb.11:
	s_lshl_b64 s[2:3], s[14:15], 2
	s_delay_alu instid0(SALU_CYCLE_1)
	s_add_u32 s2, s6, s2
	s_addc_u32 s3, s7, s3
	s_waitcnt lgkmcnt(0)
	global_store_b32 v1, v2, s[2:3]
.LBB34_12:
	s_or_b32 exec_lo, exec_lo, s1
	s_waitcnt lgkmcnt(0)
	v_cmp_ne_u32_e32 vcc_lo, 0, v2
	s_mov_b32 s1, 0
	s_cbranch_vccnz .LBB34_146
; %bb.13:
	v_add_nc_u32_e32 v1, 0, v75
	scratch_load_b32 v2, v1, off
	s_waitcnt vmcnt(0)
	v_div_scale_f32 v3, null, v2, v2, 1.0
	v_div_scale_f32 v77, vcc_lo, 1.0, v2, 1.0
	s_delay_alu instid0(VALU_DEP_2) | instskip(SKIP_2) | instid1(VALU_DEP_1)
	v_rcp_f32_e32 v4, v3
	s_waitcnt_depctr 0xfff
	v_fma_f32 v76, -v3, v4, 1.0
	v_fmac_f32_e32 v4, v76, v4
	s_delay_alu instid0(VALU_DEP_1) | instskip(NEXT) | instid1(VALU_DEP_1)
	v_mul_f32_e32 v76, v77, v4
	v_fma_f32 v78, -v3, v76, v77
	s_delay_alu instid0(VALU_DEP_1) | instskip(NEXT) | instid1(VALU_DEP_1)
	v_fmac_f32_e32 v76, v78, v4
	v_fma_f32 v3, -v3, v76, v77
	s_delay_alu instid0(VALU_DEP_1) | instskip(NEXT) | instid1(VALU_DEP_1)
	v_div_fmas_f32 v3, v3, v4, v76
	v_div_fixup_f32 v2, v3, v2, 1.0
	scratch_store_b32 v1, v2, off
	scratch_load_b32 v3, off, off offset:4
	v_xor_b32_e32 v4, 0x80000000, v2
	v_add_nc_u32_e32 v2, 0x90, v75
	s_waitcnt vmcnt(0)
	ds_store_2addr_b32 v75, v4, v3 offset1:36
	s_waitcnt lgkmcnt(0)
	s_waitcnt_vscnt null, 0x0
	s_barrier
	buffer_gl0_inv
	s_and_saveexec_b32 s1, s0
	s_cbranch_execz .LBB34_15
; %bb.14:
	scratch_load_b32 v3, v1, off
	ds_load_b32 v4, v2
	v_mov_b32_e32 v76, 0
	ds_load_b32 v76, v76 offset:4
	s_waitcnt vmcnt(0) lgkmcnt(1)
	v_fma_f32 v3, v3, v4, 0
	s_waitcnt lgkmcnt(0)
	s_delay_alu instid0(VALU_DEP_1)
	v_mul_f32_e32 v3, v3, v76
	scratch_store_b32 off, v3, off offset:4
.LBB34_15:
	s_or_b32 exec_lo, exec_lo, s1
	s_waitcnt_vscnt null, 0x0
	s_barrier
	buffer_gl0_inv
	scratch_load_b32 v3, off, off offset:8
	s_mov_b32 s1, exec_lo
	s_waitcnt vmcnt(0)
	ds_store_b32 v2, v3
	s_waitcnt lgkmcnt(0)
	s_barrier
	buffer_gl0_inv
	v_cmpx_gt_u32_e32 2, v0
	s_cbranch_execz .LBB34_17
; %bb.16:
	scratch_load_b32 v76, v1, off
	scratch_load_b32 v77, off, off offset:4
	ds_load_b32 v78, v2
	v_mov_b32_e32 v3, 0
	ds_load_2addr_b32 v[3:4], v3 offset0:2 offset1:37
	s_waitcnt vmcnt(1) lgkmcnt(1)
	v_fma_f32 v76, v76, v78, 0
	s_waitcnt vmcnt(0) lgkmcnt(0)
	s_delay_alu instid0(VALU_DEP_1) | instskip(NEXT) | instid1(VALU_DEP_1)
	v_fma_f32 v4, v77, v4, v76
	v_cndmask_b32_e64 v4, v76, v4, s0
	s_delay_alu instid0(VALU_DEP_1)
	v_mul_f32_e32 v3, v4, v3
	scratch_store_b32 off, v3, off offset:8
.LBB34_17:
	s_or_b32 exec_lo, exec_lo, s1
	s_waitcnt_vscnt null, 0x0
	s_barrier
	buffer_gl0_inv
	scratch_load_b32 v4, off, off offset:12
	v_add_nc_u32_e32 v3, -1, v0
	s_mov_b32 s0, exec_lo
	s_waitcnt vmcnt(0)
	ds_store_b32 v2, v4
	s_waitcnt lgkmcnt(0)
	s_barrier
	buffer_gl0_inv
	v_cmpx_gt_u32_e32 3, v0
	s_cbranch_execz .LBB34_21
; %bb.18:
	v_add_nc_u32_e32 v76, -1, v0
	v_dual_mov_b32 v4, 0 :: v_dual_add_nc_u32 v77, 0x90, v75
	v_add_nc_u32_e32 v78, 0, v75
	s_mov_b32 s1, 0
.LBB34_19:                              ; =>This Inner Loop Header: Depth=1
	scratch_load_b32 v79, v78, off
	ds_load_b32 v80, v77
	v_add_nc_u32_e32 v76, 1, v76
	v_add_nc_u32_e32 v77, 4, v77
	v_add_nc_u32_e32 v78, 4, v78
	s_delay_alu instid0(VALU_DEP_3)
	v_cmp_lt_u32_e32 vcc_lo, 1, v76
	s_or_b32 s1, vcc_lo, s1
	s_waitcnt vmcnt(0) lgkmcnt(0)
	v_fmac_f32_e32 v4, v79, v80
	s_and_not1_b32 exec_lo, exec_lo, s1
	s_cbranch_execnz .LBB34_19
; %bb.20:
	s_or_b32 exec_lo, exec_lo, s1
	v_mov_b32_e32 v76, 0
	ds_load_b32 v76, v76 offset:12
	s_waitcnt lgkmcnt(0)
	v_mul_f32_e32 v4, v4, v76
	scratch_store_b32 off, v4, off offset:12
.LBB34_21:
	s_or_b32 exec_lo, exec_lo, s0
	s_waitcnt_vscnt null, 0x0
	s_barrier
	buffer_gl0_inv
	scratch_load_b32 v4, off, off offset:16
	s_mov_b32 s0, exec_lo
	s_waitcnt vmcnt(0)
	ds_store_b32 v2, v4
	s_waitcnt lgkmcnt(0)
	s_barrier
	buffer_gl0_inv
	v_cmpx_gt_u32_e32 4, v0
	s_cbranch_execz .LBB34_25
; %bb.22:
	v_add_nc_u32_e32 v76, -1, v0
	v_dual_mov_b32 v4, 0 :: v_dual_add_nc_u32 v77, 0x90, v75
	v_add_nc_u32_e32 v78, 0, v75
	s_mov_b32 s1, 0
.LBB34_23:                              ; =>This Inner Loop Header: Depth=1
	scratch_load_b32 v79, v78, off
	ds_load_b32 v80, v77
	v_add_nc_u32_e32 v76, 1, v76
	v_add_nc_u32_e32 v77, 4, v77
	v_add_nc_u32_e32 v78, 4, v78
	s_delay_alu instid0(VALU_DEP_3)
	v_cmp_lt_u32_e32 vcc_lo, 2, v76
	s_or_b32 s1, vcc_lo, s1
	s_waitcnt vmcnt(0) lgkmcnt(0)
	v_fmac_f32_e32 v4, v79, v80
	s_and_not1_b32 exec_lo, exec_lo, s1
	s_cbranch_execnz .LBB34_23
; %bb.24:
	s_or_b32 exec_lo, exec_lo, s1
	v_mov_b32_e32 v76, 0
	ds_load_b32 v76, v76 offset:16
	s_waitcnt lgkmcnt(0)
	v_mul_f32_e32 v4, v4, v76
	scratch_store_b32 off, v4, off offset:16
.LBB34_25:
	s_or_b32 exec_lo, exec_lo, s0
	s_waitcnt_vscnt null, 0x0
	s_barrier
	buffer_gl0_inv
	scratch_load_b32 v4, off, off offset:20
	s_mov_b32 s0, exec_lo
	s_waitcnt vmcnt(0)
	ds_store_b32 v2, v4
	s_waitcnt lgkmcnt(0)
	s_barrier
	buffer_gl0_inv
	v_cmpx_gt_u32_e32 5, v0
	s_cbranch_execz .LBB34_29
; %bb.26:
	v_add_nc_u32_e32 v76, -1, v0
	v_dual_mov_b32 v4, 0 :: v_dual_add_nc_u32 v77, 0x90, v75
	v_add_nc_u32_e32 v78, 0, v75
	s_mov_b32 s1, 0
.LBB34_27:                              ; =>This Inner Loop Header: Depth=1
	scratch_load_b32 v79, v78, off
	ds_load_b32 v80, v77
	v_add_nc_u32_e32 v76, 1, v76
	v_add_nc_u32_e32 v77, 4, v77
	v_add_nc_u32_e32 v78, 4, v78
	s_delay_alu instid0(VALU_DEP_3)
	v_cmp_lt_u32_e32 vcc_lo, 3, v76
	s_or_b32 s1, vcc_lo, s1
	s_waitcnt vmcnt(0) lgkmcnt(0)
	v_fmac_f32_e32 v4, v79, v80
	s_and_not1_b32 exec_lo, exec_lo, s1
	s_cbranch_execnz .LBB34_27
; %bb.28:
	s_or_b32 exec_lo, exec_lo, s1
	v_mov_b32_e32 v76, 0
	ds_load_b32 v76, v76 offset:20
	s_waitcnt lgkmcnt(0)
	v_mul_f32_e32 v4, v4, v76
	scratch_store_b32 off, v4, off offset:20
.LBB34_29:
	s_or_b32 exec_lo, exec_lo, s0
	s_waitcnt_vscnt null, 0x0
	s_barrier
	buffer_gl0_inv
	scratch_load_b32 v4, off, off offset:24
	s_mov_b32 s0, exec_lo
	s_waitcnt vmcnt(0)
	ds_store_b32 v2, v4
	s_waitcnt lgkmcnt(0)
	s_barrier
	buffer_gl0_inv
	v_cmpx_gt_u32_e32 6, v0
	s_cbranch_execz .LBB34_33
; %bb.30:
	v_add_nc_u32_e32 v76, -1, v0
	v_dual_mov_b32 v4, 0 :: v_dual_add_nc_u32 v77, 0x90, v75
	v_add_nc_u32_e32 v78, 0, v75
	s_mov_b32 s1, 0
.LBB34_31:                              ; =>This Inner Loop Header: Depth=1
	scratch_load_b32 v79, v78, off
	ds_load_b32 v80, v77
	v_add_nc_u32_e32 v76, 1, v76
	v_add_nc_u32_e32 v77, 4, v77
	v_add_nc_u32_e32 v78, 4, v78
	s_delay_alu instid0(VALU_DEP_3)
	v_cmp_lt_u32_e32 vcc_lo, 4, v76
	s_or_b32 s1, vcc_lo, s1
	s_waitcnt vmcnt(0) lgkmcnt(0)
	v_fmac_f32_e32 v4, v79, v80
	s_and_not1_b32 exec_lo, exec_lo, s1
	s_cbranch_execnz .LBB34_31
; %bb.32:
	s_or_b32 exec_lo, exec_lo, s1
	v_mov_b32_e32 v76, 0
	ds_load_b32 v76, v76 offset:24
	s_waitcnt lgkmcnt(0)
	v_mul_f32_e32 v4, v4, v76
	scratch_store_b32 off, v4, off offset:24
.LBB34_33:
	s_or_b32 exec_lo, exec_lo, s0
	s_waitcnt_vscnt null, 0x0
	s_barrier
	buffer_gl0_inv
	scratch_load_b32 v4, off, off offset:28
	s_mov_b32 s0, exec_lo
	s_waitcnt vmcnt(0)
	ds_store_b32 v2, v4
	s_waitcnt lgkmcnt(0)
	s_barrier
	buffer_gl0_inv
	v_cmpx_gt_u32_e32 7, v0
	s_cbranch_execz .LBB34_37
; %bb.34:
	v_add_nc_u32_e32 v76, -1, v0
	v_dual_mov_b32 v4, 0 :: v_dual_add_nc_u32 v77, 0x90, v75
	v_add_nc_u32_e32 v78, 0, v75
	s_mov_b32 s1, 0
.LBB34_35:                              ; =>This Inner Loop Header: Depth=1
	scratch_load_b32 v79, v78, off
	ds_load_b32 v80, v77
	v_add_nc_u32_e32 v76, 1, v76
	v_add_nc_u32_e32 v77, 4, v77
	v_add_nc_u32_e32 v78, 4, v78
	s_delay_alu instid0(VALU_DEP_3)
	v_cmp_lt_u32_e32 vcc_lo, 5, v76
	s_or_b32 s1, vcc_lo, s1
	s_waitcnt vmcnt(0) lgkmcnt(0)
	v_fmac_f32_e32 v4, v79, v80
	s_and_not1_b32 exec_lo, exec_lo, s1
	s_cbranch_execnz .LBB34_35
; %bb.36:
	s_or_b32 exec_lo, exec_lo, s1
	v_mov_b32_e32 v76, 0
	ds_load_b32 v76, v76 offset:28
	s_waitcnt lgkmcnt(0)
	v_mul_f32_e32 v4, v4, v76
	scratch_store_b32 off, v4, off offset:28
.LBB34_37:
	s_or_b32 exec_lo, exec_lo, s0
	s_waitcnt_vscnt null, 0x0
	s_barrier
	buffer_gl0_inv
	scratch_load_b32 v4, off, off offset:32
	s_mov_b32 s0, exec_lo
	s_waitcnt vmcnt(0)
	ds_store_b32 v2, v4
	s_waitcnt lgkmcnt(0)
	s_barrier
	buffer_gl0_inv
	v_cmpx_gt_u32_e32 8, v0
	s_cbranch_execz .LBB34_41
; %bb.38:
	v_add_nc_u32_e32 v76, -1, v0
	v_dual_mov_b32 v4, 0 :: v_dual_add_nc_u32 v77, 0x90, v75
	v_add_nc_u32_e32 v78, 0, v75
	s_mov_b32 s1, 0
.LBB34_39:                              ; =>This Inner Loop Header: Depth=1
	scratch_load_b32 v79, v78, off
	ds_load_b32 v80, v77
	v_add_nc_u32_e32 v76, 1, v76
	v_add_nc_u32_e32 v77, 4, v77
	v_add_nc_u32_e32 v78, 4, v78
	s_delay_alu instid0(VALU_DEP_3)
	v_cmp_lt_u32_e32 vcc_lo, 6, v76
	s_or_b32 s1, vcc_lo, s1
	s_waitcnt vmcnt(0) lgkmcnt(0)
	v_fmac_f32_e32 v4, v79, v80
	s_and_not1_b32 exec_lo, exec_lo, s1
	s_cbranch_execnz .LBB34_39
; %bb.40:
	s_or_b32 exec_lo, exec_lo, s1
	v_mov_b32_e32 v76, 0
	ds_load_b32 v76, v76 offset:32
	s_waitcnt lgkmcnt(0)
	v_mul_f32_e32 v4, v4, v76
	scratch_store_b32 off, v4, off offset:32
.LBB34_41:
	s_or_b32 exec_lo, exec_lo, s0
	s_waitcnt_vscnt null, 0x0
	s_barrier
	buffer_gl0_inv
	scratch_load_b32 v4, off, off offset:36
	s_mov_b32 s0, exec_lo
	s_waitcnt vmcnt(0)
	ds_store_b32 v2, v4
	s_waitcnt lgkmcnt(0)
	s_barrier
	buffer_gl0_inv
	v_cmpx_gt_u32_e32 9, v0
	s_cbranch_execz .LBB34_45
; %bb.42:
	v_add_nc_u32_e32 v76, -1, v0
	v_dual_mov_b32 v4, 0 :: v_dual_add_nc_u32 v77, 0x90, v75
	v_add_nc_u32_e32 v78, 0, v75
	s_mov_b32 s1, 0
.LBB34_43:                              ; =>This Inner Loop Header: Depth=1
	scratch_load_b32 v79, v78, off
	ds_load_b32 v80, v77
	v_add_nc_u32_e32 v76, 1, v76
	v_add_nc_u32_e32 v77, 4, v77
	v_add_nc_u32_e32 v78, 4, v78
	s_delay_alu instid0(VALU_DEP_3)
	v_cmp_lt_u32_e32 vcc_lo, 7, v76
	s_or_b32 s1, vcc_lo, s1
	s_waitcnt vmcnt(0) lgkmcnt(0)
	v_fmac_f32_e32 v4, v79, v80
	s_and_not1_b32 exec_lo, exec_lo, s1
	s_cbranch_execnz .LBB34_43
; %bb.44:
	s_or_b32 exec_lo, exec_lo, s1
	v_mov_b32_e32 v76, 0
	ds_load_b32 v76, v76 offset:36
	s_waitcnt lgkmcnt(0)
	v_mul_f32_e32 v4, v4, v76
	scratch_store_b32 off, v4, off offset:36
.LBB34_45:
	s_or_b32 exec_lo, exec_lo, s0
	s_waitcnt_vscnt null, 0x0
	s_barrier
	buffer_gl0_inv
	scratch_load_b32 v4, off, off offset:40
	s_mov_b32 s0, exec_lo
	s_waitcnt vmcnt(0)
	ds_store_b32 v2, v4
	s_waitcnt lgkmcnt(0)
	s_barrier
	buffer_gl0_inv
	v_cmpx_gt_u32_e32 10, v0
	s_cbranch_execz .LBB34_49
; %bb.46:
	v_add_nc_u32_e32 v76, -1, v0
	v_dual_mov_b32 v4, 0 :: v_dual_add_nc_u32 v77, 0x90, v75
	v_add_nc_u32_e32 v78, 0, v75
	s_mov_b32 s1, 0
.LBB34_47:                              ; =>This Inner Loop Header: Depth=1
	scratch_load_b32 v79, v78, off
	ds_load_b32 v80, v77
	v_add_nc_u32_e32 v76, 1, v76
	v_add_nc_u32_e32 v77, 4, v77
	v_add_nc_u32_e32 v78, 4, v78
	s_delay_alu instid0(VALU_DEP_3)
	v_cmp_lt_u32_e32 vcc_lo, 8, v76
	s_or_b32 s1, vcc_lo, s1
	s_waitcnt vmcnt(0) lgkmcnt(0)
	v_fmac_f32_e32 v4, v79, v80
	s_and_not1_b32 exec_lo, exec_lo, s1
	s_cbranch_execnz .LBB34_47
; %bb.48:
	s_or_b32 exec_lo, exec_lo, s1
	v_mov_b32_e32 v76, 0
	ds_load_b32 v76, v76 offset:40
	s_waitcnt lgkmcnt(0)
	v_mul_f32_e32 v4, v4, v76
	scratch_store_b32 off, v4, off offset:40
.LBB34_49:
	s_or_b32 exec_lo, exec_lo, s0
	s_waitcnt_vscnt null, 0x0
	s_barrier
	buffer_gl0_inv
	scratch_load_b32 v4, off, off offset:44
	s_mov_b32 s0, exec_lo
	s_waitcnt vmcnt(0)
	ds_store_b32 v2, v4
	s_waitcnt lgkmcnt(0)
	s_barrier
	buffer_gl0_inv
	v_cmpx_gt_u32_e32 11, v0
	s_cbranch_execz .LBB34_53
; %bb.50:
	v_add_nc_u32_e32 v76, -1, v0
	v_dual_mov_b32 v4, 0 :: v_dual_add_nc_u32 v77, 0x90, v75
	v_add_nc_u32_e32 v78, 0, v75
	s_mov_b32 s1, 0
.LBB34_51:                              ; =>This Inner Loop Header: Depth=1
	scratch_load_b32 v79, v78, off
	ds_load_b32 v80, v77
	v_add_nc_u32_e32 v76, 1, v76
	v_add_nc_u32_e32 v77, 4, v77
	v_add_nc_u32_e32 v78, 4, v78
	s_delay_alu instid0(VALU_DEP_3)
	v_cmp_lt_u32_e32 vcc_lo, 9, v76
	s_or_b32 s1, vcc_lo, s1
	s_waitcnt vmcnt(0) lgkmcnt(0)
	v_fmac_f32_e32 v4, v79, v80
	s_and_not1_b32 exec_lo, exec_lo, s1
	s_cbranch_execnz .LBB34_51
; %bb.52:
	s_or_b32 exec_lo, exec_lo, s1
	v_mov_b32_e32 v76, 0
	ds_load_b32 v76, v76 offset:44
	s_waitcnt lgkmcnt(0)
	v_mul_f32_e32 v4, v4, v76
	scratch_store_b32 off, v4, off offset:44
.LBB34_53:
	s_or_b32 exec_lo, exec_lo, s0
	s_waitcnt_vscnt null, 0x0
	s_barrier
	buffer_gl0_inv
	scratch_load_b32 v4, off, off offset:48
	s_mov_b32 s0, exec_lo
	s_waitcnt vmcnt(0)
	ds_store_b32 v2, v4
	s_waitcnt lgkmcnt(0)
	s_barrier
	buffer_gl0_inv
	v_cmpx_gt_u32_e32 12, v0
	s_cbranch_execz .LBB34_57
; %bb.54:
	v_add_nc_u32_e32 v76, -1, v0
	v_dual_mov_b32 v4, 0 :: v_dual_add_nc_u32 v77, 0x90, v75
	v_add_nc_u32_e32 v78, 0, v75
	s_mov_b32 s1, 0
.LBB34_55:                              ; =>This Inner Loop Header: Depth=1
	scratch_load_b32 v79, v78, off
	ds_load_b32 v80, v77
	v_add_nc_u32_e32 v76, 1, v76
	v_add_nc_u32_e32 v77, 4, v77
	v_add_nc_u32_e32 v78, 4, v78
	s_delay_alu instid0(VALU_DEP_3)
	v_cmp_lt_u32_e32 vcc_lo, 10, v76
	s_or_b32 s1, vcc_lo, s1
	s_waitcnt vmcnt(0) lgkmcnt(0)
	v_fmac_f32_e32 v4, v79, v80
	s_and_not1_b32 exec_lo, exec_lo, s1
	s_cbranch_execnz .LBB34_55
; %bb.56:
	s_or_b32 exec_lo, exec_lo, s1
	v_mov_b32_e32 v76, 0
	ds_load_b32 v76, v76 offset:48
	s_waitcnt lgkmcnt(0)
	v_mul_f32_e32 v4, v4, v76
	scratch_store_b32 off, v4, off offset:48
.LBB34_57:
	s_or_b32 exec_lo, exec_lo, s0
	s_waitcnt_vscnt null, 0x0
	s_barrier
	buffer_gl0_inv
	scratch_load_b32 v4, off, off offset:52
	s_mov_b32 s0, exec_lo
	s_waitcnt vmcnt(0)
	ds_store_b32 v2, v4
	s_waitcnt lgkmcnt(0)
	s_barrier
	buffer_gl0_inv
	v_cmpx_gt_u32_e32 13, v0
	s_cbranch_execz .LBB34_61
; %bb.58:
	v_add_nc_u32_e32 v76, -1, v0
	v_dual_mov_b32 v4, 0 :: v_dual_add_nc_u32 v77, 0x90, v75
	v_add_nc_u32_e32 v78, 0, v75
	s_mov_b32 s1, 0
.LBB34_59:                              ; =>This Inner Loop Header: Depth=1
	scratch_load_b32 v79, v78, off
	ds_load_b32 v80, v77
	v_add_nc_u32_e32 v76, 1, v76
	v_add_nc_u32_e32 v77, 4, v77
	v_add_nc_u32_e32 v78, 4, v78
	s_delay_alu instid0(VALU_DEP_3)
	v_cmp_lt_u32_e32 vcc_lo, 11, v76
	s_or_b32 s1, vcc_lo, s1
	s_waitcnt vmcnt(0) lgkmcnt(0)
	v_fmac_f32_e32 v4, v79, v80
	s_and_not1_b32 exec_lo, exec_lo, s1
	s_cbranch_execnz .LBB34_59
; %bb.60:
	s_or_b32 exec_lo, exec_lo, s1
	v_mov_b32_e32 v76, 0
	ds_load_b32 v76, v76 offset:52
	s_waitcnt lgkmcnt(0)
	v_mul_f32_e32 v4, v4, v76
	scratch_store_b32 off, v4, off offset:52
.LBB34_61:
	s_or_b32 exec_lo, exec_lo, s0
	s_waitcnt_vscnt null, 0x0
	s_barrier
	buffer_gl0_inv
	scratch_load_b32 v4, off, off offset:56
	s_mov_b32 s0, exec_lo
	s_waitcnt vmcnt(0)
	ds_store_b32 v2, v4
	s_waitcnt lgkmcnt(0)
	s_barrier
	buffer_gl0_inv
	v_cmpx_gt_u32_e32 14, v0
	s_cbranch_execz .LBB34_65
; %bb.62:
	v_add_nc_u32_e32 v76, -1, v0
	v_dual_mov_b32 v4, 0 :: v_dual_add_nc_u32 v77, 0x90, v75
	v_add_nc_u32_e32 v78, 0, v75
	s_mov_b32 s1, 0
.LBB34_63:                              ; =>This Inner Loop Header: Depth=1
	scratch_load_b32 v79, v78, off
	ds_load_b32 v80, v77
	v_add_nc_u32_e32 v76, 1, v76
	v_add_nc_u32_e32 v77, 4, v77
	v_add_nc_u32_e32 v78, 4, v78
	s_delay_alu instid0(VALU_DEP_3)
	v_cmp_lt_u32_e32 vcc_lo, 12, v76
	s_or_b32 s1, vcc_lo, s1
	s_waitcnt vmcnt(0) lgkmcnt(0)
	v_fmac_f32_e32 v4, v79, v80
	s_and_not1_b32 exec_lo, exec_lo, s1
	s_cbranch_execnz .LBB34_63
; %bb.64:
	s_or_b32 exec_lo, exec_lo, s1
	v_mov_b32_e32 v76, 0
	ds_load_b32 v76, v76 offset:56
	s_waitcnt lgkmcnt(0)
	v_mul_f32_e32 v4, v4, v76
	scratch_store_b32 off, v4, off offset:56
.LBB34_65:
	s_or_b32 exec_lo, exec_lo, s0
	s_waitcnt_vscnt null, 0x0
	s_barrier
	buffer_gl0_inv
	scratch_load_b32 v4, off, off offset:60
	s_mov_b32 s0, exec_lo
	s_waitcnt vmcnt(0)
	ds_store_b32 v2, v4
	s_waitcnt lgkmcnt(0)
	s_barrier
	buffer_gl0_inv
	v_cmpx_gt_u32_e32 15, v0
	s_cbranch_execz .LBB34_69
; %bb.66:
	v_add_nc_u32_e32 v76, -1, v0
	v_dual_mov_b32 v4, 0 :: v_dual_add_nc_u32 v77, 0x90, v75
	v_add_nc_u32_e32 v78, 0, v75
	s_mov_b32 s1, 0
.LBB34_67:                              ; =>This Inner Loop Header: Depth=1
	scratch_load_b32 v79, v78, off
	ds_load_b32 v80, v77
	v_add_nc_u32_e32 v76, 1, v76
	v_add_nc_u32_e32 v77, 4, v77
	v_add_nc_u32_e32 v78, 4, v78
	s_delay_alu instid0(VALU_DEP_3)
	v_cmp_lt_u32_e32 vcc_lo, 13, v76
	s_or_b32 s1, vcc_lo, s1
	s_waitcnt vmcnt(0) lgkmcnt(0)
	v_fmac_f32_e32 v4, v79, v80
	s_and_not1_b32 exec_lo, exec_lo, s1
	s_cbranch_execnz .LBB34_67
; %bb.68:
	s_or_b32 exec_lo, exec_lo, s1
	v_mov_b32_e32 v76, 0
	ds_load_b32 v76, v76 offset:60
	s_waitcnt lgkmcnt(0)
	v_mul_f32_e32 v4, v4, v76
	scratch_store_b32 off, v4, off offset:60
.LBB34_69:
	s_or_b32 exec_lo, exec_lo, s0
	s_waitcnt_vscnt null, 0x0
	s_barrier
	buffer_gl0_inv
	scratch_load_b32 v4, off, off offset:64
	s_mov_b32 s0, exec_lo
	s_waitcnt vmcnt(0)
	ds_store_b32 v2, v4
	s_waitcnt lgkmcnt(0)
	s_barrier
	buffer_gl0_inv
	v_cmpx_gt_u32_e32 16, v0
	s_cbranch_execz .LBB34_73
; %bb.70:
	v_add_nc_u32_e32 v76, -1, v0
	v_dual_mov_b32 v4, 0 :: v_dual_add_nc_u32 v77, 0x90, v75
	v_add_nc_u32_e32 v78, 0, v75
	s_mov_b32 s1, 0
.LBB34_71:                              ; =>This Inner Loop Header: Depth=1
	scratch_load_b32 v79, v78, off
	ds_load_b32 v80, v77
	v_add_nc_u32_e32 v76, 1, v76
	v_add_nc_u32_e32 v77, 4, v77
	v_add_nc_u32_e32 v78, 4, v78
	s_delay_alu instid0(VALU_DEP_3)
	v_cmp_lt_u32_e32 vcc_lo, 14, v76
	s_or_b32 s1, vcc_lo, s1
	s_waitcnt vmcnt(0) lgkmcnt(0)
	v_fmac_f32_e32 v4, v79, v80
	s_and_not1_b32 exec_lo, exec_lo, s1
	s_cbranch_execnz .LBB34_71
; %bb.72:
	s_or_b32 exec_lo, exec_lo, s1
	v_mov_b32_e32 v76, 0
	ds_load_b32 v76, v76 offset:64
	s_waitcnt lgkmcnt(0)
	v_mul_f32_e32 v4, v4, v76
	scratch_store_b32 off, v4, off offset:64
.LBB34_73:
	s_or_b32 exec_lo, exec_lo, s0
	s_waitcnt_vscnt null, 0x0
	s_barrier
	buffer_gl0_inv
	scratch_load_b32 v4, off, off offset:68
	s_mov_b32 s0, exec_lo
	s_waitcnt vmcnt(0)
	ds_store_b32 v2, v4
	s_waitcnt lgkmcnt(0)
	s_barrier
	buffer_gl0_inv
	v_cmpx_gt_u32_e32 17, v0
	s_cbranch_execz .LBB34_77
; %bb.74:
	v_add_nc_u32_e32 v76, -1, v0
	v_dual_mov_b32 v4, 0 :: v_dual_add_nc_u32 v77, 0x90, v75
	v_add_nc_u32_e32 v78, 0, v75
	s_mov_b32 s1, 0
.LBB34_75:                              ; =>This Inner Loop Header: Depth=1
	scratch_load_b32 v79, v78, off
	ds_load_b32 v80, v77
	v_add_nc_u32_e32 v76, 1, v76
	v_add_nc_u32_e32 v77, 4, v77
	v_add_nc_u32_e32 v78, 4, v78
	s_delay_alu instid0(VALU_DEP_3)
	v_cmp_lt_u32_e32 vcc_lo, 15, v76
	s_or_b32 s1, vcc_lo, s1
	s_waitcnt vmcnt(0) lgkmcnt(0)
	v_fmac_f32_e32 v4, v79, v80
	s_and_not1_b32 exec_lo, exec_lo, s1
	s_cbranch_execnz .LBB34_75
; %bb.76:
	s_or_b32 exec_lo, exec_lo, s1
	v_mov_b32_e32 v76, 0
	ds_load_b32 v76, v76 offset:68
	s_waitcnt lgkmcnt(0)
	v_mul_f32_e32 v4, v4, v76
	scratch_store_b32 off, v4, off offset:68
.LBB34_77:
	s_or_b32 exec_lo, exec_lo, s0
	s_waitcnt_vscnt null, 0x0
	s_barrier
	buffer_gl0_inv
	scratch_load_b32 v4, off, off offset:72
	s_mov_b32 s0, exec_lo
	s_waitcnt vmcnt(0)
	ds_store_b32 v2, v4
	s_waitcnt lgkmcnt(0)
	s_barrier
	buffer_gl0_inv
	v_cmpx_gt_u32_e32 18, v0
	s_cbranch_execz .LBB34_81
; %bb.78:
	v_add_nc_u32_e32 v76, -1, v0
	v_dual_mov_b32 v4, 0 :: v_dual_add_nc_u32 v77, 0x90, v75
	v_add_nc_u32_e32 v78, 0, v75
	s_mov_b32 s1, 0
.LBB34_79:                              ; =>This Inner Loop Header: Depth=1
	scratch_load_b32 v79, v78, off
	ds_load_b32 v80, v77
	v_add_nc_u32_e32 v76, 1, v76
	v_add_nc_u32_e32 v77, 4, v77
	v_add_nc_u32_e32 v78, 4, v78
	s_delay_alu instid0(VALU_DEP_3)
	v_cmp_lt_u32_e32 vcc_lo, 16, v76
	s_or_b32 s1, vcc_lo, s1
	s_waitcnt vmcnt(0) lgkmcnt(0)
	v_fmac_f32_e32 v4, v79, v80
	s_and_not1_b32 exec_lo, exec_lo, s1
	s_cbranch_execnz .LBB34_79
; %bb.80:
	s_or_b32 exec_lo, exec_lo, s1
	v_mov_b32_e32 v76, 0
	ds_load_b32 v76, v76 offset:72
	s_waitcnt lgkmcnt(0)
	v_mul_f32_e32 v4, v4, v76
	scratch_store_b32 off, v4, off offset:72
.LBB34_81:
	s_or_b32 exec_lo, exec_lo, s0
	s_waitcnt_vscnt null, 0x0
	s_barrier
	buffer_gl0_inv
	scratch_load_b32 v4, off, off offset:76
	s_mov_b32 s0, exec_lo
	s_waitcnt vmcnt(0)
	ds_store_b32 v2, v4
	s_waitcnt lgkmcnt(0)
	s_barrier
	buffer_gl0_inv
	v_cmpx_gt_u32_e32 19, v0
	s_cbranch_execz .LBB34_85
; %bb.82:
	v_add_nc_u32_e32 v76, -1, v0
	v_dual_mov_b32 v4, 0 :: v_dual_add_nc_u32 v77, 0x90, v75
	v_add_nc_u32_e32 v78, 0, v75
	s_mov_b32 s1, 0
.LBB34_83:                              ; =>This Inner Loop Header: Depth=1
	scratch_load_b32 v79, v78, off
	ds_load_b32 v80, v77
	v_add_nc_u32_e32 v76, 1, v76
	v_add_nc_u32_e32 v77, 4, v77
	v_add_nc_u32_e32 v78, 4, v78
	s_delay_alu instid0(VALU_DEP_3)
	v_cmp_lt_u32_e32 vcc_lo, 17, v76
	s_or_b32 s1, vcc_lo, s1
	s_waitcnt vmcnt(0) lgkmcnt(0)
	v_fmac_f32_e32 v4, v79, v80
	s_and_not1_b32 exec_lo, exec_lo, s1
	s_cbranch_execnz .LBB34_83
; %bb.84:
	s_or_b32 exec_lo, exec_lo, s1
	v_mov_b32_e32 v76, 0
	ds_load_b32 v76, v76 offset:76
	s_waitcnt lgkmcnt(0)
	v_mul_f32_e32 v4, v4, v76
	scratch_store_b32 off, v4, off offset:76
.LBB34_85:
	s_or_b32 exec_lo, exec_lo, s0
	s_waitcnt_vscnt null, 0x0
	s_barrier
	buffer_gl0_inv
	scratch_load_b32 v4, off, off offset:80
	s_mov_b32 s0, exec_lo
	s_waitcnt vmcnt(0)
	ds_store_b32 v2, v4
	s_waitcnt lgkmcnt(0)
	s_barrier
	buffer_gl0_inv
	v_cmpx_gt_u32_e32 20, v0
	s_cbranch_execz .LBB34_89
; %bb.86:
	v_add_nc_u32_e32 v76, -1, v0
	v_dual_mov_b32 v4, 0 :: v_dual_add_nc_u32 v77, 0x90, v75
	v_add_nc_u32_e32 v78, 0, v75
	s_mov_b32 s1, 0
.LBB34_87:                              ; =>This Inner Loop Header: Depth=1
	scratch_load_b32 v79, v78, off
	ds_load_b32 v80, v77
	v_add_nc_u32_e32 v76, 1, v76
	v_add_nc_u32_e32 v77, 4, v77
	v_add_nc_u32_e32 v78, 4, v78
	s_delay_alu instid0(VALU_DEP_3)
	v_cmp_lt_u32_e32 vcc_lo, 18, v76
	s_or_b32 s1, vcc_lo, s1
	s_waitcnt vmcnt(0) lgkmcnt(0)
	v_fmac_f32_e32 v4, v79, v80
	s_and_not1_b32 exec_lo, exec_lo, s1
	s_cbranch_execnz .LBB34_87
; %bb.88:
	s_or_b32 exec_lo, exec_lo, s1
	v_mov_b32_e32 v76, 0
	ds_load_b32 v76, v76 offset:80
	s_waitcnt lgkmcnt(0)
	v_mul_f32_e32 v4, v4, v76
	scratch_store_b32 off, v4, off offset:80
.LBB34_89:
	s_or_b32 exec_lo, exec_lo, s0
	s_waitcnt_vscnt null, 0x0
	s_barrier
	buffer_gl0_inv
	scratch_load_b32 v4, off, off offset:84
	s_mov_b32 s0, exec_lo
	s_waitcnt vmcnt(0)
	ds_store_b32 v2, v4
	s_waitcnt lgkmcnt(0)
	s_barrier
	buffer_gl0_inv
	v_cmpx_gt_u32_e32 21, v0
	s_cbranch_execz .LBB34_93
; %bb.90:
	v_add_nc_u32_e32 v76, -1, v0
	v_dual_mov_b32 v4, 0 :: v_dual_add_nc_u32 v77, 0x90, v75
	v_add_nc_u32_e32 v78, 0, v75
	s_mov_b32 s1, 0
.LBB34_91:                              ; =>This Inner Loop Header: Depth=1
	scratch_load_b32 v79, v78, off
	ds_load_b32 v80, v77
	v_add_nc_u32_e32 v76, 1, v76
	v_add_nc_u32_e32 v77, 4, v77
	v_add_nc_u32_e32 v78, 4, v78
	s_delay_alu instid0(VALU_DEP_3)
	v_cmp_lt_u32_e32 vcc_lo, 19, v76
	s_or_b32 s1, vcc_lo, s1
	s_waitcnt vmcnt(0) lgkmcnt(0)
	v_fmac_f32_e32 v4, v79, v80
	s_and_not1_b32 exec_lo, exec_lo, s1
	s_cbranch_execnz .LBB34_91
; %bb.92:
	s_or_b32 exec_lo, exec_lo, s1
	v_mov_b32_e32 v76, 0
	ds_load_b32 v76, v76 offset:84
	s_waitcnt lgkmcnt(0)
	v_mul_f32_e32 v4, v4, v76
	scratch_store_b32 off, v4, off offset:84
.LBB34_93:
	s_or_b32 exec_lo, exec_lo, s0
	s_waitcnt_vscnt null, 0x0
	s_barrier
	buffer_gl0_inv
	scratch_load_b32 v4, off, off offset:88
	s_mov_b32 s0, exec_lo
	s_waitcnt vmcnt(0)
	ds_store_b32 v2, v4
	s_waitcnt lgkmcnt(0)
	s_barrier
	buffer_gl0_inv
	v_cmpx_gt_u32_e32 22, v0
	s_cbranch_execz .LBB34_97
; %bb.94:
	v_add_nc_u32_e32 v76, -1, v0
	v_dual_mov_b32 v4, 0 :: v_dual_add_nc_u32 v77, 0x90, v75
	v_add_nc_u32_e32 v78, 0, v75
	s_mov_b32 s1, 0
.LBB34_95:                              ; =>This Inner Loop Header: Depth=1
	scratch_load_b32 v79, v78, off
	ds_load_b32 v80, v77
	v_add_nc_u32_e32 v76, 1, v76
	v_add_nc_u32_e32 v77, 4, v77
	v_add_nc_u32_e32 v78, 4, v78
	s_delay_alu instid0(VALU_DEP_3)
	v_cmp_lt_u32_e32 vcc_lo, 20, v76
	s_or_b32 s1, vcc_lo, s1
	s_waitcnt vmcnt(0) lgkmcnt(0)
	v_fmac_f32_e32 v4, v79, v80
	s_and_not1_b32 exec_lo, exec_lo, s1
	s_cbranch_execnz .LBB34_95
; %bb.96:
	s_or_b32 exec_lo, exec_lo, s1
	v_mov_b32_e32 v76, 0
	ds_load_b32 v76, v76 offset:88
	s_waitcnt lgkmcnt(0)
	v_mul_f32_e32 v4, v4, v76
	scratch_store_b32 off, v4, off offset:88
.LBB34_97:
	s_or_b32 exec_lo, exec_lo, s0
	s_waitcnt_vscnt null, 0x0
	s_barrier
	buffer_gl0_inv
	scratch_load_b32 v4, off, off offset:92
	s_mov_b32 s0, exec_lo
	s_waitcnt vmcnt(0)
	ds_store_b32 v2, v4
	s_waitcnt lgkmcnt(0)
	s_barrier
	buffer_gl0_inv
	v_cmpx_gt_u32_e32 23, v0
	s_cbranch_execz .LBB34_101
; %bb.98:
	v_add_nc_u32_e32 v76, -1, v0
	v_dual_mov_b32 v4, 0 :: v_dual_add_nc_u32 v77, 0x90, v75
	v_add_nc_u32_e32 v78, 0, v75
	s_mov_b32 s1, 0
.LBB34_99:                              ; =>This Inner Loop Header: Depth=1
	scratch_load_b32 v79, v78, off
	ds_load_b32 v80, v77
	v_add_nc_u32_e32 v76, 1, v76
	v_add_nc_u32_e32 v77, 4, v77
	v_add_nc_u32_e32 v78, 4, v78
	s_delay_alu instid0(VALU_DEP_3)
	v_cmp_lt_u32_e32 vcc_lo, 21, v76
	s_or_b32 s1, vcc_lo, s1
	s_waitcnt vmcnt(0) lgkmcnt(0)
	v_fmac_f32_e32 v4, v79, v80
	s_and_not1_b32 exec_lo, exec_lo, s1
	s_cbranch_execnz .LBB34_99
; %bb.100:
	s_or_b32 exec_lo, exec_lo, s1
	v_mov_b32_e32 v76, 0
	ds_load_b32 v76, v76 offset:92
	s_waitcnt lgkmcnt(0)
	v_mul_f32_e32 v4, v4, v76
	scratch_store_b32 off, v4, off offset:92
.LBB34_101:
	s_or_b32 exec_lo, exec_lo, s0
	s_waitcnt_vscnt null, 0x0
	s_barrier
	buffer_gl0_inv
	scratch_load_b32 v4, off, off offset:96
	s_mov_b32 s0, exec_lo
	s_waitcnt vmcnt(0)
	ds_store_b32 v2, v4
	s_waitcnt lgkmcnt(0)
	s_barrier
	buffer_gl0_inv
	v_cmpx_gt_u32_e32 24, v0
	s_cbranch_execz .LBB34_105
; %bb.102:
	v_add_nc_u32_e32 v76, -1, v0
	v_dual_mov_b32 v4, 0 :: v_dual_add_nc_u32 v77, 0x90, v75
	v_add_nc_u32_e32 v78, 0, v75
	s_mov_b32 s1, 0
.LBB34_103:                             ; =>This Inner Loop Header: Depth=1
	scratch_load_b32 v79, v78, off
	ds_load_b32 v80, v77
	v_add_nc_u32_e32 v76, 1, v76
	v_add_nc_u32_e32 v77, 4, v77
	v_add_nc_u32_e32 v78, 4, v78
	s_delay_alu instid0(VALU_DEP_3)
	v_cmp_lt_u32_e32 vcc_lo, 22, v76
	s_or_b32 s1, vcc_lo, s1
	s_waitcnt vmcnt(0) lgkmcnt(0)
	v_fmac_f32_e32 v4, v79, v80
	s_and_not1_b32 exec_lo, exec_lo, s1
	s_cbranch_execnz .LBB34_103
; %bb.104:
	s_or_b32 exec_lo, exec_lo, s1
	v_mov_b32_e32 v76, 0
	ds_load_b32 v76, v76 offset:96
	s_waitcnt lgkmcnt(0)
	v_mul_f32_e32 v4, v4, v76
	scratch_store_b32 off, v4, off offset:96
.LBB34_105:
	s_or_b32 exec_lo, exec_lo, s0
	s_waitcnt_vscnt null, 0x0
	s_barrier
	buffer_gl0_inv
	scratch_load_b32 v4, off, off offset:100
	s_mov_b32 s0, exec_lo
	s_waitcnt vmcnt(0)
	ds_store_b32 v2, v4
	s_waitcnt lgkmcnt(0)
	s_barrier
	buffer_gl0_inv
	v_cmpx_gt_u32_e32 25, v0
	s_cbranch_execz .LBB34_109
; %bb.106:
	v_add_nc_u32_e32 v76, -1, v0
	v_dual_mov_b32 v4, 0 :: v_dual_add_nc_u32 v77, 0x90, v75
	v_add_nc_u32_e32 v78, 0, v75
	s_mov_b32 s1, 0
.LBB34_107:                             ; =>This Inner Loop Header: Depth=1
	scratch_load_b32 v79, v78, off
	ds_load_b32 v80, v77
	v_add_nc_u32_e32 v76, 1, v76
	v_add_nc_u32_e32 v77, 4, v77
	v_add_nc_u32_e32 v78, 4, v78
	s_delay_alu instid0(VALU_DEP_3)
	v_cmp_lt_u32_e32 vcc_lo, 23, v76
	s_or_b32 s1, vcc_lo, s1
	s_waitcnt vmcnt(0) lgkmcnt(0)
	v_fmac_f32_e32 v4, v79, v80
	s_and_not1_b32 exec_lo, exec_lo, s1
	s_cbranch_execnz .LBB34_107
; %bb.108:
	s_or_b32 exec_lo, exec_lo, s1
	v_mov_b32_e32 v76, 0
	ds_load_b32 v76, v76 offset:100
	s_waitcnt lgkmcnt(0)
	v_mul_f32_e32 v4, v4, v76
	scratch_store_b32 off, v4, off offset:100
.LBB34_109:
	s_or_b32 exec_lo, exec_lo, s0
	s_waitcnt_vscnt null, 0x0
	s_barrier
	buffer_gl0_inv
	scratch_load_b32 v4, off, off offset:104
	;; [unrolled: 39-line block ×10, first 2 shown]
	s_mov_b32 s0, exec_lo
	s_waitcnt vmcnt(0)
	ds_store_b32 v2, v4
	s_waitcnt lgkmcnt(0)
	s_barrier
	buffer_gl0_inv
	v_cmpx_ne_u32_e32 34, v0
	s_cbranch_execz .LBB34_145
; %bb.142:
	v_mov_b32_e32 v4, 0
	s_mov_b32 s1, 0
.LBB34_143:                             ; =>This Inner Loop Header: Depth=1
	scratch_load_b32 v75, v1, off
	ds_load_b32 v76, v2
	v_add_nc_u32_e32 v3, 1, v3
	v_add_nc_u32_e32 v2, 4, v2
	s_waitcnt vmcnt(0) lgkmcnt(0)
	v_dual_fmac_f32 v4, v75, v76 :: v_dual_add_nc_u32 v1, 4, v1
	s_delay_alu instid0(VALU_DEP_3) | instskip(SKIP_1) | instid1(SALU_CYCLE_1)
	v_cmp_lt_u32_e32 vcc_lo, 32, v3
	s_or_b32 s1, vcc_lo, s1
	s_and_not1_b32 exec_lo, exec_lo, s1
	s_cbranch_execnz .LBB34_143
; %bb.144:
	s_or_b32 exec_lo, exec_lo, s1
	v_mov_b32_e32 v1, 0
	ds_load_b32 v1, v1 offset:136
	s_waitcnt lgkmcnt(0)
	v_mul_f32_e32 v1, v4, v1
	scratch_store_b32 off, v1, off offset:136
.LBB34_145:
	s_or_b32 exec_lo, exec_lo, s0
	s_mov_b32 s1, -1
	s_waitcnt_vscnt null, 0x0
	s_barrier
	buffer_gl0_inv
.LBB34_146:
	s_and_b32 vcc_lo, exec_lo, s1
	s_cbranch_vccz .LBB34_148
; %bb.147:
	s_lshl_b64 s[0:1], s[14:15], 2
	v_mov_b32_e32 v1, 0
	s_add_u32 s0, s6, s0
	s_addc_u32 s1, s7, s1
	global_load_b32 v1, v1, s[0:1]
	s_waitcnt vmcnt(0)
	v_cmp_ne_u32_e32 vcc_lo, 0, v1
	s_cbranch_vccz .LBB34_149
.LBB34_148:
	s_endpgm
.LBB34_149:
	v_lshl_add_u32 v1, v0, 2, 0x90
	s_mov_b32 s0, exec_lo
	v_cmpx_eq_u32_e32 34, v0
	s_cbranch_execz .LBB34_151
; %bb.150:
	scratch_load_b32 v2, off, off offset:132
	v_mov_b32_e32 v3, 0
	scratch_store_b32 off, v3, off offset:132
	s_waitcnt vmcnt(0)
	ds_store_b32 v1, v2
.LBB34_151:
	s_or_b32 exec_lo, exec_lo, s0
	s_waitcnt lgkmcnt(0)
	s_waitcnt_vscnt null, 0x0
	s_barrier
	buffer_gl0_inv
	scratch_load_b64 v[3:4], off, off offset:132
	v_mov_b32_e32 v2, 0
	s_mov_b32 s0, exec_lo
	ds_load_b32 v75, v2 offset:280
	s_waitcnt vmcnt(0) lgkmcnt(0)
	v_fma_f32 v4, v4, v75, 0
	s_delay_alu instid0(VALU_DEP_1)
	v_sub_f32_e32 v3, v3, v4
	scratch_store_b32 off, v3, off offset:132
	v_cmpx_lt_u32_e32 32, v0
	s_cbranch_execz .LBB34_153
; %bb.152:
	scratch_load_b32 v3, off, off offset:128
	scratch_store_b32 off, v2, off offset:128
	s_waitcnt vmcnt(0)
	ds_store_b32 v1, v3
.LBB34_153:
	s_or_b32 exec_lo, exec_lo, s0
	s_waitcnt lgkmcnt(0)
	s_waitcnt_vscnt null, 0x0
	s_barrier
	buffer_gl0_inv
	scratch_load_b96 v[75:77], off, off offset:128
	ds_load_2addr_b32 v[2:3], v2 offset0:69 offset1:70
	s_mov_b32 s0, exec_lo
	s_waitcnt vmcnt(0) lgkmcnt(0)
	v_fma_f32 v2, v76, v2, 0
	s_delay_alu instid0(VALU_DEP_1) | instskip(NEXT) | instid1(VALU_DEP_1)
	v_fmac_f32_e32 v2, v77, v3
	v_sub_f32_e32 v2, v75, v2
	scratch_store_b32 off, v2, off offset:128
	v_cmpx_lt_u32_e32 31, v0
	s_cbranch_execz .LBB34_155
; %bb.154:
	scratch_load_b32 v2, off, off offset:124
	v_mov_b32_e32 v3, 0
	scratch_store_b32 off, v3, off offset:124
	s_waitcnt vmcnt(0)
	ds_store_b32 v1, v2
.LBB34_155:
	s_or_b32 exec_lo, exec_lo, s0
	s_waitcnt lgkmcnt(0)
	s_waitcnt_vscnt null, 0x0
	s_barrier
	buffer_gl0_inv
	scratch_load_b128 v[75:78], off, off offset:124
	v_mov_b32_e32 v2, 0
	s_mov_b32 s0, exec_lo
	ds_load_b96 v[79:81], v2 offset:272
	s_waitcnt vmcnt(0) lgkmcnt(0)
	v_fma_f32 v3, v76, v79, 0
	s_delay_alu instid0(VALU_DEP_1) | instskip(NEXT) | instid1(VALU_DEP_1)
	v_fmac_f32_e32 v3, v77, v80
	v_fmac_f32_e32 v3, v78, v81
	s_delay_alu instid0(VALU_DEP_1)
	v_sub_f32_e32 v3, v75, v3
	scratch_store_b32 off, v3, off offset:124
	v_cmpx_lt_u32_e32 30, v0
	s_cbranch_execz .LBB34_157
; %bb.156:
	scratch_load_b32 v3, off, off offset:120
	scratch_store_b32 off, v2, off offset:120
	s_waitcnt vmcnt(0)
	ds_store_b32 v1, v3
.LBB34_157:
	s_or_b32 exec_lo, exec_lo, s0
	s_waitcnt lgkmcnt(0)
	s_waitcnt_vscnt null, 0x0
	s_barrier
	buffer_gl0_inv
	s_clause 0x1
	scratch_load_b128 v[75:78], off, off offset:120
	scratch_load_b32 v81, off, off offset:136
	ds_load_2addr_b32 v[3:4], v2 offset0:67 offset1:68
	ds_load_2addr_b32 v[79:80], v2 offset0:69 offset1:70
	s_mov_b32 s0, exec_lo
	s_waitcnt vmcnt(1) lgkmcnt(1)
	v_fma_f32 v2, v76, v3, 0
	s_delay_alu instid0(VALU_DEP_1) | instskip(SKIP_1) | instid1(VALU_DEP_1)
	v_fmac_f32_e32 v2, v77, v4
	s_waitcnt lgkmcnt(0)
	v_fmac_f32_e32 v2, v78, v79
	s_waitcnt vmcnt(0)
	s_delay_alu instid0(VALU_DEP_1) | instskip(NEXT) | instid1(VALU_DEP_1)
	v_fmac_f32_e32 v2, v81, v80
	v_sub_f32_e32 v2, v75, v2
	scratch_store_b32 off, v2, off offset:120
	v_cmpx_lt_u32_e32 29, v0
	s_cbranch_execz .LBB34_159
; %bb.158:
	scratch_load_b32 v2, off, off offset:116
	v_mov_b32_e32 v3, 0
	scratch_store_b32 off, v3, off offset:116
	s_waitcnt vmcnt(0)
	ds_store_b32 v1, v2
.LBB34_159:
	s_or_b32 exec_lo, exec_lo, s0
	s_waitcnt lgkmcnt(0)
	s_waitcnt_vscnt null, 0x0
	s_barrier
	buffer_gl0_inv
	s_clause 0x1
	scratch_load_b128 v[75:78], off, off offset:116
	scratch_load_b64 v[3:4], off, off offset:132
	v_mov_b32_e32 v2, 0
	ds_load_2addr_b64 v[79:82], v2 offset0:33 offset1:34
	ds_load_b32 v83, v2 offset:280
	s_mov_b32 s0, exec_lo
	s_waitcnt vmcnt(1) lgkmcnt(1)
	v_fma_f32 v76, v76, v79, 0
	s_delay_alu instid0(VALU_DEP_1) | instskip(NEXT) | instid1(VALU_DEP_1)
	v_fmac_f32_e32 v76, v77, v80
	v_fmac_f32_e32 v76, v78, v81
	s_waitcnt vmcnt(0)
	s_delay_alu instid0(VALU_DEP_1) | instskip(SKIP_1) | instid1(VALU_DEP_1)
	v_fmac_f32_e32 v76, v3, v82
	s_waitcnt lgkmcnt(0)
	v_fmac_f32_e32 v76, v4, v83
	s_delay_alu instid0(VALU_DEP_1)
	v_sub_f32_e32 v3, v75, v76
	scratch_store_b32 off, v3, off offset:116
	v_cmpx_lt_u32_e32 28, v0
	s_cbranch_execz .LBB34_161
; %bb.160:
	scratch_load_b32 v3, off, off offset:112
	scratch_store_b32 off, v2, off offset:112
	s_waitcnt vmcnt(0)
	ds_store_b32 v1, v3
.LBB34_161:
	s_or_b32 exec_lo, exec_lo, s0
	s_waitcnt lgkmcnt(0)
	s_waitcnt_vscnt null, 0x0
	s_barrier
	buffer_gl0_inv
	s_clause 0x1
	scratch_load_b128 v[75:78], off, off offset:112
	scratch_load_b96 v[79:81], off, off offset:128
	ds_load_2addr_b32 v[3:4], v2 offset0:65 offset1:66
	ds_load_2addr_b32 v[82:83], v2 offset0:67 offset1:68
	;; [unrolled: 1-line block ×3, first 2 shown]
	s_mov_b32 s0, exec_lo
	s_waitcnt vmcnt(1) lgkmcnt(2)
	v_fma_f32 v2, v76, v3, 0
	s_delay_alu instid0(VALU_DEP_1) | instskip(SKIP_1) | instid1(VALU_DEP_1)
	v_fmac_f32_e32 v2, v77, v4
	s_waitcnt lgkmcnt(1)
	v_fmac_f32_e32 v2, v78, v82
	s_waitcnt vmcnt(0)
	s_delay_alu instid0(VALU_DEP_1) | instskip(SKIP_1) | instid1(VALU_DEP_1)
	v_fmac_f32_e32 v2, v79, v83
	s_waitcnt lgkmcnt(0)
	v_fmac_f32_e32 v2, v80, v84
	s_delay_alu instid0(VALU_DEP_1) | instskip(NEXT) | instid1(VALU_DEP_1)
	v_fmac_f32_e32 v2, v81, v85
	v_sub_f32_e32 v2, v75, v2
	scratch_store_b32 off, v2, off offset:112
	v_cmpx_lt_u32_e32 27, v0
	s_cbranch_execz .LBB34_163
; %bb.162:
	scratch_load_b32 v2, off, off offset:108
	v_mov_b32_e32 v3, 0
	scratch_store_b32 off, v3, off offset:108
	s_waitcnt vmcnt(0)
	ds_store_b32 v1, v2
.LBB34_163:
	s_or_b32 exec_lo, exec_lo, s0
	s_waitcnt lgkmcnt(0)
	s_waitcnt_vscnt null, 0x0
	s_barrier
	buffer_gl0_inv
	s_clause 0x1
	scratch_load_b128 v[75:78], off, off offset:108
	scratch_load_b128 v[79:82], off, off offset:124
	v_mov_b32_e32 v2, 0
	ds_load_b128 v[83:86], v2 offset:256
	ds_load_b96 v[87:89], v2 offset:272
	s_mov_b32 s0, exec_lo
	s_waitcnt vmcnt(1) lgkmcnt(1)
	v_fma_f32 v3, v76, v83, 0
	s_delay_alu instid0(VALU_DEP_1) | instskip(NEXT) | instid1(VALU_DEP_1)
	v_fmac_f32_e32 v3, v77, v84
	v_fmac_f32_e32 v3, v78, v85
	s_waitcnt vmcnt(0)
	s_delay_alu instid0(VALU_DEP_1) | instskip(SKIP_1) | instid1(VALU_DEP_1)
	v_fmac_f32_e32 v3, v79, v86
	s_waitcnt lgkmcnt(0)
	v_fmac_f32_e32 v3, v80, v87
	s_delay_alu instid0(VALU_DEP_1) | instskip(NEXT) | instid1(VALU_DEP_1)
	v_fmac_f32_e32 v3, v81, v88
	v_fmac_f32_e32 v3, v82, v89
	s_delay_alu instid0(VALU_DEP_1)
	v_sub_f32_e32 v3, v75, v3
	scratch_store_b32 off, v3, off offset:108
	v_cmpx_lt_u32_e32 26, v0
	s_cbranch_execz .LBB34_165
; %bb.164:
	scratch_load_b32 v3, off, off offset:104
	scratch_store_b32 off, v2, off offset:104
	s_waitcnt vmcnt(0)
	ds_store_b32 v1, v3
.LBB34_165:
	s_or_b32 exec_lo, exec_lo, s0
	s_waitcnt lgkmcnt(0)
	s_waitcnt_vscnt null, 0x0
	s_barrier
	buffer_gl0_inv
	s_clause 0x2
	scratch_load_b128 v[75:78], off, off offset:104
	scratch_load_b128 v[79:82], off, off offset:120
	scratch_load_b32 v89, off, off offset:136
	ds_load_2addr_b32 v[3:4], v2 offset0:63 offset1:64
	ds_load_2addr_b32 v[83:84], v2 offset0:65 offset1:66
	;; [unrolled: 1-line block ×4, first 2 shown]
	s_mov_b32 s0, exec_lo
	s_waitcnt vmcnt(2) lgkmcnt(3)
	v_fma_f32 v2, v76, v3, 0
	s_delay_alu instid0(VALU_DEP_1) | instskip(SKIP_1) | instid1(VALU_DEP_1)
	v_fmac_f32_e32 v2, v77, v4
	s_waitcnt lgkmcnt(2)
	v_fmac_f32_e32 v2, v78, v83
	s_waitcnt vmcnt(1)
	s_delay_alu instid0(VALU_DEP_1) | instskip(SKIP_1) | instid1(VALU_DEP_1)
	v_fmac_f32_e32 v2, v79, v84
	s_waitcnt lgkmcnt(1)
	v_fmac_f32_e32 v2, v80, v85
	s_delay_alu instid0(VALU_DEP_1) | instskip(SKIP_1) | instid1(VALU_DEP_1)
	v_fmac_f32_e32 v2, v81, v86
	s_waitcnt lgkmcnt(0)
	v_fmac_f32_e32 v2, v82, v87
	s_waitcnt vmcnt(0)
	s_delay_alu instid0(VALU_DEP_1) | instskip(NEXT) | instid1(VALU_DEP_1)
	v_fmac_f32_e32 v2, v89, v88
	v_sub_f32_e32 v2, v75, v2
	scratch_store_b32 off, v2, off offset:104
	v_cmpx_lt_u32_e32 25, v0
	s_cbranch_execz .LBB34_167
; %bb.166:
	scratch_load_b32 v2, off, off offset:100
	v_mov_b32_e32 v3, 0
	scratch_store_b32 off, v3, off offset:100
	s_waitcnt vmcnt(0)
	ds_store_b32 v1, v2
.LBB34_167:
	s_or_b32 exec_lo, exec_lo, s0
	s_waitcnt lgkmcnt(0)
	s_waitcnt_vscnt null, 0x0
	s_barrier
	buffer_gl0_inv
	s_clause 0x2
	scratch_load_b128 v[75:78], off, off offset:100
	scratch_load_b128 v[79:82], off, off offset:116
	scratch_load_b64 v[3:4], off, off offset:132
	v_mov_b32_e32 v2, 0
	ds_load_2addr_b64 v[83:86], v2 offset0:31 offset1:32
	ds_load_2addr_b64 v[87:90], v2 offset0:33 offset1:34
	s_mov_b32 s0, exec_lo
	s_waitcnt vmcnt(2) lgkmcnt(1)
	v_fma_f32 v76, v76, v83, 0
	s_delay_alu instid0(VALU_DEP_1) | instskip(SKIP_3) | instid1(VALU_DEP_1)
	v_fmac_f32_e32 v76, v77, v84
	ds_load_b32 v77, v2 offset:280
	v_fmac_f32_e32 v76, v78, v85
	s_waitcnt vmcnt(1)
	v_fmac_f32_e32 v76, v79, v86
	s_waitcnt lgkmcnt(1)
	s_delay_alu instid0(VALU_DEP_1) | instskip(NEXT) | instid1(VALU_DEP_1)
	v_fmac_f32_e32 v76, v80, v87
	v_fmac_f32_e32 v76, v81, v88
	s_delay_alu instid0(VALU_DEP_1) | instskip(SKIP_1) | instid1(VALU_DEP_1)
	v_fmac_f32_e32 v76, v82, v89
	s_waitcnt vmcnt(0)
	v_fmac_f32_e32 v76, v3, v90
	s_waitcnt lgkmcnt(0)
	s_delay_alu instid0(VALU_DEP_1) | instskip(NEXT) | instid1(VALU_DEP_1)
	v_fmac_f32_e32 v76, v4, v77
	v_sub_f32_e32 v3, v75, v76
	scratch_store_b32 off, v3, off offset:100
	v_cmpx_lt_u32_e32 24, v0
	s_cbranch_execz .LBB34_169
; %bb.168:
	scratch_load_b32 v3, off, off offset:96
	scratch_store_b32 off, v2, off offset:96
	s_waitcnt vmcnt(0)
	ds_store_b32 v1, v3
.LBB34_169:
	s_or_b32 exec_lo, exec_lo, s0
	s_waitcnt lgkmcnt(0)
	s_waitcnt_vscnt null, 0x0
	s_barrier
	buffer_gl0_inv
	s_clause 0x2
	scratch_load_b128 v[75:78], off, off offset:96
	scratch_load_b128 v[79:82], off, off offset:112
	scratch_load_b96 v[83:85], off, off offset:128
	ds_load_2addr_b32 v[3:4], v2 offset0:61 offset1:62
	ds_load_2addr_b32 v[86:87], v2 offset0:63 offset1:64
	ds_load_2addr_b32 v[88:89], v2 offset0:65 offset1:66
	ds_load_2addr_b32 v[90:91], v2 offset0:67 offset1:68
	s_mov_b32 s0, exec_lo
	s_waitcnt vmcnt(2) lgkmcnt(3)
	v_fma_f32 v76, v76, v3, 0
	ds_load_2addr_b32 v[2:3], v2 offset0:69 offset1:70
	v_fmac_f32_e32 v76, v77, v4
	s_waitcnt lgkmcnt(3)
	s_delay_alu instid0(VALU_DEP_1) | instskip(SKIP_1) | instid1(VALU_DEP_1)
	v_fmac_f32_e32 v76, v78, v86
	s_waitcnt vmcnt(1)
	v_fmac_f32_e32 v76, v79, v87
	s_waitcnt lgkmcnt(2)
	s_delay_alu instid0(VALU_DEP_1) | instskip(NEXT) | instid1(VALU_DEP_1)
	v_fmac_f32_e32 v76, v80, v88
	v_fmac_f32_e32 v76, v81, v89
	s_waitcnt lgkmcnt(1)
	s_delay_alu instid0(VALU_DEP_1) | instskip(SKIP_1) | instid1(VALU_DEP_1)
	v_fmac_f32_e32 v76, v82, v90
	s_waitcnt vmcnt(0)
	v_fmac_f32_e32 v76, v83, v91
	s_waitcnt lgkmcnt(0)
	s_delay_alu instid0(VALU_DEP_1) | instskip(NEXT) | instid1(VALU_DEP_1)
	v_fmac_f32_e32 v76, v84, v2
	v_fmac_f32_e32 v76, v85, v3
	s_delay_alu instid0(VALU_DEP_1)
	v_sub_f32_e32 v2, v75, v76
	scratch_store_b32 off, v2, off offset:96
	v_cmpx_lt_u32_e32 23, v0
	s_cbranch_execz .LBB34_171
; %bb.170:
	scratch_load_b32 v2, off, off offset:92
	v_mov_b32_e32 v3, 0
	scratch_store_b32 off, v3, off offset:92
	s_waitcnt vmcnt(0)
	ds_store_b32 v1, v2
.LBB34_171:
	s_or_b32 exec_lo, exec_lo, s0
	s_waitcnt lgkmcnt(0)
	s_waitcnt_vscnt null, 0x0
	s_barrier
	buffer_gl0_inv
	s_clause 0x2
	scratch_load_b128 v[75:78], off, off offset:92
	scratch_load_b128 v[79:82], off, off offset:108
	;; [unrolled: 1-line block ×3, first 2 shown]
	v_mov_b32_e32 v2, 0
	ds_load_b128 v[87:90], v2 offset:240
	ds_load_b128 v[91:94], v2 offset:256
	s_mov_b32 s0, exec_lo
	s_waitcnt vmcnt(2) lgkmcnt(1)
	v_fma_f32 v3, v76, v87, 0
	s_delay_alu instid0(VALU_DEP_1) | instskip(NEXT) | instid1(VALU_DEP_1)
	v_fmac_f32_e32 v3, v77, v88
	v_fmac_f32_e32 v3, v78, v89
	ds_load_b96 v[76:78], v2 offset:272
	s_waitcnt vmcnt(1)
	v_fmac_f32_e32 v3, v79, v90
	s_waitcnt lgkmcnt(1)
	s_delay_alu instid0(VALU_DEP_1) | instskip(NEXT) | instid1(VALU_DEP_1)
	v_fmac_f32_e32 v3, v80, v91
	v_fmac_f32_e32 v3, v81, v92
	s_delay_alu instid0(VALU_DEP_1) | instskip(SKIP_1) | instid1(VALU_DEP_1)
	v_fmac_f32_e32 v3, v82, v93
	s_waitcnt vmcnt(0)
	v_fmac_f32_e32 v3, v83, v94
	s_waitcnt lgkmcnt(0)
	s_delay_alu instid0(VALU_DEP_1) | instskip(NEXT) | instid1(VALU_DEP_1)
	v_fmac_f32_e32 v3, v84, v76
	v_fmac_f32_e32 v3, v85, v77
	s_delay_alu instid0(VALU_DEP_1) | instskip(NEXT) | instid1(VALU_DEP_1)
	v_fmac_f32_e32 v3, v86, v78
	v_sub_f32_e32 v3, v75, v3
	scratch_store_b32 off, v3, off offset:92
	v_cmpx_lt_u32_e32 22, v0
	s_cbranch_execz .LBB34_173
; %bb.172:
	scratch_load_b32 v3, off, off offset:88
	scratch_store_b32 off, v2, off offset:88
	s_waitcnt vmcnt(0)
	ds_store_b32 v1, v3
.LBB34_173:
	s_or_b32 exec_lo, exec_lo, s0
	s_waitcnt lgkmcnt(0)
	s_waitcnt_vscnt null, 0x0
	s_barrier
	buffer_gl0_inv
	s_clause 0x3
	scratch_load_b128 v[75:78], off, off offset:88
	scratch_load_b128 v[79:82], off, off offset:104
	;; [unrolled: 1-line block ×3, first 2 shown]
	scratch_load_b32 v93, off, off offset:136
	ds_load_2addr_b32 v[3:4], v2 offset0:59 offset1:60
	ds_load_2addr_b32 v[87:88], v2 offset0:61 offset1:62
	;; [unrolled: 1-line block ×4, first 2 shown]
	s_mov_b32 s0, exec_lo
	s_waitcnt vmcnt(3) lgkmcnt(3)
	v_fma_f32 v94, v76, v3, 0
	s_delay_alu instid0(VALU_DEP_1)
	v_fmac_f32_e32 v94, v77, v4
	ds_load_2addr_b32 v[3:4], v2 offset0:67 offset1:68
	ds_load_2addr_b32 v[76:77], v2 offset0:69 offset1:70
	s_waitcnt lgkmcnt(4)
	v_fmac_f32_e32 v94, v78, v87
	s_waitcnt vmcnt(2)
	s_delay_alu instid0(VALU_DEP_1) | instskip(SKIP_1) | instid1(VALU_DEP_1)
	v_fmac_f32_e32 v94, v79, v88
	s_waitcnt lgkmcnt(3)
	v_fmac_f32_e32 v94, v80, v89
	s_delay_alu instid0(VALU_DEP_1) | instskip(SKIP_1) | instid1(VALU_DEP_1)
	v_fmac_f32_e32 v94, v81, v90
	s_waitcnt lgkmcnt(2)
	v_fmac_f32_e32 v94, v82, v91
	s_waitcnt vmcnt(1)
	s_delay_alu instid0(VALU_DEP_1) | instskip(SKIP_1) | instid1(VALU_DEP_1)
	v_fmac_f32_e32 v94, v83, v92
	s_waitcnt lgkmcnt(1)
	v_fmac_f32_e32 v94, v84, v3
	s_delay_alu instid0(VALU_DEP_1) | instskip(SKIP_1) | instid1(VALU_DEP_1)
	v_fmac_f32_e32 v94, v85, v4
	s_waitcnt lgkmcnt(0)
	v_fmac_f32_e32 v94, v86, v76
	s_waitcnt vmcnt(0)
	s_delay_alu instid0(VALU_DEP_1) | instskip(NEXT) | instid1(VALU_DEP_1)
	v_fmac_f32_e32 v94, v93, v77
	v_sub_f32_e32 v2, v75, v94
	scratch_store_b32 off, v2, off offset:88
	v_cmpx_lt_u32_e32 21, v0
	s_cbranch_execz .LBB34_175
; %bb.174:
	scratch_load_b32 v2, off, off offset:84
	v_mov_b32_e32 v3, 0
	scratch_store_b32 off, v3, off offset:84
	s_waitcnt vmcnt(0)
	ds_store_b32 v1, v2
.LBB34_175:
	s_or_b32 exec_lo, exec_lo, s0
	s_waitcnt lgkmcnt(0)
	s_waitcnt_vscnt null, 0x0
	s_barrier
	buffer_gl0_inv
	s_clause 0x3
	scratch_load_b128 v[75:78], off, off offset:84
	scratch_load_b128 v[79:82], off, off offset:100
	;; [unrolled: 1-line block ×3, first 2 shown]
	scratch_load_b64 v[3:4], off, off offset:132
	v_mov_b32_e32 v2, 0
	ds_load_2addr_b64 v[87:90], v2 offset0:29 offset1:30
	ds_load_2addr_b64 v[91:94], v2 offset0:31 offset1:32
	s_mov_b32 s0, exec_lo
	s_waitcnt vmcnt(3) lgkmcnt(1)
	v_fma_f32 v87, v76, v87, 0
	s_delay_alu instid0(VALU_DEP_1) | instskip(NEXT) | instid1(VALU_DEP_1)
	v_fmac_f32_e32 v87, v77, v88
	v_fmac_f32_e32 v87, v78, v89
	s_waitcnt vmcnt(2)
	s_delay_alu instid0(VALU_DEP_1)
	v_fmac_f32_e32 v87, v79, v90
	ds_load_2addr_b64 v[76:79], v2 offset0:33 offset1:34
	s_waitcnt lgkmcnt(1)
	v_fmac_f32_e32 v87, v80, v91
	ds_load_b32 v80, v2 offset:280
	v_fmac_f32_e32 v87, v81, v92
	s_delay_alu instid0(VALU_DEP_1) | instskip(SKIP_1) | instid1(VALU_DEP_1)
	v_fmac_f32_e32 v87, v82, v93
	s_waitcnt vmcnt(1)
	v_fmac_f32_e32 v87, v83, v94
	s_waitcnt lgkmcnt(1)
	s_delay_alu instid0(VALU_DEP_1) | instskip(NEXT) | instid1(VALU_DEP_1)
	v_fmac_f32_e32 v87, v84, v76
	v_fmac_f32_e32 v87, v85, v77
	s_delay_alu instid0(VALU_DEP_1) | instskip(SKIP_1) | instid1(VALU_DEP_1)
	v_fmac_f32_e32 v87, v86, v78
	s_waitcnt vmcnt(0)
	v_fmac_f32_e32 v87, v3, v79
	s_waitcnt lgkmcnt(0)
	s_delay_alu instid0(VALU_DEP_1) | instskip(NEXT) | instid1(VALU_DEP_1)
	v_fmac_f32_e32 v87, v4, v80
	v_sub_f32_e32 v3, v75, v87
	scratch_store_b32 off, v3, off offset:84
	v_cmpx_lt_u32_e32 20, v0
	s_cbranch_execz .LBB34_177
; %bb.176:
	scratch_load_b32 v3, off, off offset:80
	scratch_store_b32 off, v2, off offset:80
	s_waitcnt vmcnt(0)
	ds_store_b32 v1, v3
.LBB34_177:
	s_or_b32 exec_lo, exec_lo, s0
	s_waitcnt lgkmcnt(0)
	s_waitcnt_vscnt null, 0x0
	s_barrier
	buffer_gl0_inv
	s_clause 0x3
	scratch_load_b128 v[75:78], off, off offset:80
	scratch_load_b128 v[79:82], off, off offset:96
	;; [unrolled: 1-line block ×3, first 2 shown]
	scratch_load_b96 v[87:89], off, off offset:128
	ds_load_2addr_b32 v[3:4], v2 offset0:57 offset1:58
	ds_load_2addr_b32 v[90:91], v2 offset0:59 offset1:60
	;; [unrolled: 1-line block ×3, first 2 shown]
	s_mov_b32 s0, exec_lo
	s_waitcnt vmcnt(3) lgkmcnt(2)
	v_fma_f32 v94, v76, v3, 0
	s_delay_alu instid0(VALU_DEP_1)
	v_fmac_f32_e32 v94, v77, v4
	ds_load_2addr_b32 v[3:4], v2 offset0:63 offset1:64
	ds_load_2addr_b32 v[76:77], v2 offset0:65 offset1:66
	s_waitcnt lgkmcnt(3)
	v_fmac_f32_e32 v94, v78, v90
	s_waitcnt vmcnt(2)
	s_delay_alu instid0(VALU_DEP_1) | instskip(SKIP_3) | instid1(VALU_DEP_1)
	v_fmac_f32_e32 v94, v79, v91
	ds_load_2addr_b32 v[78:79], v2 offset0:67 offset1:68
	s_waitcnt lgkmcnt(3)
	v_fmac_f32_e32 v94, v80, v92
	v_fmac_f32_e32 v94, v81, v93
	s_waitcnt lgkmcnt(2)
	s_delay_alu instid0(VALU_DEP_1) | instskip(SKIP_4) | instid1(VALU_DEP_1)
	v_fmac_f32_e32 v94, v82, v3
	ds_load_2addr_b32 v[2:3], v2 offset0:69 offset1:70
	s_waitcnt vmcnt(1)
	v_fmac_f32_e32 v94, v83, v4
	s_waitcnt lgkmcnt(2)
	v_fmac_f32_e32 v94, v84, v76
	s_delay_alu instid0(VALU_DEP_1) | instskip(SKIP_1) | instid1(VALU_DEP_1)
	v_fmac_f32_e32 v94, v85, v77
	s_waitcnt lgkmcnt(1)
	v_fmac_f32_e32 v94, v86, v78
	s_waitcnt vmcnt(0)
	s_delay_alu instid0(VALU_DEP_1) | instskip(SKIP_1) | instid1(VALU_DEP_1)
	v_fmac_f32_e32 v94, v87, v79
	s_waitcnt lgkmcnt(0)
	v_fmac_f32_e32 v94, v88, v2
	s_delay_alu instid0(VALU_DEP_1) | instskip(NEXT) | instid1(VALU_DEP_1)
	v_fmac_f32_e32 v94, v89, v3
	v_sub_f32_e32 v2, v75, v94
	scratch_store_b32 off, v2, off offset:80
	v_cmpx_lt_u32_e32 19, v0
	s_cbranch_execz .LBB34_179
; %bb.178:
	scratch_load_b32 v2, off, off offset:76
	v_mov_b32_e32 v3, 0
	scratch_store_b32 off, v3, off offset:76
	s_waitcnt vmcnt(0)
	ds_store_b32 v1, v2
.LBB34_179:
	s_or_b32 exec_lo, exec_lo, s0
	s_waitcnt lgkmcnt(0)
	s_waitcnt_vscnt null, 0x0
	s_barrier
	buffer_gl0_inv
	s_clause 0x3
	scratch_load_b128 v[75:78], off, off offset:76
	scratch_load_b128 v[79:82], off, off offset:92
	;; [unrolled: 1-line block ×4, first 2 shown]
	v_mov_b32_e32 v2, 0
	ds_load_b128 v[91:94], v2 offset:224
	ds_load_b128 v[95:98], v2 offset:240
	s_mov_b32 s0, exec_lo
	s_waitcnt vmcnt(3) lgkmcnt(1)
	v_fma_f32 v3, v76, v91, 0
	s_delay_alu instid0(VALU_DEP_1) | instskip(NEXT) | instid1(VALU_DEP_1)
	v_fmac_f32_e32 v3, v77, v92
	v_fmac_f32_e32 v3, v78, v93
	s_waitcnt vmcnt(2)
	s_delay_alu instid0(VALU_DEP_1) | instskip(SKIP_3) | instid1(VALU_DEP_1)
	v_fmac_f32_e32 v3, v79, v94
	ds_load_b128 v[76:79], v2 offset:256
	s_waitcnt lgkmcnt(1)
	v_fmac_f32_e32 v3, v80, v95
	v_fmac_f32_e32 v3, v81, v96
	s_delay_alu instid0(VALU_DEP_1) | instskip(SKIP_4) | instid1(VALU_DEP_1)
	v_fmac_f32_e32 v3, v82, v97
	ds_load_b96 v[80:82], v2 offset:272
	s_waitcnt vmcnt(1)
	v_fmac_f32_e32 v3, v83, v98
	s_waitcnt lgkmcnt(1)
	v_fmac_f32_e32 v3, v84, v76
	s_delay_alu instid0(VALU_DEP_1) | instskip(NEXT) | instid1(VALU_DEP_1)
	v_fmac_f32_e32 v3, v85, v77
	v_fmac_f32_e32 v3, v86, v78
	s_waitcnt vmcnt(0)
	s_delay_alu instid0(VALU_DEP_1) | instskip(SKIP_1) | instid1(VALU_DEP_1)
	v_fmac_f32_e32 v3, v87, v79
	s_waitcnt lgkmcnt(0)
	v_fmac_f32_e32 v3, v88, v80
	s_delay_alu instid0(VALU_DEP_1) | instskip(NEXT) | instid1(VALU_DEP_1)
	v_fmac_f32_e32 v3, v89, v81
	v_fmac_f32_e32 v3, v90, v82
	s_delay_alu instid0(VALU_DEP_1)
	v_sub_f32_e32 v3, v75, v3
	scratch_store_b32 off, v3, off offset:76
	v_cmpx_lt_u32_e32 18, v0
	s_cbranch_execz .LBB34_181
; %bb.180:
	scratch_load_b32 v3, off, off offset:72
	scratch_store_b32 off, v2, off offset:72
	s_waitcnt vmcnt(0)
	ds_store_b32 v1, v3
.LBB34_181:
	s_or_b32 exec_lo, exec_lo, s0
	s_waitcnt lgkmcnt(0)
	s_waitcnt_vscnt null, 0x0
	s_barrier
	buffer_gl0_inv
	s_clause 0x4
	scratch_load_b128 v[75:78], off, off offset:72
	scratch_load_b128 v[79:82], off, off offset:88
	;; [unrolled: 1-line block ×4, first 2 shown]
	scratch_load_b32 v97, off, off offset:136
	ds_load_2addr_b32 v[3:4], v2 offset0:55 offset1:56
	ds_load_2addr_b32 v[91:92], v2 offset0:57 offset1:58
	;; [unrolled: 1-line block ×4, first 2 shown]
	s_mov_b32 s0, exec_lo
	s_waitcnt vmcnt(4) lgkmcnt(3)
	v_fma_f32 v98, v76, v3, 0
	s_delay_alu instid0(VALU_DEP_1)
	v_fmac_f32_e32 v98, v77, v4
	ds_load_2addr_b32 v[3:4], v2 offset0:63 offset1:64
	ds_load_2addr_b32 v[76:77], v2 offset0:65 offset1:66
	s_waitcnt lgkmcnt(4)
	v_fmac_f32_e32 v98, v78, v91
	s_waitcnt vmcnt(3)
	s_delay_alu instid0(VALU_DEP_1) | instskip(SKIP_1) | instid1(VALU_DEP_1)
	v_fmac_f32_e32 v98, v79, v92
	s_waitcnt lgkmcnt(3)
	v_fmac_f32_e32 v98, v80, v93
	s_delay_alu instid0(VALU_DEP_1)
	v_fmac_f32_e32 v98, v81, v94
	ds_load_2addr_b32 v[78:79], v2 offset0:67 offset1:68
	ds_load_2addr_b32 v[80:81], v2 offset0:69 offset1:70
	s_waitcnt lgkmcnt(4)
	v_fmac_f32_e32 v98, v82, v95
	s_waitcnt vmcnt(2)
	s_delay_alu instid0(VALU_DEP_1) | instskip(SKIP_1) | instid1(VALU_DEP_1)
	v_fmac_f32_e32 v98, v83, v96
	s_waitcnt lgkmcnt(3)
	v_fmac_f32_e32 v98, v84, v3
	s_delay_alu instid0(VALU_DEP_1) | instskip(SKIP_1) | instid1(VALU_DEP_1)
	v_fmac_f32_e32 v98, v85, v4
	s_waitcnt lgkmcnt(2)
	v_fmac_f32_e32 v98, v86, v76
	s_waitcnt vmcnt(1)
	s_delay_alu instid0(VALU_DEP_1) | instskip(SKIP_1) | instid1(VALU_DEP_1)
	v_fmac_f32_e32 v98, v87, v77
	s_waitcnt lgkmcnt(1)
	v_fmac_f32_e32 v98, v88, v78
	s_delay_alu instid0(VALU_DEP_1) | instskip(SKIP_1) | instid1(VALU_DEP_1)
	v_fmac_f32_e32 v98, v89, v79
	s_waitcnt lgkmcnt(0)
	v_fmac_f32_e32 v98, v90, v80
	s_waitcnt vmcnt(0)
	s_delay_alu instid0(VALU_DEP_1) | instskip(NEXT) | instid1(VALU_DEP_1)
	v_fmac_f32_e32 v98, v97, v81
	v_sub_f32_e32 v2, v75, v98
	scratch_store_b32 off, v2, off offset:72
	v_cmpx_lt_u32_e32 17, v0
	s_cbranch_execz .LBB34_183
; %bb.182:
	scratch_load_b32 v2, off, off offset:68
	v_mov_b32_e32 v3, 0
	scratch_store_b32 off, v3, off offset:68
	s_waitcnt vmcnt(0)
	ds_store_b32 v1, v2
.LBB34_183:
	s_or_b32 exec_lo, exec_lo, s0
	s_waitcnt lgkmcnt(0)
	s_waitcnt_vscnt null, 0x0
	s_barrier
	buffer_gl0_inv
	s_clause 0x4
	scratch_load_b128 v[75:78], off, off offset:68
	scratch_load_b128 v[79:82], off, off offset:84
	;; [unrolled: 1-line block ×4, first 2 shown]
	scratch_load_b64 v[3:4], off, off offset:132
	v_mov_b32_e32 v2, 0
	ds_load_2addr_b64 v[91:94], v2 offset0:27 offset1:28
	ds_load_2addr_b64 v[95:98], v2 offset0:29 offset1:30
	s_mov_b32 s0, exec_lo
	s_waitcnt vmcnt(4) lgkmcnt(1)
	v_fma_f32 v91, v76, v91, 0
	s_delay_alu instid0(VALU_DEP_1) | instskip(NEXT) | instid1(VALU_DEP_1)
	v_fmac_f32_e32 v91, v77, v92
	v_fmac_f32_e32 v91, v78, v93
	s_waitcnt vmcnt(3)
	s_delay_alu instid0(VALU_DEP_1) | instskip(SKIP_3) | instid1(VALU_DEP_1)
	v_fmac_f32_e32 v91, v79, v94
	ds_load_2addr_b64 v[76:79], v2 offset0:31 offset1:32
	s_waitcnt lgkmcnt(1)
	v_fmac_f32_e32 v91, v80, v95
	v_fmac_f32_e32 v91, v81, v96
	s_delay_alu instid0(VALU_DEP_1) | instskip(SKIP_1) | instid1(VALU_DEP_1)
	v_fmac_f32_e32 v91, v82, v97
	s_waitcnt vmcnt(2)
	v_fmac_f32_e32 v91, v83, v98
	ds_load_2addr_b64 v[80:83], v2 offset0:33 offset1:34
	s_waitcnt lgkmcnt(1)
	v_fmac_f32_e32 v91, v84, v76
	ds_load_b32 v76, v2 offset:280
	v_fmac_f32_e32 v91, v85, v77
	s_delay_alu instid0(VALU_DEP_1) | instskip(SKIP_1) | instid1(VALU_DEP_1)
	v_fmac_f32_e32 v91, v86, v78
	s_waitcnt vmcnt(1)
	v_fmac_f32_e32 v91, v87, v79
	s_waitcnt lgkmcnt(1)
	s_delay_alu instid0(VALU_DEP_1) | instskip(NEXT) | instid1(VALU_DEP_1)
	v_fmac_f32_e32 v91, v88, v80
	v_fmac_f32_e32 v91, v89, v81
	s_delay_alu instid0(VALU_DEP_1) | instskip(SKIP_1) | instid1(VALU_DEP_1)
	v_fmac_f32_e32 v91, v90, v82
	s_waitcnt vmcnt(0)
	v_fmac_f32_e32 v91, v3, v83
	s_waitcnt lgkmcnt(0)
	s_delay_alu instid0(VALU_DEP_1) | instskip(NEXT) | instid1(VALU_DEP_1)
	v_fmac_f32_e32 v91, v4, v76
	v_sub_f32_e32 v3, v75, v91
	scratch_store_b32 off, v3, off offset:68
	v_cmpx_lt_u32_e32 16, v0
	s_cbranch_execz .LBB34_185
; %bb.184:
	scratch_load_b32 v3, off, off offset:64
	scratch_store_b32 off, v2, off offset:64
	s_waitcnt vmcnt(0)
	ds_store_b32 v1, v3
.LBB34_185:
	s_or_b32 exec_lo, exec_lo, s0
	s_waitcnt lgkmcnt(0)
	s_waitcnt_vscnt null, 0x0
	s_barrier
	buffer_gl0_inv
	s_clause 0x4
	scratch_load_b128 v[75:78], off, off offset:64
	scratch_load_b128 v[79:82], off, off offset:80
	;; [unrolled: 1-line block ×4, first 2 shown]
	scratch_load_b96 v[91:93], off, off offset:128
	ds_load_2addr_b32 v[3:4], v2 offset0:53 offset1:54
	ds_load_2addr_b32 v[94:95], v2 offset0:55 offset1:56
	;; [unrolled: 1-line block ×4, first 2 shown]
	s_mov_b32 s0, exec_lo
	s_waitcnt vmcnt(4) lgkmcnt(3)
	v_fma_f32 v100, v76, v3, 0
	s_delay_alu instid0(VALU_DEP_1)
	v_fmac_f32_e32 v100, v77, v4
	ds_load_2addr_b32 v[3:4], v2 offset0:61 offset1:62
	ds_load_2addr_b32 v[76:77], v2 offset0:63 offset1:64
	s_waitcnt lgkmcnt(4)
	v_fmac_f32_e32 v100, v78, v94
	s_waitcnt vmcnt(3)
	s_delay_alu instid0(VALU_DEP_1) | instskip(SKIP_1) | instid1(VALU_DEP_1)
	v_fmac_f32_e32 v100, v79, v95
	s_waitcnt lgkmcnt(3)
	v_fmac_f32_e32 v100, v80, v96
	s_delay_alu instid0(VALU_DEP_1)
	v_fmac_f32_e32 v100, v81, v97
	ds_load_2addr_b32 v[78:79], v2 offset0:65 offset1:66
	ds_load_2addr_b32 v[80:81], v2 offset0:67 offset1:68
	s_waitcnt lgkmcnt(4)
	v_fmac_f32_e32 v100, v82, v98
	s_waitcnt vmcnt(2)
	s_delay_alu instid0(VALU_DEP_1) | instskip(SKIP_1) | instid1(VALU_DEP_1)
	v_fmac_f32_e32 v100, v83, v99
	s_waitcnt lgkmcnt(3)
	v_fmac_f32_e32 v100, v84, v3
	ds_load_2addr_b32 v[2:3], v2 offset0:69 offset1:70
	v_fmac_f32_e32 v100, v85, v4
	s_waitcnt lgkmcnt(3)
	s_delay_alu instid0(VALU_DEP_1) | instskip(SKIP_1) | instid1(VALU_DEP_1)
	v_fmac_f32_e32 v100, v86, v76
	s_waitcnt vmcnt(1)
	v_fmac_f32_e32 v100, v87, v77
	s_waitcnt lgkmcnt(2)
	s_delay_alu instid0(VALU_DEP_1) | instskip(NEXT) | instid1(VALU_DEP_1)
	v_fmac_f32_e32 v100, v88, v78
	v_fmac_f32_e32 v100, v89, v79
	s_waitcnt lgkmcnt(1)
	s_delay_alu instid0(VALU_DEP_1) | instskip(SKIP_1) | instid1(VALU_DEP_1)
	v_fmac_f32_e32 v100, v90, v80
	s_waitcnt vmcnt(0)
	v_fmac_f32_e32 v100, v91, v81
	s_waitcnt lgkmcnt(0)
	s_delay_alu instid0(VALU_DEP_1) | instskip(NEXT) | instid1(VALU_DEP_1)
	v_fmac_f32_e32 v100, v92, v2
	v_fmac_f32_e32 v100, v93, v3
	s_delay_alu instid0(VALU_DEP_1)
	v_sub_f32_e32 v2, v75, v100
	scratch_store_b32 off, v2, off offset:64
	v_cmpx_lt_u32_e32 15, v0
	s_cbranch_execz .LBB34_187
; %bb.186:
	scratch_load_b32 v2, off, off offset:60
	v_mov_b32_e32 v3, 0
	scratch_store_b32 off, v3, off offset:60
	s_waitcnt vmcnt(0)
	ds_store_b32 v1, v2
.LBB34_187:
	s_or_b32 exec_lo, exec_lo, s0
	s_waitcnt lgkmcnt(0)
	s_waitcnt_vscnt null, 0x0
	s_barrier
	buffer_gl0_inv
	s_clause 0x4
	scratch_load_b128 v[75:78], off, off offset:60
	scratch_load_b128 v[79:82], off, off offset:76
	;; [unrolled: 1-line block ×5, first 2 shown]
	v_mov_b32_e32 v2, 0
	ds_load_b128 v[95:98], v2 offset:208
	ds_load_b128 v[99:102], v2 offset:224
	s_mov_b32 s0, exec_lo
	s_waitcnt vmcnt(4) lgkmcnt(1)
	v_fma_f32 v3, v76, v95, 0
	s_delay_alu instid0(VALU_DEP_1) | instskip(NEXT) | instid1(VALU_DEP_1)
	v_fmac_f32_e32 v3, v77, v96
	v_fmac_f32_e32 v3, v78, v97
	s_waitcnt vmcnt(3)
	s_delay_alu instid0(VALU_DEP_1) | instskip(SKIP_3) | instid1(VALU_DEP_1)
	v_fmac_f32_e32 v3, v79, v98
	ds_load_b128 v[76:79], v2 offset:240
	s_waitcnt lgkmcnt(1)
	v_fmac_f32_e32 v3, v80, v99
	v_fmac_f32_e32 v3, v81, v100
	s_delay_alu instid0(VALU_DEP_1) | instskip(SKIP_1) | instid1(VALU_DEP_1)
	v_fmac_f32_e32 v3, v82, v101
	s_waitcnt vmcnt(2)
	v_fmac_f32_e32 v3, v83, v102
	ds_load_b128 v[80:83], v2 offset:256
	s_waitcnt lgkmcnt(1)
	v_fmac_f32_e32 v3, v84, v76
	s_delay_alu instid0(VALU_DEP_1) | instskip(NEXT) | instid1(VALU_DEP_1)
	v_fmac_f32_e32 v3, v85, v77
	v_fmac_f32_e32 v3, v86, v78
	ds_load_b96 v[76:78], v2 offset:272
	s_waitcnt vmcnt(1)
	v_fmac_f32_e32 v3, v87, v79
	s_waitcnt lgkmcnt(1)
	s_delay_alu instid0(VALU_DEP_1) | instskip(NEXT) | instid1(VALU_DEP_1)
	v_fmac_f32_e32 v3, v88, v80
	v_fmac_f32_e32 v3, v89, v81
	s_delay_alu instid0(VALU_DEP_1) | instskip(SKIP_1) | instid1(VALU_DEP_1)
	v_fmac_f32_e32 v3, v90, v82
	s_waitcnt vmcnt(0)
	v_fmac_f32_e32 v3, v91, v83
	s_waitcnt lgkmcnt(0)
	s_delay_alu instid0(VALU_DEP_1) | instskip(NEXT) | instid1(VALU_DEP_1)
	v_fmac_f32_e32 v3, v92, v76
	v_fmac_f32_e32 v3, v93, v77
	s_delay_alu instid0(VALU_DEP_1) | instskip(NEXT) | instid1(VALU_DEP_1)
	v_fmac_f32_e32 v3, v94, v78
	v_sub_f32_e32 v3, v75, v3
	scratch_store_b32 off, v3, off offset:60
	v_cmpx_lt_u32_e32 14, v0
	s_cbranch_execz .LBB34_189
; %bb.188:
	scratch_load_b32 v3, off, off offset:56
	scratch_store_b32 off, v2, off offset:56
	s_waitcnt vmcnt(0)
	ds_store_b32 v1, v3
.LBB34_189:
	s_or_b32 exec_lo, exec_lo, s0
	s_waitcnt lgkmcnt(0)
	s_waitcnt_vscnt null, 0x0
	s_barrier
	buffer_gl0_inv
	s_clause 0x5
	scratch_load_b128 v[75:78], off, off offset:56
	scratch_load_b128 v[79:82], off, off offset:72
	;; [unrolled: 1-line block ×5, first 2 shown]
	scratch_load_b32 v101, off, off offset:136
	ds_load_2addr_b32 v[3:4], v2 offset0:51 offset1:52
	ds_load_2addr_b32 v[95:96], v2 offset0:53 offset1:54
	;; [unrolled: 1-line block ×4, first 2 shown]
	s_mov_b32 s0, exec_lo
	s_waitcnt vmcnt(5) lgkmcnt(3)
	v_fma_f32 v102, v76, v3, 0
	s_delay_alu instid0(VALU_DEP_1)
	v_fmac_f32_e32 v102, v77, v4
	ds_load_2addr_b32 v[3:4], v2 offset0:59 offset1:60
	ds_load_2addr_b32 v[76:77], v2 offset0:61 offset1:62
	s_waitcnt lgkmcnt(4)
	v_fmac_f32_e32 v102, v78, v95
	s_waitcnt vmcnt(4)
	s_delay_alu instid0(VALU_DEP_1) | instskip(SKIP_1) | instid1(VALU_DEP_1)
	v_fmac_f32_e32 v102, v79, v96
	s_waitcnt lgkmcnt(3)
	v_fmac_f32_e32 v102, v80, v97
	s_delay_alu instid0(VALU_DEP_1)
	v_fmac_f32_e32 v102, v81, v98
	ds_load_2addr_b32 v[78:79], v2 offset0:63 offset1:64
	ds_load_2addr_b32 v[80:81], v2 offset0:65 offset1:66
	s_waitcnt lgkmcnt(4)
	v_fmac_f32_e32 v102, v82, v99
	s_waitcnt vmcnt(3)
	s_delay_alu instid0(VALU_DEP_1) | instskip(SKIP_1) | instid1(VALU_DEP_1)
	v_fmac_f32_e32 v102, v83, v100
	s_waitcnt lgkmcnt(3)
	v_fmac_f32_e32 v102, v84, v3
	s_delay_alu instid0(VALU_DEP_1) | instskip(SKIP_4) | instid1(VALU_DEP_1)
	v_fmac_f32_e32 v102, v85, v4
	ds_load_2addr_b32 v[3:4], v2 offset0:67 offset1:68
	s_waitcnt lgkmcnt(3)
	v_fmac_f32_e32 v102, v86, v76
	s_waitcnt vmcnt(2)
	v_fmac_f32_e32 v102, v87, v77
	ds_load_2addr_b32 v[76:77], v2 offset0:69 offset1:70
	s_waitcnt lgkmcnt(3)
	v_fmac_f32_e32 v102, v88, v78
	s_delay_alu instid0(VALU_DEP_1) | instskip(SKIP_1) | instid1(VALU_DEP_1)
	v_fmac_f32_e32 v102, v89, v79
	s_waitcnt lgkmcnt(2)
	v_fmac_f32_e32 v102, v90, v80
	s_waitcnt vmcnt(1)
	s_delay_alu instid0(VALU_DEP_1) | instskip(SKIP_1) | instid1(VALU_DEP_1)
	v_fmac_f32_e32 v102, v91, v81
	s_waitcnt lgkmcnt(1)
	v_fmac_f32_e32 v102, v92, v3
	s_delay_alu instid0(VALU_DEP_1) | instskip(SKIP_1) | instid1(VALU_DEP_1)
	v_fmac_f32_e32 v102, v93, v4
	s_waitcnt lgkmcnt(0)
	v_fmac_f32_e32 v102, v94, v76
	s_waitcnt vmcnt(0)
	s_delay_alu instid0(VALU_DEP_1) | instskip(NEXT) | instid1(VALU_DEP_1)
	v_fmac_f32_e32 v102, v101, v77
	v_sub_f32_e32 v2, v75, v102
	scratch_store_b32 off, v2, off offset:56
	v_cmpx_lt_u32_e32 13, v0
	s_cbranch_execz .LBB34_191
; %bb.190:
	scratch_load_b32 v2, off, off offset:52
	v_mov_b32_e32 v3, 0
	scratch_store_b32 off, v3, off offset:52
	s_waitcnt vmcnt(0)
	ds_store_b32 v1, v2
.LBB34_191:
	s_or_b32 exec_lo, exec_lo, s0
	s_waitcnt lgkmcnt(0)
	s_waitcnt_vscnt null, 0x0
	s_barrier
	buffer_gl0_inv
	s_clause 0x5
	scratch_load_b128 v[75:78], off, off offset:52
	scratch_load_b128 v[79:82], off, off offset:68
	;; [unrolled: 1-line block ×5, first 2 shown]
	scratch_load_b64 v[3:4], off, off offset:132
	v_mov_b32_e32 v2, 0
	ds_load_2addr_b64 v[95:98], v2 offset0:25 offset1:26
	ds_load_2addr_b64 v[99:102], v2 offset0:27 offset1:28
	s_mov_b32 s0, exec_lo
	s_waitcnt vmcnt(5) lgkmcnt(1)
	v_fma_f32 v95, v76, v95, 0
	s_delay_alu instid0(VALU_DEP_1) | instskip(NEXT) | instid1(VALU_DEP_1)
	v_fmac_f32_e32 v95, v77, v96
	v_fmac_f32_e32 v95, v78, v97
	s_waitcnt vmcnt(4)
	s_delay_alu instid0(VALU_DEP_1) | instskip(SKIP_3) | instid1(VALU_DEP_1)
	v_fmac_f32_e32 v95, v79, v98
	ds_load_2addr_b64 v[76:79], v2 offset0:29 offset1:30
	s_waitcnt lgkmcnt(1)
	v_fmac_f32_e32 v95, v80, v99
	v_fmac_f32_e32 v95, v81, v100
	s_delay_alu instid0(VALU_DEP_1) | instskip(SKIP_1) | instid1(VALU_DEP_1)
	v_fmac_f32_e32 v95, v82, v101
	s_waitcnt vmcnt(3)
	v_fmac_f32_e32 v95, v83, v102
	ds_load_2addr_b64 v[80:83], v2 offset0:31 offset1:32
	s_waitcnt lgkmcnt(1)
	v_fmac_f32_e32 v95, v84, v76
	s_delay_alu instid0(VALU_DEP_1) | instskip(NEXT) | instid1(VALU_DEP_1)
	v_fmac_f32_e32 v95, v85, v77
	v_fmac_f32_e32 v95, v86, v78
	s_waitcnt vmcnt(2)
	s_delay_alu instid0(VALU_DEP_1)
	v_fmac_f32_e32 v95, v87, v79
	ds_load_2addr_b64 v[76:79], v2 offset0:33 offset1:34
	s_waitcnt lgkmcnt(1)
	v_fmac_f32_e32 v95, v88, v80
	ds_load_b32 v80, v2 offset:280
	v_fmac_f32_e32 v95, v89, v81
	s_delay_alu instid0(VALU_DEP_1) | instskip(SKIP_1) | instid1(VALU_DEP_1)
	v_fmac_f32_e32 v95, v90, v82
	s_waitcnt vmcnt(1)
	v_fmac_f32_e32 v95, v91, v83
	s_waitcnt lgkmcnt(1)
	s_delay_alu instid0(VALU_DEP_1) | instskip(NEXT) | instid1(VALU_DEP_1)
	v_fmac_f32_e32 v95, v92, v76
	v_fmac_f32_e32 v95, v93, v77
	s_delay_alu instid0(VALU_DEP_1) | instskip(SKIP_1) | instid1(VALU_DEP_1)
	v_fmac_f32_e32 v95, v94, v78
	s_waitcnt vmcnt(0)
	v_fmac_f32_e32 v95, v3, v79
	s_waitcnt lgkmcnt(0)
	s_delay_alu instid0(VALU_DEP_1) | instskip(NEXT) | instid1(VALU_DEP_1)
	v_fmac_f32_e32 v95, v4, v80
	v_sub_f32_e32 v3, v75, v95
	scratch_store_b32 off, v3, off offset:52
	v_cmpx_lt_u32_e32 12, v0
	s_cbranch_execz .LBB34_193
; %bb.192:
	scratch_load_b32 v3, off, off offset:48
	scratch_store_b32 off, v2, off offset:48
	s_waitcnt vmcnt(0)
	ds_store_b32 v1, v3
.LBB34_193:
	s_or_b32 exec_lo, exec_lo, s0
	s_waitcnt lgkmcnt(0)
	s_waitcnt_vscnt null, 0x0
	s_barrier
	buffer_gl0_inv
	s_clause 0x5
	scratch_load_b128 v[75:78], off, off offset:48
	scratch_load_b128 v[79:82], off, off offset:64
	;; [unrolled: 1-line block ×5, first 2 shown]
	scratch_load_b96 v[95:97], off, off offset:128
	ds_load_2addr_b32 v[3:4], v2 offset0:49 offset1:50
	ds_load_2addr_b32 v[98:99], v2 offset0:51 offset1:52
	;; [unrolled: 1-line block ×4, first 2 shown]
	s_mov_b32 s0, exec_lo
	s_waitcnt vmcnt(5) lgkmcnt(3)
	v_fma_f32 v104, v76, v3, 0
	s_delay_alu instid0(VALU_DEP_1)
	v_fmac_f32_e32 v104, v77, v4
	ds_load_2addr_b32 v[3:4], v2 offset0:57 offset1:58
	ds_load_2addr_b32 v[76:77], v2 offset0:59 offset1:60
	s_waitcnt lgkmcnt(4)
	v_fmac_f32_e32 v104, v78, v98
	s_waitcnt vmcnt(4)
	s_delay_alu instid0(VALU_DEP_1) | instskip(SKIP_1) | instid1(VALU_DEP_1)
	v_fmac_f32_e32 v104, v79, v99
	s_waitcnt lgkmcnt(3)
	v_fmac_f32_e32 v104, v80, v100
	s_delay_alu instid0(VALU_DEP_1)
	v_fmac_f32_e32 v104, v81, v101
	ds_load_2addr_b32 v[78:79], v2 offset0:61 offset1:62
	ds_load_2addr_b32 v[80:81], v2 offset0:63 offset1:64
	s_waitcnt lgkmcnt(4)
	v_fmac_f32_e32 v104, v82, v102
	s_waitcnt vmcnt(3)
	s_delay_alu instid0(VALU_DEP_1) | instskip(SKIP_1) | instid1(VALU_DEP_1)
	v_fmac_f32_e32 v104, v83, v103
	s_waitcnt lgkmcnt(3)
	v_fmac_f32_e32 v104, v84, v3
	s_delay_alu instid0(VALU_DEP_1) | instskip(SKIP_4) | instid1(VALU_DEP_1)
	v_fmac_f32_e32 v104, v85, v4
	ds_load_2addr_b32 v[3:4], v2 offset0:65 offset1:66
	s_waitcnt lgkmcnt(3)
	v_fmac_f32_e32 v104, v86, v76
	s_waitcnt vmcnt(2)
	v_fmac_f32_e32 v104, v87, v77
	ds_load_2addr_b32 v[76:77], v2 offset0:67 offset1:68
	s_waitcnt lgkmcnt(3)
	v_fmac_f32_e32 v104, v88, v78
	s_delay_alu instid0(VALU_DEP_1) | instskip(SKIP_4) | instid1(VALU_DEP_1)
	v_fmac_f32_e32 v104, v89, v79
	ds_load_2addr_b32 v[78:79], v2 offset0:69 offset1:70
	s_waitcnt lgkmcnt(3)
	v_fmac_f32_e32 v104, v90, v80
	s_waitcnt vmcnt(1)
	v_fmac_f32_e32 v104, v91, v81
	s_waitcnt lgkmcnt(2)
	s_delay_alu instid0(VALU_DEP_1) | instskip(NEXT) | instid1(VALU_DEP_1)
	v_fmac_f32_e32 v104, v92, v3
	v_fmac_f32_e32 v104, v93, v4
	s_waitcnt lgkmcnt(1)
	s_delay_alu instid0(VALU_DEP_1) | instskip(SKIP_1) | instid1(VALU_DEP_1)
	v_fmac_f32_e32 v104, v94, v76
	s_waitcnt vmcnt(0)
	v_fmac_f32_e32 v104, v95, v77
	s_waitcnt lgkmcnt(0)
	s_delay_alu instid0(VALU_DEP_1) | instskip(NEXT) | instid1(VALU_DEP_1)
	v_fmac_f32_e32 v104, v96, v78
	v_fmac_f32_e32 v104, v97, v79
	s_delay_alu instid0(VALU_DEP_1)
	v_sub_f32_e32 v2, v75, v104
	scratch_store_b32 off, v2, off offset:48
	v_cmpx_lt_u32_e32 11, v0
	s_cbranch_execz .LBB34_195
; %bb.194:
	scratch_load_b32 v2, off, off offset:44
	v_mov_b32_e32 v3, 0
	scratch_store_b32 off, v3, off offset:44
	s_waitcnt vmcnt(0)
	ds_store_b32 v1, v2
.LBB34_195:
	s_or_b32 exec_lo, exec_lo, s0
	s_waitcnt lgkmcnt(0)
	s_waitcnt_vscnt null, 0x0
	s_barrier
	buffer_gl0_inv
	s_clause 0x5
	scratch_load_b128 v[75:78], off, off offset:44
	scratch_load_b128 v[79:82], off, off offset:60
	;; [unrolled: 1-line block ×6, first 2 shown]
	v_mov_b32_e32 v2, 0
	ds_load_b128 v[99:102], v2 offset:192
	ds_load_b128 v[103:106], v2 offset:208
	s_mov_b32 s0, exec_lo
	s_waitcnt vmcnt(5) lgkmcnt(1)
	v_fma_f32 v3, v76, v99, 0
	s_delay_alu instid0(VALU_DEP_1) | instskip(NEXT) | instid1(VALU_DEP_1)
	v_fmac_f32_e32 v3, v77, v100
	v_fmac_f32_e32 v3, v78, v101
	s_waitcnt vmcnt(4)
	s_delay_alu instid0(VALU_DEP_1) | instskip(SKIP_3) | instid1(VALU_DEP_1)
	v_fmac_f32_e32 v3, v79, v102
	ds_load_b128 v[76:79], v2 offset:224
	s_waitcnt lgkmcnt(1)
	v_fmac_f32_e32 v3, v80, v103
	v_fmac_f32_e32 v3, v81, v104
	s_delay_alu instid0(VALU_DEP_1) | instskip(SKIP_1) | instid1(VALU_DEP_1)
	v_fmac_f32_e32 v3, v82, v105
	s_waitcnt vmcnt(3)
	v_fmac_f32_e32 v3, v83, v106
	ds_load_b128 v[80:83], v2 offset:240
	s_waitcnt lgkmcnt(1)
	v_fmac_f32_e32 v3, v84, v76
	s_delay_alu instid0(VALU_DEP_1) | instskip(NEXT) | instid1(VALU_DEP_1)
	v_fmac_f32_e32 v3, v85, v77
	v_fmac_f32_e32 v3, v86, v78
	s_waitcnt vmcnt(2)
	s_delay_alu instid0(VALU_DEP_1) | instskip(SKIP_3) | instid1(VALU_DEP_1)
	v_fmac_f32_e32 v3, v87, v79
	ds_load_b128 v[76:79], v2 offset:256
	s_waitcnt lgkmcnt(1)
	v_fmac_f32_e32 v3, v88, v80
	v_fmac_f32_e32 v3, v89, v81
	s_delay_alu instid0(VALU_DEP_1) | instskip(SKIP_4) | instid1(VALU_DEP_1)
	v_fmac_f32_e32 v3, v90, v82
	ds_load_b96 v[80:82], v2 offset:272
	s_waitcnt vmcnt(1)
	v_fmac_f32_e32 v3, v91, v83
	s_waitcnt lgkmcnt(1)
	v_fmac_f32_e32 v3, v92, v76
	s_delay_alu instid0(VALU_DEP_1) | instskip(NEXT) | instid1(VALU_DEP_1)
	v_fmac_f32_e32 v3, v93, v77
	v_fmac_f32_e32 v3, v94, v78
	s_waitcnt vmcnt(0)
	s_delay_alu instid0(VALU_DEP_1) | instskip(SKIP_1) | instid1(VALU_DEP_1)
	v_fmac_f32_e32 v3, v95, v79
	s_waitcnt lgkmcnt(0)
	v_fmac_f32_e32 v3, v96, v80
	s_delay_alu instid0(VALU_DEP_1) | instskip(NEXT) | instid1(VALU_DEP_1)
	v_fmac_f32_e32 v3, v97, v81
	v_fmac_f32_e32 v3, v98, v82
	s_delay_alu instid0(VALU_DEP_1)
	v_sub_f32_e32 v3, v75, v3
	scratch_store_b32 off, v3, off offset:44
	v_cmpx_lt_u32_e32 10, v0
	s_cbranch_execz .LBB34_197
; %bb.196:
	scratch_load_b32 v3, off, off offset:40
	scratch_store_b32 off, v2, off offset:40
	s_waitcnt vmcnt(0)
	ds_store_b32 v1, v3
.LBB34_197:
	s_or_b32 exec_lo, exec_lo, s0
	s_waitcnt lgkmcnt(0)
	s_waitcnt_vscnt null, 0x0
	s_barrier
	buffer_gl0_inv
	s_clause 0x6
	scratch_load_b128 v[75:78], off, off offset:40
	scratch_load_b128 v[79:82], off, off offset:56
	;; [unrolled: 1-line block ×6, first 2 shown]
	scratch_load_b32 v105, off, off offset:136
	ds_load_2addr_b32 v[3:4], v2 offset0:47 offset1:48
	ds_load_2addr_b32 v[99:100], v2 offset0:49 offset1:50
	;; [unrolled: 1-line block ×4, first 2 shown]
	s_mov_b32 s0, exec_lo
	s_waitcnt vmcnt(6) lgkmcnt(3)
	v_fma_f32 v106, v76, v3, 0
	s_delay_alu instid0(VALU_DEP_1)
	v_fmac_f32_e32 v106, v77, v4
	ds_load_2addr_b32 v[3:4], v2 offset0:55 offset1:56
	ds_load_2addr_b32 v[76:77], v2 offset0:57 offset1:58
	s_waitcnt lgkmcnt(4)
	v_fmac_f32_e32 v106, v78, v99
	s_waitcnt vmcnt(5)
	s_delay_alu instid0(VALU_DEP_1) | instskip(SKIP_1) | instid1(VALU_DEP_1)
	v_fmac_f32_e32 v106, v79, v100
	s_waitcnt lgkmcnt(3)
	v_fmac_f32_e32 v106, v80, v101
	s_delay_alu instid0(VALU_DEP_1)
	v_fmac_f32_e32 v106, v81, v102
	ds_load_2addr_b32 v[78:79], v2 offset0:59 offset1:60
	ds_load_2addr_b32 v[80:81], v2 offset0:61 offset1:62
	s_waitcnt lgkmcnt(4)
	v_fmac_f32_e32 v106, v82, v103
	s_waitcnt vmcnt(4)
	s_delay_alu instid0(VALU_DEP_1) | instskip(SKIP_1) | instid1(VALU_DEP_1)
	v_fmac_f32_e32 v106, v83, v104
	s_waitcnt lgkmcnt(3)
	v_fmac_f32_e32 v106, v84, v3
	s_delay_alu instid0(VALU_DEP_1) | instskip(SKIP_4) | instid1(VALU_DEP_1)
	v_fmac_f32_e32 v106, v85, v4
	ds_load_2addr_b32 v[3:4], v2 offset0:63 offset1:64
	s_waitcnt lgkmcnt(3)
	v_fmac_f32_e32 v106, v86, v76
	s_waitcnt vmcnt(3)
	v_fmac_f32_e32 v106, v87, v77
	ds_load_2addr_b32 v[76:77], v2 offset0:65 offset1:66
	s_waitcnt lgkmcnt(3)
	v_fmac_f32_e32 v106, v88, v78
	s_delay_alu instid0(VALU_DEP_1) | instskip(SKIP_1) | instid1(VALU_DEP_1)
	v_fmac_f32_e32 v106, v89, v79
	s_waitcnt lgkmcnt(2)
	v_fmac_f32_e32 v106, v90, v80
	s_waitcnt vmcnt(2)
	s_delay_alu instid0(VALU_DEP_1) | instskip(SKIP_4) | instid1(VALU_DEP_1)
	v_fmac_f32_e32 v106, v91, v81
	ds_load_2addr_b32 v[78:79], v2 offset0:67 offset1:68
	ds_load_2addr_b32 v[80:81], v2 offset0:69 offset1:70
	s_waitcnt lgkmcnt(3)
	v_fmac_f32_e32 v106, v92, v3
	v_fmac_f32_e32 v106, v93, v4
	s_waitcnt lgkmcnt(2)
	s_delay_alu instid0(VALU_DEP_1) | instskip(SKIP_1) | instid1(VALU_DEP_1)
	v_fmac_f32_e32 v106, v94, v76
	s_waitcnt vmcnt(1)
	v_fmac_f32_e32 v106, v95, v77
	s_waitcnt lgkmcnt(1)
	s_delay_alu instid0(VALU_DEP_1) | instskip(NEXT) | instid1(VALU_DEP_1)
	v_fmac_f32_e32 v106, v96, v78
	v_fmac_f32_e32 v106, v97, v79
	s_waitcnt lgkmcnt(0)
	s_delay_alu instid0(VALU_DEP_1) | instskip(SKIP_1) | instid1(VALU_DEP_1)
	v_fmac_f32_e32 v106, v98, v80
	s_waitcnt vmcnt(0)
	v_fmac_f32_e32 v106, v105, v81
	s_delay_alu instid0(VALU_DEP_1)
	v_sub_f32_e32 v2, v75, v106
	scratch_store_b32 off, v2, off offset:40
	v_cmpx_lt_u32_e32 9, v0
	s_cbranch_execz .LBB34_199
; %bb.198:
	scratch_load_b32 v2, off, off offset:36
	v_mov_b32_e32 v3, 0
	scratch_store_b32 off, v3, off offset:36
	s_waitcnt vmcnt(0)
	ds_store_b32 v1, v2
.LBB34_199:
	s_or_b32 exec_lo, exec_lo, s0
	s_waitcnt lgkmcnt(0)
	s_waitcnt_vscnt null, 0x0
	s_barrier
	buffer_gl0_inv
	s_clause 0x6
	scratch_load_b128 v[75:78], off, off offset:36
	scratch_load_b128 v[79:82], off, off offset:52
	;; [unrolled: 1-line block ×6, first 2 shown]
	scratch_load_b64 v[3:4], off, off offset:132
	v_mov_b32_e32 v2, 0
	ds_load_2addr_b64 v[99:102], v2 offset0:23 offset1:24
	ds_load_2addr_b64 v[103:106], v2 offset0:25 offset1:26
	s_mov_b32 s0, exec_lo
	s_waitcnt vmcnt(6) lgkmcnt(1)
	v_fma_f32 v99, v76, v99, 0
	s_delay_alu instid0(VALU_DEP_1) | instskip(NEXT) | instid1(VALU_DEP_1)
	v_fmac_f32_e32 v99, v77, v100
	v_fmac_f32_e32 v99, v78, v101
	s_waitcnt vmcnt(5)
	s_delay_alu instid0(VALU_DEP_1) | instskip(SKIP_3) | instid1(VALU_DEP_1)
	v_fmac_f32_e32 v99, v79, v102
	ds_load_2addr_b64 v[76:79], v2 offset0:27 offset1:28
	s_waitcnt lgkmcnt(1)
	v_fmac_f32_e32 v99, v80, v103
	v_fmac_f32_e32 v99, v81, v104
	s_delay_alu instid0(VALU_DEP_1) | instskip(SKIP_1) | instid1(VALU_DEP_1)
	v_fmac_f32_e32 v99, v82, v105
	s_waitcnt vmcnt(4)
	v_fmac_f32_e32 v99, v83, v106
	ds_load_2addr_b64 v[80:83], v2 offset0:29 offset1:30
	s_waitcnt lgkmcnt(1)
	v_fmac_f32_e32 v99, v84, v76
	s_delay_alu instid0(VALU_DEP_1) | instskip(NEXT) | instid1(VALU_DEP_1)
	v_fmac_f32_e32 v99, v85, v77
	v_fmac_f32_e32 v99, v86, v78
	s_waitcnt vmcnt(3)
	s_delay_alu instid0(VALU_DEP_1) | instskip(SKIP_3) | instid1(VALU_DEP_1)
	v_fmac_f32_e32 v99, v87, v79
	ds_load_2addr_b64 v[76:79], v2 offset0:31 offset1:32
	s_waitcnt lgkmcnt(1)
	v_fmac_f32_e32 v99, v88, v80
	v_fmac_f32_e32 v99, v89, v81
	s_delay_alu instid0(VALU_DEP_1) | instskip(SKIP_1) | instid1(VALU_DEP_1)
	v_fmac_f32_e32 v99, v90, v82
	s_waitcnt vmcnt(2)
	v_fmac_f32_e32 v99, v91, v83
	ds_load_2addr_b64 v[80:83], v2 offset0:33 offset1:34
	s_waitcnt lgkmcnt(1)
	v_fmac_f32_e32 v99, v92, v76
	ds_load_b32 v76, v2 offset:280
	v_fmac_f32_e32 v99, v93, v77
	s_delay_alu instid0(VALU_DEP_1) | instskip(SKIP_1) | instid1(VALU_DEP_1)
	v_fmac_f32_e32 v99, v94, v78
	s_waitcnt vmcnt(1)
	v_fmac_f32_e32 v99, v95, v79
	s_waitcnt lgkmcnt(1)
	s_delay_alu instid0(VALU_DEP_1) | instskip(NEXT) | instid1(VALU_DEP_1)
	v_fmac_f32_e32 v99, v96, v80
	v_fmac_f32_e32 v99, v97, v81
	s_delay_alu instid0(VALU_DEP_1) | instskip(SKIP_1) | instid1(VALU_DEP_1)
	v_fmac_f32_e32 v99, v98, v82
	s_waitcnt vmcnt(0)
	v_fmac_f32_e32 v99, v3, v83
	s_waitcnt lgkmcnt(0)
	s_delay_alu instid0(VALU_DEP_1) | instskip(NEXT) | instid1(VALU_DEP_1)
	v_fmac_f32_e32 v99, v4, v76
	v_sub_f32_e32 v3, v75, v99
	scratch_store_b32 off, v3, off offset:36
	v_cmpx_lt_u32_e32 8, v0
	s_cbranch_execz .LBB34_201
; %bb.200:
	scratch_load_b32 v3, off, off offset:32
	scratch_store_b32 off, v2, off offset:32
	s_waitcnt vmcnt(0)
	ds_store_b32 v1, v3
.LBB34_201:
	s_or_b32 exec_lo, exec_lo, s0
	s_waitcnt lgkmcnt(0)
	s_waitcnt_vscnt null, 0x0
	s_barrier
	buffer_gl0_inv
	s_clause 0x6
	scratch_load_b128 v[75:78], off, off offset:32
	scratch_load_b128 v[79:82], off, off offset:48
	;; [unrolled: 1-line block ×6, first 2 shown]
	scratch_load_b96 v[99:101], off, off offset:128
	ds_load_2addr_b32 v[3:4], v2 offset0:45 offset1:46
	ds_load_2addr_b32 v[102:103], v2 offset0:47 offset1:48
	;; [unrolled: 1-line block ×4, first 2 shown]
	s_mov_b32 s0, exec_lo
	s_waitcnt vmcnt(6) lgkmcnt(3)
	v_fma_f32 v108, v76, v3, 0
	s_delay_alu instid0(VALU_DEP_1)
	v_fmac_f32_e32 v108, v77, v4
	ds_load_2addr_b32 v[3:4], v2 offset0:53 offset1:54
	ds_load_2addr_b32 v[76:77], v2 offset0:55 offset1:56
	s_waitcnt lgkmcnt(4)
	v_fmac_f32_e32 v108, v78, v102
	s_waitcnt vmcnt(5)
	s_delay_alu instid0(VALU_DEP_1) | instskip(SKIP_1) | instid1(VALU_DEP_1)
	v_fmac_f32_e32 v108, v79, v103
	s_waitcnt lgkmcnt(3)
	v_fmac_f32_e32 v108, v80, v104
	s_delay_alu instid0(VALU_DEP_1)
	v_fmac_f32_e32 v108, v81, v105
	ds_load_2addr_b32 v[78:79], v2 offset0:57 offset1:58
	ds_load_2addr_b32 v[80:81], v2 offset0:59 offset1:60
	s_waitcnt lgkmcnt(4)
	v_fmac_f32_e32 v108, v82, v106
	s_waitcnt vmcnt(4)
	s_delay_alu instid0(VALU_DEP_1) | instskip(SKIP_1) | instid1(VALU_DEP_1)
	v_fmac_f32_e32 v108, v83, v107
	s_waitcnt lgkmcnt(3)
	v_fmac_f32_e32 v108, v84, v3
	s_delay_alu instid0(VALU_DEP_1) | instskip(SKIP_4) | instid1(VALU_DEP_1)
	v_fmac_f32_e32 v108, v85, v4
	ds_load_2addr_b32 v[3:4], v2 offset0:61 offset1:62
	s_waitcnt lgkmcnt(3)
	v_fmac_f32_e32 v108, v86, v76
	s_waitcnt vmcnt(3)
	v_fmac_f32_e32 v108, v87, v77
	ds_load_2addr_b32 v[76:77], v2 offset0:63 offset1:64
	s_waitcnt lgkmcnt(3)
	v_fmac_f32_e32 v108, v88, v78
	s_delay_alu instid0(VALU_DEP_1) | instskip(SKIP_1) | instid1(VALU_DEP_1)
	v_fmac_f32_e32 v108, v89, v79
	s_waitcnt lgkmcnt(2)
	v_fmac_f32_e32 v108, v90, v80
	s_waitcnt vmcnt(2)
	s_delay_alu instid0(VALU_DEP_1)
	v_fmac_f32_e32 v108, v91, v81
	ds_load_2addr_b32 v[78:79], v2 offset0:65 offset1:66
	ds_load_2addr_b32 v[80:81], v2 offset0:67 offset1:68
	s_waitcnt lgkmcnt(3)
	v_fmac_f32_e32 v108, v92, v3
	ds_load_2addr_b32 v[2:3], v2 offset0:69 offset1:70
	v_fmac_f32_e32 v108, v93, v4
	s_waitcnt lgkmcnt(3)
	s_delay_alu instid0(VALU_DEP_1) | instskip(SKIP_1) | instid1(VALU_DEP_1)
	v_fmac_f32_e32 v108, v94, v76
	s_waitcnt vmcnt(1)
	v_fmac_f32_e32 v108, v95, v77
	s_waitcnt lgkmcnt(2)
	s_delay_alu instid0(VALU_DEP_1) | instskip(NEXT) | instid1(VALU_DEP_1)
	v_fmac_f32_e32 v108, v96, v78
	v_fmac_f32_e32 v108, v97, v79
	s_waitcnt lgkmcnt(1)
	s_delay_alu instid0(VALU_DEP_1) | instskip(SKIP_1) | instid1(VALU_DEP_1)
	v_fmac_f32_e32 v108, v98, v80
	s_waitcnt vmcnt(0)
	v_fmac_f32_e32 v108, v99, v81
	s_waitcnt lgkmcnt(0)
	s_delay_alu instid0(VALU_DEP_1) | instskip(NEXT) | instid1(VALU_DEP_1)
	v_fmac_f32_e32 v108, v100, v2
	v_fmac_f32_e32 v108, v101, v3
	s_delay_alu instid0(VALU_DEP_1)
	v_sub_f32_e32 v2, v75, v108
	scratch_store_b32 off, v2, off offset:32
	v_cmpx_lt_u32_e32 7, v0
	s_cbranch_execz .LBB34_203
; %bb.202:
	scratch_load_b32 v2, off, off offset:28
	v_mov_b32_e32 v3, 0
	scratch_store_b32 off, v3, off offset:28
	s_waitcnt vmcnt(0)
	ds_store_b32 v1, v2
.LBB34_203:
	s_or_b32 exec_lo, exec_lo, s0
	s_waitcnt lgkmcnt(0)
	s_waitcnt_vscnt null, 0x0
	s_barrier
	buffer_gl0_inv
	s_clause 0x6
	scratch_load_b128 v[75:78], off, off offset:28
	scratch_load_b128 v[79:82], off, off offset:44
	scratch_load_b128 v[83:86], off, off offset:60
	scratch_load_b128 v[87:90], off, off offset:76
	scratch_load_b128 v[91:94], off, off offset:92
	scratch_load_b128 v[95:98], off, off offset:108
	scratch_load_b128 v[99:102], off, off offset:124
	v_mov_b32_e32 v2, 0
	ds_load_b128 v[103:106], v2 offset:176
	ds_load_b128 v[107:110], v2 offset:192
	s_mov_b32 s0, exec_lo
	s_waitcnt vmcnt(6) lgkmcnt(1)
	v_fma_f32 v3, v76, v103, 0
	s_delay_alu instid0(VALU_DEP_1) | instskip(NEXT) | instid1(VALU_DEP_1)
	v_fmac_f32_e32 v3, v77, v104
	v_fmac_f32_e32 v3, v78, v105
	s_waitcnt vmcnt(5)
	s_delay_alu instid0(VALU_DEP_1) | instskip(SKIP_3) | instid1(VALU_DEP_1)
	v_fmac_f32_e32 v3, v79, v106
	ds_load_b128 v[76:79], v2 offset:208
	s_waitcnt lgkmcnt(1)
	v_fmac_f32_e32 v3, v80, v107
	v_fmac_f32_e32 v3, v81, v108
	s_delay_alu instid0(VALU_DEP_1) | instskip(SKIP_1) | instid1(VALU_DEP_1)
	v_fmac_f32_e32 v3, v82, v109
	s_waitcnt vmcnt(4)
	v_fmac_f32_e32 v3, v83, v110
	ds_load_b128 v[80:83], v2 offset:224
	s_waitcnt lgkmcnt(1)
	v_fmac_f32_e32 v3, v84, v76
	s_delay_alu instid0(VALU_DEP_1) | instskip(NEXT) | instid1(VALU_DEP_1)
	v_fmac_f32_e32 v3, v85, v77
	v_fmac_f32_e32 v3, v86, v78
	s_waitcnt vmcnt(3)
	s_delay_alu instid0(VALU_DEP_1) | instskip(SKIP_3) | instid1(VALU_DEP_1)
	v_fmac_f32_e32 v3, v87, v79
	ds_load_b128 v[76:79], v2 offset:240
	s_waitcnt lgkmcnt(1)
	v_fmac_f32_e32 v3, v88, v80
	v_fmac_f32_e32 v3, v89, v81
	s_delay_alu instid0(VALU_DEP_1) | instskip(SKIP_1) | instid1(VALU_DEP_1)
	v_fmac_f32_e32 v3, v90, v82
	s_waitcnt vmcnt(2)
	v_fmac_f32_e32 v3, v91, v83
	ds_load_b128 v[80:83], v2 offset:256
	s_waitcnt lgkmcnt(1)
	v_fmac_f32_e32 v3, v92, v76
	s_delay_alu instid0(VALU_DEP_1) | instskip(NEXT) | instid1(VALU_DEP_1)
	v_fmac_f32_e32 v3, v93, v77
	v_fmac_f32_e32 v3, v94, v78
	ds_load_b96 v[76:78], v2 offset:272
	s_waitcnt vmcnt(1)
	v_fmac_f32_e32 v3, v95, v79
	s_waitcnt lgkmcnt(1)
	s_delay_alu instid0(VALU_DEP_1) | instskip(NEXT) | instid1(VALU_DEP_1)
	v_fmac_f32_e32 v3, v96, v80
	v_fmac_f32_e32 v3, v97, v81
	s_delay_alu instid0(VALU_DEP_1) | instskip(SKIP_1) | instid1(VALU_DEP_1)
	v_fmac_f32_e32 v3, v98, v82
	s_waitcnt vmcnt(0)
	v_fmac_f32_e32 v3, v99, v83
	s_waitcnt lgkmcnt(0)
	s_delay_alu instid0(VALU_DEP_1) | instskip(NEXT) | instid1(VALU_DEP_1)
	v_fmac_f32_e32 v3, v100, v76
	v_fmac_f32_e32 v3, v101, v77
	s_delay_alu instid0(VALU_DEP_1) | instskip(NEXT) | instid1(VALU_DEP_1)
	v_fmac_f32_e32 v3, v102, v78
	v_sub_f32_e32 v3, v75, v3
	scratch_store_b32 off, v3, off offset:28
	v_cmpx_lt_u32_e32 6, v0
	s_cbranch_execz .LBB34_205
; %bb.204:
	scratch_load_b32 v3, off, off offset:24
	scratch_store_b32 off, v2, off offset:24
	s_waitcnt vmcnt(0)
	ds_store_b32 v1, v3
.LBB34_205:
	s_or_b32 exec_lo, exec_lo, s0
	s_waitcnt lgkmcnt(0)
	s_waitcnt_vscnt null, 0x0
	s_barrier
	buffer_gl0_inv
	s_clause 0x7
	scratch_load_b128 v[75:78], off, off offset:24
	scratch_load_b128 v[79:82], off, off offset:40
	scratch_load_b128 v[83:86], off, off offset:56
	scratch_load_b128 v[87:90], off, off offset:72
	scratch_load_b128 v[91:94], off, off offset:88
	scratch_load_b128 v[95:98], off, off offset:104
	scratch_load_b128 v[99:102], off, off offset:120
	scratch_load_b32 v109, off, off offset:136
	ds_load_2addr_b32 v[3:4], v2 offset0:43 offset1:44
	ds_load_2addr_b32 v[103:104], v2 offset0:45 offset1:46
	;; [unrolled: 1-line block ×4, first 2 shown]
	s_mov_b32 s0, exec_lo
	s_waitcnt vmcnt(7) lgkmcnt(3)
	v_fma_f32 v110, v76, v3, 0
	s_delay_alu instid0(VALU_DEP_1)
	v_fmac_f32_e32 v110, v77, v4
	ds_load_2addr_b32 v[3:4], v2 offset0:51 offset1:52
	ds_load_2addr_b32 v[76:77], v2 offset0:53 offset1:54
	s_waitcnt lgkmcnt(4)
	v_fmac_f32_e32 v110, v78, v103
	s_waitcnt vmcnt(6)
	s_delay_alu instid0(VALU_DEP_1) | instskip(SKIP_1) | instid1(VALU_DEP_1)
	v_fmac_f32_e32 v110, v79, v104
	s_waitcnt lgkmcnt(3)
	v_fmac_f32_e32 v110, v80, v105
	s_delay_alu instid0(VALU_DEP_1)
	v_fmac_f32_e32 v110, v81, v106
	ds_load_2addr_b32 v[78:79], v2 offset0:55 offset1:56
	ds_load_2addr_b32 v[80:81], v2 offset0:57 offset1:58
	s_waitcnt lgkmcnt(4)
	v_fmac_f32_e32 v110, v82, v107
	s_waitcnt vmcnt(5)
	s_delay_alu instid0(VALU_DEP_1) | instskip(SKIP_1) | instid1(VALU_DEP_1)
	v_fmac_f32_e32 v110, v83, v108
	s_waitcnt lgkmcnt(3)
	v_fmac_f32_e32 v110, v84, v3
	s_delay_alu instid0(VALU_DEP_1) | instskip(SKIP_4) | instid1(VALU_DEP_1)
	v_fmac_f32_e32 v110, v85, v4
	ds_load_2addr_b32 v[3:4], v2 offset0:59 offset1:60
	s_waitcnt lgkmcnt(3)
	v_fmac_f32_e32 v110, v86, v76
	s_waitcnt vmcnt(4)
	v_fmac_f32_e32 v110, v87, v77
	ds_load_2addr_b32 v[76:77], v2 offset0:61 offset1:62
	s_waitcnt lgkmcnt(3)
	v_fmac_f32_e32 v110, v88, v78
	s_delay_alu instid0(VALU_DEP_1) | instskip(SKIP_1) | instid1(VALU_DEP_1)
	v_fmac_f32_e32 v110, v89, v79
	s_waitcnt lgkmcnt(2)
	v_fmac_f32_e32 v110, v90, v80
	s_waitcnt vmcnt(3)
	s_delay_alu instid0(VALU_DEP_1) | instskip(SKIP_4) | instid1(VALU_DEP_1)
	v_fmac_f32_e32 v110, v91, v81
	ds_load_2addr_b32 v[78:79], v2 offset0:63 offset1:64
	ds_load_2addr_b32 v[80:81], v2 offset0:65 offset1:66
	s_waitcnt lgkmcnt(3)
	v_fmac_f32_e32 v110, v92, v3
	v_fmac_f32_e32 v110, v93, v4
	ds_load_2addr_b32 v[3:4], v2 offset0:67 offset1:68
	s_waitcnt lgkmcnt(3)
	v_fmac_f32_e32 v110, v94, v76
	s_waitcnt vmcnt(2)
	s_delay_alu instid0(VALU_DEP_1) | instskip(SKIP_3) | instid1(VALU_DEP_1)
	v_fmac_f32_e32 v110, v95, v77
	ds_load_2addr_b32 v[76:77], v2 offset0:69 offset1:70
	s_waitcnt lgkmcnt(3)
	v_fmac_f32_e32 v110, v96, v78
	v_fmac_f32_e32 v110, v97, v79
	s_waitcnt lgkmcnt(2)
	s_delay_alu instid0(VALU_DEP_1) | instskip(SKIP_1) | instid1(VALU_DEP_1)
	v_fmac_f32_e32 v110, v98, v80
	s_waitcnt vmcnt(1)
	v_fmac_f32_e32 v110, v99, v81
	s_waitcnt lgkmcnt(1)
	s_delay_alu instid0(VALU_DEP_1) | instskip(NEXT) | instid1(VALU_DEP_1)
	v_fmac_f32_e32 v110, v100, v3
	v_fmac_f32_e32 v110, v101, v4
	s_waitcnt lgkmcnt(0)
	s_delay_alu instid0(VALU_DEP_1) | instskip(SKIP_1) | instid1(VALU_DEP_1)
	v_fmac_f32_e32 v110, v102, v76
	s_waitcnt vmcnt(0)
	v_fmac_f32_e32 v110, v109, v77
	s_delay_alu instid0(VALU_DEP_1)
	v_sub_f32_e32 v2, v75, v110
	scratch_store_b32 off, v2, off offset:24
	v_cmpx_lt_u32_e32 5, v0
	s_cbranch_execz .LBB34_207
; %bb.206:
	scratch_load_b32 v2, off, off offset:20
	v_mov_b32_e32 v3, 0
	scratch_store_b32 off, v3, off offset:20
	s_waitcnt vmcnt(0)
	ds_store_b32 v1, v2
.LBB34_207:
	s_or_b32 exec_lo, exec_lo, s0
	s_waitcnt lgkmcnt(0)
	s_waitcnt_vscnt null, 0x0
	s_barrier
	buffer_gl0_inv
	s_clause 0x7
	scratch_load_b128 v[75:78], off, off offset:20
	scratch_load_b128 v[79:82], off, off offset:36
	;; [unrolled: 1-line block ×7, first 2 shown]
	scratch_load_b64 v[3:4], off, off offset:132
	v_mov_b32_e32 v2, 0
	ds_load_2addr_b64 v[103:106], v2 offset0:21 offset1:22
	ds_load_2addr_b64 v[107:110], v2 offset0:23 offset1:24
	s_mov_b32 s0, exec_lo
	s_waitcnt vmcnt(7) lgkmcnt(1)
	v_fma_f32 v103, v76, v103, 0
	s_delay_alu instid0(VALU_DEP_1) | instskip(NEXT) | instid1(VALU_DEP_1)
	v_fmac_f32_e32 v103, v77, v104
	v_fmac_f32_e32 v103, v78, v105
	s_waitcnt vmcnt(6)
	s_delay_alu instid0(VALU_DEP_1) | instskip(SKIP_3) | instid1(VALU_DEP_1)
	v_fmac_f32_e32 v103, v79, v106
	ds_load_2addr_b64 v[76:79], v2 offset0:25 offset1:26
	s_waitcnt lgkmcnt(1)
	v_fmac_f32_e32 v103, v80, v107
	v_fmac_f32_e32 v103, v81, v108
	s_delay_alu instid0(VALU_DEP_1) | instskip(SKIP_1) | instid1(VALU_DEP_1)
	v_fmac_f32_e32 v103, v82, v109
	s_waitcnt vmcnt(5)
	v_fmac_f32_e32 v103, v83, v110
	ds_load_2addr_b64 v[80:83], v2 offset0:27 offset1:28
	s_waitcnt lgkmcnt(1)
	v_fmac_f32_e32 v103, v84, v76
	s_delay_alu instid0(VALU_DEP_1) | instskip(NEXT) | instid1(VALU_DEP_1)
	v_fmac_f32_e32 v103, v85, v77
	v_fmac_f32_e32 v103, v86, v78
	s_waitcnt vmcnt(4)
	s_delay_alu instid0(VALU_DEP_1) | instskip(SKIP_3) | instid1(VALU_DEP_1)
	v_fmac_f32_e32 v103, v87, v79
	ds_load_2addr_b64 v[76:79], v2 offset0:29 offset1:30
	s_waitcnt lgkmcnt(1)
	v_fmac_f32_e32 v103, v88, v80
	v_fmac_f32_e32 v103, v89, v81
	s_delay_alu instid0(VALU_DEP_1) | instskip(SKIP_1) | instid1(VALU_DEP_1)
	v_fmac_f32_e32 v103, v90, v82
	s_waitcnt vmcnt(3)
	v_fmac_f32_e32 v103, v91, v83
	ds_load_2addr_b64 v[80:83], v2 offset0:31 offset1:32
	s_waitcnt lgkmcnt(1)
	v_fmac_f32_e32 v103, v92, v76
	s_delay_alu instid0(VALU_DEP_1) | instskip(NEXT) | instid1(VALU_DEP_1)
	v_fmac_f32_e32 v103, v93, v77
	v_fmac_f32_e32 v103, v94, v78
	s_waitcnt vmcnt(2)
	s_delay_alu instid0(VALU_DEP_1)
	v_fmac_f32_e32 v103, v95, v79
	ds_load_2addr_b64 v[76:79], v2 offset0:33 offset1:34
	s_waitcnt lgkmcnt(1)
	v_fmac_f32_e32 v103, v96, v80
	ds_load_b32 v80, v2 offset:280
	v_fmac_f32_e32 v103, v97, v81
	s_delay_alu instid0(VALU_DEP_1) | instskip(SKIP_1) | instid1(VALU_DEP_1)
	v_fmac_f32_e32 v103, v98, v82
	s_waitcnt vmcnt(1)
	v_fmac_f32_e32 v103, v99, v83
	s_waitcnt lgkmcnt(1)
	s_delay_alu instid0(VALU_DEP_1) | instskip(NEXT) | instid1(VALU_DEP_1)
	v_fmac_f32_e32 v103, v100, v76
	v_fmac_f32_e32 v103, v101, v77
	s_delay_alu instid0(VALU_DEP_1) | instskip(SKIP_1) | instid1(VALU_DEP_1)
	v_fmac_f32_e32 v103, v102, v78
	s_waitcnt vmcnt(0)
	v_fmac_f32_e32 v103, v3, v79
	s_waitcnt lgkmcnt(0)
	s_delay_alu instid0(VALU_DEP_1) | instskip(NEXT) | instid1(VALU_DEP_1)
	v_fmac_f32_e32 v103, v4, v80
	v_sub_f32_e32 v3, v75, v103
	scratch_store_b32 off, v3, off offset:20
	v_cmpx_lt_u32_e32 4, v0
	s_cbranch_execz .LBB34_209
; %bb.208:
	scratch_load_b32 v3, off, off offset:16
	scratch_store_b32 off, v2, off offset:16
	s_waitcnt vmcnt(0)
	ds_store_b32 v1, v3
.LBB34_209:
	s_or_b32 exec_lo, exec_lo, s0
	s_waitcnt lgkmcnt(0)
	s_waitcnt_vscnt null, 0x0
	s_barrier
	buffer_gl0_inv
	s_clause 0x7
	scratch_load_b128 v[75:78], off, off offset:16
	scratch_load_b128 v[79:82], off, off offset:32
	;; [unrolled: 1-line block ×7, first 2 shown]
	scratch_load_b96 v[103:105], off, off offset:128
	ds_load_2addr_b32 v[3:4], v2 offset0:41 offset1:42
	ds_load_2addr_b32 v[106:107], v2 offset0:43 offset1:44
	;; [unrolled: 1-line block ×4, first 2 shown]
	s_mov_b32 s0, exec_lo
	s_waitcnt vmcnt(7) lgkmcnt(3)
	v_fma_f32 v112, v76, v3, 0
	s_delay_alu instid0(VALU_DEP_1)
	v_fmac_f32_e32 v112, v77, v4
	ds_load_2addr_b32 v[3:4], v2 offset0:49 offset1:50
	ds_load_2addr_b32 v[76:77], v2 offset0:51 offset1:52
	s_waitcnt lgkmcnt(4)
	v_fmac_f32_e32 v112, v78, v106
	s_waitcnt vmcnt(6)
	s_delay_alu instid0(VALU_DEP_1) | instskip(SKIP_1) | instid1(VALU_DEP_1)
	v_fmac_f32_e32 v112, v79, v107
	s_waitcnt lgkmcnt(3)
	v_fmac_f32_e32 v112, v80, v108
	s_delay_alu instid0(VALU_DEP_1)
	v_fmac_f32_e32 v112, v81, v109
	ds_load_2addr_b32 v[78:79], v2 offset0:53 offset1:54
	ds_load_2addr_b32 v[80:81], v2 offset0:55 offset1:56
	s_waitcnt lgkmcnt(4)
	v_fmac_f32_e32 v112, v82, v110
	s_waitcnt vmcnt(5)
	s_delay_alu instid0(VALU_DEP_1) | instskip(SKIP_1) | instid1(VALU_DEP_1)
	v_fmac_f32_e32 v112, v83, v111
	s_waitcnt lgkmcnt(3)
	v_fmac_f32_e32 v112, v84, v3
	s_delay_alu instid0(VALU_DEP_1) | instskip(SKIP_4) | instid1(VALU_DEP_1)
	v_fmac_f32_e32 v112, v85, v4
	ds_load_2addr_b32 v[3:4], v2 offset0:57 offset1:58
	s_waitcnt lgkmcnt(3)
	v_fmac_f32_e32 v112, v86, v76
	s_waitcnt vmcnt(4)
	v_fmac_f32_e32 v112, v87, v77
	ds_load_2addr_b32 v[76:77], v2 offset0:59 offset1:60
	s_waitcnt lgkmcnt(3)
	v_fmac_f32_e32 v112, v88, v78
	s_delay_alu instid0(VALU_DEP_1) | instskip(SKIP_1) | instid1(VALU_DEP_1)
	v_fmac_f32_e32 v112, v89, v79
	s_waitcnt lgkmcnt(2)
	v_fmac_f32_e32 v112, v90, v80
	s_waitcnt vmcnt(3)
	s_delay_alu instid0(VALU_DEP_1) | instskip(SKIP_4) | instid1(VALU_DEP_1)
	v_fmac_f32_e32 v112, v91, v81
	ds_load_2addr_b32 v[78:79], v2 offset0:61 offset1:62
	ds_load_2addr_b32 v[80:81], v2 offset0:63 offset1:64
	s_waitcnt lgkmcnt(3)
	v_fmac_f32_e32 v112, v92, v3
	v_fmac_f32_e32 v112, v93, v4
	ds_load_2addr_b32 v[3:4], v2 offset0:65 offset1:66
	s_waitcnt lgkmcnt(3)
	v_fmac_f32_e32 v112, v94, v76
	s_waitcnt vmcnt(2)
	s_delay_alu instid0(VALU_DEP_1) | instskip(SKIP_3) | instid1(VALU_DEP_1)
	v_fmac_f32_e32 v112, v95, v77
	ds_load_2addr_b32 v[76:77], v2 offset0:67 offset1:68
	s_waitcnt lgkmcnt(3)
	v_fmac_f32_e32 v112, v96, v78
	v_fmac_f32_e32 v112, v97, v79
	ds_load_2addr_b32 v[78:79], v2 offset0:69 offset1:70
	s_waitcnt lgkmcnt(3)
	v_fmac_f32_e32 v112, v98, v80
	s_waitcnt vmcnt(1)
	s_delay_alu instid0(VALU_DEP_1) | instskip(SKIP_1) | instid1(VALU_DEP_1)
	v_fmac_f32_e32 v112, v99, v81
	s_waitcnt lgkmcnt(2)
	v_fmac_f32_e32 v112, v100, v3
	s_delay_alu instid0(VALU_DEP_1) | instskip(SKIP_1) | instid1(VALU_DEP_1)
	v_fmac_f32_e32 v112, v101, v4
	s_waitcnt lgkmcnt(1)
	v_fmac_f32_e32 v112, v102, v76
	s_waitcnt vmcnt(0)
	s_delay_alu instid0(VALU_DEP_1) | instskip(SKIP_1) | instid1(VALU_DEP_1)
	v_fmac_f32_e32 v112, v103, v77
	s_waitcnt lgkmcnt(0)
	v_fmac_f32_e32 v112, v104, v78
	s_delay_alu instid0(VALU_DEP_1) | instskip(NEXT) | instid1(VALU_DEP_1)
	v_fmac_f32_e32 v112, v105, v79
	v_sub_f32_e32 v2, v75, v112
	scratch_store_b32 off, v2, off offset:16
	v_cmpx_lt_u32_e32 3, v0
	s_cbranch_execz .LBB34_211
; %bb.210:
	scratch_load_b32 v2, off, off offset:12
	v_mov_b32_e32 v3, 0
	scratch_store_b32 off, v3, off offset:12
	s_waitcnt vmcnt(0)
	ds_store_b32 v1, v2
.LBB34_211:
	s_or_b32 exec_lo, exec_lo, s0
	s_waitcnt lgkmcnt(0)
	s_waitcnt_vscnt null, 0x0
	s_barrier
	buffer_gl0_inv
	s_clause 0x7
	scratch_load_b128 v[75:78], off, off offset:12
	scratch_load_b128 v[79:82], off, off offset:28
	;; [unrolled: 1-line block ×8, first 2 shown]
	v_mov_b32_e32 v2, 0
	ds_load_b128 v[107:110], v2 offset:160
	ds_load_b128 v[111:114], v2 offset:176
	s_mov_b32 s0, exec_lo
	s_waitcnt vmcnt(7) lgkmcnt(1)
	v_fma_f32 v3, v76, v107, 0
	s_delay_alu instid0(VALU_DEP_1) | instskip(NEXT) | instid1(VALU_DEP_1)
	v_fmac_f32_e32 v3, v77, v108
	v_fmac_f32_e32 v3, v78, v109
	s_waitcnt vmcnt(6)
	s_delay_alu instid0(VALU_DEP_1) | instskip(SKIP_3) | instid1(VALU_DEP_1)
	v_fmac_f32_e32 v3, v79, v110
	ds_load_b128 v[76:79], v2 offset:192
	s_waitcnt lgkmcnt(1)
	v_fmac_f32_e32 v3, v80, v111
	v_fmac_f32_e32 v3, v81, v112
	s_delay_alu instid0(VALU_DEP_1) | instskip(SKIP_1) | instid1(VALU_DEP_1)
	v_fmac_f32_e32 v3, v82, v113
	s_waitcnt vmcnt(5)
	v_fmac_f32_e32 v3, v83, v114
	ds_load_b128 v[80:83], v2 offset:208
	s_waitcnt lgkmcnt(1)
	v_fmac_f32_e32 v3, v84, v76
	s_delay_alu instid0(VALU_DEP_1) | instskip(NEXT) | instid1(VALU_DEP_1)
	v_fmac_f32_e32 v3, v85, v77
	v_fmac_f32_e32 v3, v86, v78
	s_waitcnt vmcnt(4)
	s_delay_alu instid0(VALU_DEP_1) | instskip(SKIP_3) | instid1(VALU_DEP_1)
	v_fmac_f32_e32 v3, v87, v79
	ds_load_b128 v[76:79], v2 offset:224
	s_waitcnt lgkmcnt(1)
	v_fmac_f32_e32 v3, v88, v80
	v_fmac_f32_e32 v3, v89, v81
	s_delay_alu instid0(VALU_DEP_1) | instskip(SKIP_1) | instid1(VALU_DEP_1)
	v_fmac_f32_e32 v3, v90, v82
	s_waitcnt vmcnt(3)
	v_fmac_f32_e32 v3, v91, v83
	ds_load_b128 v[80:83], v2 offset:240
	s_waitcnt lgkmcnt(1)
	v_fmac_f32_e32 v3, v92, v76
	s_delay_alu instid0(VALU_DEP_1) | instskip(NEXT) | instid1(VALU_DEP_1)
	v_fmac_f32_e32 v3, v93, v77
	v_fmac_f32_e32 v3, v94, v78
	s_waitcnt vmcnt(2)
	s_delay_alu instid0(VALU_DEP_1) | instskip(SKIP_3) | instid1(VALU_DEP_1)
	v_fmac_f32_e32 v3, v95, v79
	ds_load_b128 v[76:79], v2 offset:256
	s_waitcnt lgkmcnt(1)
	v_fmac_f32_e32 v3, v96, v80
	v_fmac_f32_e32 v3, v97, v81
	s_delay_alu instid0(VALU_DEP_1) | instskip(SKIP_4) | instid1(VALU_DEP_1)
	v_fmac_f32_e32 v3, v98, v82
	ds_load_b96 v[80:82], v2 offset:272
	s_waitcnt vmcnt(1)
	v_fmac_f32_e32 v3, v99, v83
	s_waitcnt lgkmcnt(1)
	v_fmac_f32_e32 v3, v100, v76
	s_delay_alu instid0(VALU_DEP_1) | instskip(NEXT) | instid1(VALU_DEP_1)
	v_fmac_f32_e32 v3, v101, v77
	v_fmac_f32_e32 v3, v102, v78
	s_waitcnt vmcnt(0)
	s_delay_alu instid0(VALU_DEP_1) | instskip(SKIP_1) | instid1(VALU_DEP_1)
	v_fmac_f32_e32 v3, v103, v79
	s_waitcnt lgkmcnt(0)
	v_fmac_f32_e32 v3, v104, v80
	s_delay_alu instid0(VALU_DEP_1) | instskip(NEXT) | instid1(VALU_DEP_1)
	v_fmac_f32_e32 v3, v105, v81
	v_fmac_f32_e32 v3, v106, v82
	s_delay_alu instid0(VALU_DEP_1)
	v_sub_f32_e32 v3, v75, v3
	scratch_store_b32 off, v3, off offset:12
	v_cmpx_lt_u32_e32 2, v0
	s_cbranch_execz .LBB34_213
; %bb.212:
	scratch_load_b32 v3, off, off offset:8
	scratch_store_b32 off, v2, off offset:8
	s_waitcnt vmcnt(0)
	ds_store_b32 v1, v3
.LBB34_213:
	s_or_b32 exec_lo, exec_lo, s0
	s_waitcnt lgkmcnt(0)
	s_waitcnt_vscnt null, 0x0
	s_barrier
	buffer_gl0_inv
	s_clause 0x8
	scratch_load_b128 v[75:78], off, off offset:8
	scratch_load_b128 v[79:82], off, off offset:24
	;; [unrolled: 1-line block ×8, first 2 shown]
	scratch_load_b32 v113, off, off offset:136
	ds_load_2addr_b32 v[3:4], v2 offset0:39 offset1:40
	ds_load_2addr_b32 v[107:108], v2 offset0:41 offset1:42
	;; [unrolled: 1-line block ×4, first 2 shown]
	s_mov_b32 s0, exec_lo
	s_waitcnt vmcnt(8) lgkmcnt(3)
	v_fma_f32 v114, v76, v3, 0
	s_delay_alu instid0(VALU_DEP_1)
	v_fmac_f32_e32 v114, v77, v4
	ds_load_2addr_b32 v[3:4], v2 offset0:47 offset1:48
	ds_load_2addr_b32 v[76:77], v2 offset0:49 offset1:50
	s_waitcnt lgkmcnt(4)
	v_fmac_f32_e32 v114, v78, v107
	s_waitcnt vmcnt(7)
	s_delay_alu instid0(VALU_DEP_1) | instskip(SKIP_1) | instid1(VALU_DEP_1)
	v_fmac_f32_e32 v114, v79, v108
	s_waitcnt lgkmcnt(3)
	v_fmac_f32_e32 v114, v80, v109
	s_delay_alu instid0(VALU_DEP_1)
	v_fmac_f32_e32 v114, v81, v110
	ds_load_2addr_b32 v[78:79], v2 offset0:51 offset1:52
	ds_load_2addr_b32 v[80:81], v2 offset0:53 offset1:54
	s_waitcnt lgkmcnt(4)
	v_fmac_f32_e32 v114, v82, v111
	s_waitcnt vmcnt(6)
	s_delay_alu instid0(VALU_DEP_1) | instskip(SKIP_1) | instid1(VALU_DEP_1)
	v_fmac_f32_e32 v114, v83, v112
	s_waitcnt lgkmcnt(3)
	v_fmac_f32_e32 v114, v84, v3
	s_delay_alu instid0(VALU_DEP_1) | instskip(SKIP_4) | instid1(VALU_DEP_1)
	v_fmac_f32_e32 v114, v85, v4
	ds_load_2addr_b32 v[3:4], v2 offset0:55 offset1:56
	s_waitcnt lgkmcnt(3)
	v_fmac_f32_e32 v114, v86, v76
	s_waitcnt vmcnt(5)
	v_fmac_f32_e32 v114, v87, v77
	ds_load_2addr_b32 v[76:77], v2 offset0:57 offset1:58
	s_waitcnt lgkmcnt(3)
	v_fmac_f32_e32 v114, v88, v78
	s_delay_alu instid0(VALU_DEP_1) | instskip(SKIP_1) | instid1(VALU_DEP_1)
	v_fmac_f32_e32 v114, v89, v79
	s_waitcnt lgkmcnt(2)
	v_fmac_f32_e32 v114, v90, v80
	s_waitcnt vmcnt(4)
	s_delay_alu instid0(VALU_DEP_1) | instskip(SKIP_4) | instid1(VALU_DEP_1)
	v_fmac_f32_e32 v114, v91, v81
	ds_load_2addr_b32 v[78:79], v2 offset0:59 offset1:60
	ds_load_2addr_b32 v[80:81], v2 offset0:61 offset1:62
	s_waitcnt lgkmcnt(3)
	v_fmac_f32_e32 v114, v92, v3
	v_fmac_f32_e32 v114, v93, v4
	ds_load_2addr_b32 v[3:4], v2 offset0:63 offset1:64
	s_waitcnt lgkmcnt(3)
	v_fmac_f32_e32 v114, v94, v76
	s_waitcnt vmcnt(3)
	s_delay_alu instid0(VALU_DEP_1) | instskip(SKIP_3) | instid1(VALU_DEP_1)
	v_fmac_f32_e32 v114, v95, v77
	ds_load_2addr_b32 v[76:77], v2 offset0:65 offset1:66
	s_waitcnt lgkmcnt(3)
	v_fmac_f32_e32 v114, v96, v78
	v_fmac_f32_e32 v114, v97, v79
	s_waitcnt lgkmcnt(2)
	s_delay_alu instid0(VALU_DEP_1) | instskip(SKIP_1) | instid1(VALU_DEP_1)
	v_fmac_f32_e32 v114, v98, v80
	s_waitcnt vmcnt(2)
	v_fmac_f32_e32 v114, v99, v81
	ds_load_2addr_b32 v[78:79], v2 offset0:67 offset1:68
	ds_load_2addr_b32 v[80:81], v2 offset0:69 offset1:70
	s_waitcnt lgkmcnt(3)
	v_fmac_f32_e32 v114, v100, v3
	s_delay_alu instid0(VALU_DEP_1) | instskip(SKIP_1) | instid1(VALU_DEP_1)
	v_fmac_f32_e32 v114, v101, v4
	s_waitcnt lgkmcnt(2)
	v_fmac_f32_e32 v114, v102, v76
	s_waitcnt vmcnt(1)
	s_delay_alu instid0(VALU_DEP_1) | instskip(SKIP_1) | instid1(VALU_DEP_1)
	v_fmac_f32_e32 v114, v103, v77
	s_waitcnt lgkmcnt(1)
	v_fmac_f32_e32 v114, v104, v78
	s_delay_alu instid0(VALU_DEP_1) | instskip(SKIP_1) | instid1(VALU_DEP_1)
	v_fmac_f32_e32 v114, v105, v79
	s_waitcnt lgkmcnt(0)
	v_fmac_f32_e32 v114, v106, v80
	s_waitcnt vmcnt(0)
	s_delay_alu instid0(VALU_DEP_1) | instskip(NEXT) | instid1(VALU_DEP_1)
	v_fmac_f32_e32 v114, v113, v81
	v_sub_f32_e32 v2, v75, v114
	scratch_store_b32 off, v2, off offset:8
	v_cmpx_lt_u32_e32 1, v0
	s_cbranch_execz .LBB34_215
; %bb.214:
	scratch_load_b32 v2, off, off offset:4
	v_mov_b32_e32 v3, 0
	scratch_store_b32 off, v3, off offset:4
	s_waitcnt vmcnt(0)
	ds_store_b32 v1, v2
.LBB34_215:
	s_or_b32 exec_lo, exec_lo, s0
	s_waitcnt lgkmcnt(0)
	s_waitcnt_vscnt null, 0x0
	s_barrier
	buffer_gl0_inv
	s_clause 0x8
	scratch_load_b128 v[75:78], off, off offset:4
	scratch_load_b128 v[79:82], off, off offset:20
	scratch_load_b128 v[83:86], off, off offset:36
	scratch_load_b128 v[87:90], off, off offset:52
	scratch_load_b128 v[91:94], off, off offset:68
	scratch_load_b128 v[95:98], off, off offset:84
	scratch_load_b128 v[99:102], off, off offset:100
	scratch_load_b128 v[103:106], off, off offset:116
	scratch_load_b64 v[115:116], off, off offset:132
	v_mov_b32_e32 v3, 0
	ds_load_2addr_b64 v[107:110], v3 offset0:19 offset1:20
	ds_load_2addr_b64 v[111:114], v3 offset0:21 offset1:22
	s_mov_b32 s0, exec_lo
	s_waitcnt vmcnt(8) lgkmcnt(1)
	v_fma_f32 v2, v76, v107, 0
	s_delay_alu instid0(VALU_DEP_1) | instskip(SKIP_3) | instid1(VALU_DEP_1)
	v_fmac_f32_e32 v2, v77, v108
	ds_load_b32 v4, v3 offset:280
	v_fmac_f32_e32 v2, v78, v109
	s_waitcnt vmcnt(7)
	v_fmac_f32_e32 v2, v79, v110
	ds_load_2addr_b64 v[76:79], v3 offset0:23 offset1:24
	s_waitcnt lgkmcnt(2)
	v_fmac_f32_e32 v2, v80, v111
	s_delay_alu instid0(VALU_DEP_1) | instskip(NEXT) | instid1(VALU_DEP_1)
	v_fmac_f32_e32 v2, v81, v112
	v_fmac_f32_e32 v2, v82, v113
	s_waitcnt vmcnt(6)
	s_delay_alu instid0(VALU_DEP_1) | instskip(SKIP_3) | instid1(VALU_DEP_1)
	v_fmac_f32_e32 v2, v83, v114
	ds_load_2addr_b64 v[80:83], v3 offset0:25 offset1:26
	s_waitcnt lgkmcnt(1)
	v_fmac_f32_e32 v2, v84, v76
	v_fmac_f32_e32 v2, v85, v77
	s_delay_alu instid0(VALU_DEP_1) | instskip(SKIP_1) | instid1(VALU_DEP_1)
	v_fmac_f32_e32 v2, v86, v78
	s_waitcnt vmcnt(5)
	v_fmac_f32_e32 v2, v87, v79
	ds_load_2addr_b64 v[76:79], v3 offset0:27 offset1:28
	s_waitcnt lgkmcnt(1)
	v_fmac_f32_e32 v2, v88, v80
	s_delay_alu instid0(VALU_DEP_1) | instskip(NEXT) | instid1(VALU_DEP_1)
	v_fmac_f32_e32 v2, v89, v81
	v_fmac_f32_e32 v2, v90, v82
	s_waitcnt vmcnt(4)
	s_delay_alu instid0(VALU_DEP_1) | instskip(SKIP_3) | instid1(VALU_DEP_1)
	v_fmac_f32_e32 v2, v91, v83
	ds_load_2addr_b64 v[80:83], v3 offset0:29 offset1:30
	s_waitcnt lgkmcnt(1)
	v_fmac_f32_e32 v2, v92, v76
	v_fmac_f32_e32 v2, v93, v77
	s_delay_alu instid0(VALU_DEP_1) | instskip(SKIP_1) | instid1(VALU_DEP_1)
	;; [unrolled: 17-line block ×3, first 2 shown]
	v_fmac_f32_e32 v2, v102, v78
	s_waitcnt vmcnt(1)
	v_fmac_f32_e32 v2, v103, v79
	s_waitcnt lgkmcnt(0)
	s_delay_alu instid0(VALU_DEP_1) | instskip(NEXT) | instid1(VALU_DEP_1)
	v_fmac_f32_e32 v2, v104, v80
	v_fmac_f32_e32 v2, v105, v81
	s_delay_alu instid0(VALU_DEP_1) | instskip(SKIP_1) | instid1(VALU_DEP_1)
	v_fmac_f32_e32 v2, v106, v82
	s_waitcnt vmcnt(0)
	v_fmac_f32_e32 v2, v115, v83
	s_delay_alu instid0(VALU_DEP_1) | instskip(NEXT) | instid1(VALU_DEP_1)
	v_fmac_f32_e32 v2, v116, v4
	v_sub_f32_e32 v2, v75, v2
	scratch_store_b32 off, v2, off offset:4
	v_cmpx_ne_u32_e32 0, v0
	s_cbranch_execz .LBB34_217
; %bb.216:
	scratch_load_b32 v0, off, off
	scratch_store_b32 off, v3, off
	s_waitcnt vmcnt(0)
	ds_store_b32 v1, v0
.LBB34_217:
	s_or_b32 exec_lo, exec_lo, s0
	s_waitcnt lgkmcnt(0)
	s_waitcnt_vscnt null, 0x0
	s_barrier
	buffer_gl0_inv
	s_clause 0x8
	scratch_load_b128 v[75:78], off, off
	scratch_load_b128 v[79:82], off, off offset:16
	scratch_load_b128 v[83:86], off, off offset:32
	scratch_load_b128 v[87:90], off, off offset:48
	scratch_load_b128 v[91:94], off, off offset:64
	scratch_load_b128 v[95:98], off, off offset:80
	scratch_load_b128 v[99:102], off, off offset:96
	scratch_load_b128 v[103:106], off, off offset:112
	scratch_load_b96 v[0:2], off, off offset:128
	ds_load_2addr_b32 v[107:108], v3 offset0:37 offset1:38
	ds_load_2addr_b32 v[109:110], v3 offset0:39 offset1:40
	;; [unrolled: 1-line block ×4, first 2 shown]
	s_and_b32 vcc_lo, exec_lo, s16
	s_waitcnt vmcnt(8) lgkmcnt(3)
	v_fma_f32 v107, v76, v107, 0
	s_delay_alu instid0(VALU_DEP_1) | instskip(SKIP_4) | instid1(VALU_DEP_1)
	v_fmac_f32_e32 v107, v77, v108
	ds_load_2addr_b32 v[76:77], v3 offset0:45 offset1:46
	s_waitcnt lgkmcnt(3)
	v_fmac_f32_e32 v107, v78, v109
	s_waitcnt vmcnt(7)
	v_fmac_f32_e32 v107, v79, v110
	ds_load_2addr_b32 v[78:79], v3 offset0:47 offset1:48
	s_waitcnt lgkmcnt(3)
	v_fmac_f32_e32 v107, v80, v111
	s_delay_alu instid0(VALU_DEP_1) | instskip(SKIP_1) | instid1(VALU_DEP_1)
	v_fmac_f32_e32 v107, v81, v112
	s_waitcnt lgkmcnt(2)
	v_fmac_f32_e32 v107, v82, v113
	s_waitcnt vmcnt(6)
	s_delay_alu instid0(VALU_DEP_1) | instskip(SKIP_4) | instid1(VALU_DEP_1)
	v_fmac_f32_e32 v107, v83, v114
	ds_load_2addr_b32 v[80:81], v3 offset0:49 offset1:50
	ds_load_2addr_b32 v[82:83], v3 offset0:51 offset1:52
	s_waitcnt lgkmcnt(3)
	v_fmac_f32_e32 v107, v84, v76
	v_fmac_f32_e32 v107, v85, v77
	ds_load_2addr_b32 v[76:77], v3 offset0:53 offset1:54
	s_waitcnt lgkmcnt(3)
	v_fmac_f32_e32 v107, v86, v78
	s_waitcnt vmcnt(5)
	s_delay_alu instid0(VALU_DEP_1) | instskip(SKIP_3) | instid1(VALU_DEP_1)
	v_fmac_f32_e32 v107, v87, v79
	ds_load_2addr_b32 v[78:79], v3 offset0:55 offset1:56
	s_waitcnt lgkmcnt(3)
	v_fmac_f32_e32 v107, v88, v80
	v_fmac_f32_e32 v107, v89, v81
	s_waitcnt lgkmcnt(2)
	s_delay_alu instid0(VALU_DEP_1) | instskip(SKIP_1) | instid1(VALU_DEP_1)
	v_fmac_f32_e32 v107, v90, v82
	s_waitcnt vmcnt(4)
	v_fmac_f32_e32 v107, v91, v83
	ds_load_2addr_b32 v[80:81], v3 offset0:57 offset1:58
	ds_load_2addr_b32 v[82:83], v3 offset0:59 offset1:60
	s_waitcnt lgkmcnt(3)
	v_fmac_f32_e32 v107, v92, v76
	s_delay_alu instid0(VALU_DEP_1) | instskip(SKIP_4) | instid1(VALU_DEP_1)
	v_fmac_f32_e32 v107, v93, v77
	ds_load_2addr_b32 v[76:77], v3 offset0:61 offset1:62
	s_waitcnt lgkmcnt(3)
	v_fmac_f32_e32 v107, v94, v78
	s_waitcnt vmcnt(3)
	v_fmac_f32_e32 v107, v95, v79
	ds_load_2addr_b32 v[78:79], v3 offset0:63 offset1:64
	s_waitcnt lgkmcnt(3)
	v_fmac_f32_e32 v107, v96, v80
	s_delay_alu instid0(VALU_DEP_1) | instskip(SKIP_1) | instid1(VALU_DEP_1)
	v_fmac_f32_e32 v107, v97, v81
	s_waitcnt lgkmcnt(2)
	v_fmac_f32_e32 v107, v98, v82
	s_waitcnt vmcnt(2)
	s_delay_alu instid0(VALU_DEP_1)
	v_fmac_f32_e32 v107, v99, v83
	ds_load_2addr_b32 v[80:81], v3 offset0:65 offset1:66
	ds_load_2addr_b32 v[82:83], v3 offset0:67 offset1:68
	ds_load_2addr_b32 v[3:4], v3 offset0:69 offset1:70
	s_waitcnt lgkmcnt(4)
	v_fmac_f32_e32 v107, v100, v76
	s_delay_alu instid0(VALU_DEP_1) | instskip(SKIP_1) | instid1(VALU_DEP_1)
	v_fmac_f32_e32 v107, v101, v77
	s_waitcnt lgkmcnt(3)
	v_fmac_f32_e32 v107, v102, v78
	s_waitcnt vmcnt(1)
	s_delay_alu instid0(VALU_DEP_1) | instskip(SKIP_1) | instid1(VALU_DEP_1)
	v_fmac_f32_e32 v107, v103, v79
	s_waitcnt lgkmcnt(2)
	v_fmac_f32_e32 v107, v104, v80
	s_delay_alu instid0(VALU_DEP_1) | instskip(SKIP_1) | instid1(VALU_DEP_1)
	v_fmac_f32_e32 v107, v105, v81
	s_waitcnt lgkmcnt(1)
	v_fmac_f32_e32 v107, v106, v82
	s_waitcnt vmcnt(0)
	s_delay_alu instid0(VALU_DEP_1) | instskip(SKIP_1) | instid1(VALU_DEP_1)
	v_fmac_f32_e32 v107, v0, v83
	s_waitcnt lgkmcnt(0)
	v_fmac_f32_e32 v107, v1, v3
	s_delay_alu instid0(VALU_DEP_1) | instskip(NEXT) | instid1(VALU_DEP_1)
	v_fmac_f32_e32 v107, v2, v4
	v_sub_f32_e32 v0, v75, v107
	scratch_store_b32 off, v0, off
	s_cbranch_vccz .LBB34_287
; %bb.218:
	v_dual_mov_b32 v2, s12 :: v_dual_mov_b32 v3, s13
	s_mov_b32 s0, exec_lo
	flat_load_b32 v0, v[2:3] offset:132
	s_waitcnt vmcnt(0) lgkmcnt(0)
	v_cmpx_ne_u32_e32 34, v0
	s_cbranch_execz .LBB34_220
; %bb.219:
	v_lshl_add_u32 v0, v0, 2, 0
	scratch_load_b32 v2, v0, off offset:-4
	s_waitcnt vmcnt(0)
	scratch_store_b32 off, v2, off offset:132
	scratch_store_b32 v0, v1, off offset:-4
.LBB34_220:
	s_or_b32 exec_lo, exec_lo, s0
	v_dual_mov_b32 v0, s12 :: v_dual_mov_b32 v1, s13
	s_mov_b32 s0, exec_lo
	flat_load_b32 v0, v[0:1] offset:128
	s_waitcnt vmcnt(0) lgkmcnt(0)
	v_cmpx_ne_u32_e32 33, v0
	s_cbranch_execz .LBB34_222
; %bb.221:
	v_lshl_add_u32 v0, v0, 2, 0
	scratch_load_b32 v1, v0, off offset:-4
	scratch_load_b32 v2, off, off offset:128
	s_waitcnt vmcnt(1)
	scratch_store_b32 off, v1, off offset:128
	s_waitcnt vmcnt(0)
	scratch_store_b32 v0, v2, off offset:-4
.LBB34_222:
	s_or_b32 exec_lo, exec_lo, s0
	v_dual_mov_b32 v0, s12 :: v_dual_mov_b32 v1, s13
	s_mov_b32 s0, exec_lo
	flat_load_b32 v0, v[0:1] offset:124
	s_waitcnt vmcnt(0) lgkmcnt(0)
	v_cmpx_ne_u32_e32 32, v0
	s_cbranch_execz .LBB34_224
; %bb.223:
	v_lshl_add_u32 v0, v0, 2, 0
	scratch_load_b32 v1, v0, off offset:-4
	scratch_load_b32 v2, off, off offset:124
	s_waitcnt vmcnt(1)
	scratch_store_b32 off, v1, off offset:124
	s_waitcnt vmcnt(0)
	scratch_store_b32 v0, v2, off offset:-4
.LBB34_224:
	;; [unrolled: 16-line block ×32, first 2 shown]
	s_or_b32 exec_lo, exec_lo, s0
	v_dual_mov_b32 v0, s12 :: v_dual_mov_b32 v1, s13
	s_mov_b32 s0, exec_lo
	flat_load_b32 v1, v[0:1]
	scratch_load_b32 v0, off, off
	s_waitcnt vmcnt(1) lgkmcnt(0)
	v_cmpx_ne_u32_e32 1, v1
	s_cbranch_execz .LBB34_286
; %bb.285:
	v_lshl_add_u32 v1, v1, 2, 0
	scratch_load_b32 v2, v1, off offset:-4
	s_waitcnt vmcnt(0)
	scratch_store_b32 off, v2, off
	scratch_store_b32 v1, v0, off offset:-4
	scratch_load_b32 v0, off, off
.LBB34_286:
	s_or_b32 exec_lo, exec_lo, s0
.LBB34_287:
	s_clause 0x8
	scratch_load_b128 v[1:4], off, off offset:4
	scratch_load_b128 v[75:78], off, off offset:20
	scratch_load_b128 v[79:82], off, off offset:36
	scratch_load_b128 v[83:86], off, off offset:52
	scratch_load_b128 v[87:90], off, off offset:68
	scratch_load_b128 v[91:94], off, off offset:84
	scratch_load_b128 v[95:98], off, off offset:100
	scratch_load_b128 v[99:102], off, off offset:116
	scratch_load_b64 v[103:104], off, off offset:132
	s_waitcnt vmcnt(9)
	global_store_b32 v[5:6], v0, off
	s_waitcnt vmcnt(8)
	s_clause 0x3
	global_store_b32 v[7:8], v1, off
	global_store_b32 v[9:10], v2, off
	global_store_b32 v[11:12], v3, off
	global_store_b32 v[13:14], v4, off
	s_waitcnt vmcnt(7)
	s_clause 0x3
	global_store_b32 v[15:16], v75, off
	global_store_b32 v[17:18], v76, off
	global_store_b32 v[19:20], v77, off
	;; [unrolled: 6-line block ×8, first 2 shown]
	global_store_b32 v[69:70], v102, off
	s_waitcnt vmcnt(0)
	s_clause 0x1
	global_store_b32 v[73:74], v103, off
	global_store_b32 v[71:72], v104, off
	s_endpgm
	.section	.rodata,"a",@progbits
	.p2align	6, 0x0
	.amdhsa_kernel _ZN9rocsolver6v33100L18getri_kernel_smallILi35EfPfEEvT1_iilPiilS4_bb
		.amdhsa_group_segment_fixed_size 284
		.amdhsa_private_segment_fixed_size 144
		.amdhsa_kernarg_size 60
		.amdhsa_user_sgpr_count 15
		.amdhsa_user_sgpr_dispatch_ptr 0
		.amdhsa_user_sgpr_queue_ptr 0
		.amdhsa_user_sgpr_kernarg_segment_ptr 1
		.amdhsa_user_sgpr_dispatch_id 0
		.amdhsa_user_sgpr_private_segment_size 0
		.amdhsa_wavefront_size32 1
		.amdhsa_uses_dynamic_stack 0
		.amdhsa_enable_private_segment 1
		.amdhsa_system_sgpr_workgroup_id_x 1
		.amdhsa_system_sgpr_workgroup_id_y 0
		.amdhsa_system_sgpr_workgroup_id_z 0
		.amdhsa_system_sgpr_workgroup_info 0
		.amdhsa_system_vgpr_workitem_id 0
		.amdhsa_next_free_vgpr 117
		.amdhsa_next_free_sgpr 18
		.amdhsa_reserve_vcc 1
		.amdhsa_float_round_mode_32 0
		.amdhsa_float_round_mode_16_64 0
		.amdhsa_float_denorm_mode_32 3
		.amdhsa_float_denorm_mode_16_64 3
		.amdhsa_dx10_clamp 1
		.amdhsa_ieee_mode 1
		.amdhsa_fp16_overflow 0
		.amdhsa_workgroup_processor_mode 1
		.amdhsa_memory_ordered 1
		.amdhsa_forward_progress 0
		.amdhsa_shared_vgpr_count 0
		.amdhsa_exception_fp_ieee_invalid_op 0
		.amdhsa_exception_fp_denorm_src 0
		.amdhsa_exception_fp_ieee_div_zero 0
		.amdhsa_exception_fp_ieee_overflow 0
		.amdhsa_exception_fp_ieee_underflow 0
		.amdhsa_exception_fp_ieee_inexact 0
		.amdhsa_exception_int_div_zero 0
	.end_amdhsa_kernel
	.section	.text._ZN9rocsolver6v33100L18getri_kernel_smallILi35EfPfEEvT1_iilPiilS4_bb,"axG",@progbits,_ZN9rocsolver6v33100L18getri_kernel_smallILi35EfPfEEvT1_iilPiilS4_bb,comdat
.Lfunc_end34:
	.size	_ZN9rocsolver6v33100L18getri_kernel_smallILi35EfPfEEvT1_iilPiilS4_bb, .Lfunc_end34-_ZN9rocsolver6v33100L18getri_kernel_smallILi35EfPfEEvT1_iilPiilS4_bb
                                        ; -- End function
	.section	.AMDGPU.csdata,"",@progbits
; Kernel info:
; codeLenInByte = 22556
; NumSgprs: 20
; NumVgprs: 117
; ScratchSize: 144
; MemoryBound: 0
; FloatMode: 240
; IeeeMode: 1
; LDSByteSize: 284 bytes/workgroup (compile time only)
; SGPRBlocks: 2
; VGPRBlocks: 14
; NumSGPRsForWavesPerEU: 20
; NumVGPRsForWavesPerEU: 117
; Occupancy: 12
; WaveLimiterHint : 1
; COMPUTE_PGM_RSRC2:SCRATCH_EN: 1
; COMPUTE_PGM_RSRC2:USER_SGPR: 15
; COMPUTE_PGM_RSRC2:TRAP_HANDLER: 0
; COMPUTE_PGM_RSRC2:TGID_X_EN: 1
; COMPUTE_PGM_RSRC2:TGID_Y_EN: 0
; COMPUTE_PGM_RSRC2:TGID_Z_EN: 0
; COMPUTE_PGM_RSRC2:TIDIG_COMP_CNT: 0
	.section	.text._ZN9rocsolver6v33100L18getri_kernel_smallILi36EfPfEEvT1_iilPiilS4_bb,"axG",@progbits,_ZN9rocsolver6v33100L18getri_kernel_smallILi36EfPfEEvT1_iilPiilS4_bb,comdat
	.globl	_ZN9rocsolver6v33100L18getri_kernel_smallILi36EfPfEEvT1_iilPiilS4_bb ; -- Begin function _ZN9rocsolver6v33100L18getri_kernel_smallILi36EfPfEEvT1_iilPiilS4_bb
	.p2align	8
	.type	_ZN9rocsolver6v33100L18getri_kernel_smallILi36EfPfEEvT1_iilPiilS4_bb,@function
_ZN9rocsolver6v33100L18getri_kernel_smallILi36EfPfEEvT1_iilPiilS4_bb: ; @_ZN9rocsolver6v33100L18getri_kernel_smallILi36EfPfEEvT1_iilPiilS4_bb
; %bb.0:
	s_mov_b32 s2, exec_lo
	v_cmpx_gt_u32_e32 36, v0
	s_cbranch_execz .LBB35_152
; %bb.1:
	s_clause 0x2
	s_load_b32 s17, s[0:1], 0x38
	s_load_b128 s[8:11], s[0:1], 0x10
	s_load_b128 s[4:7], s[0:1], 0x28
	s_mov_b32 s14, s15
                                        ; implicit-def: $sgpr12_sgpr13
	s_waitcnt lgkmcnt(0)
	s_bitcmp1_b32 s17, 8
	s_cselect_b32 s16, -1, 0
	s_bfe_u32 s2, s17, 0x10008
	s_ashr_i32 s15, s15, 31
	s_cmp_eq_u32 s2, 0
	s_cbranch_scc1 .LBB35_3
; %bb.2:
	s_load_b32 s2, s[0:1], 0x20
	s_mul_i32 s3, s14, s5
	s_mul_hi_u32 s5, s14, s4
	s_mul_i32 s12, s15, s4
	s_add_i32 s3, s5, s3
	s_mul_i32 s4, s14, s4
	s_add_i32 s5, s3, s12
	s_delay_alu instid0(SALU_CYCLE_1)
	s_lshl_b64 s[4:5], s[4:5], 2
	s_waitcnt lgkmcnt(0)
	s_ashr_i32 s3, s2, 31
	s_add_u32 s4, s10, s4
	s_addc_u32 s5, s11, s5
	s_lshl_b64 s[2:3], s[2:3], 2
	s_delay_alu instid0(SALU_CYCLE_1)
	s_add_u32 s12, s4, s2
	s_addc_u32 s13, s5, s3
.LBB35_3:
	s_load_b128 s[0:3], s[0:1], 0x0
	s_mul_i32 s4, s14, s9
	s_mul_hi_u32 s5, s14, s8
	s_mul_i32 s9, s15, s8
	s_add_i32 s5, s5, s4
	s_mul_i32 s4, s14, s8
	s_add_i32 s5, s5, s9
	v_lshlrev_b32_e32 v1, 2, v0
	s_lshl_b64 s[4:5], s[4:5], 2
	s_waitcnt lgkmcnt(0)
	v_add3_u32 v2, s3, s3, v0
	s_ashr_i32 s9, s2, 31
	s_mov_b32 s8, s2
	s_add_u32 s2, s0, s4
	s_addc_u32 s4, s1, s5
	v_add_nc_u32_e32 v8, s3, v2
	s_lshl_b64 s[0:1], s[8:9], 2
	v_ashrrev_i32_e32 v3, 31, v2
	s_add_u32 s0, s2, s0
	s_addc_u32 s1, s4, s1
	v_add_nc_u32_e32 v10, s3, v8
	v_add_co_u32 v4, s2, s0, v1
	s_mov_b32 s10, s3
	s_ashr_i32 s11, s3, 31
	s_delay_alu instid0(VALU_DEP_2) | instskip(SKIP_3) | instid1(VALU_DEP_4)
	v_add_nc_u32_e32 v12, s3, v10
	v_add_co_ci_u32_e64 v5, null, s1, 0, s2
	v_lshlrev_b64 v[2:3], 2, v[2:3]
	v_ashrrev_i32_e32 v9, 31, v8
	v_add_nc_u32_e32 v14, s3, v12
	s_lshl_b64 s[4:5], s[10:11], 2
	v_ashrrev_i32_e32 v11, 31, v10
	v_add_co_u32 v6, vcc_lo, v4, s4
	s_delay_alu instid0(VALU_DEP_3) | instskip(SKIP_3) | instid1(VALU_DEP_4)
	v_add_nc_u32_e32 v16, s3, v14
	v_add_co_ci_u32_e32 v7, vcc_lo, s5, v5, vcc_lo
	v_lshlrev_b64 v[35:36], 2, v[8:9]
	v_add_co_u32 v8, vcc_lo, s0, v2
	v_add_nc_u32_e32 v18, s3, v16
	v_add_co_ci_u32_e32 v9, vcc_lo, s1, v3, vcc_lo
	v_ashrrev_i32_e32 v13, 31, v12
	v_lshlrev_b64 v[2:3], 2, v[10:11]
	s_delay_alu instid0(VALU_DEP_4) | instskip(SKIP_3) | instid1(VALU_DEP_4)
	v_add_nc_u32_e32 v20, s3, v18
	v_add_co_u32 v10, vcc_lo, s0, v35
	v_ashrrev_i32_e32 v15, 31, v14
	v_add_co_ci_u32_e32 v11, vcc_lo, s1, v36, vcc_lo
	v_add_nc_u32_e32 v22, s3, v20
	v_lshlrev_b64 v[35:36], 2, v[12:13]
	v_add_co_u32 v12, vcc_lo, s0, v2
	v_add_co_ci_u32_e32 v13, vcc_lo, s1, v3, vcc_lo
	s_delay_alu instid0(VALU_DEP_4) | instskip(SKIP_3) | instid1(VALU_DEP_4)
	v_add_nc_u32_e32 v24, s3, v22
	v_lshlrev_b64 v[2:3], 2, v[14:15]
	v_ashrrev_i32_e32 v17, 31, v16
	v_add_co_u32 v14, vcc_lo, s0, v35
	v_add_nc_u32_e32 v26, s3, v24
	v_ashrrev_i32_e32 v19, 31, v18
	v_add_co_ci_u32_e32 v15, vcc_lo, s1, v36, vcc_lo
	v_lshlrev_b64 v[35:36], 2, v[16:17]
	s_delay_alu instid0(VALU_DEP_4) | instskip(SKIP_2) | instid1(VALU_DEP_3)
	v_add_nc_u32_e32 v28, s3, v26
	v_add_co_u32 v16, vcc_lo, s0, v2
	v_add_co_ci_u32_e32 v17, vcc_lo, s1, v3, vcc_lo
	v_add_nc_u32_e32 v30, s3, v28
	v_lshlrev_b64 v[2:3], 2, v[18:19]
	v_ashrrev_i32_e32 v21, 31, v20
	v_add_co_u32 v18, vcc_lo, s0, v35
	s_delay_alu instid0(VALU_DEP_4) | instskip(SKIP_3) | instid1(VALU_DEP_4)
	v_add_nc_u32_e32 v32, s3, v30
	v_ashrrev_i32_e32 v23, 31, v22
	v_add_co_ci_u32_e32 v19, vcc_lo, s1, v36, vcc_lo
	v_lshlrev_b64 v[35:36], 2, v[20:21]
	v_add_nc_u32_e32 v34, s3, v32
	v_add_co_u32 v20, vcc_lo, s0, v2
	v_add_co_ci_u32_e32 v21, vcc_lo, s1, v3, vcc_lo
	s_delay_alu instid0(VALU_DEP_3) | instskip(SKIP_3) | instid1(VALU_DEP_4)
	v_add_nc_u32_e32 v37, s3, v34
	v_lshlrev_b64 v[2:3], 2, v[22:23]
	v_ashrrev_i32_e32 v25, 31, v24
	v_add_co_u32 v22, vcc_lo, s0, v35
	v_add_nc_u32_e32 v39, s3, v37
	v_ashrrev_i32_e32 v27, 31, v26
	v_add_co_ci_u32_e32 v23, vcc_lo, s1, v36, vcc_lo
	v_lshlrev_b64 v[35:36], 2, v[24:25]
	s_delay_alu instid0(VALU_DEP_4) | instskip(SKIP_2) | instid1(VALU_DEP_3)
	v_add_nc_u32_e32 v41, s3, v39
	v_add_co_u32 v24, vcc_lo, s0, v2
	v_add_co_ci_u32_e32 v25, vcc_lo, s1, v3, vcc_lo
	v_add_nc_u32_e32 v44, s3, v41
	v_lshlrev_b64 v[2:3], 2, v[26:27]
	v_ashrrev_i32_e32 v29, 31, v28
	v_add_co_u32 v26, vcc_lo, s0, v35
	s_delay_alu instid0(VALU_DEP_4) | instskip(SKIP_3) | instid1(VALU_DEP_4)
	v_add_nc_u32_e32 v46, s3, v44
	v_ashrrev_i32_e32 v31, 31, v30
	v_add_co_ci_u32_e32 v27, vcc_lo, s1, v36, vcc_lo
	v_lshlrev_b64 v[35:36], 2, v[28:29]
	v_add_nc_u32_e32 v48, s3, v46
	v_add_co_u32 v28, vcc_lo, s0, v2
	v_add_co_ci_u32_e32 v29, vcc_lo, s1, v3, vcc_lo
	s_delay_alu instid0(VALU_DEP_3) | instskip(SKIP_3) | instid1(VALU_DEP_4)
	v_add_nc_u32_e32 v50, s3, v48
	v_lshlrev_b64 v[2:3], 2, v[30:31]
	v_ashrrev_i32_e32 v33, 31, v32
	v_add_co_u32 v30, vcc_lo, s0, v35
	v_add_nc_u32_e32 v52, s3, v50
	v_ashrrev_i32_e32 v35, 31, v34
	v_add_co_ci_u32_e32 v31, vcc_lo, s1, v36, vcc_lo
	v_lshlrev_b64 v[42:43], 2, v[32:33]
	s_delay_alu instid0(VALU_DEP_4) | instskip(SKIP_3) | instid1(VALU_DEP_4)
	v_add_nc_u32_e32 v54, s3, v52
	v_add_co_u32 v32, vcc_lo, s0, v2
	v_ashrrev_i32_e32 v38, 31, v37
	v_add_co_ci_u32_e32 v33, vcc_lo, s1, v3, vcc_lo
	v_add_nc_u32_e32 v56, s3, v54
	v_lshlrev_b64 v[2:3], 2, v[34:35]
	v_add_co_u32 v34, vcc_lo, s0, v42
	v_lshlrev_b64 v[67:68], 2, v[37:38]
	s_delay_alu instid0(VALU_DEP_4) | instskip(SKIP_3) | instid1(VALU_DEP_4)
	v_add_nc_u32_e32 v58, s3, v56
	v_ashrrev_i32_e32 v40, 31, v39
	v_add_co_ci_u32_e32 v35, vcc_lo, s1, v43, vcc_lo
	v_add_co_u32 v36, vcc_lo, s0, v2
	v_add_nc_u32_e32 v60, s3, v58
	v_ashrrev_i32_e32 v42, 31, v41
	v_add_co_ci_u32_e32 v37, vcc_lo, s1, v3, vcc_lo
	v_lshlrev_b64 v[2:3], 2, v[39:40]
	s_delay_alu instid0(VALU_DEP_4) | instskip(SKIP_3) | instid1(VALU_DEP_4)
	v_add_nc_u32_e32 v62, s3, v60
	v_add_co_u32 v38, vcc_lo, s0, v67
	v_lshlrev_b64 v[40:41], 2, v[41:42]
	v_ashrrev_i32_e32 v45, 31, v44
	v_add_nc_u32_e32 v64, s3, v62
	v_add_co_ci_u32_e32 v39, vcc_lo, s1, v68, vcc_lo
	v_add_co_u32 v42, vcc_lo, s0, v2
	s_delay_alu instid0(VALU_DEP_3) | instskip(SKIP_3) | instid1(VALU_DEP_4)
	v_add_nc_u32_e32 v66, s3, v64
	v_add_co_ci_u32_e32 v43, vcc_lo, s1, v3, vcc_lo
	v_lshlrev_b64 v[2:3], 2, v[44:45]
	v_ashrrev_i32_e32 v47, 31, v46
	v_add_nc_u32_e32 v69, s3, v66
	v_add_co_u32 v44, vcc_lo, s0, v40
	v_add_co_ci_u32_e32 v45, vcc_lo, s1, v41, vcc_lo
	s_delay_alu instid0(VALU_DEP_3) | instskip(SKIP_3) | instid1(VALU_DEP_4)
	v_add_nc_u32_e32 v71, s3, v69
	v_ashrrev_i32_e32 v49, 31, v48
	v_lshlrev_b64 v[74:75], 2, v[46:47]
	v_add_co_u32 v46, vcc_lo, s0, v2
	v_add_nc_u32_e32 v73, s3, v71
	v_add_co_ci_u32_e32 v47, vcc_lo, s1, v3, vcc_lo
	v_lshlrev_b64 v[2:3], 2, v[48:49]
	v_ashrrev_i32_e32 v51, 31, v50
	s_delay_alu instid0(VALU_DEP_4)
	v_add_nc_u32_e32 v67, s3, v73
	v_ashrrev_i32_e32 v53, 31, v52
	v_ashrrev_i32_e32 v55, 31, v54
	v_ashrrev_i32_e32 v57, 31, v56
	v_ashrrev_i32_e32 v59, 31, v58
	v_ashrrev_i32_e32 v68, 31, v67
	v_ashrrev_i32_e32 v61, 31, v60
	v_ashrrev_i32_e32 v63, 31, v62
	v_ashrrev_i32_e32 v65, 31, v64
	v_ashrrev_i32_e32 v70, 31, v69
	v_lshlrev_b64 v[40:41], 2, v[67:68]
	v_lshlrev_b64 v[67:68], 2, v[50:51]
	v_ashrrev_i32_e32 v72, 31, v71
	s_clause 0x10
	global_load_b32 v76, v1, s[0:1]
	global_load_b32 v77, v[6:7], off
	global_load_b32 v78, v[8:9], off
	;; [unrolled: 1-line block ×16, first 2 shown]
	v_add_co_u32 v40, vcc_lo, s0, v40
	v_add_co_ci_u32_e32 v41, vcc_lo, s1, v41, vcc_lo
	v_add_co_u32 v48, vcc_lo, s0, v74
	v_add_co_ci_u32_e32 v49, vcc_lo, s1, v75, vcc_lo
	;; [unrolled: 2-line block ×3, first 2 shown]
	v_lshlrev_b64 v[2:3], 2, v[52:53]
	v_add_co_u32 v52, vcc_lo, s0, v67
	v_add_co_ci_u32_e32 v53, vcc_lo, s1, v68, vcc_lo
	v_lshlrev_b64 v[67:68], 2, v[54:55]
	s_delay_alu instid0(VALU_DEP_4) | instskip(SKIP_2) | instid1(VALU_DEP_4)
	v_add_co_u32 v54, vcc_lo, s0, v2
	v_add_co_ci_u32_e32 v55, vcc_lo, s1, v3, vcc_lo
	v_lshlrev_b64 v[2:3], 2, v[56:57]
	v_add_co_u32 v56, vcc_lo, s0, v67
	v_add_co_ci_u32_e32 v57, vcc_lo, s1, v68, vcc_lo
	v_lshlrev_b64 v[67:68], 2, v[58:59]
	s_delay_alu instid0(VALU_DEP_4) | instskip(SKIP_2) | instid1(VALU_DEP_4)
	v_add_co_u32 v58, vcc_lo, s0, v2
	v_add_co_ci_u32_e32 v59, vcc_lo, s1, v3, vcc_lo
	v_lshlrev_b64 v[2:3], 2, v[60:61]
	v_add_co_u32 v60, vcc_lo, s0, v67
	v_add_co_ci_u32_e32 v61, vcc_lo, s1, v68, vcc_lo
	v_lshlrev_b64 v[74:75], 2, v[62:63]
	s_delay_alu instid0(VALU_DEP_4)
	v_add_co_u32 v62, vcc_lo, s0, v2
	v_add_co_ci_u32_e32 v63, vcc_lo, s1, v3, vcc_lo
	v_lshlrev_b64 v[2:3], 2, v[64:65]
	v_ashrrev_i32_e32 v67, 31, v66
	v_add_co_u32 v64, vcc_lo, s0, v74
	v_add_co_ci_u32_e32 v65, vcc_lo, s1, v75, vcc_lo
	s_delay_alu instid0(VALU_DEP_3) | instskip(SKIP_3) | instid1(VALU_DEP_4)
	v_lshlrev_b64 v[74:75], 2, v[66:67]
	v_add_co_u32 v66, vcc_lo, s0, v2
	v_add_co_ci_u32_e32 v67, vcc_lo, s1, v3, vcc_lo
	v_lshlrev_b64 v[2:3], 2, v[69:70]
	v_add_co_u32 v68, vcc_lo, s0, v74
	v_ashrrev_i32_e32 v74, 31, v73
	v_add_co_ci_u32_e32 v69, vcc_lo, s1, v75, vcc_lo
	v_lshlrev_b64 v[101:102], 2, v[71:72]
	v_add_co_u32 v70, vcc_lo, s0, v2
	v_add_co_ci_u32_e32 v71, vcc_lo, s1, v3, vcc_lo
	v_lshlrev_b64 v[2:3], 2, v[73:74]
	s_delay_alu instid0(VALU_DEP_4)
	v_add_co_u32 v72, vcc_lo, s0, v101
	v_add_co_ci_u32_e32 v73, vcc_lo, s1, v102, vcc_lo
	s_clause 0x7
	global_load_b32 v93, v[38:39], off
	global_load_b32 v94, v[42:43], off
	;; [unrolled: 1-line block ×8, first 2 shown]
	v_add_co_u32 v74, vcc_lo, s0, v2
	v_add_co_ci_u32_e32 v75, vcc_lo, s1, v3, vcc_lo
	s_clause 0xa
	global_load_b32 v101, v[56:57], off
	global_load_b32 v102, v[58:59], off
	global_load_b32 v103, v[60:61], off
	global_load_b32 v104, v[62:63], off
	global_load_b32 v105, v[64:65], off
	global_load_b32 v106, v[66:67], off
	global_load_b32 v107, v[68:69], off
	global_load_b32 v109, v[72:73], off
	global_load_b32 v111, v[40:41], off
	global_load_b32 v110, v[74:75], off
	global_load_b32 v108, v[70:71], off
	s_bitcmp0_b32 s17, 0
	s_mov_b32 s1, -1
	s_waitcnt vmcnt(32)
	scratch_store_b128 off, v[76:79], off
	s_waitcnt vmcnt(28)
	scratch_store_b128 off, v[80:83], off offset:16
	s_waitcnt vmcnt(24)
	scratch_store_b128 off, v[84:87], off offset:32
	;; [unrolled: 2-line block ×8, first 2 shown]
	s_cbranch_scc1 .LBB35_150
; %bb.4:
	v_cmp_eq_u32_e64 s0, 0, v0
	s_delay_alu instid0(VALU_DEP_1)
	s_and_saveexec_b32 s1, s0
	s_cbranch_execz .LBB35_6
; %bb.5:
	v_mov_b32_e32 v2, 0
	ds_store_b32 v2, v2 offset:288
.LBB35_6:
	s_or_b32 exec_lo, exec_lo, s1
	s_waitcnt lgkmcnt(0)
	s_waitcnt_vscnt null, 0x0
	s_barrier
	buffer_gl0_inv
	scratch_load_b32 v2, v1, off
	s_mov_b32 s2, exec_lo
	s_waitcnt vmcnt(0)
	v_cmpx_eq_f32_e32 0, v2
	s_cbranch_execz .LBB35_10
; %bb.7:
	v_mov_b32_e32 v2, 0
	s_mov_b32 s3, 0
	ds_load_b32 v3, v2 offset:288
	s_waitcnt lgkmcnt(0)
	v_readfirstlane_b32 s1, v3
	v_add_nc_u32_e32 v3, 1, v0
	s_delay_alu instid0(VALU_DEP_2) | instskip(NEXT) | instid1(VALU_DEP_1)
	s_cmp_eq_u32 s1, 0
	v_cmp_gt_i32_e32 vcc_lo, s1, v3
	s_cselect_b32 s4, -1, 0
	s_delay_alu instid0(SALU_CYCLE_1) | instskip(NEXT) | instid1(SALU_CYCLE_1)
	s_or_b32 s4, s4, vcc_lo
	s_and_b32 exec_lo, exec_lo, s4
	s_cbranch_execz .LBB35_10
; %bb.8:
	v_mov_b32_e32 v76, s1
.LBB35_9:                               ; =>This Inner Loop Header: Depth=1
	ds_cmpstore_rtn_b32 v76, v2, v3, v76 offset:288
	s_waitcnt lgkmcnt(0)
	v_cmp_ne_u32_e32 vcc_lo, 0, v76
	v_cmp_le_i32_e64 s1, v76, v3
	s_delay_alu instid0(VALU_DEP_1) | instskip(NEXT) | instid1(SALU_CYCLE_1)
	s_and_b32 s1, vcc_lo, s1
	s_and_b32 s1, exec_lo, s1
	s_delay_alu instid0(SALU_CYCLE_1) | instskip(NEXT) | instid1(SALU_CYCLE_1)
	s_or_b32 s3, s1, s3
	s_and_not1_b32 exec_lo, exec_lo, s3
	s_cbranch_execnz .LBB35_9
.LBB35_10:
	s_or_b32 exec_lo, exec_lo, s2
	v_mov_b32_e32 v2, 0
	s_barrier
	buffer_gl0_inv
	ds_load_b32 v3, v2 offset:288
	s_and_saveexec_b32 s1, s0
	s_cbranch_execz .LBB35_12
; %bb.11:
	s_lshl_b64 s[2:3], s[14:15], 2
	s_delay_alu instid0(SALU_CYCLE_1)
	s_add_u32 s2, s6, s2
	s_addc_u32 s3, s7, s3
	s_waitcnt lgkmcnt(0)
	global_store_b32 v2, v3, s[2:3]
.LBB35_12:
	s_or_b32 exec_lo, exec_lo, s1
	s_waitcnt lgkmcnt(0)
	v_cmp_ne_u32_e32 vcc_lo, 0, v3
	s_mov_b32 s1, 0
	s_cbranch_vccnz .LBB35_150
; %bb.13:
	v_add_nc_u32_e32 v2, 0, v1
	scratch_load_b32 v3, v2, off
	s_waitcnt vmcnt(0)
	v_div_scale_f32 v76, null, v3, v3, 1.0
	v_div_scale_f32 v79, vcc_lo, 1.0, v3, 1.0
	s_delay_alu instid0(VALU_DEP_2) | instskip(SKIP_2) | instid1(VALU_DEP_1)
	v_rcp_f32_e32 v77, v76
	s_waitcnt_depctr 0xfff
	v_fma_f32 v78, -v76, v77, 1.0
	v_fmac_f32_e32 v77, v78, v77
	s_delay_alu instid0(VALU_DEP_1) | instskip(NEXT) | instid1(VALU_DEP_1)
	v_mul_f32_e32 v78, v79, v77
	v_fma_f32 v80, -v76, v78, v79
	s_delay_alu instid0(VALU_DEP_1) | instskip(NEXT) | instid1(VALU_DEP_1)
	v_fmac_f32_e32 v78, v80, v77
	v_fma_f32 v76, -v76, v78, v79
	s_delay_alu instid0(VALU_DEP_1) | instskip(NEXT) | instid1(VALU_DEP_1)
	v_div_fmas_f32 v76, v76, v77, v78
	v_div_fixup_f32 v3, v76, v3, 1.0
	scratch_store_b32 v2, v3, off
	scratch_load_b32 v76, off, off offset:4
	v_xor_b32_e32 v77, 0x80000000, v3
	v_add_nc_u32_e32 v3, 0x90, v1
	s_waitcnt vmcnt(0)
	ds_store_2addr_b32 v1, v77, v76 offset1:36
	s_waitcnt lgkmcnt(0)
	s_waitcnt_vscnt null, 0x0
	s_barrier
	buffer_gl0_inv
	s_and_saveexec_b32 s1, s0
	s_cbranch_execz .LBB35_15
; %bb.14:
	scratch_load_b32 v76, v2, off
	ds_load_b32 v77, v3
	v_mov_b32_e32 v78, 0
	ds_load_b32 v78, v78 offset:4
	s_waitcnt vmcnt(0) lgkmcnt(1)
	v_fma_f32 v76, v76, v77, 0
	s_waitcnt lgkmcnt(0)
	s_delay_alu instid0(VALU_DEP_1)
	v_mul_f32_e32 v76, v76, v78
	scratch_store_b32 off, v76, off offset:4
.LBB35_15:
	s_or_b32 exec_lo, exec_lo, s1
	s_waitcnt_vscnt null, 0x0
	s_barrier
	buffer_gl0_inv
	scratch_load_b32 v76, off, off offset:8
	s_mov_b32 s1, exec_lo
	s_waitcnt vmcnt(0)
	ds_store_b32 v3, v76
	s_waitcnt lgkmcnt(0)
	s_barrier
	buffer_gl0_inv
	v_cmpx_gt_u32_e32 2, v0
	s_cbranch_execz .LBB35_17
; %bb.16:
	scratch_load_b32 v78, v2, off
	scratch_load_b32 v79, off, off offset:4
	ds_load_b32 v80, v3
	v_mov_b32_e32 v76, 0
	ds_load_2addr_b32 v[76:77], v76 offset0:2 offset1:37
	s_waitcnt vmcnt(1) lgkmcnt(1)
	v_fma_f32 v78, v78, v80, 0
	s_waitcnt vmcnt(0) lgkmcnt(0)
	s_delay_alu instid0(VALU_DEP_1) | instskip(NEXT) | instid1(VALU_DEP_1)
	v_fma_f32 v77, v79, v77, v78
	v_cndmask_b32_e64 v77, v78, v77, s0
	s_delay_alu instid0(VALU_DEP_1)
	v_mul_f32_e32 v76, v77, v76
	scratch_store_b32 off, v76, off offset:8
.LBB35_17:
	s_or_b32 exec_lo, exec_lo, s1
	s_waitcnt_vscnt null, 0x0
	s_barrier
	buffer_gl0_inv
	scratch_load_b32 v77, off, off offset:12
	v_add_nc_u32_e32 v76, -1, v0
	s_mov_b32 s0, exec_lo
	s_waitcnt vmcnt(0)
	ds_store_b32 v3, v77
	s_waitcnt lgkmcnt(0)
	s_barrier
	buffer_gl0_inv
	v_cmpx_gt_u32_e32 3, v0
	s_cbranch_execz .LBB35_21
; %bb.18:
	v_dual_mov_b32 v77, 0 :: v_dual_add_nc_u32 v78, -1, v0
	v_add_nc_u32_e32 v79, 0x90, v1
	v_add_nc_u32_e32 v80, 0, v1
	s_mov_b32 s1, 0
.LBB35_19:                              ; =>This Inner Loop Header: Depth=1
	scratch_load_b32 v81, v80, off
	ds_load_b32 v82, v79
	v_add_nc_u32_e32 v78, 1, v78
	v_add_nc_u32_e32 v79, 4, v79
	v_add_nc_u32_e32 v80, 4, v80
	s_delay_alu instid0(VALU_DEP_3)
	v_cmp_lt_u32_e32 vcc_lo, 1, v78
	s_or_b32 s1, vcc_lo, s1
	s_waitcnt vmcnt(0) lgkmcnt(0)
	v_fmac_f32_e32 v77, v81, v82
	s_and_not1_b32 exec_lo, exec_lo, s1
	s_cbranch_execnz .LBB35_19
; %bb.20:
	s_or_b32 exec_lo, exec_lo, s1
	v_mov_b32_e32 v78, 0
	ds_load_b32 v78, v78 offset:12
	s_waitcnt lgkmcnt(0)
	v_mul_f32_e32 v77, v77, v78
	scratch_store_b32 off, v77, off offset:12
.LBB35_21:
	s_or_b32 exec_lo, exec_lo, s0
	s_waitcnt_vscnt null, 0x0
	s_barrier
	buffer_gl0_inv
	scratch_load_b32 v77, off, off offset:16
	s_mov_b32 s0, exec_lo
	s_waitcnt vmcnt(0)
	ds_store_b32 v3, v77
	s_waitcnt lgkmcnt(0)
	s_barrier
	buffer_gl0_inv
	v_cmpx_gt_u32_e32 4, v0
	s_cbranch_execz .LBB35_25
; %bb.22:
	v_dual_mov_b32 v77, 0 :: v_dual_add_nc_u32 v78, -1, v0
	v_add_nc_u32_e32 v79, 0x90, v1
	v_add_nc_u32_e32 v80, 0, v1
	s_mov_b32 s1, 0
.LBB35_23:                              ; =>This Inner Loop Header: Depth=1
	scratch_load_b32 v81, v80, off
	ds_load_b32 v82, v79
	v_add_nc_u32_e32 v78, 1, v78
	v_add_nc_u32_e32 v79, 4, v79
	v_add_nc_u32_e32 v80, 4, v80
	s_delay_alu instid0(VALU_DEP_3)
	v_cmp_lt_u32_e32 vcc_lo, 2, v78
	s_or_b32 s1, vcc_lo, s1
	s_waitcnt vmcnt(0) lgkmcnt(0)
	v_fmac_f32_e32 v77, v81, v82
	s_and_not1_b32 exec_lo, exec_lo, s1
	s_cbranch_execnz .LBB35_23
; %bb.24:
	s_or_b32 exec_lo, exec_lo, s1
	v_mov_b32_e32 v78, 0
	ds_load_b32 v78, v78 offset:16
	s_waitcnt lgkmcnt(0)
	v_mul_f32_e32 v77, v77, v78
	scratch_store_b32 off, v77, off offset:16
.LBB35_25:
	s_or_b32 exec_lo, exec_lo, s0
	s_waitcnt_vscnt null, 0x0
	s_barrier
	buffer_gl0_inv
	scratch_load_b32 v77, off, off offset:20
	;; [unrolled: 39-line block ×21, first 2 shown]
	s_mov_b32 s0, exec_lo
	s_waitcnt vmcnt(0)
	ds_store_b32 v3, v77
	s_waitcnt lgkmcnt(0)
	s_barrier
	buffer_gl0_inv
	v_cmpx_gt_u32_e32 24, v0
	s_cbranch_execz .LBB35_105
; %bb.102:
	v_dual_mov_b32 v77, 0 :: v_dual_add_nc_u32 v78, -1, v0
	v_add_nc_u32_e32 v79, 0x90, v1
	v_add_nc_u32_e32 v80, 0, v1
	s_mov_b32 s1, 0
.LBB35_103:                             ; =>This Inner Loop Header: Depth=1
	scratch_load_b32 v81, v80, off
	ds_load_b32 v82, v79
	v_add_nc_u32_e32 v78, 1, v78
	v_add_nc_u32_e32 v79, 4, v79
	v_add_nc_u32_e32 v80, 4, v80
	s_delay_alu instid0(VALU_DEP_3)
	v_cmp_lt_u32_e32 vcc_lo, 22, v78
	s_or_b32 s1, vcc_lo, s1
	s_waitcnt vmcnt(0) lgkmcnt(0)
	v_fmac_f32_e32 v77, v81, v82
	s_and_not1_b32 exec_lo, exec_lo, s1
	s_cbranch_execnz .LBB35_103
; %bb.104:
	s_or_b32 exec_lo, exec_lo, s1
	v_mov_b32_e32 v78, 0
	ds_load_b32 v78, v78 offset:96
	s_waitcnt lgkmcnt(0)
	v_mul_f32_e32 v77, v77, v78
	scratch_store_b32 off, v77, off offset:96
.LBB35_105:
	s_or_b32 exec_lo, exec_lo, s0
	s_waitcnt_vscnt null, 0x0
	s_barrier
	buffer_gl0_inv
	scratch_load_b32 v77, off, off offset:100
	s_mov_b32 s0, exec_lo
	s_waitcnt vmcnt(0)
	ds_store_b32 v3, v77
	s_waitcnt lgkmcnt(0)
	s_barrier
	buffer_gl0_inv
	v_cmpx_gt_u32_e32 25, v0
	s_cbranch_execz .LBB35_109
; %bb.106:
	v_dual_mov_b32 v77, 0 :: v_dual_add_nc_u32 v78, -1, v0
	v_add_nc_u32_e32 v79, 0x90, v1
	v_add_nc_u32_e32 v80, 0, v1
	s_mov_b32 s1, 0
.LBB35_107:                             ; =>This Inner Loop Header: Depth=1
	scratch_load_b32 v81, v80, off
	ds_load_b32 v82, v79
	v_add_nc_u32_e32 v78, 1, v78
	v_add_nc_u32_e32 v79, 4, v79
	v_add_nc_u32_e32 v80, 4, v80
	s_delay_alu instid0(VALU_DEP_3)
	v_cmp_lt_u32_e32 vcc_lo, 23, v78
	s_or_b32 s1, vcc_lo, s1
	s_waitcnt vmcnt(0) lgkmcnt(0)
	v_fmac_f32_e32 v77, v81, v82
	s_and_not1_b32 exec_lo, exec_lo, s1
	s_cbranch_execnz .LBB35_107
; %bb.108:
	s_or_b32 exec_lo, exec_lo, s1
	v_mov_b32_e32 v78, 0
	ds_load_b32 v78, v78 offset:100
	s_waitcnt lgkmcnt(0)
	v_mul_f32_e32 v77, v77, v78
	scratch_store_b32 off, v77, off offset:100
.LBB35_109:
	s_or_b32 exec_lo, exec_lo, s0
	s_waitcnt_vscnt null, 0x0
	s_barrier
	buffer_gl0_inv
	scratch_load_b32 v77, off, off offset:104
	;; [unrolled: 39-line block ×10, first 2 shown]
	s_mov_b32 s0, exec_lo
	s_waitcnt vmcnt(0)
	ds_store_b32 v3, v77
	s_waitcnt lgkmcnt(0)
	s_barrier
	buffer_gl0_inv
	v_cmpx_gt_u32_e32 34, v0
	s_cbranch_execz .LBB35_145
; %bb.142:
	v_add_nc_u32_e32 v77, -1, v0
	v_add_nc_u32_e32 v78, 0x90, v1
	v_add_nc_u32_e32 v79, 0, v1
	v_mov_b32_e32 v1, 0
	s_mov_b32 s1, 0
.LBB35_143:                             ; =>This Inner Loop Header: Depth=1
	scratch_load_b32 v80, v79, off
	ds_load_b32 v81, v78
	v_add_nc_u32_e32 v77, 1, v77
	v_add_nc_u32_e32 v78, 4, v78
	v_add_nc_u32_e32 v79, 4, v79
	s_delay_alu instid0(VALU_DEP_3)
	v_cmp_lt_u32_e32 vcc_lo, 32, v77
	s_or_b32 s1, vcc_lo, s1
	s_waitcnt vmcnt(0) lgkmcnt(0)
	v_fmac_f32_e32 v1, v80, v81
	s_and_not1_b32 exec_lo, exec_lo, s1
	s_cbranch_execnz .LBB35_143
; %bb.144:
	s_or_b32 exec_lo, exec_lo, s1
	v_mov_b32_e32 v77, 0
	ds_load_b32 v77, v77 offset:136
	s_waitcnt lgkmcnt(0)
	v_mul_f32_e32 v1, v1, v77
	scratch_store_b32 off, v1, off offset:136
.LBB35_145:
	s_or_b32 exec_lo, exec_lo, s0
	s_waitcnt_vscnt null, 0x0
	s_barrier
	buffer_gl0_inv
	scratch_load_b32 v1, off, off offset:140
	s_mov_b32 s0, exec_lo
	s_waitcnt vmcnt(0)
	ds_store_b32 v3, v1
	s_waitcnt lgkmcnt(0)
	s_barrier
	buffer_gl0_inv
	v_cmpx_ne_u32_e32 35, v0
	s_cbranch_execz .LBB35_149
; %bb.146:
	v_mov_b32_e32 v1, 0
	s_mov_b32 s1, 0
.LBB35_147:                             ; =>This Inner Loop Header: Depth=1
	scratch_load_b32 v77, v2, off
	ds_load_b32 v78, v3
	v_add_nc_u32_e32 v76, 1, v76
	v_add_nc_u32_e32 v3, 4, v3
	;; [unrolled: 1-line block ×3, first 2 shown]
	s_waitcnt vmcnt(0) lgkmcnt(0)
	v_fmac_f32_e32 v1, v77, v78
	v_cmp_lt_u32_e32 vcc_lo, 33, v76
	s_or_b32 s1, vcc_lo, s1
	s_delay_alu instid0(SALU_CYCLE_1)
	s_and_not1_b32 exec_lo, exec_lo, s1
	s_cbranch_execnz .LBB35_147
; %bb.148:
	s_or_b32 exec_lo, exec_lo, s1
	v_mov_b32_e32 v2, 0
	ds_load_b32 v2, v2 offset:140
	s_waitcnt lgkmcnt(0)
	v_mul_f32_e32 v1, v1, v2
	scratch_store_b32 off, v1, off offset:140
.LBB35_149:
	s_or_b32 exec_lo, exec_lo, s0
	s_mov_b32 s1, -1
	s_waitcnt_vscnt null, 0x0
	s_barrier
	buffer_gl0_inv
.LBB35_150:
	s_and_b32 vcc_lo, exec_lo, s1
	s_cbranch_vccz .LBB35_152
; %bb.151:
	s_lshl_b64 s[0:1], s[14:15], 2
	v_mov_b32_e32 v1, 0
	s_add_u32 s0, s6, s0
	s_addc_u32 s1, s7, s1
	global_load_b32 v1, v1, s[0:1]
	s_waitcnt vmcnt(0)
	v_cmp_ne_u32_e32 vcc_lo, 0, v1
	s_cbranch_vccz .LBB35_153
.LBB35_152:
	s_endpgm
.LBB35_153:
	v_lshl_add_u32 v1, v0, 2, 0x90
	s_mov_b32 s0, exec_lo
	v_cmpx_eq_u32_e32 35, v0
	s_cbranch_execz .LBB35_155
; %bb.154:
	scratch_load_b32 v2, off, off offset:136
	v_mov_b32_e32 v3, 0
	scratch_store_b32 off, v3, off offset:136
	s_waitcnt vmcnt(0)
	ds_store_b32 v1, v2
.LBB35_155:
	s_or_b32 exec_lo, exec_lo, s0
	s_waitcnt lgkmcnt(0)
	s_waitcnt_vscnt null, 0x0
	s_barrier
	buffer_gl0_inv
	scratch_load_b64 v[76:77], off, off offset:136
	v_mov_b32_e32 v2, 0
	s_mov_b32 s0, exec_lo
	ds_load_b32 v3, v2 offset:284
	s_waitcnt vmcnt(0) lgkmcnt(0)
	v_fma_f32 v3, v77, v3, 0
	s_delay_alu instid0(VALU_DEP_1)
	v_sub_f32_e32 v3, v76, v3
	scratch_store_b32 off, v3, off offset:136
	v_cmpx_lt_u32_e32 33, v0
	s_cbranch_execz .LBB35_157
; %bb.156:
	scratch_load_b32 v3, off, off offset:132
	scratch_store_b32 off, v2, off offset:132
	s_waitcnt vmcnt(0)
	ds_store_b32 v1, v3
.LBB35_157:
	s_or_b32 exec_lo, exec_lo, s0
	s_waitcnt lgkmcnt(0)
	s_waitcnt_vscnt null, 0x0
	s_barrier
	buffer_gl0_inv
	scratch_load_b96 v[76:78], off, off offset:132
	ds_load_b64 v[2:3], v2 offset:280
	s_mov_b32 s0, exec_lo
	s_waitcnt vmcnt(0) lgkmcnt(0)
	v_fma_f32 v2, v77, v2, 0
	s_delay_alu instid0(VALU_DEP_1) | instskip(NEXT) | instid1(VALU_DEP_1)
	v_fmac_f32_e32 v2, v78, v3
	v_sub_f32_e32 v2, v76, v2
	scratch_store_b32 off, v2, off offset:132
	v_cmpx_lt_u32_e32 32, v0
	s_cbranch_execz .LBB35_159
; %bb.158:
	scratch_load_b32 v2, off, off offset:128
	v_mov_b32_e32 v3, 0
	scratch_store_b32 off, v3, off offset:128
	s_waitcnt vmcnt(0)
	ds_store_b32 v1, v2
.LBB35_159:
	s_or_b32 exec_lo, exec_lo, s0
	s_waitcnt lgkmcnt(0)
	s_waitcnt_vscnt null, 0x0
	s_barrier
	buffer_gl0_inv
	scratch_load_b128 v[76:79], off, off offset:128
	v_mov_b32_e32 v2, 0
	ds_load_2addr_b32 v[80:81], v2 offset0:69 offset1:70
	ds_load_b32 v3, v2 offset:284
	s_mov_b32 s0, exec_lo
	s_waitcnt vmcnt(0) lgkmcnt(1)
	v_fma_f32 v77, v77, v80, 0
	s_delay_alu instid0(VALU_DEP_1) | instskip(SKIP_1) | instid1(VALU_DEP_1)
	v_fmac_f32_e32 v77, v78, v81
	s_waitcnt lgkmcnt(0)
	v_fmac_f32_e32 v77, v79, v3
	s_delay_alu instid0(VALU_DEP_1)
	v_sub_f32_e32 v3, v76, v77
	scratch_store_b32 off, v3, off offset:128
	v_cmpx_lt_u32_e32 31, v0
	s_cbranch_execz .LBB35_161
; %bb.160:
	scratch_load_b32 v3, off, off offset:124
	scratch_store_b32 off, v2, off offset:124
	s_waitcnt vmcnt(0)
	ds_store_b32 v1, v3
.LBB35_161:
	s_or_b32 exec_lo, exec_lo, s0
	s_waitcnt lgkmcnt(0)
	s_waitcnt_vscnt null, 0x0
	s_barrier
	buffer_gl0_inv
	s_clause 0x1
	scratch_load_b128 v[76:79], off, off offset:124
	scratch_load_b32 v3, off, off offset:140
	ds_load_b128 v[80:83], v2 offset:272
	s_mov_b32 s0, exec_lo
	s_waitcnt vmcnt(1) lgkmcnt(0)
	v_fma_f32 v2, v77, v80, 0
	s_delay_alu instid0(VALU_DEP_1) | instskip(NEXT) | instid1(VALU_DEP_1)
	v_fmac_f32_e32 v2, v78, v81
	v_fmac_f32_e32 v2, v79, v82
	s_waitcnt vmcnt(0)
	s_delay_alu instid0(VALU_DEP_1) | instskip(NEXT) | instid1(VALU_DEP_1)
	v_fmac_f32_e32 v2, v3, v83
	v_sub_f32_e32 v2, v76, v2
	scratch_store_b32 off, v2, off offset:124
	v_cmpx_lt_u32_e32 30, v0
	s_cbranch_execz .LBB35_163
; %bb.162:
	scratch_load_b32 v2, off, off offset:120
	v_mov_b32_e32 v3, 0
	scratch_store_b32 off, v3, off offset:120
	s_waitcnt vmcnt(0)
	ds_store_b32 v1, v2
.LBB35_163:
	s_or_b32 exec_lo, exec_lo, s0
	s_waitcnt lgkmcnt(0)
	s_waitcnt_vscnt null, 0x0
	s_barrier
	buffer_gl0_inv
	s_clause 0x1
	scratch_load_b128 v[76:79], off, off offset:120
	scratch_load_b64 v[80:81], off, off offset:136
	v_mov_b32_e32 v2, 0
	ds_load_2addr_b32 v[82:83], v2 offset0:67 offset1:68
	ds_load_2addr_b32 v[84:85], v2 offset0:69 offset1:70
	ds_load_b32 v3, v2 offset:284
	s_mov_b32 s0, exec_lo
	s_waitcnt vmcnt(1) lgkmcnt(2)
	v_fma_f32 v77, v77, v82, 0
	s_delay_alu instid0(VALU_DEP_1) | instskip(SKIP_1) | instid1(VALU_DEP_1)
	v_fmac_f32_e32 v77, v78, v83
	s_waitcnt lgkmcnt(1)
	v_fmac_f32_e32 v77, v79, v84
	s_waitcnt vmcnt(0)
	s_delay_alu instid0(VALU_DEP_1) | instskip(SKIP_1) | instid1(VALU_DEP_1)
	v_fmac_f32_e32 v77, v80, v85
	s_waitcnt lgkmcnt(0)
	v_fmac_f32_e32 v77, v81, v3
	s_delay_alu instid0(VALU_DEP_1)
	v_sub_f32_e32 v3, v76, v77
	scratch_store_b32 off, v3, off offset:120
	v_cmpx_lt_u32_e32 29, v0
	s_cbranch_execz .LBB35_165
; %bb.164:
	scratch_load_b32 v3, off, off offset:116
	scratch_store_b32 off, v2, off offset:116
	s_waitcnt vmcnt(0)
	ds_store_b32 v1, v3
.LBB35_165:
	s_or_b32 exec_lo, exec_lo, s0
	s_waitcnt lgkmcnt(0)
	s_waitcnt_vscnt null, 0x0
	s_barrier
	buffer_gl0_inv
	s_clause 0x1
	scratch_load_b128 v[76:79], off, off offset:116
	scratch_load_b96 v[84:86], off, off offset:132
	ds_load_2addr_b64 v[80:83], v2 offset0:33 offset1:34
	ds_load_b64 v[2:3], v2 offset:280
	s_mov_b32 s0, exec_lo
	s_waitcnt vmcnt(1) lgkmcnt(1)
	v_fma_f32 v77, v77, v80, 0
	s_delay_alu instid0(VALU_DEP_1) | instskip(NEXT) | instid1(VALU_DEP_1)
	v_fmac_f32_e32 v77, v78, v81
	v_fmac_f32_e32 v77, v79, v82
	s_waitcnt vmcnt(0)
	s_delay_alu instid0(VALU_DEP_1) | instskip(SKIP_1) | instid1(VALU_DEP_1)
	v_fmac_f32_e32 v77, v84, v83
	s_waitcnt lgkmcnt(0)
	v_fmac_f32_e32 v77, v85, v2
	s_delay_alu instid0(VALU_DEP_1) | instskip(NEXT) | instid1(VALU_DEP_1)
	v_fmac_f32_e32 v77, v86, v3
	v_sub_f32_e32 v2, v76, v77
	scratch_store_b32 off, v2, off offset:116
	v_cmpx_lt_u32_e32 28, v0
	s_cbranch_execz .LBB35_167
; %bb.166:
	scratch_load_b32 v2, off, off offset:112
	v_mov_b32_e32 v3, 0
	scratch_store_b32 off, v3, off offset:112
	s_waitcnt vmcnt(0)
	ds_store_b32 v1, v2
.LBB35_167:
	s_or_b32 exec_lo, exec_lo, s0
	s_waitcnt lgkmcnt(0)
	s_waitcnt_vscnt null, 0x0
	s_barrier
	buffer_gl0_inv
	s_clause 0x1
	scratch_load_b128 v[76:79], off, off offset:112
	scratch_load_b128 v[80:83], off, off offset:128
	v_mov_b32_e32 v2, 0
	ds_load_2addr_b32 v[84:85], v2 offset0:65 offset1:66
	ds_load_2addr_b32 v[86:87], v2 offset0:67 offset1:68
	;; [unrolled: 1-line block ×3, first 2 shown]
	ds_load_b32 v3, v2 offset:284
	s_mov_b32 s0, exec_lo
	s_waitcnt vmcnt(1) lgkmcnt(3)
	v_fma_f32 v77, v77, v84, 0
	s_delay_alu instid0(VALU_DEP_1) | instskip(SKIP_1) | instid1(VALU_DEP_1)
	v_fmac_f32_e32 v77, v78, v85
	s_waitcnt lgkmcnt(2)
	v_fmac_f32_e32 v77, v79, v86
	s_waitcnt vmcnt(0)
	s_delay_alu instid0(VALU_DEP_1) | instskip(SKIP_1) | instid1(VALU_DEP_1)
	v_fmac_f32_e32 v77, v80, v87
	s_waitcnt lgkmcnt(1)
	v_fmac_f32_e32 v77, v81, v88
	s_delay_alu instid0(VALU_DEP_1) | instskip(SKIP_1) | instid1(VALU_DEP_1)
	v_fmac_f32_e32 v77, v82, v89
	s_waitcnt lgkmcnt(0)
	v_fmac_f32_e32 v77, v83, v3
	s_delay_alu instid0(VALU_DEP_1)
	v_sub_f32_e32 v3, v76, v77
	scratch_store_b32 off, v3, off offset:112
	v_cmpx_lt_u32_e32 27, v0
	s_cbranch_execz .LBB35_169
; %bb.168:
	scratch_load_b32 v3, off, off offset:108
	scratch_store_b32 off, v2, off offset:108
	s_waitcnt vmcnt(0)
	ds_store_b32 v1, v3
.LBB35_169:
	s_or_b32 exec_lo, exec_lo, s0
	s_waitcnt lgkmcnt(0)
	s_waitcnt_vscnt null, 0x0
	s_barrier
	buffer_gl0_inv
	s_clause 0x2
	scratch_load_b128 v[76:79], off, off offset:108
	scratch_load_b128 v[80:83], off, off offset:124
	scratch_load_b32 v3, off, off offset:140
	ds_load_b128 v[84:87], v2 offset:256
	ds_load_b128 v[88:91], v2 offset:272
	s_mov_b32 s0, exec_lo
	s_waitcnt vmcnt(2) lgkmcnt(1)
	v_fma_f32 v2, v77, v84, 0
	s_delay_alu instid0(VALU_DEP_1) | instskip(NEXT) | instid1(VALU_DEP_1)
	v_fmac_f32_e32 v2, v78, v85
	v_fmac_f32_e32 v2, v79, v86
	s_waitcnt vmcnt(1)
	s_delay_alu instid0(VALU_DEP_1) | instskip(SKIP_1) | instid1(VALU_DEP_1)
	v_fmac_f32_e32 v2, v80, v87
	s_waitcnt lgkmcnt(0)
	v_fmac_f32_e32 v2, v81, v88
	s_delay_alu instid0(VALU_DEP_1) | instskip(NEXT) | instid1(VALU_DEP_1)
	v_fmac_f32_e32 v2, v82, v89
	v_fmac_f32_e32 v2, v83, v90
	s_waitcnt vmcnt(0)
	s_delay_alu instid0(VALU_DEP_1) | instskip(NEXT) | instid1(VALU_DEP_1)
	v_fmac_f32_e32 v2, v3, v91
	v_sub_f32_e32 v2, v76, v2
	scratch_store_b32 off, v2, off offset:108
	v_cmpx_lt_u32_e32 26, v0
	s_cbranch_execz .LBB35_171
; %bb.170:
	scratch_load_b32 v2, off, off offset:104
	v_mov_b32_e32 v3, 0
	scratch_store_b32 off, v3, off offset:104
	s_waitcnt vmcnt(0)
	ds_store_b32 v1, v2
.LBB35_171:
	s_or_b32 exec_lo, exec_lo, s0
	s_waitcnt lgkmcnt(0)
	s_waitcnt_vscnt null, 0x0
	s_barrier
	buffer_gl0_inv
	s_clause 0x2
	scratch_load_b128 v[76:79], off, off offset:104
	scratch_load_b128 v[80:83], off, off offset:120
	scratch_load_b64 v[84:85], off, off offset:136
	v_mov_b32_e32 v2, 0
	ds_load_2addr_b32 v[86:87], v2 offset0:63 offset1:64
	ds_load_2addr_b32 v[88:89], v2 offset0:65 offset1:66
	;; [unrolled: 1-line block ×4, first 2 shown]
	s_mov_b32 s0, exec_lo
	s_waitcnt vmcnt(2) lgkmcnt(3)
	v_fma_f32 v3, v77, v86, 0
	s_delay_alu instid0(VALU_DEP_1) | instskip(SKIP_4) | instid1(VALU_DEP_1)
	v_fmac_f32_e32 v3, v78, v87
	ds_load_b32 v77, v2 offset:284
	s_waitcnt lgkmcnt(3)
	v_fmac_f32_e32 v3, v79, v88
	s_waitcnt vmcnt(1)
	v_fmac_f32_e32 v3, v80, v89
	s_waitcnt lgkmcnt(2)
	s_delay_alu instid0(VALU_DEP_1) | instskip(NEXT) | instid1(VALU_DEP_1)
	v_fmac_f32_e32 v3, v81, v90
	v_fmac_f32_e32 v3, v82, v91
	s_waitcnt lgkmcnt(1)
	s_delay_alu instid0(VALU_DEP_1) | instskip(SKIP_1) | instid1(VALU_DEP_1)
	v_fmac_f32_e32 v3, v83, v92
	s_waitcnt vmcnt(0)
	v_fmac_f32_e32 v3, v84, v93
	s_waitcnt lgkmcnt(0)
	s_delay_alu instid0(VALU_DEP_1) | instskip(NEXT) | instid1(VALU_DEP_1)
	v_fmac_f32_e32 v3, v85, v77
	v_sub_f32_e32 v3, v76, v3
	scratch_store_b32 off, v3, off offset:104
	v_cmpx_lt_u32_e32 25, v0
	s_cbranch_execz .LBB35_173
; %bb.172:
	scratch_load_b32 v3, off, off offset:100
	scratch_store_b32 off, v2, off offset:100
	s_waitcnt vmcnt(0)
	ds_store_b32 v1, v3
.LBB35_173:
	s_or_b32 exec_lo, exec_lo, s0
	s_waitcnt lgkmcnt(0)
	s_waitcnt_vscnt null, 0x0
	s_barrier
	buffer_gl0_inv
	s_clause 0x2
	scratch_load_b128 v[76:79], off, off offset:100
	scratch_load_b128 v[80:83], off, off offset:116
	scratch_load_b96 v[92:94], off, off offset:132
	ds_load_2addr_b64 v[84:87], v2 offset0:31 offset1:32
	ds_load_2addr_b64 v[88:91], v2 offset0:33 offset1:34
	ds_load_b64 v[2:3], v2 offset:280
	s_mov_b32 s0, exec_lo
	s_waitcnt vmcnt(2) lgkmcnt(2)
	v_fma_f32 v77, v77, v84, 0
	s_delay_alu instid0(VALU_DEP_1) | instskip(NEXT) | instid1(VALU_DEP_1)
	v_fmac_f32_e32 v77, v78, v85
	v_fmac_f32_e32 v77, v79, v86
	s_waitcnt vmcnt(1)
	s_delay_alu instid0(VALU_DEP_1) | instskip(SKIP_1) | instid1(VALU_DEP_1)
	v_fmac_f32_e32 v77, v80, v87
	s_waitcnt lgkmcnt(1)
	v_fmac_f32_e32 v77, v81, v88
	s_delay_alu instid0(VALU_DEP_1) | instskip(NEXT) | instid1(VALU_DEP_1)
	v_fmac_f32_e32 v77, v82, v89
	v_fmac_f32_e32 v77, v83, v90
	s_waitcnt vmcnt(0)
	s_delay_alu instid0(VALU_DEP_1) | instskip(SKIP_1) | instid1(VALU_DEP_1)
	v_fmac_f32_e32 v77, v92, v91
	s_waitcnt lgkmcnt(0)
	v_fmac_f32_e32 v77, v93, v2
	s_delay_alu instid0(VALU_DEP_1) | instskip(NEXT) | instid1(VALU_DEP_1)
	v_fmac_f32_e32 v77, v94, v3
	v_sub_f32_e32 v2, v76, v77
	scratch_store_b32 off, v2, off offset:100
	v_cmpx_lt_u32_e32 24, v0
	s_cbranch_execz .LBB35_175
; %bb.174:
	scratch_load_b32 v2, off, off offset:96
	v_mov_b32_e32 v3, 0
	scratch_store_b32 off, v3, off offset:96
	s_waitcnt vmcnt(0)
	ds_store_b32 v1, v2
.LBB35_175:
	s_or_b32 exec_lo, exec_lo, s0
	s_waitcnt lgkmcnt(0)
	s_waitcnt_vscnt null, 0x0
	s_barrier
	buffer_gl0_inv
	s_clause 0x2
	scratch_load_b128 v[76:79], off, off offset:96
	scratch_load_b128 v[80:83], off, off offset:112
	;; [unrolled: 1-line block ×3, first 2 shown]
	v_mov_b32_e32 v2, 0
	ds_load_2addr_b32 v[88:89], v2 offset0:61 offset1:62
	ds_load_2addr_b32 v[90:91], v2 offset0:63 offset1:64
	;; [unrolled: 1-line block ×4, first 2 shown]
	s_mov_b32 s0, exec_lo
	s_waitcnt vmcnt(2) lgkmcnt(3)
	v_fma_f32 v3, v77, v88, 0
	s_delay_alu instid0(VALU_DEP_1)
	v_fmac_f32_e32 v3, v78, v89
	ds_load_2addr_b32 v[77:78], v2 offset0:69 offset1:70
	s_waitcnt lgkmcnt(3)
	v_fmac_f32_e32 v3, v79, v90
	ds_load_b32 v79, v2 offset:284
	s_waitcnt vmcnt(1)
	v_fmac_f32_e32 v3, v80, v91
	s_waitcnt lgkmcnt(3)
	s_delay_alu instid0(VALU_DEP_1) | instskip(NEXT) | instid1(VALU_DEP_1)
	v_fmac_f32_e32 v3, v81, v92
	v_fmac_f32_e32 v3, v82, v93
	s_waitcnt lgkmcnt(2)
	s_delay_alu instid0(VALU_DEP_1) | instskip(SKIP_1) | instid1(VALU_DEP_1)
	v_fmac_f32_e32 v3, v83, v94
	s_waitcnt vmcnt(0)
	v_fmac_f32_e32 v3, v84, v95
	s_waitcnt lgkmcnt(1)
	s_delay_alu instid0(VALU_DEP_1) | instskip(NEXT) | instid1(VALU_DEP_1)
	v_fmac_f32_e32 v3, v85, v77
	v_fmac_f32_e32 v3, v86, v78
	s_waitcnt lgkmcnt(0)
	s_delay_alu instid0(VALU_DEP_1) | instskip(NEXT) | instid1(VALU_DEP_1)
	v_fmac_f32_e32 v3, v87, v79
	v_sub_f32_e32 v3, v76, v3
	scratch_store_b32 off, v3, off offset:96
	v_cmpx_lt_u32_e32 23, v0
	s_cbranch_execz .LBB35_177
; %bb.176:
	scratch_load_b32 v3, off, off offset:92
	scratch_store_b32 off, v2, off offset:92
	s_waitcnt vmcnt(0)
	ds_store_b32 v1, v3
.LBB35_177:
	s_or_b32 exec_lo, exec_lo, s0
	s_waitcnt lgkmcnt(0)
	s_waitcnt_vscnt null, 0x0
	s_barrier
	buffer_gl0_inv
	s_clause 0x3
	scratch_load_b128 v[76:79], off, off offset:92
	scratch_load_b128 v[80:83], off, off offset:108
	;; [unrolled: 1-line block ×3, first 2 shown]
	scratch_load_b32 v3, off, off offset:140
	ds_load_b128 v[88:91], v2 offset:240
	ds_load_b128 v[92:95], v2 offset:256
	s_mov_b32 s0, exec_lo
	s_waitcnt vmcnt(3) lgkmcnt(1)
	v_fma_f32 v88, v77, v88, 0
	s_delay_alu instid0(VALU_DEP_1) | instskip(NEXT) | instid1(VALU_DEP_1)
	v_fmac_f32_e32 v88, v78, v89
	v_fmac_f32_e32 v88, v79, v90
	s_waitcnt vmcnt(2)
	s_delay_alu instid0(VALU_DEP_1) | instskip(SKIP_3) | instid1(VALU_DEP_1)
	v_fmac_f32_e32 v88, v80, v91
	ds_load_b128 v[77:80], v2 offset:272
	s_waitcnt lgkmcnt(1)
	v_fmac_f32_e32 v88, v81, v92
	v_fmac_f32_e32 v88, v82, v93
	s_delay_alu instid0(VALU_DEP_1) | instskip(SKIP_1) | instid1(VALU_DEP_1)
	v_fmac_f32_e32 v88, v83, v94
	s_waitcnt vmcnt(1)
	v_fmac_f32_e32 v88, v84, v95
	s_waitcnt lgkmcnt(0)
	s_delay_alu instid0(VALU_DEP_1) | instskip(NEXT) | instid1(VALU_DEP_1)
	v_fmac_f32_e32 v88, v85, v77
	v_fmac_f32_e32 v88, v86, v78
	s_delay_alu instid0(VALU_DEP_1) | instskip(SKIP_1) | instid1(VALU_DEP_1)
	v_fmac_f32_e32 v88, v87, v79
	s_waitcnt vmcnt(0)
	v_fmac_f32_e32 v88, v3, v80
	s_delay_alu instid0(VALU_DEP_1)
	v_sub_f32_e32 v2, v76, v88
	scratch_store_b32 off, v2, off offset:92
	v_cmpx_lt_u32_e32 22, v0
	s_cbranch_execz .LBB35_179
; %bb.178:
	scratch_load_b32 v2, off, off offset:88
	v_mov_b32_e32 v3, 0
	scratch_store_b32 off, v3, off offset:88
	s_waitcnt vmcnt(0)
	ds_store_b32 v1, v2
.LBB35_179:
	s_or_b32 exec_lo, exec_lo, s0
	s_waitcnt lgkmcnt(0)
	s_waitcnt_vscnt null, 0x0
	s_barrier
	buffer_gl0_inv
	s_clause 0x3
	scratch_load_b128 v[76:79], off, off offset:88
	scratch_load_b128 v[80:83], off, off offset:104
	;; [unrolled: 1-line block ×3, first 2 shown]
	scratch_load_b64 v[88:89], off, off offset:136
	v_mov_b32_e32 v2, 0
	ds_load_2addr_b32 v[90:91], v2 offset0:59 offset1:60
	ds_load_2addr_b32 v[92:93], v2 offset0:61 offset1:62
	;; [unrolled: 1-line block ×4, first 2 shown]
	s_mov_b32 s0, exec_lo
	s_waitcnt vmcnt(3) lgkmcnt(3)
	v_fma_f32 v3, v77, v90, 0
	s_delay_alu instid0(VALU_DEP_1) | instskip(SKIP_4) | instid1(VALU_DEP_1)
	v_fmac_f32_e32 v3, v78, v91
	ds_load_2addr_b32 v[77:78], v2 offset0:67 offset1:68
	s_waitcnt lgkmcnt(3)
	v_fmac_f32_e32 v3, v79, v92
	s_waitcnt vmcnt(2)
	v_fmac_f32_e32 v3, v80, v93
	ds_load_2addr_b32 v[79:80], v2 offset0:69 offset1:70
	s_waitcnt lgkmcnt(3)
	v_fmac_f32_e32 v3, v81, v94
	ds_load_b32 v81, v2 offset:284
	v_fmac_f32_e32 v3, v82, v95
	s_waitcnt lgkmcnt(3)
	s_delay_alu instid0(VALU_DEP_1) | instskip(SKIP_1) | instid1(VALU_DEP_1)
	v_fmac_f32_e32 v3, v83, v96
	s_waitcnt vmcnt(1)
	v_fmac_f32_e32 v3, v84, v97
	s_waitcnt lgkmcnt(2)
	s_delay_alu instid0(VALU_DEP_1) | instskip(NEXT) | instid1(VALU_DEP_1)
	v_fmac_f32_e32 v3, v85, v77
	v_fmac_f32_e32 v3, v86, v78
	s_waitcnt lgkmcnt(1)
	s_delay_alu instid0(VALU_DEP_1) | instskip(SKIP_1) | instid1(VALU_DEP_1)
	v_fmac_f32_e32 v3, v87, v79
	s_waitcnt vmcnt(0)
	v_fmac_f32_e32 v3, v88, v80
	s_waitcnt lgkmcnt(0)
	s_delay_alu instid0(VALU_DEP_1) | instskip(NEXT) | instid1(VALU_DEP_1)
	v_fmac_f32_e32 v3, v89, v81
	v_sub_f32_e32 v3, v76, v3
	scratch_store_b32 off, v3, off offset:88
	v_cmpx_lt_u32_e32 21, v0
	s_cbranch_execz .LBB35_181
; %bb.180:
	scratch_load_b32 v3, off, off offset:84
	scratch_store_b32 off, v2, off offset:84
	s_waitcnt vmcnt(0)
	ds_store_b32 v1, v3
.LBB35_181:
	s_or_b32 exec_lo, exec_lo, s0
	s_waitcnt lgkmcnt(0)
	s_waitcnt_vscnt null, 0x0
	s_barrier
	buffer_gl0_inv
	s_clause 0x3
	scratch_load_b128 v[76:79], off, off offset:84
	scratch_load_b128 v[80:83], off, off offset:100
	;; [unrolled: 1-line block ×3, first 2 shown]
	scratch_load_b96 v[96:98], off, off offset:132
	ds_load_2addr_b64 v[88:91], v2 offset0:29 offset1:30
	ds_load_2addr_b64 v[92:95], v2 offset0:31 offset1:32
	s_mov_b32 s0, exec_lo
	s_waitcnt vmcnt(3) lgkmcnt(1)
	v_fma_f32 v88, v77, v88, 0
	s_delay_alu instid0(VALU_DEP_1) | instskip(NEXT) | instid1(VALU_DEP_1)
	v_fmac_f32_e32 v88, v78, v89
	v_fmac_f32_e32 v88, v79, v90
	s_waitcnt vmcnt(2)
	s_delay_alu instid0(VALU_DEP_1) | instskip(SKIP_4) | instid1(VALU_DEP_1)
	v_fmac_f32_e32 v88, v80, v91
	ds_load_2addr_b64 v[77:80], v2 offset0:33 offset1:34
	ds_load_b64 v[2:3], v2 offset:280
	s_waitcnt lgkmcnt(2)
	v_fmac_f32_e32 v88, v81, v92
	v_fmac_f32_e32 v88, v82, v93
	s_delay_alu instid0(VALU_DEP_1) | instskip(SKIP_1) | instid1(VALU_DEP_1)
	v_fmac_f32_e32 v88, v83, v94
	s_waitcnt vmcnt(1)
	v_fmac_f32_e32 v88, v84, v95
	s_waitcnt lgkmcnt(1)
	s_delay_alu instid0(VALU_DEP_1) | instskip(NEXT) | instid1(VALU_DEP_1)
	v_fmac_f32_e32 v88, v85, v77
	v_fmac_f32_e32 v88, v86, v78
	s_delay_alu instid0(VALU_DEP_1) | instskip(SKIP_1) | instid1(VALU_DEP_1)
	v_fmac_f32_e32 v88, v87, v79
	s_waitcnt vmcnt(0)
	v_fmac_f32_e32 v88, v96, v80
	s_waitcnt lgkmcnt(0)
	s_delay_alu instid0(VALU_DEP_1) | instskip(NEXT) | instid1(VALU_DEP_1)
	v_fmac_f32_e32 v88, v97, v2
	v_fmac_f32_e32 v88, v98, v3
	s_delay_alu instid0(VALU_DEP_1)
	v_sub_f32_e32 v2, v76, v88
	scratch_store_b32 off, v2, off offset:84
	v_cmpx_lt_u32_e32 20, v0
	s_cbranch_execz .LBB35_183
; %bb.182:
	scratch_load_b32 v2, off, off offset:80
	v_mov_b32_e32 v3, 0
	scratch_store_b32 off, v3, off offset:80
	s_waitcnt vmcnt(0)
	ds_store_b32 v1, v2
.LBB35_183:
	s_or_b32 exec_lo, exec_lo, s0
	s_waitcnt lgkmcnt(0)
	s_waitcnt_vscnt null, 0x0
	s_barrier
	buffer_gl0_inv
	s_clause 0x3
	scratch_load_b128 v[76:79], off, off offset:80
	scratch_load_b128 v[80:83], off, off offset:96
	;; [unrolled: 1-line block ×4, first 2 shown]
	v_mov_b32_e32 v2, 0
	ds_load_2addr_b32 v[92:93], v2 offset0:57 offset1:58
	ds_load_2addr_b32 v[94:95], v2 offset0:59 offset1:60
	;; [unrolled: 1-line block ×4, first 2 shown]
	s_mov_b32 s0, exec_lo
	s_waitcnt vmcnt(3) lgkmcnt(3)
	v_fma_f32 v3, v77, v92, 0
	s_delay_alu instid0(VALU_DEP_1) | instskip(SKIP_4) | instid1(VALU_DEP_1)
	v_fmac_f32_e32 v3, v78, v93
	ds_load_2addr_b32 v[77:78], v2 offset0:65 offset1:66
	s_waitcnt lgkmcnt(3)
	v_fmac_f32_e32 v3, v79, v94
	s_waitcnt vmcnt(2)
	v_fmac_f32_e32 v3, v80, v95
	ds_load_2addr_b32 v[79:80], v2 offset0:67 offset1:68
	s_waitcnt lgkmcnt(3)
	v_fmac_f32_e32 v3, v81, v96
	s_delay_alu instid0(VALU_DEP_1) | instskip(SKIP_1) | instid1(VALU_DEP_1)
	v_fmac_f32_e32 v3, v82, v97
	s_waitcnt lgkmcnt(2)
	v_fmac_f32_e32 v3, v83, v98
	ds_load_2addr_b32 v[81:82], v2 offset0:69 offset1:70
	ds_load_b32 v83, v2 offset:284
	s_waitcnt vmcnt(1)
	v_fmac_f32_e32 v3, v84, v99
	s_waitcnt lgkmcnt(3)
	s_delay_alu instid0(VALU_DEP_1) | instskip(NEXT) | instid1(VALU_DEP_1)
	v_fmac_f32_e32 v3, v85, v77
	v_fmac_f32_e32 v3, v86, v78
	s_waitcnt lgkmcnt(2)
	s_delay_alu instid0(VALU_DEP_1) | instskip(SKIP_1) | instid1(VALU_DEP_1)
	v_fmac_f32_e32 v3, v87, v79
	s_waitcnt vmcnt(0)
	v_fmac_f32_e32 v3, v88, v80
	s_waitcnt lgkmcnt(1)
	s_delay_alu instid0(VALU_DEP_1) | instskip(NEXT) | instid1(VALU_DEP_1)
	v_fmac_f32_e32 v3, v89, v81
	v_fmac_f32_e32 v3, v90, v82
	s_waitcnt lgkmcnt(0)
	s_delay_alu instid0(VALU_DEP_1) | instskip(NEXT) | instid1(VALU_DEP_1)
	v_fmac_f32_e32 v3, v91, v83
	v_sub_f32_e32 v3, v76, v3
	scratch_store_b32 off, v3, off offset:80
	v_cmpx_lt_u32_e32 19, v0
	s_cbranch_execz .LBB35_185
; %bb.184:
	scratch_load_b32 v3, off, off offset:76
	scratch_store_b32 off, v2, off offset:76
	s_waitcnt vmcnt(0)
	ds_store_b32 v1, v3
.LBB35_185:
	s_or_b32 exec_lo, exec_lo, s0
	s_waitcnt lgkmcnt(0)
	s_waitcnt_vscnt null, 0x0
	s_barrier
	buffer_gl0_inv
	s_clause 0x4
	scratch_load_b128 v[76:79], off, off offset:76
	scratch_load_b128 v[80:83], off, off offset:92
	scratch_load_b128 v[84:87], off, off offset:108
	scratch_load_b128 v[88:91], off, off offset:124
	scratch_load_b32 v3, off, off offset:140
	ds_load_b128 v[92:95], v2 offset:224
	ds_load_b128 v[96:99], v2 offset:240
	s_mov_b32 s0, exec_lo
	s_waitcnt vmcnt(4) lgkmcnt(1)
	v_fma_f32 v92, v77, v92, 0
	s_delay_alu instid0(VALU_DEP_1) | instskip(NEXT) | instid1(VALU_DEP_1)
	v_fmac_f32_e32 v92, v78, v93
	v_fmac_f32_e32 v92, v79, v94
	s_waitcnt vmcnt(3)
	s_delay_alu instid0(VALU_DEP_1) | instskip(SKIP_3) | instid1(VALU_DEP_1)
	v_fmac_f32_e32 v92, v80, v95
	ds_load_b128 v[77:80], v2 offset:256
	s_waitcnt lgkmcnt(1)
	v_fmac_f32_e32 v92, v81, v96
	v_fmac_f32_e32 v92, v82, v97
	s_delay_alu instid0(VALU_DEP_1) | instskip(SKIP_1) | instid1(VALU_DEP_1)
	v_fmac_f32_e32 v92, v83, v98
	s_waitcnt vmcnt(2)
	v_fmac_f32_e32 v92, v84, v99
	ds_load_b128 v[81:84], v2 offset:272
	s_waitcnt lgkmcnt(1)
	v_fmac_f32_e32 v92, v85, v77
	s_delay_alu instid0(VALU_DEP_1) | instskip(NEXT) | instid1(VALU_DEP_1)
	v_fmac_f32_e32 v92, v86, v78
	v_fmac_f32_e32 v92, v87, v79
	s_waitcnt vmcnt(1)
	s_delay_alu instid0(VALU_DEP_1) | instskip(SKIP_1) | instid1(VALU_DEP_1)
	v_fmac_f32_e32 v92, v88, v80
	s_waitcnt lgkmcnt(0)
	v_fmac_f32_e32 v92, v89, v81
	s_delay_alu instid0(VALU_DEP_1) | instskip(NEXT) | instid1(VALU_DEP_1)
	v_fmac_f32_e32 v92, v90, v82
	v_fmac_f32_e32 v92, v91, v83
	s_waitcnt vmcnt(0)
	s_delay_alu instid0(VALU_DEP_1) | instskip(NEXT) | instid1(VALU_DEP_1)
	v_fmac_f32_e32 v92, v3, v84
	v_sub_f32_e32 v2, v76, v92
	scratch_store_b32 off, v2, off offset:76
	v_cmpx_lt_u32_e32 18, v0
	s_cbranch_execz .LBB35_187
; %bb.186:
	scratch_load_b32 v2, off, off offset:72
	v_mov_b32_e32 v3, 0
	scratch_store_b32 off, v3, off offset:72
	s_waitcnt vmcnt(0)
	ds_store_b32 v1, v2
.LBB35_187:
	s_or_b32 exec_lo, exec_lo, s0
	s_waitcnt lgkmcnt(0)
	s_waitcnt_vscnt null, 0x0
	s_barrier
	buffer_gl0_inv
	s_clause 0x4
	scratch_load_b128 v[76:79], off, off offset:72
	scratch_load_b128 v[80:83], off, off offset:88
	;; [unrolled: 1-line block ×4, first 2 shown]
	scratch_load_b64 v[92:93], off, off offset:136
	v_mov_b32_e32 v2, 0
	ds_load_2addr_b32 v[94:95], v2 offset0:55 offset1:56
	ds_load_2addr_b32 v[96:97], v2 offset0:57 offset1:58
	;; [unrolled: 1-line block ×4, first 2 shown]
	s_mov_b32 s0, exec_lo
	s_waitcnt vmcnt(4) lgkmcnt(3)
	v_fma_f32 v3, v77, v94, 0
	s_delay_alu instid0(VALU_DEP_1) | instskip(SKIP_4) | instid1(VALU_DEP_1)
	v_fmac_f32_e32 v3, v78, v95
	ds_load_2addr_b32 v[77:78], v2 offset0:63 offset1:64
	s_waitcnt lgkmcnt(3)
	v_fmac_f32_e32 v3, v79, v96
	s_waitcnt vmcnt(3)
	v_fmac_f32_e32 v3, v80, v97
	ds_load_2addr_b32 v[79:80], v2 offset0:65 offset1:66
	s_waitcnt lgkmcnt(3)
	v_fmac_f32_e32 v3, v81, v98
	s_delay_alu instid0(VALU_DEP_1) | instskip(SKIP_1) | instid1(VALU_DEP_1)
	v_fmac_f32_e32 v3, v82, v99
	s_waitcnt lgkmcnt(2)
	v_fmac_f32_e32 v3, v83, v100
	s_waitcnt vmcnt(2)
	s_delay_alu instid0(VALU_DEP_1)
	v_fmac_f32_e32 v3, v84, v101
	ds_load_2addr_b32 v[81:82], v2 offset0:67 offset1:68
	ds_load_2addr_b32 v[83:84], v2 offset0:69 offset1:70
	s_waitcnt lgkmcnt(3)
	v_fmac_f32_e32 v3, v85, v77
	ds_load_b32 v77, v2 offset:284
	v_fmac_f32_e32 v3, v86, v78
	s_waitcnt lgkmcnt(3)
	s_delay_alu instid0(VALU_DEP_1) | instskip(SKIP_1) | instid1(VALU_DEP_1)
	v_fmac_f32_e32 v3, v87, v79
	s_waitcnt vmcnt(1)
	v_fmac_f32_e32 v3, v88, v80
	s_waitcnt lgkmcnt(2)
	s_delay_alu instid0(VALU_DEP_1) | instskip(NEXT) | instid1(VALU_DEP_1)
	v_fmac_f32_e32 v3, v89, v81
	v_fmac_f32_e32 v3, v90, v82
	s_waitcnt lgkmcnt(1)
	s_delay_alu instid0(VALU_DEP_1) | instskip(SKIP_1) | instid1(VALU_DEP_1)
	v_fmac_f32_e32 v3, v91, v83
	s_waitcnt vmcnt(0)
	v_fmac_f32_e32 v3, v92, v84
	s_waitcnt lgkmcnt(0)
	s_delay_alu instid0(VALU_DEP_1) | instskip(NEXT) | instid1(VALU_DEP_1)
	v_fmac_f32_e32 v3, v93, v77
	v_sub_f32_e32 v3, v76, v3
	scratch_store_b32 off, v3, off offset:72
	v_cmpx_lt_u32_e32 17, v0
	s_cbranch_execz .LBB35_189
; %bb.188:
	scratch_load_b32 v3, off, off offset:68
	scratch_store_b32 off, v2, off offset:68
	s_waitcnt vmcnt(0)
	ds_store_b32 v1, v3
.LBB35_189:
	s_or_b32 exec_lo, exec_lo, s0
	s_waitcnt lgkmcnt(0)
	s_waitcnt_vscnt null, 0x0
	s_barrier
	buffer_gl0_inv
	s_clause 0x4
	scratch_load_b128 v[76:79], off, off offset:68
	scratch_load_b128 v[80:83], off, off offset:84
	;; [unrolled: 1-line block ×4, first 2 shown]
	scratch_load_b96 v[100:102], off, off offset:132
	ds_load_2addr_b64 v[92:95], v2 offset0:27 offset1:28
	ds_load_2addr_b64 v[96:99], v2 offset0:29 offset1:30
	s_mov_b32 s0, exec_lo
	s_waitcnt vmcnt(4) lgkmcnt(1)
	v_fma_f32 v92, v77, v92, 0
	s_delay_alu instid0(VALU_DEP_1) | instskip(NEXT) | instid1(VALU_DEP_1)
	v_fmac_f32_e32 v92, v78, v93
	v_fmac_f32_e32 v92, v79, v94
	s_waitcnt vmcnt(3)
	s_delay_alu instid0(VALU_DEP_1) | instskip(SKIP_3) | instid1(VALU_DEP_1)
	v_fmac_f32_e32 v92, v80, v95
	ds_load_2addr_b64 v[77:80], v2 offset0:31 offset1:32
	s_waitcnt lgkmcnt(1)
	v_fmac_f32_e32 v92, v81, v96
	v_fmac_f32_e32 v92, v82, v97
	s_delay_alu instid0(VALU_DEP_1) | instskip(SKIP_1) | instid1(VALU_DEP_1)
	v_fmac_f32_e32 v92, v83, v98
	s_waitcnt vmcnt(2)
	v_fmac_f32_e32 v92, v84, v99
	ds_load_2addr_b64 v[81:84], v2 offset0:33 offset1:34
	ds_load_b64 v[2:3], v2 offset:280
	s_waitcnt lgkmcnt(2)
	v_fmac_f32_e32 v92, v85, v77
	s_delay_alu instid0(VALU_DEP_1) | instskip(NEXT) | instid1(VALU_DEP_1)
	v_fmac_f32_e32 v92, v86, v78
	v_fmac_f32_e32 v92, v87, v79
	s_waitcnt vmcnt(1)
	s_delay_alu instid0(VALU_DEP_1) | instskip(SKIP_1) | instid1(VALU_DEP_1)
	v_fmac_f32_e32 v92, v88, v80
	s_waitcnt lgkmcnt(1)
	v_fmac_f32_e32 v92, v89, v81
	s_delay_alu instid0(VALU_DEP_1) | instskip(NEXT) | instid1(VALU_DEP_1)
	v_fmac_f32_e32 v92, v90, v82
	v_fmac_f32_e32 v92, v91, v83
	s_waitcnt vmcnt(0)
	s_delay_alu instid0(VALU_DEP_1) | instskip(SKIP_1) | instid1(VALU_DEP_1)
	v_fmac_f32_e32 v92, v100, v84
	s_waitcnt lgkmcnt(0)
	v_fmac_f32_e32 v92, v101, v2
	s_delay_alu instid0(VALU_DEP_1) | instskip(NEXT) | instid1(VALU_DEP_1)
	v_fmac_f32_e32 v92, v102, v3
	v_sub_f32_e32 v2, v76, v92
	scratch_store_b32 off, v2, off offset:68
	v_cmpx_lt_u32_e32 16, v0
	s_cbranch_execz .LBB35_191
; %bb.190:
	scratch_load_b32 v2, off, off offset:64
	v_mov_b32_e32 v3, 0
	scratch_store_b32 off, v3, off offset:64
	s_waitcnt vmcnt(0)
	ds_store_b32 v1, v2
.LBB35_191:
	s_or_b32 exec_lo, exec_lo, s0
	s_waitcnt lgkmcnt(0)
	s_waitcnt_vscnt null, 0x0
	s_barrier
	buffer_gl0_inv
	s_clause 0x4
	scratch_load_b128 v[76:79], off, off offset:64
	scratch_load_b128 v[80:83], off, off offset:80
	;; [unrolled: 1-line block ×5, first 2 shown]
	v_mov_b32_e32 v2, 0
	ds_load_2addr_b32 v[96:97], v2 offset0:53 offset1:54
	ds_load_2addr_b32 v[98:99], v2 offset0:55 offset1:56
	;; [unrolled: 1-line block ×4, first 2 shown]
	s_mov_b32 s0, exec_lo
	s_waitcnt vmcnt(4) lgkmcnt(3)
	v_fma_f32 v3, v77, v96, 0
	s_delay_alu instid0(VALU_DEP_1) | instskip(SKIP_4) | instid1(VALU_DEP_1)
	v_fmac_f32_e32 v3, v78, v97
	ds_load_2addr_b32 v[77:78], v2 offset0:61 offset1:62
	s_waitcnt lgkmcnt(3)
	v_fmac_f32_e32 v3, v79, v98
	s_waitcnt vmcnt(3)
	v_fmac_f32_e32 v3, v80, v99
	ds_load_2addr_b32 v[79:80], v2 offset0:63 offset1:64
	s_waitcnt lgkmcnt(3)
	v_fmac_f32_e32 v3, v81, v100
	s_delay_alu instid0(VALU_DEP_1) | instskip(SKIP_1) | instid1(VALU_DEP_1)
	v_fmac_f32_e32 v3, v82, v101
	s_waitcnt lgkmcnt(2)
	v_fmac_f32_e32 v3, v83, v102
	s_waitcnt vmcnt(2)
	s_delay_alu instid0(VALU_DEP_1) | instskip(SKIP_4) | instid1(VALU_DEP_1)
	v_fmac_f32_e32 v3, v84, v103
	ds_load_2addr_b32 v[81:82], v2 offset0:65 offset1:66
	ds_load_2addr_b32 v[83:84], v2 offset0:67 offset1:68
	s_waitcnt lgkmcnt(3)
	v_fmac_f32_e32 v3, v85, v77
	v_fmac_f32_e32 v3, v86, v78
	ds_load_2addr_b32 v[77:78], v2 offset0:69 offset1:70
	s_waitcnt lgkmcnt(3)
	v_fmac_f32_e32 v3, v87, v79
	ds_load_b32 v79, v2 offset:284
	s_waitcnt vmcnt(1)
	v_fmac_f32_e32 v3, v88, v80
	s_waitcnt lgkmcnt(3)
	s_delay_alu instid0(VALU_DEP_1) | instskip(NEXT) | instid1(VALU_DEP_1)
	v_fmac_f32_e32 v3, v89, v81
	v_fmac_f32_e32 v3, v90, v82
	s_waitcnt lgkmcnt(2)
	s_delay_alu instid0(VALU_DEP_1) | instskip(SKIP_1) | instid1(VALU_DEP_1)
	v_fmac_f32_e32 v3, v91, v83
	s_waitcnt vmcnt(0)
	v_fmac_f32_e32 v3, v92, v84
	s_waitcnt lgkmcnt(1)
	s_delay_alu instid0(VALU_DEP_1) | instskip(NEXT) | instid1(VALU_DEP_1)
	v_fmac_f32_e32 v3, v93, v77
	v_fmac_f32_e32 v3, v94, v78
	s_waitcnt lgkmcnt(0)
	s_delay_alu instid0(VALU_DEP_1) | instskip(NEXT) | instid1(VALU_DEP_1)
	v_fmac_f32_e32 v3, v95, v79
	v_sub_f32_e32 v3, v76, v3
	scratch_store_b32 off, v3, off offset:64
	v_cmpx_lt_u32_e32 15, v0
	s_cbranch_execz .LBB35_193
; %bb.192:
	scratch_load_b32 v3, off, off offset:60
	scratch_store_b32 off, v2, off offset:60
	s_waitcnt vmcnt(0)
	ds_store_b32 v1, v3
.LBB35_193:
	s_or_b32 exec_lo, exec_lo, s0
	s_waitcnt lgkmcnt(0)
	s_waitcnt_vscnt null, 0x0
	s_barrier
	buffer_gl0_inv
	s_clause 0x5
	scratch_load_b128 v[76:79], off, off offset:60
	scratch_load_b128 v[80:83], off, off offset:76
	;; [unrolled: 1-line block ×5, first 2 shown]
	scratch_load_b32 v3, off, off offset:140
	ds_load_b128 v[96:99], v2 offset:208
	ds_load_b128 v[100:103], v2 offset:224
	s_mov_b32 s0, exec_lo
	s_waitcnt vmcnt(5) lgkmcnt(1)
	v_fma_f32 v96, v77, v96, 0
	s_delay_alu instid0(VALU_DEP_1) | instskip(NEXT) | instid1(VALU_DEP_1)
	v_fmac_f32_e32 v96, v78, v97
	v_fmac_f32_e32 v96, v79, v98
	s_waitcnt vmcnt(4)
	s_delay_alu instid0(VALU_DEP_1) | instskip(SKIP_3) | instid1(VALU_DEP_1)
	v_fmac_f32_e32 v96, v80, v99
	ds_load_b128 v[77:80], v2 offset:240
	s_waitcnt lgkmcnt(1)
	v_fmac_f32_e32 v96, v81, v100
	v_fmac_f32_e32 v96, v82, v101
	s_delay_alu instid0(VALU_DEP_1) | instskip(SKIP_1) | instid1(VALU_DEP_1)
	v_fmac_f32_e32 v96, v83, v102
	s_waitcnt vmcnt(3)
	v_fmac_f32_e32 v96, v84, v103
	ds_load_b128 v[81:84], v2 offset:256
	s_waitcnt lgkmcnt(1)
	v_fmac_f32_e32 v96, v85, v77
	s_delay_alu instid0(VALU_DEP_1) | instskip(NEXT) | instid1(VALU_DEP_1)
	v_fmac_f32_e32 v96, v86, v78
	v_fmac_f32_e32 v96, v87, v79
	s_waitcnt vmcnt(2)
	s_delay_alu instid0(VALU_DEP_1) | instskip(SKIP_3) | instid1(VALU_DEP_1)
	v_fmac_f32_e32 v96, v88, v80
	ds_load_b128 v[77:80], v2 offset:272
	s_waitcnt lgkmcnt(1)
	v_fmac_f32_e32 v96, v89, v81
	v_fmac_f32_e32 v96, v90, v82
	s_delay_alu instid0(VALU_DEP_1) | instskip(SKIP_1) | instid1(VALU_DEP_1)
	v_fmac_f32_e32 v96, v91, v83
	s_waitcnt vmcnt(1)
	v_fmac_f32_e32 v96, v92, v84
	s_waitcnt lgkmcnt(0)
	s_delay_alu instid0(VALU_DEP_1) | instskip(NEXT) | instid1(VALU_DEP_1)
	v_fmac_f32_e32 v96, v93, v77
	v_fmac_f32_e32 v96, v94, v78
	s_delay_alu instid0(VALU_DEP_1) | instskip(SKIP_1) | instid1(VALU_DEP_1)
	v_fmac_f32_e32 v96, v95, v79
	s_waitcnt vmcnt(0)
	v_fmac_f32_e32 v96, v3, v80
	s_delay_alu instid0(VALU_DEP_1)
	v_sub_f32_e32 v2, v76, v96
	scratch_store_b32 off, v2, off offset:60
	v_cmpx_lt_u32_e32 14, v0
	s_cbranch_execz .LBB35_195
; %bb.194:
	scratch_load_b32 v2, off, off offset:56
	v_mov_b32_e32 v3, 0
	scratch_store_b32 off, v3, off offset:56
	s_waitcnt vmcnt(0)
	ds_store_b32 v1, v2
.LBB35_195:
	s_or_b32 exec_lo, exec_lo, s0
	s_waitcnt lgkmcnt(0)
	s_waitcnt_vscnt null, 0x0
	s_barrier
	buffer_gl0_inv
	s_clause 0x5
	scratch_load_b128 v[76:79], off, off offset:56
	scratch_load_b128 v[80:83], off, off offset:72
	;; [unrolled: 1-line block ×5, first 2 shown]
	scratch_load_b64 v[96:97], off, off offset:136
	v_mov_b32_e32 v2, 0
	ds_load_2addr_b32 v[98:99], v2 offset0:51 offset1:52
	ds_load_2addr_b32 v[100:101], v2 offset0:53 offset1:54
	;; [unrolled: 1-line block ×4, first 2 shown]
	s_mov_b32 s0, exec_lo
	s_waitcnt vmcnt(5) lgkmcnt(3)
	v_fma_f32 v3, v77, v98, 0
	s_delay_alu instid0(VALU_DEP_1) | instskip(SKIP_4) | instid1(VALU_DEP_1)
	v_fmac_f32_e32 v3, v78, v99
	ds_load_2addr_b32 v[77:78], v2 offset0:59 offset1:60
	s_waitcnt lgkmcnt(3)
	v_fmac_f32_e32 v3, v79, v100
	s_waitcnt vmcnt(4)
	v_fmac_f32_e32 v3, v80, v101
	ds_load_2addr_b32 v[79:80], v2 offset0:61 offset1:62
	s_waitcnt lgkmcnt(3)
	v_fmac_f32_e32 v3, v81, v102
	s_delay_alu instid0(VALU_DEP_1) | instskip(SKIP_1) | instid1(VALU_DEP_1)
	v_fmac_f32_e32 v3, v82, v103
	s_waitcnt lgkmcnt(2)
	v_fmac_f32_e32 v3, v83, v104
	s_waitcnt vmcnt(3)
	s_delay_alu instid0(VALU_DEP_1) | instskip(SKIP_4) | instid1(VALU_DEP_1)
	v_fmac_f32_e32 v3, v84, v105
	ds_load_2addr_b32 v[81:82], v2 offset0:63 offset1:64
	ds_load_2addr_b32 v[83:84], v2 offset0:65 offset1:66
	s_waitcnt lgkmcnt(3)
	v_fmac_f32_e32 v3, v85, v77
	v_fmac_f32_e32 v3, v86, v78
	ds_load_2addr_b32 v[77:78], v2 offset0:67 offset1:68
	s_waitcnt lgkmcnt(3)
	v_fmac_f32_e32 v3, v87, v79
	s_waitcnt vmcnt(2)
	s_delay_alu instid0(VALU_DEP_1)
	v_fmac_f32_e32 v3, v88, v80
	ds_load_2addr_b32 v[79:80], v2 offset0:69 offset1:70
	s_waitcnt lgkmcnt(3)
	v_fmac_f32_e32 v3, v89, v81
	ds_load_b32 v81, v2 offset:284
	v_fmac_f32_e32 v3, v90, v82
	s_waitcnt lgkmcnt(3)
	s_delay_alu instid0(VALU_DEP_1) | instskip(SKIP_1) | instid1(VALU_DEP_1)
	v_fmac_f32_e32 v3, v91, v83
	s_waitcnt vmcnt(1)
	v_fmac_f32_e32 v3, v92, v84
	s_waitcnt lgkmcnt(2)
	s_delay_alu instid0(VALU_DEP_1) | instskip(NEXT) | instid1(VALU_DEP_1)
	v_fmac_f32_e32 v3, v93, v77
	v_fmac_f32_e32 v3, v94, v78
	s_waitcnt lgkmcnt(1)
	s_delay_alu instid0(VALU_DEP_1) | instskip(SKIP_1) | instid1(VALU_DEP_1)
	v_fmac_f32_e32 v3, v95, v79
	s_waitcnt vmcnt(0)
	v_fmac_f32_e32 v3, v96, v80
	s_waitcnt lgkmcnt(0)
	s_delay_alu instid0(VALU_DEP_1) | instskip(NEXT) | instid1(VALU_DEP_1)
	v_fmac_f32_e32 v3, v97, v81
	v_sub_f32_e32 v3, v76, v3
	scratch_store_b32 off, v3, off offset:56
	v_cmpx_lt_u32_e32 13, v0
	s_cbranch_execz .LBB35_197
; %bb.196:
	scratch_load_b32 v3, off, off offset:52
	scratch_store_b32 off, v2, off offset:52
	s_waitcnt vmcnt(0)
	ds_store_b32 v1, v3
.LBB35_197:
	s_or_b32 exec_lo, exec_lo, s0
	s_waitcnt lgkmcnt(0)
	s_waitcnt_vscnt null, 0x0
	s_barrier
	buffer_gl0_inv
	s_clause 0x5
	scratch_load_b128 v[76:79], off, off offset:52
	scratch_load_b128 v[80:83], off, off offset:68
	;; [unrolled: 1-line block ×5, first 2 shown]
	scratch_load_b96 v[104:106], off, off offset:132
	ds_load_2addr_b64 v[96:99], v2 offset0:25 offset1:26
	ds_load_2addr_b64 v[100:103], v2 offset0:27 offset1:28
	s_mov_b32 s0, exec_lo
	s_waitcnt vmcnt(5) lgkmcnt(1)
	v_fma_f32 v96, v77, v96, 0
	s_delay_alu instid0(VALU_DEP_1) | instskip(NEXT) | instid1(VALU_DEP_1)
	v_fmac_f32_e32 v96, v78, v97
	v_fmac_f32_e32 v96, v79, v98
	s_waitcnt vmcnt(4)
	s_delay_alu instid0(VALU_DEP_1) | instskip(SKIP_3) | instid1(VALU_DEP_1)
	v_fmac_f32_e32 v96, v80, v99
	ds_load_2addr_b64 v[77:80], v2 offset0:29 offset1:30
	s_waitcnt lgkmcnt(1)
	v_fmac_f32_e32 v96, v81, v100
	v_fmac_f32_e32 v96, v82, v101
	s_delay_alu instid0(VALU_DEP_1) | instskip(SKIP_1) | instid1(VALU_DEP_1)
	v_fmac_f32_e32 v96, v83, v102
	s_waitcnt vmcnt(3)
	v_fmac_f32_e32 v96, v84, v103
	ds_load_2addr_b64 v[81:84], v2 offset0:31 offset1:32
	s_waitcnt lgkmcnt(1)
	v_fmac_f32_e32 v96, v85, v77
	s_delay_alu instid0(VALU_DEP_1) | instskip(NEXT) | instid1(VALU_DEP_1)
	v_fmac_f32_e32 v96, v86, v78
	v_fmac_f32_e32 v96, v87, v79
	s_waitcnt vmcnt(2)
	s_delay_alu instid0(VALU_DEP_1) | instskip(SKIP_4) | instid1(VALU_DEP_1)
	v_fmac_f32_e32 v96, v88, v80
	ds_load_2addr_b64 v[77:80], v2 offset0:33 offset1:34
	ds_load_b64 v[2:3], v2 offset:280
	s_waitcnt lgkmcnt(2)
	v_fmac_f32_e32 v96, v89, v81
	v_fmac_f32_e32 v96, v90, v82
	s_delay_alu instid0(VALU_DEP_1) | instskip(SKIP_1) | instid1(VALU_DEP_1)
	v_fmac_f32_e32 v96, v91, v83
	s_waitcnt vmcnt(1)
	v_fmac_f32_e32 v96, v92, v84
	s_waitcnt lgkmcnt(1)
	s_delay_alu instid0(VALU_DEP_1) | instskip(NEXT) | instid1(VALU_DEP_1)
	v_fmac_f32_e32 v96, v93, v77
	v_fmac_f32_e32 v96, v94, v78
	s_delay_alu instid0(VALU_DEP_1) | instskip(SKIP_1) | instid1(VALU_DEP_1)
	v_fmac_f32_e32 v96, v95, v79
	s_waitcnt vmcnt(0)
	v_fmac_f32_e32 v96, v104, v80
	s_waitcnt lgkmcnt(0)
	s_delay_alu instid0(VALU_DEP_1) | instskip(NEXT) | instid1(VALU_DEP_1)
	v_fmac_f32_e32 v96, v105, v2
	v_fmac_f32_e32 v96, v106, v3
	s_delay_alu instid0(VALU_DEP_1)
	v_sub_f32_e32 v2, v76, v96
	scratch_store_b32 off, v2, off offset:52
	v_cmpx_lt_u32_e32 12, v0
	s_cbranch_execz .LBB35_199
; %bb.198:
	scratch_load_b32 v2, off, off offset:48
	v_mov_b32_e32 v3, 0
	scratch_store_b32 off, v3, off offset:48
	s_waitcnt vmcnt(0)
	ds_store_b32 v1, v2
.LBB35_199:
	s_or_b32 exec_lo, exec_lo, s0
	s_waitcnt lgkmcnt(0)
	s_waitcnt_vscnt null, 0x0
	s_barrier
	buffer_gl0_inv
	s_clause 0x5
	scratch_load_b128 v[76:79], off, off offset:48
	scratch_load_b128 v[80:83], off, off offset:64
	;; [unrolled: 1-line block ×6, first 2 shown]
	v_mov_b32_e32 v2, 0
	ds_load_2addr_b32 v[100:101], v2 offset0:49 offset1:50
	ds_load_2addr_b32 v[102:103], v2 offset0:51 offset1:52
	;; [unrolled: 1-line block ×4, first 2 shown]
	s_mov_b32 s0, exec_lo
	s_waitcnt vmcnt(5) lgkmcnt(3)
	v_fma_f32 v3, v77, v100, 0
	s_delay_alu instid0(VALU_DEP_1) | instskip(SKIP_4) | instid1(VALU_DEP_1)
	v_fmac_f32_e32 v3, v78, v101
	ds_load_2addr_b32 v[77:78], v2 offset0:57 offset1:58
	s_waitcnt lgkmcnt(3)
	v_fmac_f32_e32 v3, v79, v102
	s_waitcnt vmcnt(4)
	v_fmac_f32_e32 v3, v80, v103
	ds_load_2addr_b32 v[79:80], v2 offset0:59 offset1:60
	s_waitcnt lgkmcnt(3)
	v_fmac_f32_e32 v3, v81, v104
	s_delay_alu instid0(VALU_DEP_1) | instskip(SKIP_1) | instid1(VALU_DEP_1)
	v_fmac_f32_e32 v3, v82, v105
	s_waitcnt lgkmcnt(2)
	v_fmac_f32_e32 v3, v83, v106
	s_waitcnt vmcnt(3)
	s_delay_alu instid0(VALU_DEP_1) | instskip(SKIP_4) | instid1(VALU_DEP_1)
	v_fmac_f32_e32 v3, v84, v107
	ds_load_2addr_b32 v[81:82], v2 offset0:61 offset1:62
	ds_load_2addr_b32 v[83:84], v2 offset0:63 offset1:64
	s_waitcnt lgkmcnt(3)
	v_fmac_f32_e32 v3, v85, v77
	v_fmac_f32_e32 v3, v86, v78
	ds_load_2addr_b32 v[77:78], v2 offset0:65 offset1:66
	s_waitcnt lgkmcnt(3)
	v_fmac_f32_e32 v3, v87, v79
	s_waitcnt vmcnt(2)
	s_delay_alu instid0(VALU_DEP_1) | instskip(SKIP_3) | instid1(VALU_DEP_1)
	v_fmac_f32_e32 v3, v88, v80
	ds_load_2addr_b32 v[79:80], v2 offset0:67 offset1:68
	s_waitcnt lgkmcnt(3)
	v_fmac_f32_e32 v3, v89, v81
	v_fmac_f32_e32 v3, v90, v82
	s_waitcnt lgkmcnt(2)
	s_delay_alu instid0(VALU_DEP_1)
	v_fmac_f32_e32 v3, v91, v83
	ds_load_2addr_b32 v[81:82], v2 offset0:69 offset1:70
	ds_load_b32 v83, v2 offset:284
	s_waitcnt vmcnt(1)
	v_fmac_f32_e32 v3, v92, v84
	s_waitcnt lgkmcnt(3)
	s_delay_alu instid0(VALU_DEP_1) | instskip(NEXT) | instid1(VALU_DEP_1)
	v_fmac_f32_e32 v3, v93, v77
	v_fmac_f32_e32 v3, v94, v78
	s_waitcnt lgkmcnt(2)
	s_delay_alu instid0(VALU_DEP_1) | instskip(SKIP_1) | instid1(VALU_DEP_1)
	v_fmac_f32_e32 v3, v95, v79
	s_waitcnt vmcnt(0)
	v_fmac_f32_e32 v3, v96, v80
	s_waitcnt lgkmcnt(1)
	s_delay_alu instid0(VALU_DEP_1) | instskip(NEXT) | instid1(VALU_DEP_1)
	v_fmac_f32_e32 v3, v97, v81
	v_fmac_f32_e32 v3, v98, v82
	s_waitcnt lgkmcnt(0)
	s_delay_alu instid0(VALU_DEP_1) | instskip(NEXT) | instid1(VALU_DEP_1)
	v_fmac_f32_e32 v3, v99, v83
	v_sub_f32_e32 v3, v76, v3
	scratch_store_b32 off, v3, off offset:48
	v_cmpx_lt_u32_e32 11, v0
	s_cbranch_execz .LBB35_201
; %bb.200:
	scratch_load_b32 v3, off, off offset:44
	scratch_store_b32 off, v2, off offset:44
	s_waitcnt vmcnt(0)
	ds_store_b32 v1, v3
.LBB35_201:
	s_or_b32 exec_lo, exec_lo, s0
	s_waitcnt lgkmcnt(0)
	s_waitcnt_vscnt null, 0x0
	s_barrier
	buffer_gl0_inv
	s_clause 0x6
	scratch_load_b128 v[76:79], off, off offset:44
	scratch_load_b128 v[80:83], off, off offset:60
	;; [unrolled: 1-line block ×6, first 2 shown]
	scratch_load_b32 v3, off, off offset:140
	ds_load_b128 v[100:103], v2 offset:192
	ds_load_b128 v[104:107], v2 offset:208
	s_mov_b32 s0, exec_lo
	s_waitcnt vmcnt(6) lgkmcnt(1)
	v_fma_f32 v100, v77, v100, 0
	s_delay_alu instid0(VALU_DEP_1) | instskip(NEXT) | instid1(VALU_DEP_1)
	v_fmac_f32_e32 v100, v78, v101
	v_fmac_f32_e32 v100, v79, v102
	s_waitcnt vmcnt(5)
	s_delay_alu instid0(VALU_DEP_1) | instskip(SKIP_3) | instid1(VALU_DEP_1)
	v_fmac_f32_e32 v100, v80, v103
	ds_load_b128 v[77:80], v2 offset:224
	s_waitcnt lgkmcnt(1)
	v_fmac_f32_e32 v100, v81, v104
	v_fmac_f32_e32 v100, v82, v105
	s_delay_alu instid0(VALU_DEP_1) | instskip(SKIP_1) | instid1(VALU_DEP_1)
	v_fmac_f32_e32 v100, v83, v106
	s_waitcnt vmcnt(4)
	v_fmac_f32_e32 v100, v84, v107
	ds_load_b128 v[81:84], v2 offset:240
	s_waitcnt lgkmcnt(1)
	v_fmac_f32_e32 v100, v85, v77
	s_delay_alu instid0(VALU_DEP_1) | instskip(NEXT) | instid1(VALU_DEP_1)
	v_fmac_f32_e32 v100, v86, v78
	v_fmac_f32_e32 v100, v87, v79
	s_waitcnt vmcnt(3)
	s_delay_alu instid0(VALU_DEP_1) | instskip(SKIP_3) | instid1(VALU_DEP_1)
	v_fmac_f32_e32 v100, v88, v80
	ds_load_b128 v[77:80], v2 offset:256
	s_waitcnt lgkmcnt(1)
	v_fmac_f32_e32 v100, v89, v81
	v_fmac_f32_e32 v100, v90, v82
	s_delay_alu instid0(VALU_DEP_1) | instskip(SKIP_1) | instid1(VALU_DEP_1)
	v_fmac_f32_e32 v100, v91, v83
	s_waitcnt vmcnt(2)
	v_fmac_f32_e32 v100, v92, v84
	ds_load_b128 v[81:84], v2 offset:272
	s_waitcnt lgkmcnt(1)
	v_fmac_f32_e32 v100, v93, v77
	s_delay_alu instid0(VALU_DEP_1) | instskip(NEXT) | instid1(VALU_DEP_1)
	v_fmac_f32_e32 v100, v94, v78
	v_fmac_f32_e32 v100, v95, v79
	s_waitcnt vmcnt(1)
	s_delay_alu instid0(VALU_DEP_1) | instskip(SKIP_1) | instid1(VALU_DEP_1)
	v_fmac_f32_e32 v100, v96, v80
	s_waitcnt lgkmcnt(0)
	v_fmac_f32_e32 v100, v97, v81
	s_delay_alu instid0(VALU_DEP_1) | instskip(NEXT) | instid1(VALU_DEP_1)
	v_fmac_f32_e32 v100, v98, v82
	v_fmac_f32_e32 v100, v99, v83
	s_waitcnt vmcnt(0)
	s_delay_alu instid0(VALU_DEP_1) | instskip(NEXT) | instid1(VALU_DEP_1)
	v_fmac_f32_e32 v100, v3, v84
	v_sub_f32_e32 v2, v76, v100
	scratch_store_b32 off, v2, off offset:44
	v_cmpx_lt_u32_e32 10, v0
	s_cbranch_execz .LBB35_203
; %bb.202:
	scratch_load_b32 v2, off, off offset:40
	v_mov_b32_e32 v3, 0
	scratch_store_b32 off, v3, off offset:40
	s_waitcnt vmcnt(0)
	ds_store_b32 v1, v2
.LBB35_203:
	s_or_b32 exec_lo, exec_lo, s0
	s_waitcnt lgkmcnt(0)
	s_waitcnt_vscnt null, 0x0
	s_barrier
	buffer_gl0_inv
	s_clause 0x6
	scratch_load_b128 v[76:79], off, off offset:40
	scratch_load_b128 v[80:83], off, off offset:56
	;; [unrolled: 1-line block ×6, first 2 shown]
	scratch_load_b64 v[100:101], off, off offset:136
	v_mov_b32_e32 v2, 0
	ds_load_2addr_b32 v[102:103], v2 offset0:47 offset1:48
	ds_load_2addr_b32 v[104:105], v2 offset0:49 offset1:50
	;; [unrolled: 1-line block ×4, first 2 shown]
	s_mov_b32 s0, exec_lo
	s_waitcnt vmcnt(6) lgkmcnt(3)
	v_fma_f32 v3, v77, v102, 0
	s_delay_alu instid0(VALU_DEP_1) | instskip(SKIP_4) | instid1(VALU_DEP_1)
	v_fmac_f32_e32 v3, v78, v103
	ds_load_2addr_b32 v[77:78], v2 offset0:55 offset1:56
	s_waitcnt lgkmcnt(3)
	v_fmac_f32_e32 v3, v79, v104
	s_waitcnt vmcnt(5)
	v_fmac_f32_e32 v3, v80, v105
	ds_load_2addr_b32 v[79:80], v2 offset0:57 offset1:58
	s_waitcnt lgkmcnt(3)
	v_fmac_f32_e32 v3, v81, v106
	s_delay_alu instid0(VALU_DEP_1) | instskip(SKIP_1) | instid1(VALU_DEP_1)
	v_fmac_f32_e32 v3, v82, v107
	s_waitcnt lgkmcnt(2)
	v_fmac_f32_e32 v3, v83, v108
	s_waitcnt vmcnt(4)
	s_delay_alu instid0(VALU_DEP_1) | instskip(SKIP_4) | instid1(VALU_DEP_1)
	v_fmac_f32_e32 v3, v84, v109
	ds_load_2addr_b32 v[81:82], v2 offset0:59 offset1:60
	ds_load_2addr_b32 v[83:84], v2 offset0:61 offset1:62
	s_waitcnt lgkmcnt(3)
	v_fmac_f32_e32 v3, v85, v77
	v_fmac_f32_e32 v3, v86, v78
	ds_load_2addr_b32 v[77:78], v2 offset0:63 offset1:64
	s_waitcnt lgkmcnt(3)
	v_fmac_f32_e32 v3, v87, v79
	s_waitcnt vmcnt(3)
	s_delay_alu instid0(VALU_DEP_1) | instskip(SKIP_3) | instid1(VALU_DEP_1)
	v_fmac_f32_e32 v3, v88, v80
	ds_load_2addr_b32 v[79:80], v2 offset0:65 offset1:66
	s_waitcnt lgkmcnt(3)
	v_fmac_f32_e32 v3, v89, v81
	v_fmac_f32_e32 v3, v90, v82
	s_waitcnt lgkmcnt(2)
	s_delay_alu instid0(VALU_DEP_1) | instskip(SKIP_1) | instid1(VALU_DEP_1)
	v_fmac_f32_e32 v3, v91, v83
	s_waitcnt vmcnt(2)
	v_fmac_f32_e32 v3, v92, v84
	ds_load_2addr_b32 v[81:82], v2 offset0:67 offset1:68
	ds_load_2addr_b32 v[83:84], v2 offset0:69 offset1:70
	s_waitcnt lgkmcnt(3)
	v_fmac_f32_e32 v3, v93, v77
	ds_load_b32 v77, v2 offset:284
	v_fmac_f32_e32 v3, v94, v78
	s_waitcnt lgkmcnt(3)
	s_delay_alu instid0(VALU_DEP_1) | instskip(SKIP_1) | instid1(VALU_DEP_1)
	v_fmac_f32_e32 v3, v95, v79
	s_waitcnt vmcnt(1)
	v_fmac_f32_e32 v3, v96, v80
	s_waitcnt lgkmcnt(2)
	s_delay_alu instid0(VALU_DEP_1) | instskip(NEXT) | instid1(VALU_DEP_1)
	v_fmac_f32_e32 v3, v97, v81
	v_fmac_f32_e32 v3, v98, v82
	s_waitcnt lgkmcnt(1)
	s_delay_alu instid0(VALU_DEP_1) | instskip(SKIP_1) | instid1(VALU_DEP_1)
	v_fmac_f32_e32 v3, v99, v83
	s_waitcnt vmcnt(0)
	v_fmac_f32_e32 v3, v100, v84
	s_waitcnt lgkmcnt(0)
	s_delay_alu instid0(VALU_DEP_1) | instskip(NEXT) | instid1(VALU_DEP_1)
	v_fmac_f32_e32 v3, v101, v77
	v_sub_f32_e32 v3, v76, v3
	scratch_store_b32 off, v3, off offset:40
	v_cmpx_lt_u32_e32 9, v0
	s_cbranch_execz .LBB35_205
; %bb.204:
	scratch_load_b32 v3, off, off offset:36
	scratch_store_b32 off, v2, off offset:36
	s_waitcnt vmcnt(0)
	ds_store_b32 v1, v3
.LBB35_205:
	s_or_b32 exec_lo, exec_lo, s0
	s_waitcnt lgkmcnt(0)
	s_waitcnt_vscnt null, 0x0
	s_barrier
	buffer_gl0_inv
	s_clause 0x6
	scratch_load_b128 v[76:79], off, off offset:36
	scratch_load_b128 v[80:83], off, off offset:52
	;; [unrolled: 1-line block ×6, first 2 shown]
	scratch_load_b96 v[108:110], off, off offset:132
	ds_load_2addr_b64 v[100:103], v2 offset0:23 offset1:24
	ds_load_2addr_b64 v[104:107], v2 offset0:25 offset1:26
	s_mov_b32 s0, exec_lo
	s_waitcnt vmcnt(6) lgkmcnt(1)
	v_fma_f32 v100, v77, v100, 0
	s_delay_alu instid0(VALU_DEP_1) | instskip(NEXT) | instid1(VALU_DEP_1)
	v_fmac_f32_e32 v100, v78, v101
	v_fmac_f32_e32 v100, v79, v102
	s_waitcnt vmcnt(5)
	s_delay_alu instid0(VALU_DEP_1) | instskip(SKIP_3) | instid1(VALU_DEP_1)
	v_fmac_f32_e32 v100, v80, v103
	ds_load_2addr_b64 v[77:80], v2 offset0:27 offset1:28
	s_waitcnt lgkmcnt(1)
	v_fmac_f32_e32 v100, v81, v104
	v_fmac_f32_e32 v100, v82, v105
	s_delay_alu instid0(VALU_DEP_1) | instskip(SKIP_1) | instid1(VALU_DEP_1)
	v_fmac_f32_e32 v100, v83, v106
	s_waitcnt vmcnt(4)
	v_fmac_f32_e32 v100, v84, v107
	ds_load_2addr_b64 v[81:84], v2 offset0:29 offset1:30
	s_waitcnt lgkmcnt(1)
	v_fmac_f32_e32 v100, v85, v77
	s_delay_alu instid0(VALU_DEP_1) | instskip(NEXT) | instid1(VALU_DEP_1)
	v_fmac_f32_e32 v100, v86, v78
	v_fmac_f32_e32 v100, v87, v79
	s_waitcnt vmcnt(3)
	s_delay_alu instid0(VALU_DEP_1) | instskip(SKIP_3) | instid1(VALU_DEP_1)
	v_fmac_f32_e32 v100, v88, v80
	ds_load_2addr_b64 v[77:80], v2 offset0:31 offset1:32
	s_waitcnt lgkmcnt(1)
	v_fmac_f32_e32 v100, v89, v81
	v_fmac_f32_e32 v100, v90, v82
	s_delay_alu instid0(VALU_DEP_1) | instskip(SKIP_1) | instid1(VALU_DEP_1)
	v_fmac_f32_e32 v100, v91, v83
	s_waitcnt vmcnt(2)
	v_fmac_f32_e32 v100, v92, v84
	ds_load_2addr_b64 v[81:84], v2 offset0:33 offset1:34
	ds_load_b64 v[2:3], v2 offset:280
	s_waitcnt lgkmcnt(2)
	v_fmac_f32_e32 v100, v93, v77
	s_delay_alu instid0(VALU_DEP_1) | instskip(NEXT) | instid1(VALU_DEP_1)
	v_fmac_f32_e32 v100, v94, v78
	v_fmac_f32_e32 v100, v95, v79
	s_waitcnt vmcnt(1)
	s_delay_alu instid0(VALU_DEP_1) | instskip(SKIP_1) | instid1(VALU_DEP_1)
	v_fmac_f32_e32 v100, v96, v80
	s_waitcnt lgkmcnt(1)
	v_fmac_f32_e32 v100, v97, v81
	s_delay_alu instid0(VALU_DEP_1) | instskip(NEXT) | instid1(VALU_DEP_1)
	v_fmac_f32_e32 v100, v98, v82
	v_fmac_f32_e32 v100, v99, v83
	s_waitcnt vmcnt(0)
	s_delay_alu instid0(VALU_DEP_1) | instskip(SKIP_1) | instid1(VALU_DEP_1)
	v_fmac_f32_e32 v100, v108, v84
	s_waitcnt lgkmcnt(0)
	v_fmac_f32_e32 v100, v109, v2
	s_delay_alu instid0(VALU_DEP_1) | instskip(NEXT) | instid1(VALU_DEP_1)
	v_fmac_f32_e32 v100, v110, v3
	v_sub_f32_e32 v2, v76, v100
	scratch_store_b32 off, v2, off offset:36
	v_cmpx_lt_u32_e32 8, v0
	s_cbranch_execz .LBB35_207
; %bb.206:
	scratch_load_b32 v2, off, off offset:32
	v_mov_b32_e32 v3, 0
	scratch_store_b32 off, v3, off offset:32
	s_waitcnt vmcnt(0)
	ds_store_b32 v1, v2
.LBB35_207:
	s_or_b32 exec_lo, exec_lo, s0
	s_waitcnt lgkmcnt(0)
	s_waitcnt_vscnt null, 0x0
	s_barrier
	buffer_gl0_inv
	s_clause 0x6
	scratch_load_b128 v[76:79], off, off offset:32
	scratch_load_b128 v[80:83], off, off offset:48
	;; [unrolled: 1-line block ×7, first 2 shown]
	v_mov_b32_e32 v2, 0
	ds_load_2addr_b32 v[104:105], v2 offset0:45 offset1:46
	ds_load_2addr_b32 v[106:107], v2 offset0:47 offset1:48
	ds_load_2addr_b32 v[108:109], v2 offset0:49 offset1:50
	ds_load_2addr_b32 v[110:111], v2 offset0:51 offset1:52
	s_mov_b32 s0, exec_lo
	s_waitcnt vmcnt(6) lgkmcnt(3)
	v_fma_f32 v3, v77, v104, 0
	s_delay_alu instid0(VALU_DEP_1) | instskip(SKIP_4) | instid1(VALU_DEP_1)
	v_fmac_f32_e32 v3, v78, v105
	ds_load_2addr_b32 v[77:78], v2 offset0:53 offset1:54
	s_waitcnt lgkmcnt(3)
	v_fmac_f32_e32 v3, v79, v106
	s_waitcnt vmcnt(5)
	v_fmac_f32_e32 v3, v80, v107
	ds_load_2addr_b32 v[79:80], v2 offset0:55 offset1:56
	s_waitcnt lgkmcnt(3)
	v_fmac_f32_e32 v3, v81, v108
	s_delay_alu instid0(VALU_DEP_1) | instskip(SKIP_1) | instid1(VALU_DEP_1)
	v_fmac_f32_e32 v3, v82, v109
	s_waitcnt lgkmcnt(2)
	v_fmac_f32_e32 v3, v83, v110
	s_waitcnt vmcnt(4)
	s_delay_alu instid0(VALU_DEP_1) | instskip(SKIP_4) | instid1(VALU_DEP_1)
	v_fmac_f32_e32 v3, v84, v111
	ds_load_2addr_b32 v[81:82], v2 offset0:57 offset1:58
	ds_load_2addr_b32 v[83:84], v2 offset0:59 offset1:60
	s_waitcnt lgkmcnt(3)
	v_fmac_f32_e32 v3, v85, v77
	v_fmac_f32_e32 v3, v86, v78
	ds_load_2addr_b32 v[77:78], v2 offset0:61 offset1:62
	s_waitcnt lgkmcnt(3)
	v_fmac_f32_e32 v3, v87, v79
	s_waitcnt vmcnt(3)
	s_delay_alu instid0(VALU_DEP_1) | instskip(SKIP_3) | instid1(VALU_DEP_1)
	v_fmac_f32_e32 v3, v88, v80
	ds_load_2addr_b32 v[79:80], v2 offset0:63 offset1:64
	s_waitcnt lgkmcnt(3)
	v_fmac_f32_e32 v3, v89, v81
	v_fmac_f32_e32 v3, v90, v82
	s_waitcnt lgkmcnt(2)
	s_delay_alu instid0(VALU_DEP_1) | instskip(SKIP_1) | instid1(VALU_DEP_1)
	v_fmac_f32_e32 v3, v91, v83
	s_waitcnt vmcnt(2)
	v_fmac_f32_e32 v3, v92, v84
	ds_load_2addr_b32 v[81:82], v2 offset0:65 offset1:66
	ds_load_2addr_b32 v[83:84], v2 offset0:67 offset1:68
	s_waitcnt lgkmcnt(3)
	v_fmac_f32_e32 v3, v93, v77
	s_delay_alu instid0(VALU_DEP_1)
	v_fmac_f32_e32 v3, v94, v78
	ds_load_2addr_b32 v[77:78], v2 offset0:69 offset1:70
	s_waitcnt lgkmcnt(3)
	v_fmac_f32_e32 v3, v95, v79
	ds_load_b32 v79, v2 offset:284
	s_waitcnt vmcnt(1)
	v_fmac_f32_e32 v3, v96, v80
	s_waitcnt lgkmcnt(3)
	s_delay_alu instid0(VALU_DEP_1) | instskip(NEXT) | instid1(VALU_DEP_1)
	v_fmac_f32_e32 v3, v97, v81
	v_fmac_f32_e32 v3, v98, v82
	s_waitcnt lgkmcnt(2)
	s_delay_alu instid0(VALU_DEP_1) | instskip(SKIP_1) | instid1(VALU_DEP_1)
	v_fmac_f32_e32 v3, v99, v83
	s_waitcnt vmcnt(0)
	v_fmac_f32_e32 v3, v100, v84
	s_waitcnt lgkmcnt(1)
	s_delay_alu instid0(VALU_DEP_1) | instskip(NEXT) | instid1(VALU_DEP_1)
	v_fmac_f32_e32 v3, v101, v77
	v_fmac_f32_e32 v3, v102, v78
	s_waitcnt lgkmcnt(0)
	s_delay_alu instid0(VALU_DEP_1) | instskip(NEXT) | instid1(VALU_DEP_1)
	v_fmac_f32_e32 v3, v103, v79
	v_sub_f32_e32 v3, v76, v3
	scratch_store_b32 off, v3, off offset:32
	v_cmpx_lt_u32_e32 7, v0
	s_cbranch_execz .LBB35_209
; %bb.208:
	scratch_load_b32 v3, off, off offset:28
	scratch_store_b32 off, v2, off offset:28
	s_waitcnt vmcnt(0)
	ds_store_b32 v1, v3
.LBB35_209:
	s_or_b32 exec_lo, exec_lo, s0
	s_waitcnt lgkmcnt(0)
	s_waitcnt_vscnt null, 0x0
	s_barrier
	buffer_gl0_inv
	s_clause 0x7
	scratch_load_b128 v[76:79], off, off offset:28
	scratch_load_b128 v[80:83], off, off offset:44
	;; [unrolled: 1-line block ×7, first 2 shown]
	scratch_load_b32 v3, off, off offset:140
	ds_load_b128 v[104:107], v2 offset:176
	ds_load_b128 v[108:111], v2 offset:192
	s_mov_b32 s0, exec_lo
	s_waitcnt vmcnt(7) lgkmcnt(1)
	v_fma_f32 v104, v77, v104, 0
	s_delay_alu instid0(VALU_DEP_1) | instskip(NEXT) | instid1(VALU_DEP_1)
	v_fmac_f32_e32 v104, v78, v105
	v_fmac_f32_e32 v104, v79, v106
	s_waitcnt vmcnt(6)
	s_delay_alu instid0(VALU_DEP_1) | instskip(SKIP_3) | instid1(VALU_DEP_1)
	v_fmac_f32_e32 v104, v80, v107
	ds_load_b128 v[77:80], v2 offset:208
	s_waitcnt lgkmcnt(1)
	v_fmac_f32_e32 v104, v81, v108
	v_fmac_f32_e32 v104, v82, v109
	s_delay_alu instid0(VALU_DEP_1) | instskip(SKIP_1) | instid1(VALU_DEP_1)
	v_fmac_f32_e32 v104, v83, v110
	s_waitcnt vmcnt(5)
	v_fmac_f32_e32 v104, v84, v111
	ds_load_b128 v[81:84], v2 offset:224
	s_waitcnt lgkmcnt(1)
	v_fmac_f32_e32 v104, v85, v77
	s_delay_alu instid0(VALU_DEP_1) | instskip(NEXT) | instid1(VALU_DEP_1)
	v_fmac_f32_e32 v104, v86, v78
	v_fmac_f32_e32 v104, v87, v79
	s_waitcnt vmcnt(4)
	s_delay_alu instid0(VALU_DEP_1) | instskip(SKIP_3) | instid1(VALU_DEP_1)
	v_fmac_f32_e32 v104, v88, v80
	ds_load_b128 v[77:80], v2 offset:240
	s_waitcnt lgkmcnt(1)
	v_fmac_f32_e32 v104, v89, v81
	v_fmac_f32_e32 v104, v90, v82
	s_delay_alu instid0(VALU_DEP_1) | instskip(SKIP_1) | instid1(VALU_DEP_1)
	v_fmac_f32_e32 v104, v91, v83
	s_waitcnt vmcnt(3)
	v_fmac_f32_e32 v104, v92, v84
	ds_load_b128 v[81:84], v2 offset:256
	s_waitcnt lgkmcnt(1)
	v_fmac_f32_e32 v104, v93, v77
	s_delay_alu instid0(VALU_DEP_1) | instskip(NEXT) | instid1(VALU_DEP_1)
	v_fmac_f32_e32 v104, v94, v78
	v_fmac_f32_e32 v104, v95, v79
	s_waitcnt vmcnt(2)
	s_delay_alu instid0(VALU_DEP_1) | instskip(SKIP_3) | instid1(VALU_DEP_1)
	v_fmac_f32_e32 v104, v96, v80
	ds_load_b128 v[77:80], v2 offset:272
	s_waitcnt lgkmcnt(1)
	v_fmac_f32_e32 v104, v97, v81
	v_fmac_f32_e32 v104, v98, v82
	s_delay_alu instid0(VALU_DEP_1) | instskip(SKIP_1) | instid1(VALU_DEP_1)
	v_fmac_f32_e32 v104, v99, v83
	s_waitcnt vmcnt(1)
	v_fmac_f32_e32 v104, v100, v84
	s_waitcnt lgkmcnt(0)
	s_delay_alu instid0(VALU_DEP_1) | instskip(NEXT) | instid1(VALU_DEP_1)
	v_fmac_f32_e32 v104, v101, v77
	v_fmac_f32_e32 v104, v102, v78
	s_delay_alu instid0(VALU_DEP_1) | instskip(SKIP_1) | instid1(VALU_DEP_1)
	v_fmac_f32_e32 v104, v103, v79
	s_waitcnt vmcnt(0)
	v_fmac_f32_e32 v104, v3, v80
	s_delay_alu instid0(VALU_DEP_1)
	v_sub_f32_e32 v2, v76, v104
	scratch_store_b32 off, v2, off offset:28
	v_cmpx_lt_u32_e32 6, v0
	s_cbranch_execz .LBB35_211
; %bb.210:
	scratch_load_b32 v2, off, off offset:24
	v_mov_b32_e32 v3, 0
	scratch_store_b32 off, v3, off offset:24
	s_waitcnt vmcnt(0)
	ds_store_b32 v1, v2
.LBB35_211:
	s_or_b32 exec_lo, exec_lo, s0
	s_waitcnt lgkmcnt(0)
	s_waitcnt_vscnt null, 0x0
	s_barrier
	buffer_gl0_inv
	s_clause 0x7
	scratch_load_b128 v[76:79], off, off offset:24
	scratch_load_b128 v[80:83], off, off offset:40
	;; [unrolled: 1-line block ×7, first 2 shown]
	scratch_load_b64 v[104:105], off, off offset:136
	v_mov_b32_e32 v2, 0
	ds_load_2addr_b32 v[106:107], v2 offset0:43 offset1:44
	ds_load_2addr_b32 v[108:109], v2 offset0:45 offset1:46
	;; [unrolled: 1-line block ×4, first 2 shown]
	s_mov_b32 s0, exec_lo
	s_waitcnt vmcnt(7) lgkmcnt(3)
	v_fma_f32 v3, v77, v106, 0
	s_delay_alu instid0(VALU_DEP_1) | instskip(SKIP_4) | instid1(VALU_DEP_1)
	v_fmac_f32_e32 v3, v78, v107
	ds_load_2addr_b32 v[77:78], v2 offset0:51 offset1:52
	s_waitcnt lgkmcnt(3)
	v_fmac_f32_e32 v3, v79, v108
	s_waitcnt vmcnt(6)
	v_fmac_f32_e32 v3, v80, v109
	ds_load_2addr_b32 v[79:80], v2 offset0:53 offset1:54
	s_waitcnt lgkmcnt(3)
	v_fmac_f32_e32 v3, v81, v110
	s_delay_alu instid0(VALU_DEP_1) | instskip(SKIP_1) | instid1(VALU_DEP_1)
	v_fmac_f32_e32 v3, v82, v111
	s_waitcnt lgkmcnt(2)
	v_fmac_f32_e32 v3, v83, v112
	s_waitcnt vmcnt(5)
	s_delay_alu instid0(VALU_DEP_1) | instskip(SKIP_4) | instid1(VALU_DEP_1)
	v_fmac_f32_e32 v3, v84, v113
	ds_load_2addr_b32 v[81:82], v2 offset0:55 offset1:56
	ds_load_2addr_b32 v[83:84], v2 offset0:57 offset1:58
	s_waitcnt lgkmcnt(3)
	v_fmac_f32_e32 v3, v85, v77
	v_fmac_f32_e32 v3, v86, v78
	ds_load_2addr_b32 v[77:78], v2 offset0:59 offset1:60
	s_waitcnt lgkmcnt(3)
	v_fmac_f32_e32 v3, v87, v79
	s_waitcnt vmcnt(4)
	s_delay_alu instid0(VALU_DEP_1) | instskip(SKIP_3) | instid1(VALU_DEP_1)
	v_fmac_f32_e32 v3, v88, v80
	ds_load_2addr_b32 v[79:80], v2 offset0:61 offset1:62
	s_waitcnt lgkmcnt(3)
	v_fmac_f32_e32 v3, v89, v81
	v_fmac_f32_e32 v3, v90, v82
	s_waitcnt lgkmcnt(2)
	s_delay_alu instid0(VALU_DEP_1) | instskip(SKIP_1) | instid1(VALU_DEP_1)
	v_fmac_f32_e32 v3, v91, v83
	s_waitcnt vmcnt(3)
	v_fmac_f32_e32 v3, v92, v84
	ds_load_2addr_b32 v[81:82], v2 offset0:63 offset1:64
	ds_load_2addr_b32 v[83:84], v2 offset0:65 offset1:66
	s_waitcnt lgkmcnt(3)
	v_fmac_f32_e32 v3, v93, v77
	s_delay_alu instid0(VALU_DEP_1) | instskip(SKIP_4) | instid1(VALU_DEP_1)
	v_fmac_f32_e32 v3, v94, v78
	ds_load_2addr_b32 v[77:78], v2 offset0:67 offset1:68
	s_waitcnt lgkmcnt(3)
	v_fmac_f32_e32 v3, v95, v79
	s_waitcnt vmcnt(2)
	v_fmac_f32_e32 v3, v96, v80
	ds_load_2addr_b32 v[79:80], v2 offset0:69 offset1:70
	s_waitcnt lgkmcnt(3)
	v_fmac_f32_e32 v3, v97, v81
	ds_load_b32 v81, v2 offset:284
	v_fmac_f32_e32 v3, v98, v82
	s_waitcnt lgkmcnt(3)
	s_delay_alu instid0(VALU_DEP_1) | instskip(SKIP_1) | instid1(VALU_DEP_1)
	v_fmac_f32_e32 v3, v99, v83
	s_waitcnt vmcnt(1)
	v_fmac_f32_e32 v3, v100, v84
	s_waitcnt lgkmcnt(2)
	s_delay_alu instid0(VALU_DEP_1) | instskip(NEXT) | instid1(VALU_DEP_1)
	v_fmac_f32_e32 v3, v101, v77
	v_fmac_f32_e32 v3, v102, v78
	s_waitcnt lgkmcnt(1)
	s_delay_alu instid0(VALU_DEP_1) | instskip(SKIP_1) | instid1(VALU_DEP_1)
	v_fmac_f32_e32 v3, v103, v79
	s_waitcnt vmcnt(0)
	v_fmac_f32_e32 v3, v104, v80
	s_waitcnt lgkmcnt(0)
	s_delay_alu instid0(VALU_DEP_1) | instskip(NEXT) | instid1(VALU_DEP_1)
	v_fmac_f32_e32 v3, v105, v81
	v_sub_f32_e32 v3, v76, v3
	scratch_store_b32 off, v3, off offset:24
	v_cmpx_lt_u32_e32 5, v0
	s_cbranch_execz .LBB35_213
; %bb.212:
	scratch_load_b32 v3, off, off offset:20
	scratch_store_b32 off, v2, off offset:20
	s_waitcnt vmcnt(0)
	ds_store_b32 v1, v3
.LBB35_213:
	s_or_b32 exec_lo, exec_lo, s0
	s_waitcnt lgkmcnt(0)
	s_waitcnt_vscnt null, 0x0
	s_barrier
	buffer_gl0_inv
	s_clause 0x7
	scratch_load_b128 v[76:79], off, off offset:20
	scratch_load_b128 v[80:83], off, off offset:36
	scratch_load_b128 v[84:87], off, off offset:52
	scratch_load_b128 v[88:91], off, off offset:68
	scratch_load_b128 v[92:95], off, off offset:84
	scratch_load_b128 v[96:99], off, off offset:100
	scratch_load_b128 v[100:103], off, off offset:116
	scratch_load_b96 v[112:114], off, off offset:132
	ds_load_2addr_b64 v[104:107], v2 offset0:21 offset1:22
	ds_load_2addr_b64 v[108:111], v2 offset0:23 offset1:24
	s_mov_b32 s0, exec_lo
	s_waitcnt vmcnt(7) lgkmcnt(1)
	v_fma_f32 v104, v77, v104, 0
	s_delay_alu instid0(VALU_DEP_1) | instskip(NEXT) | instid1(VALU_DEP_1)
	v_fmac_f32_e32 v104, v78, v105
	v_fmac_f32_e32 v104, v79, v106
	s_waitcnt vmcnt(6)
	s_delay_alu instid0(VALU_DEP_1) | instskip(SKIP_3) | instid1(VALU_DEP_1)
	v_fmac_f32_e32 v104, v80, v107
	ds_load_2addr_b64 v[77:80], v2 offset0:25 offset1:26
	s_waitcnt lgkmcnt(1)
	v_fmac_f32_e32 v104, v81, v108
	v_fmac_f32_e32 v104, v82, v109
	s_delay_alu instid0(VALU_DEP_1) | instskip(SKIP_1) | instid1(VALU_DEP_1)
	v_fmac_f32_e32 v104, v83, v110
	s_waitcnt vmcnt(5)
	v_fmac_f32_e32 v104, v84, v111
	ds_load_2addr_b64 v[81:84], v2 offset0:27 offset1:28
	s_waitcnt lgkmcnt(1)
	v_fmac_f32_e32 v104, v85, v77
	s_delay_alu instid0(VALU_DEP_1) | instskip(NEXT) | instid1(VALU_DEP_1)
	v_fmac_f32_e32 v104, v86, v78
	v_fmac_f32_e32 v104, v87, v79
	s_waitcnt vmcnt(4)
	s_delay_alu instid0(VALU_DEP_1) | instskip(SKIP_3) | instid1(VALU_DEP_1)
	v_fmac_f32_e32 v104, v88, v80
	ds_load_2addr_b64 v[77:80], v2 offset0:29 offset1:30
	s_waitcnt lgkmcnt(1)
	v_fmac_f32_e32 v104, v89, v81
	v_fmac_f32_e32 v104, v90, v82
	s_delay_alu instid0(VALU_DEP_1) | instskip(SKIP_1) | instid1(VALU_DEP_1)
	v_fmac_f32_e32 v104, v91, v83
	s_waitcnt vmcnt(3)
	v_fmac_f32_e32 v104, v92, v84
	ds_load_2addr_b64 v[81:84], v2 offset0:31 offset1:32
	s_waitcnt lgkmcnt(1)
	v_fmac_f32_e32 v104, v93, v77
	s_delay_alu instid0(VALU_DEP_1) | instskip(NEXT) | instid1(VALU_DEP_1)
	v_fmac_f32_e32 v104, v94, v78
	v_fmac_f32_e32 v104, v95, v79
	s_waitcnt vmcnt(2)
	s_delay_alu instid0(VALU_DEP_1) | instskip(SKIP_4) | instid1(VALU_DEP_1)
	v_fmac_f32_e32 v104, v96, v80
	ds_load_2addr_b64 v[77:80], v2 offset0:33 offset1:34
	ds_load_b64 v[2:3], v2 offset:280
	s_waitcnt lgkmcnt(2)
	v_fmac_f32_e32 v104, v97, v81
	v_fmac_f32_e32 v104, v98, v82
	s_delay_alu instid0(VALU_DEP_1) | instskip(SKIP_1) | instid1(VALU_DEP_1)
	v_fmac_f32_e32 v104, v99, v83
	s_waitcnt vmcnt(1)
	v_fmac_f32_e32 v104, v100, v84
	s_waitcnt lgkmcnt(1)
	s_delay_alu instid0(VALU_DEP_1) | instskip(NEXT) | instid1(VALU_DEP_1)
	v_fmac_f32_e32 v104, v101, v77
	v_fmac_f32_e32 v104, v102, v78
	s_delay_alu instid0(VALU_DEP_1) | instskip(SKIP_1) | instid1(VALU_DEP_1)
	v_fmac_f32_e32 v104, v103, v79
	s_waitcnt vmcnt(0)
	v_fmac_f32_e32 v104, v112, v80
	s_waitcnt lgkmcnt(0)
	s_delay_alu instid0(VALU_DEP_1) | instskip(NEXT) | instid1(VALU_DEP_1)
	v_fmac_f32_e32 v104, v113, v2
	v_fmac_f32_e32 v104, v114, v3
	s_delay_alu instid0(VALU_DEP_1)
	v_sub_f32_e32 v2, v76, v104
	scratch_store_b32 off, v2, off offset:20
	v_cmpx_lt_u32_e32 4, v0
	s_cbranch_execz .LBB35_215
; %bb.214:
	scratch_load_b32 v2, off, off offset:16
	v_mov_b32_e32 v3, 0
	scratch_store_b32 off, v3, off offset:16
	s_waitcnt vmcnt(0)
	ds_store_b32 v1, v2
.LBB35_215:
	s_or_b32 exec_lo, exec_lo, s0
	s_waitcnt lgkmcnt(0)
	s_waitcnt_vscnt null, 0x0
	s_barrier
	buffer_gl0_inv
	s_clause 0x7
	scratch_load_b128 v[76:79], off, off offset:16
	scratch_load_b128 v[80:83], off, off offset:32
	;; [unrolled: 1-line block ×8, first 2 shown]
	v_mov_b32_e32 v2, 0
	ds_load_2addr_b32 v[108:109], v2 offset0:41 offset1:42
	ds_load_2addr_b32 v[110:111], v2 offset0:43 offset1:44
	;; [unrolled: 1-line block ×4, first 2 shown]
	s_mov_b32 s0, exec_lo
	s_waitcnt vmcnt(7) lgkmcnt(3)
	v_fma_f32 v3, v77, v108, 0
	s_delay_alu instid0(VALU_DEP_1) | instskip(SKIP_4) | instid1(VALU_DEP_1)
	v_fmac_f32_e32 v3, v78, v109
	ds_load_2addr_b32 v[77:78], v2 offset0:49 offset1:50
	s_waitcnt lgkmcnt(3)
	v_fmac_f32_e32 v3, v79, v110
	s_waitcnt vmcnt(6)
	v_fmac_f32_e32 v3, v80, v111
	ds_load_2addr_b32 v[79:80], v2 offset0:51 offset1:52
	s_waitcnt lgkmcnt(3)
	v_fmac_f32_e32 v3, v81, v112
	s_delay_alu instid0(VALU_DEP_1) | instskip(SKIP_1) | instid1(VALU_DEP_1)
	v_fmac_f32_e32 v3, v82, v113
	s_waitcnt lgkmcnt(2)
	v_fmac_f32_e32 v3, v83, v114
	s_waitcnt vmcnt(5)
	s_delay_alu instid0(VALU_DEP_1) | instskip(SKIP_4) | instid1(VALU_DEP_1)
	v_fmac_f32_e32 v3, v84, v115
	ds_load_2addr_b32 v[81:82], v2 offset0:53 offset1:54
	ds_load_2addr_b32 v[83:84], v2 offset0:55 offset1:56
	s_waitcnt lgkmcnt(3)
	v_fmac_f32_e32 v3, v85, v77
	v_fmac_f32_e32 v3, v86, v78
	ds_load_2addr_b32 v[77:78], v2 offset0:57 offset1:58
	s_waitcnt lgkmcnt(3)
	v_fmac_f32_e32 v3, v87, v79
	s_waitcnt vmcnt(4)
	s_delay_alu instid0(VALU_DEP_1) | instskip(SKIP_3) | instid1(VALU_DEP_1)
	v_fmac_f32_e32 v3, v88, v80
	ds_load_2addr_b32 v[79:80], v2 offset0:59 offset1:60
	s_waitcnt lgkmcnt(3)
	v_fmac_f32_e32 v3, v89, v81
	v_fmac_f32_e32 v3, v90, v82
	s_waitcnt lgkmcnt(2)
	s_delay_alu instid0(VALU_DEP_1) | instskip(SKIP_1) | instid1(VALU_DEP_1)
	v_fmac_f32_e32 v3, v91, v83
	s_waitcnt vmcnt(3)
	v_fmac_f32_e32 v3, v92, v84
	ds_load_2addr_b32 v[81:82], v2 offset0:61 offset1:62
	ds_load_2addr_b32 v[83:84], v2 offset0:63 offset1:64
	s_waitcnt lgkmcnt(3)
	v_fmac_f32_e32 v3, v93, v77
	s_delay_alu instid0(VALU_DEP_1) | instskip(SKIP_4) | instid1(VALU_DEP_1)
	v_fmac_f32_e32 v3, v94, v78
	ds_load_2addr_b32 v[77:78], v2 offset0:65 offset1:66
	s_waitcnt lgkmcnt(3)
	v_fmac_f32_e32 v3, v95, v79
	s_waitcnt vmcnt(2)
	v_fmac_f32_e32 v3, v96, v80
	ds_load_2addr_b32 v[79:80], v2 offset0:67 offset1:68
	s_waitcnt lgkmcnt(3)
	v_fmac_f32_e32 v3, v97, v81
	s_delay_alu instid0(VALU_DEP_1) | instskip(SKIP_1) | instid1(VALU_DEP_1)
	v_fmac_f32_e32 v3, v98, v82
	s_waitcnt lgkmcnt(2)
	v_fmac_f32_e32 v3, v99, v83
	ds_load_2addr_b32 v[81:82], v2 offset0:69 offset1:70
	ds_load_b32 v83, v2 offset:284
	s_waitcnt vmcnt(1)
	v_fmac_f32_e32 v3, v100, v84
	s_waitcnt lgkmcnt(3)
	s_delay_alu instid0(VALU_DEP_1) | instskip(NEXT) | instid1(VALU_DEP_1)
	v_fmac_f32_e32 v3, v101, v77
	v_fmac_f32_e32 v3, v102, v78
	s_waitcnt lgkmcnt(2)
	s_delay_alu instid0(VALU_DEP_1) | instskip(SKIP_1) | instid1(VALU_DEP_1)
	v_fmac_f32_e32 v3, v103, v79
	s_waitcnt vmcnt(0)
	v_fmac_f32_e32 v3, v104, v80
	s_waitcnt lgkmcnt(1)
	s_delay_alu instid0(VALU_DEP_1) | instskip(NEXT) | instid1(VALU_DEP_1)
	v_fmac_f32_e32 v3, v105, v81
	v_fmac_f32_e32 v3, v106, v82
	s_waitcnt lgkmcnt(0)
	s_delay_alu instid0(VALU_DEP_1) | instskip(NEXT) | instid1(VALU_DEP_1)
	v_fmac_f32_e32 v3, v107, v83
	v_sub_f32_e32 v3, v76, v3
	scratch_store_b32 off, v3, off offset:16
	v_cmpx_lt_u32_e32 3, v0
	s_cbranch_execz .LBB35_217
; %bb.216:
	scratch_load_b32 v3, off, off offset:12
	scratch_store_b32 off, v2, off offset:12
	s_waitcnt vmcnt(0)
	ds_store_b32 v1, v3
.LBB35_217:
	s_or_b32 exec_lo, exec_lo, s0
	s_waitcnt lgkmcnt(0)
	s_waitcnt_vscnt null, 0x0
	s_barrier
	buffer_gl0_inv
	s_clause 0x8
	scratch_load_b128 v[76:79], off, off offset:12
	scratch_load_b128 v[80:83], off, off offset:28
	;; [unrolled: 1-line block ×8, first 2 shown]
	scratch_load_b32 v3, off, off offset:140
	ds_load_b128 v[108:111], v2 offset:160
	ds_load_b128 v[112:115], v2 offset:176
	s_mov_b32 s0, exec_lo
	s_waitcnt vmcnt(8) lgkmcnt(1)
	v_fma_f32 v108, v77, v108, 0
	s_delay_alu instid0(VALU_DEP_1) | instskip(NEXT) | instid1(VALU_DEP_1)
	v_fmac_f32_e32 v108, v78, v109
	v_fmac_f32_e32 v108, v79, v110
	s_waitcnt vmcnt(7)
	s_delay_alu instid0(VALU_DEP_1) | instskip(SKIP_3) | instid1(VALU_DEP_1)
	v_fmac_f32_e32 v108, v80, v111
	ds_load_b128 v[77:80], v2 offset:192
	s_waitcnt lgkmcnt(1)
	v_fmac_f32_e32 v108, v81, v112
	v_fmac_f32_e32 v108, v82, v113
	s_delay_alu instid0(VALU_DEP_1) | instskip(SKIP_1) | instid1(VALU_DEP_1)
	v_fmac_f32_e32 v108, v83, v114
	s_waitcnt vmcnt(6)
	v_fmac_f32_e32 v108, v84, v115
	ds_load_b128 v[81:84], v2 offset:208
	s_waitcnt lgkmcnt(1)
	v_fmac_f32_e32 v108, v85, v77
	s_delay_alu instid0(VALU_DEP_1) | instskip(NEXT) | instid1(VALU_DEP_1)
	v_fmac_f32_e32 v108, v86, v78
	v_fmac_f32_e32 v108, v87, v79
	s_waitcnt vmcnt(5)
	s_delay_alu instid0(VALU_DEP_1) | instskip(SKIP_3) | instid1(VALU_DEP_1)
	v_fmac_f32_e32 v108, v88, v80
	ds_load_b128 v[77:80], v2 offset:224
	s_waitcnt lgkmcnt(1)
	v_fmac_f32_e32 v108, v89, v81
	v_fmac_f32_e32 v108, v90, v82
	s_delay_alu instid0(VALU_DEP_1) | instskip(SKIP_1) | instid1(VALU_DEP_1)
	v_fmac_f32_e32 v108, v91, v83
	s_waitcnt vmcnt(4)
	v_fmac_f32_e32 v108, v92, v84
	ds_load_b128 v[81:84], v2 offset:240
	s_waitcnt lgkmcnt(1)
	v_fmac_f32_e32 v108, v93, v77
	;; [unrolled: 17-line block ×3, first 2 shown]
	s_delay_alu instid0(VALU_DEP_1) | instskip(NEXT) | instid1(VALU_DEP_1)
	v_fmac_f32_e32 v108, v102, v78
	v_fmac_f32_e32 v108, v103, v79
	s_waitcnt vmcnt(1)
	s_delay_alu instid0(VALU_DEP_1) | instskip(SKIP_1) | instid1(VALU_DEP_1)
	v_fmac_f32_e32 v108, v104, v80
	s_waitcnt lgkmcnt(0)
	v_fmac_f32_e32 v108, v105, v81
	s_delay_alu instid0(VALU_DEP_1) | instskip(NEXT) | instid1(VALU_DEP_1)
	v_fmac_f32_e32 v108, v106, v82
	v_fmac_f32_e32 v108, v107, v83
	s_waitcnt vmcnt(0)
	s_delay_alu instid0(VALU_DEP_1) | instskip(NEXT) | instid1(VALU_DEP_1)
	v_fmac_f32_e32 v108, v3, v84
	v_sub_f32_e32 v2, v76, v108
	scratch_store_b32 off, v2, off offset:12
	v_cmpx_lt_u32_e32 2, v0
	s_cbranch_execz .LBB35_219
; %bb.218:
	scratch_load_b32 v2, off, off offset:8
	v_mov_b32_e32 v3, 0
	scratch_store_b32 off, v3, off offset:8
	s_waitcnt vmcnt(0)
	ds_store_b32 v1, v2
.LBB35_219:
	s_or_b32 exec_lo, exec_lo, s0
	s_waitcnt lgkmcnt(0)
	s_waitcnt_vscnt null, 0x0
	s_barrier
	buffer_gl0_inv
	s_clause 0x8
	scratch_load_b128 v[76:79], off, off offset:8
	scratch_load_b128 v[80:83], off, off offset:24
	;; [unrolled: 1-line block ×8, first 2 shown]
	scratch_load_b64 v[108:109], off, off offset:136
	v_mov_b32_e32 v2, 0
	ds_load_2addr_b32 v[110:111], v2 offset0:39 offset1:40
	ds_load_2addr_b32 v[112:113], v2 offset0:41 offset1:42
	;; [unrolled: 1-line block ×4, first 2 shown]
	s_mov_b32 s0, exec_lo
	s_waitcnt vmcnt(8) lgkmcnt(3)
	v_fma_f32 v3, v77, v110, 0
	s_delay_alu instid0(VALU_DEP_1) | instskip(SKIP_4) | instid1(VALU_DEP_1)
	v_fmac_f32_e32 v3, v78, v111
	ds_load_2addr_b32 v[77:78], v2 offset0:47 offset1:48
	s_waitcnt lgkmcnt(3)
	v_fmac_f32_e32 v3, v79, v112
	s_waitcnt vmcnt(7)
	v_fmac_f32_e32 v3, v80, v113
	ds_load_2addr_b32 v[79:80], v2 offset0:49 offset1:50
	s_waitcnt lgkmcnt(3)
	v_fmac_f32_e32 v3, v81, v114
	s_delay_alu instid0(VALU_DEP_1) | instskip(SKIP_1) | instid1(VALU_DEP_1)
	v_fmac_f32_e32 v3, v82, v115
	s_waitcnt lgkmcnt(2)
	v_fmac_f32_e32 v3, v83, v116
	s_waitcnt vmcnt(6)
	s_delay_alu instid0(VALU_DEP_1) | instskip(SKIP_4) | instid1(VALU_DEP_1)
	v_fmac_f32_e32 v3, v84, v117
	ds_load_2addr_b32 v[81:82], v2 offset0:51 offset1:52
	ds_load_2addr_b32 v[83:84], v2 offset0:53 offset1:54
	s_waitcnt lgkmcnt(3)
	v_fmac_f32_e32 v3, v85, v77
	v_fmac_f32_e32 v3, v86, v78
	ds_load_2addr_b32 v[77:78], v2 offset0:55 offset1:56
	s_waitcnt lgkmcnt(3)
	v_fmac_f32_e32 v3, v87, v79
	s_waitcnt vmcnt(5)
	s_delay_alu instid0(VALU_DEP_1) | instskip(SKIP_3) | instid1(VALU_DEP_1)
	v_fmac_f32_e32 v3, v88, v80
	ds_load_2addr_b32 v[79:80], v2 offset0:57 offset1:58
	s_waitcnt lgkmcnt(3)
	v_fmac_f32_e32 v3, v89, v81
	v_fmac_f32_e32 v3, v90, v82
	s_waitcnt lgkmcnt(2)
	s_delay_alu instid0(VALU_DEP_1) | instskip(SKIP_1) | instid1(VALU_DEP_1)
	v_fmac_f32_e32 v3, v91, v83
	s_waitcnt vmcnt(4)
	v_fmac_f32_e32 v3, v92, v84
	ds_load_2addr_b32 v[81:82], v2 offset0:59 offset1:60
	ds_load_2addr_b32 v[83:84], v2 offset0:61 offset1:62
	s_waitcnt lgkmcnt(3)
	v_fmac_f32_e32 v3, v93, v77
	s_delay_alu instid0(VALU_DEP_1) | instskip(SKIP_4) | instid1(VALU_DEP_1)
	v_fmac_f32_e32 v3, v94, v78
	ds_load_2addr_b32 v[77:78], v2 offset0:63 offset1:64
	s_waitcnt lgkmcnt(3)
	v_fmac_f32_e32 v3, v95, v79
	s_waitcnt vmcnt(3)
	v_fmac_f32_e32 v3, v96, v80
	ds_load_2addr_b32 v[79:80], v2 offset0:65 offset1:66
	s_waitcnt lgkmcnt(3)
	v_fmac_f32_e32 v3, v97, v81
	s_delay_alu instid0(VALU_DEP_1) | instskip(SKIP_1) | instid1(VALU_DEP_1)
	v_fmac_f32_e32 v3, v98, v82
	s_waitcnt lgkmcnt(2)
	v_fmac_f32_e32 v3, v99, v83
	s_waitcnt vmcnt(2)
	s_delay_alu instid0(VALU_DEP_1)
	v_fmac_f32_e32 v3, v100, v84
	ds_load_2addr_b32 v[81:82], v2 offset0:67 offset1:68
	ds_load_2addr_b32 v[83:84], v2 offset0:69 offset1:70
	s_waitcnt lgkmcnt(3)
	v_fmac_f32_e32 v3, v101, v77
	ds_load_b32 v77, v2 offset:284
	v_fmac_f32_e32 v3, v102, v78
	s_waitcnt lgkmcnt(3)
	s_delay_alu instid0(VALU_DEP_1) | instskip(SKIP_1) | instid1(VALU_DEP_1)
	v_fmac_f32_e32 v3, v103, v79
	s_waitcnt vmcnt(1)
	v_fmac_f32_e32 v3, v104, v80
	s_waitcnt lgkmcnt(2)
	s_delay_alu instid0(VALU_DEP_1) | instskip(NEXT) | instid1(VALU_DEP_1)
	v_fmac_f32_e32 v3, v105, v81
	v_fmac_f32_e32 v3, v106, v82
	s_waitcnt lgkmcnt(1)
	s_delay_alu instid0(VALU_DEP_1) | instskip(SKIP_1) | instid1(VALU_DEP_1)
	v_fmac_f32_e32 v3, v107, v83
	s_waitcnt vmcnt(0)
	v_fmac_f32_e32 v3, v108, v84
	s_waitcnt lgkmcnt(0)
	s_delay_alu instid0(VALU_DEP_1) | instskip(NEXT) | instid1(VALU_DEP_1)
	v_fmac_f32_e32 v3, v109, v77
	v_sub_f32_e32 v3, v76, v3
	scratch_store_b32 off, v3, off offset:8
	v_cmpx_lt_u32_e32 1, v0
	s_cbranch_execz .LBB35_221
; %bb.220:
	scratch_load_b32 v3, off, off offset:4
	scratch_store_b32 off, v2, off offset:4
	s_waitcnt vmcnt(0)
	ds_store_b32 v1, v3
.LBB35_221:
	s_or_b32 exec_lo, exec_lo, s0
	s_waitcnt lgkmcnt(0)
	s_waitcnt_vscnt null, 0x0
	s_barrier
	buffer_gl0_inv
	s_clause 0x8
	scratch_load_b128 v[76:79], off, off offset:4
	scratch_load_b128 v[80:83], off, off offset:20
	;; [unrolled: 1-line block ×8, first 2 shown]
	scratch_load_b96 v[116:118], off, off offset:132
	ds_load_2addr_b64 v[108:111], v2 offset0:19 offset1:20
	ds_load_2addr_b64 v[112:115], v2 offset0:21 offset1:22
	s_mov_b32 s0, exec_lo
	s_waitcnt vmcnt(8) lgkmcnt(1)
	v_fma_f32 v108, v77, v108, 0
	s_delay_alu instid0(VALU_DEP_1) | instskip(NEXT) | instid1(VALU_DEP_1)
	v_fmac_f32_e32 v108, v78, v109
	v_fmac_f32_e32 v108, v79, v110
	s_waitcnt vmcnt(7)
	s_delay_alu instid0(VALU_DEP_1) | instskip(SKIP_3) | instid1(VALU_DEP_1)
	v_fmac_f32_e32 v108, v80, v111
	ds_load_2addr_b64 v[77:80], v2 offset0:23 offset1:24
	s_waitcnt lgkmcnt(1)
	v_fmac_f32_e32 v108, v81, v112
	v_fmac_f32_e32 v108, v82, v113
	s_delay_alu instid0(VALU_DEP_1) | instskip(SKIP_1) | instid1(VALU_DEP_1)
	v_fmac_f32_e32 v108, v83, v114
	s_waitcnt vmcnt(6)
	v_fmac_f32_e32 v108, v84, v115
	ds_load_2addr_b64 v[81:84], v2 offset0:25 offset1:26
	s_waitcnt lgkmcnt(1)
	v_fmac_f32_e32 v108, v85, v77
	s_delay_alu instid0(VALU_DEP_1) | instskip(NEXT) | instid1(VALU_DEP_1)
	v_fmac_f32_e32 v108, v86, v78
	v_fmac_f32_e32 v108, v87, v79
	s_waitcnt vmcnt(5)
	s_delay_alu instid0(VALU_DEP_1) | instskip(SKIP_3) | instid1(VALU_DEP_1)
	v_fmac_f32_e32 v108, v88, v80
	ds_load_2addr_b64 v[77:80], v2 offset0:27 offset1:28
	s_waitcnt lgkmcnt(1)
	v_fmac_f32_e32 v108, v89, v81
	v_fmac_f32_e32 v108, v90, v82
	s_delay_alu instid0(VALU_DEP_1) | instskip(SKIP_1) | instid1(VALU_DEP_1)
	v_fmac_f32_e32 v108, v91, v83
	s_waitcnt vmcnt(4)
	v_fmac_f32_e32 v108, v92, v84
	ds_load_2addr_b64 v[81:84], v2 offset0:29 offset1:30
	s_waitcnt lgkmcnt(1)
	v_fmac_f32_e32 v108, v93, v77
	s_delay_alu instid0(VALU_DEP_1) | instskip(NEXT) | instid1(VALU_DEP_1)
	v_fmac_f32_e32 v108, v94, v78
	v_fmac_f32_e32 v108, v95, v79
	s_waitcnt vmcnt(3)
	s_delay_alu instid0(VALU_DEP_1) | instskip(SKIP_3) | instid1(VALU_DEP_1)
	v_fmac_f32_e32 v108, v96, v80
	ds_load_2addr_b64 v[77:80], v2 offset0:31 offset1:32
	s_waitcnt lgkmcnt(1)
	v_fmac_f32_e32 v108, v97, v81
	v_fmac_f32_e32 v108, v98, v82
	s_delay_alu instid0(VALU_DEP_1) | instskip(SKIP_1) | instid1(VALU_DEP_1)
	v_fmac_f32_e32 v108, v99, v83
	s_waitcnt vmcnt(2)
	v_fmac_f32_e32 v108, v100, v84
	ds_load_2addr_b64 v[81:84], v2 offset0:33 offset1:34
	ds_load_b64 v[2:3], v2 offset:280
	s_waitcnt lgkmcnt(2)
	v_fmac_f32_e32 v108, v101, v77
	s_delay_alu instid0(VALU_DEP_1) | instskip(NEXT) | instid1(VALU_DEP_1)
	v_fmac_f32_e32 v108, v102, v78
	v_fmac_f32_e32 v108, v103, v79
	s_waitcnt vmcnt(1)
	s_delay_alu instid0(VALU_DEP_1) | instskip(SKIP_1) | instid1(VALU_DEP_1)
	v_fmac_f32_e32 v108, v104, v80
	s_waitcnt lgkmcnt(1)
	v_fmac_f32_e32 v108, v105, v81
	s_delay_alu instid0(VALU_DEP_1) | instskip(NEXT) | instid1(VALU_DEP_1)
	v_fmac_f32_e32 v108, v106, v82
	v_fmac_f32_e32 v108, v107, v83
	s_waitcnt vmcnt(0)
	s_delay_alu instid0(VALU_DEP_1) | instskip(SKIP_1) | instid1(VALU_DEP_1)
	v_fmac_f32_e32 v108, v116, v84
	s_waitcnt lgkmcnt(0)
	v_fmac_f32_e32 v108, v117, v2
	s_delay_alu instid0(VALU_DEP_1) | instskip(NEXT) | instid1(VALU_DEP_1)
	v_fmac_f32_e32 v108, v118, v3
	v_sub_f32_e32 v2, v76, v108
	scratch_store_b32 off, v2, off offset:4
	v_cmpx_ne_u32_e32 0, v0
	s_cbranch_execz .LBB35_223
; %bb.222:
	scratch_load_b32 v0, off, off
	v_mov_b32_e32 v2, 0
	scratch_store_b32 off, v2, off
	s_waitcnt vmcnt(0)
	ds_store_b32 v1, v0
.LBB35_223:
	s_or_b32 exec_lo, exec_lo, s0
	s_waitcnt lgkmcnt(0)
	s_waitcnt_vscnt null, 0x0
	s_barrier
	buffer_gl0_inv
	s_clause 0x8
	scratch_load_b128 v[76:79], off, off
	scratch_load_b128 v[80:83], off, off offset:16
	scratch_load_b128 v[84:87], off, off offset:32
	;; [unrolled: 1-line block ×8, first 2 shown]
	v_mov_b32_e32 v116, 0
	ds_load_2addr_b32 v[108:109], v116 offset0:37 offset1:38
	ds_load_2addr_b32 v[110:111], v116 offset0:39 offset1:40
	;; [unrolled: 1-line block ×4, first 2 shown]
	s_and_b32 vcc_lo, exec_lo, s16
	s_waitcnt vmcnt(8) lgkmcnt(3)
	v_fma_f32 v108, v77, v108, 0
	s_delay_alu instid0(VALU_DEP_1) | instskip(SKIP_4) | instid1(VALU_DEP_1)
	v_fmac_f32_e32 v108, v78, v109
	ds_load_2addr_b32 v[77:78], v116 offset0:45 offset1:46
	s_waitcnt lgkmcnt(3)
	v_fmac_f32_e32 v108, v79, v110
	s_waitcnt vmcnt(7)
	v_fmac_f32_e32 v108, v80, v111
	ds_load_2addr_b32 v[79:80], v116 offset0:47 offset1:48
	s_waitcnt lgkmcnt(3)
	v_fmac_f32_e32 v108, v81, v112
	s_delay_alu instid0(VALU_DEP_1) | instskip(SKIP_1) | instid1(VALU_DEP_1)
	v_fmac_f32_e32 v108, v82, v113
	s_waitcnt lgkmcnt(2)
	v_fmac_f32_e32 v108, v83, v114
	s_waitcnt vmcnt(6)
	s_delay_alu instid0(VALU_DEP_1) | instskip(SKIP_4) | instid1(VALU_DEP_1)
	v_fmac_f32_e32 v108, v84, v115
	ds_load_2addr_b32 v[81:82], v116 offset0:49 offset1:50
	ds_load_2addr_b32 v[83:84], v116 offset0:51 offset1:52
	s_waitcnt lgkmcnt(3)
	v_fmac_f32_e32 v108, v85, v77
	v_fmac_f32_e32 v108, v86, v78
	ds_load_2addr_b32 v[77:78], v116 offset0:53 offset1:54
	s_waitcnt lgkmcnt(3)
	v_fmac_f32_e32 v108, v87, v79
	s_waitcnt vmcnt(5)
	s_delay_alu instid0(VALU_DEP_1) | instskip(SKIP_3) | instid1(VALU_DEP_1)
	v_fmac_f32_e32 v108, v88, v80
	ds_load_2addr_b32 v[79:80], v116 offset0:55 offset1:56
	s_waitcnt lgkmcnt(3)
	v_fmac_f32_e32 v108, v89, v81
	v_fmac_f32_e32 v108, v90, v82
	s_waitcnt lgkmcnt(2)
	s_delay_alu instid0(VALU_DEP_1) | instskip(SKIP_1) | instid1(VALU_DEP_1)
	v_fmac_f32_e32 v108, v91, v83
	s_waitcnt vmcnt(4)
	v_fmac_f32_e32 v108, v92, v84
	ds_load_2addr_b32 v[81:82], v116 offset0:57 offset1:58
	ds_load_2addr_b32 v[83:84], v116 offset0:59 offset1:60
	s_waitcnt lgkmcnt(3)
	v_fmac_f32_e32 v108, v93, v77
	s_delay_alu instid0(VALU_DEP_1) | instskip(SKIP_4) | instid1(VALU_DEP_1)
	v_fmac_f32_e32 v108, v94, v78
	ds_load_2addr_b32 v[77:78], v116 offset0:61 offset1:62
	s_waitcnt lgkmcnt(3)
	v_fmac_f32_e32 v108, v95, v79
	s_waitcnt vmcnt(3)
	v_fmac_f32_e32 v108, v96, v80
	ds_load_2addr_b32 v[79:80], v116 offset0:63 offset1:64
	s_waitcnt lgkmcnt(3)
	v_fmac_f32_e32 v108, v97, v81
	s_delay_alu instid0(VALU_DEP_1) | instskip(SKIP_1) | instid1(VALU_DEP_1)
	v_fmac_f32_e32 v108, v98, v82
	s_waitcnt lgkmcnt(2)
	v_fmac_f32_e32 v108, v99, v83
	s_waitcnt vmcnt(2)
	s_delay_alu instid0(VALU_DEP_1) | instskip(SKIP_4) | instid1(VALU_DEP_1)
	v_fmac_f32_e32 v108, v100, v84
	ds_load_2addr_b32 v[81:82], v116 offset0:65 offset1:66
	ds_load_2addr_b32 v[83:84], v116 offset0:67 offset1:68
	s_waitcnt lgkmcnt(3)
	v_fmac_f32_e32 v108, v101, v77
	v_fmac_f32_e32 v108, v102, v78
	ds_load_2addr_b32 v[77:78], v116 offset0:69 offset1:70
	s_waitcnt lgkmcnt(3)
	v_fmac_f32_e32 v108, v103, v79
	ds_load_b32 v79, v116 offset:284
	s_waitcnt vmcnt(1)
	v_fmac_f32_e32 v108, v104, v80
	s_waitcnt lgkmcnt(3)
	s_delay_alu instid0(VALU_DEP_1) | instskip(NEXT) | instid1(VALU_DEP_1)
	v_fmac_f32_e32 v108, v105, v81
	v_fmac_f32_e32 v108, v106, v82
	s_waitcnt lgkmcnt(2)
	s_delay_alu instid0(VALU_DEP_1) | instskip(SKIP_1) | instid1(VALU_DEP_1)
	v_fmac_f32_e32 v108, v107, v83
	s_waitcnt vmcnt(0)
	v_fmac_f32_e32 v108, v0, v84
	s_waitcnt lgkmcnt(1)
	s_delay_alu instid0(VALU_DEP_1) | instskip(NEXT) | instid1(VALU_DEP_1)
	v_fmac_f32_e32 v108, v1, v77
	v_fmac_f32_e32 v108, v2, v78
	s_waitcnt lgkmcnt(0)
	s_delay_alu instid0(VALU_DEP_1) | instskip(NEXT) | instid1(VALU_DEP_1)
	v_fmac_f32_e32 v108, v3, v79
	v_sub_f32_e32 v0, v76, v108
	scratch_store_b32 off, v0, off
	s_cbranch_vccz .LBB35_295
; %bb.224:
	v_dual_mov_b32 v0, s12 :: v_dual_mov_b32 v1, s13
	s_mov_b32 s0, exec_lo
	flat_load_b32 v0, v[0:1] offset:136
	s_waitcnt vmcnt(0) lgkmcnt(0)
	v_cmpx_ne_u32_e32 35, v0
	s_cbranch_execz .LBB35_226
; %bb.225:
	v_lshl_add_u32 v0, v0, 2, 0
	scratch_load_b32 v1, v0, off offset:-4
	s_waitcnt vmcnt(0)
	scratch_store_b32 off, v1, off offset:136
	scratch_store_b32 v0, v2, off offset:-4
.LBB35_226:
	s_or_b32 exec_lo, exec_lo, s0
	v_dual_mov_b32 v0, s12 :: v_dual_mov_b32 v1, s13
	s_mov_b32 s0, exec_lo
	flat_load_b32 v0, v[0:1] offset:132
	s_waitcnt vmcnt(0) lgkmcnt(0)
	v_cmpx_ne_u32_e32 34, v0
	s_cbranch_execz .LBB35_228
; %bb.227:
	v_lshl_add_u32 v0, v0, 2, 0
	scratch_load_b32 v1, v0, off offset:-4
	scratch_load_b32 v2, off, off offset:132
	s_waitcnt vmcnt(1)
	scratch_store_b32 off, v1, off offset:132
	s_waitcnt vmcnt(0)
	scratch_store_b32 v0, v2, off offset:-4
.LBB35_228:
	s_or_b32 exec_lo, exec_lo, s0
	v_dual_mov_b32 v0, s12 :: v_dual_mov_b32 v1, s13
	s_mov_b32 s0, exec_lo
	flat_load_b32 v0, v[0:1] offset:128
	s_waitcnt vmcnt(0) lgkmcnt(0)
	v_cmpx_ne_u32_e32 33, v0
	s_cbranch_execz .LBB35_230
; %bb.229:
	v_lshl_add_u32 v0, v0, 2, 0
	scratch_load_b32 v1, v0, off offset:-4
	scratch_load_b32 v2, off, off offset:128
	s_waitcnt vmcnt(1)
	scratch_store_b32 off, v1, off offset:128
	s_waitcnt vmcnt(0)
	scratch_store_b32 v0, v2, off offset:-4
.LBB35_230:
	;; [unrolled: 16-line block ×33, first 2 shown]
	s_or_b32 exec_lo, exec_lo, s0
	v_dual_mov_b32 v0, s12 :: v_dual_mov_b32 v1, s13
	s_mov_b32 s0, exec_lo
	flat_load_b32 v1, v[0:1]
	scratch_load_b32 v0, off, off
	s_waitcnt vmcnt(1) lgkmcnt(0)
	v_cmpx_ne_u32_e32 1, v1
	s_cbranch_execz .LBB35_294
; %bb.293:
	v_lshl_add_u32 v1, v1, 2, 0
	scratch_load_b32 v2, v1, off offset:-4
	s_waitcnt vmcnt(0)
	scratch_store_b32 off, v2, off
	scratch_store_b32 v1, v0, off offset:-4
	scratch_load_b32 v0, off, off
.LBB35_294:
	s_or_b32 exec_lo, exec_lo, s0
.LBB35_295:
	s_clause 0x8
	scratch_load_b128 v[76:79], off, off offset:4
	scratch_load_b128 v[80:83], off, off offset:20
	;; [unrolled: 1-line block ×8, first 2 shown]
	scratch_load_b96 v[1:3], off, off offset:132
	s_waitcnt vmcnt(9)
	global_store_b32 v[4:5], v0, off
	s_waitcnt vmcnt(8)
	s_clause 0x3
	global_store_b32 v[6:7], v76, off
	global_store_b32 v[8:9], v77, off
	global_store_b32 v[10:11], v78, off
	global_store_b32 v[12:13], v79, off
	s_waitcnt vmcnt(7)
	s_clause 0x3
	global_store_b32 v[14:15], v80, off
	global_store_b32 v[16:17], v81, off
	global_store_b32 v[18:19], v82, off
	;; [unrolled: 6-line block ×9, first 2 shown]
	s_endpgm
	.section	.rodata,"a",@progbits
	.p2align	6, 0x0
	.amdhsa_kernel _ZN9rocsolver6v33100L18getri_kernel_smallILi36EfPfEEvT1_iilPiilS4_bb
		.amdhsa_group_segment_fixed_size 292
		.amdhsa_private_segment_fixed_size 160
		.amdhsa_kernarg_size 60
		.amdhsa_user_sgpr_count 15
		.amdhsa_user_sgpr_dispatch_ptr 0
		.amdhsa_user_sgpr_queue_ptr 0
		.amdhsa_user_sgpr_kernarg_segment_ptr 1
		.amdhsa_user_sgpr_dispatch_id 0
		.amdhsa_user_sgpr_private_segment_size 0
		.amdhsa_wavefront_size32 1
		.amdhsa_uses_dynamic_stack 0
		.amdhsa_enable_private_segment 1
		.amdhsa_system_sgpr_workgroup_id_x 1
		.amdhsa_system_sgpr_workgroup_id_y 0
		.amdhsa_system_sgpr_workgroup_id_z 0
		.amdhsa_system_sgpr_workgroup_info 0
		.amdhsa_system_vgpr_workitem_id 0
		.amdhsa_next_free_vgpr 119
		.amdhsa_next_free_sgpr 18
		.amdhsa_reserve_vcc 1
		.amdhsa_float_round_mode_32 0
		.amdhsa_float_round_mode_16_64 0
		.amdhsa_float_denorm_mode_32 3
		.amdhsa_float_denorm_mode_16_64 3
		.amdhsa_dx10_clamp 1
		.amdhsa_ieee_mode 1
		.amdhsa_fp16_overflow 0
		.amdhsa_workgroup_processor_mode 1
		.amdhsa_memory_ordered 1
		.amdhsa_forward_progress 0
		.amdhsa_shared_vgpr_count 0
		.amdhsa_exception_fp_ieee_invalid_op 0
		.amdhsa_exception_fp_denorm_src 0
		.amdhsa_exception_fp_ieee_div_zero 0
		.amdhsa_exception_fp_ieee_overflow 0
		.amdhsa_exception_fp_ieee_underflow 0
		.amdhsa_exception_fp_ieee_inexact 0
		.amdhsa_exception_int_div_zero 0
	.end_amdhsa_kernel
	.section	.text._ZN9rocsolver6v33100L18getri_kernel_smallILi36EfPfEEvT1_iilPiilS4_bb,"axG",@progbits,_ZN9rocsolver6v33100L18getri_kernel_smallILi36EfPfEEvT1_iilPiilS4_bb,comdat
.Lfunc_end35:
	.size	_ZN9rocsolver6v33100L18getri_kernel_smallILi36EfPfEEvT1_iilPiilS4_bb, .Lfunc_end35-_ZN9rocsolver6v33100L18getri_kernel_smallILi36EfPfEEvT1_iilPiilS4_bb
                                        ; -- End function
	.section	.AMDGPU.csdata,"",@progbits
; Kernel info:
; codeLenInByte = 23456
; NumSgprs: 20
; NumVgprs: 119
; ScratchSize: 160
; MemoryBound: 0
; FloatMode: 240
; IeeeMode: 1
; LDSByteSize: 292 bytes/workgroup (compile time only)
; SGPRBlocks: 2
; VGPRBlocks: 14
; NumSGPRsForWavesPerEU: 20
; NumVGPRsForWavesPerEU: 119
; Occupancy: 12
; WaveLimiterHint : 1
; COMPUTE_PGM_RSRC2:SCRATCH_EN: 1
; COMPUTE_PGM_RSRC2:USER_SGPR: 15
; COMPUTE_PGM_RSRC2:TRAP_HANDLER: 0
; COMPUTE_PGM_RSRC2:TGID_X_EN: 1
; COMPUTE_PGM_RSRC2:TGID_Y_EN: 0
; COMPUTE_PGM_RSRC2:TGID_Z_EN: 0
; COMPUTE_PGM_RSRC2:TIDIG_COMP_CNT: 0
	.section	.text._ZN9rocsolver6v33100L18getri_kernel_smallILi37EfPfEEvT1_iilPiilS4_bb,"axG",@progbits,_ZN9rocsolver6v33100L18getri_kernel_smallILi37EfPfEEvT1_iilPiilS4_bb,comdat
	.globl	_ZN9rocsolver6v33100L18getri_kernel_smallILi37EfPfEEvT1_iilPiilS4_bb ; -- Begin function _ZN9rocsolver6v33100L18getri_kernel_smallILi37EfPfEEvT1_iilPiilS4_bb
	.p2align	8
	.type	_ZN9rocsolver6v33100L18getri_kernel_smallILi37EfPfEEvT1_iilPiilS4_bb,@function
_ZN9rocsolver6v33100L18getri_kernel_smallILi37EfPfEEvT1_iilPiilS4_bb: ; @_ZN9rocsolver6v33100L18getri_kernel_smallILi37EfPfEEvT1_iilPiilS4_bb
; %bb.0:
	s_mov_b32 s2, exec_lo
	v_cmpx_gt_u32_e32 37, v0
	s_cbranch_execz .LBB36_156
; %bb.1:
	s_clause 0x2
	s_load_b32 s17, s[0:1], 0x38
	s_load_b128 s[8:11], s[0:1], 0x10
	s_load_b128 s[4:7], s[0:1], 0x28
	s_mov_b32 s14, s15
                                        ; implicit-def: $sgpr12_sgpr13
	s_waitcnt lgkmcnt(0)
	s_bitcmp1_b32 s17, 8
	s_cselect_b32 s16, -1, 0
	s_bfe_u32 s2, s17, 0x10008
	s_ashr_i32 s15, s15, 31
	s_cmp_eq_u32 s2, 0
	s_cbranch_scc1 .LBB36_3
; %bb.2:
	s_load_b32 s2, s[0:1], 0x20
	s_mul_i32 s3, s14, s5
	s_mul_hi_u32 s5, s14, s4
	s_mul_i32 s12, s15, s4
	s_add_i32 s3, s5, s3
	s_mul_i32 s4, s14, s4
	s_add_i32 s5, s3, s12
	s_delay_alu instid0(SALU_CYCLE_1)
	s_lshl_b64 s[4:5], s[4:5], 2
	s_waitcnt lgkmcnt(0)
	s_ashr_i32 s3, s2, 31
	s_add_u32 s4, s10, s4
	s_addc_u32 s5, s11, s5
	s_lshl_b64 s[2:3], s[2:3], 2
	s_delay_alu instid0(SALU_CYCLE_1)
	s_add_u32 s12, s4, s2
	s_addc_u32 s13, s5, s3
.LBB36_3:
	s_load_b128 s[0:3], s[0:1], 0x0
	s_mul_i32 s4, s14, s9
	s_mul_hi_u32 s5, s14, s8
	s_mul_i32 s9, s15, s8
	s_add_i32 s5, s5, s4
	s_mul_i32 s4, s14, s8
	s_add_i32 s5, s5, s9
	v_lshlrev_b32_e32 v1, 2, v0
	s_lshl_b64 s[4:5], s[4:5], 2
	s_waitcnt lgkmcnt(0)
	v_add3_u32 v2, s3, s3, v0
	s_ashr_i32 s9, s2, 31
	s_mov_b32 s8, s2
	s_add_u32 s2, s0, s4
	s_addc_u32 s4, s1, s5
	v_add_nc_u32_e32 v8, s3, v2
	s_lshl_b64 s[0:1], s[8:9], 2
	v_ashrrev_i32_e32 v3, 31, v2
	s_add_u32 s0, s2, s0
	s_addc_u32 s1, s4, s1
	v_add_nc_u32_e32 v10, s3, v8
	v_add_co_u32 v4, s2, s0, v1
	s_mov_b32 s10, s3
	s_ashr_i32 s11, s3, 31
	s_delay_alu instid0(VALU_DEP_2) | instskip(SKIP_3) | instid1(VALU_DEP_4)
	v_add_nc_u32_e32 v12, s3, v10
	v_add_co_ci_u32_e64 v5, null, s1, 0, s2
	v_lshlrev_b64 v[2:3], 2, v[2:3]
	v_ashrrev_i32_e32 v9, 31, v8
	v_add_nc_u32_e32 v14, s3, v12
	s_lshl_b64 s[4:5], s[10:11], 2
	v_ashrrev_i32_e32 v11, 31, v10
	v_add_co_u32 v6, vcc_lo, v4, s4
	s_delay_alu instid0(VALU_DEP_3) | instskip(SKIP_3) | instid1(VALU_DEP_4)
	v_add_nc_u32_e32 v16, s3, v14
	v_add_co_ci_u32_e32 v7, vcc_lo, s5, v5, vcc_lo
	v_lshlrev_b64 v[37:38], 2, v[8:9]
	v_add_co_u32 v8, vcc_lo, s0, v2
	v_add_nc_u32_e32 v18, s3, v16
	v_add_co_ci_u32_e32 v9, vcc_lo, s1, v3, vcc_lo
	v_ashrrev_i32_e32 v13, 31, v12
	v_lshlrev_b64 v[2:3], 2, v[10:11]
	s_delay_alu instid0(VALU_DEP_4) | instskip(SKIP_3) | instid1(VALU_DEP_4)
	v_add_nc_u32_e32 v20, s3, v18
	v_add_co_u32 v10, vcc_lo, s0, v37
	v_ashrrev_i32_e32 v15, 31, v14
	v_add_co_ci_u32_e32 v11, vcc_lo, s1, v38, vcc_lo
	v_add_nc_u32_e32 v22, s3, v20
	v_lshlrev_b64 v[37:38], 2, v[12:13]
	v_add_co_u32 v12, vcc_lo, s0, v2
	v_add_co_ci_u32_e32 v13, vcc_lo, s1, v3, vcc_lo
	s_delay_alu instid0(VALU_DEP_4) | instskip(SKIP_3) | instid1(VALU_DEP_4)
	v_add_nc_u32_e32 v24, s3, v22
	v_lshlrev_b64 v[2:3], 2, v[14:15]
	v_ashrrev_i32_e32 v17, 31, v16
	v_add_co_u32 v14, vcc_lo, s0, v37
	v_add_nc_u32_e32 v26, s3, v24
	v_ashrrev_i32_e32 v19, 31, v18
	v_add_co_ci_u32_e32 v15, vcc_lo, s1, v38, vcc_lo
	v_lshlrev_b64 v[37:38], 2, v[16:17]
	s_delay_alu instid0(VALU_DEP_4) | instskip(SKIP_2) | instid1(VALU_DEP_3)
	v_add_nc_u32_e32 v28, s3, v26
	v_add_co_u32 v16, vcc_lo, s0, v2
	v_add_co_ci_u32_e32 v17, vcc_lo, s1, v3, vcc_lo
	v_add_nc_u32_e32 v30, s3, v28
	v_ashrrev_i32_e32 v21, 31, v20
	v_lshlrev_b64 v[2:3], 2, v[18:19]
	v_add_co_u32 v18, vcc_lo, s0, v37
	s_delay_alu instid0(VALU_DEP_4) | instskip(SKIP_3) | instid1(VALU_DEP_4)
	v_add_nc_u32_e32 v32, s3, v30
	v_ashrrev_i32_e32 v23, 31, v22
	v_add_co_ci_u32_e32 v19, vcc_lo, s1, v38, vcc_lo
	v_lshlrev_b64 v[37:38], 2, v[20:21]
	v_add_nc_u32_e32 v34, s3, v32
	v_add_co_u32 v20, vcc_lo, s0, v2
	v_add_co_ci_u32_e32 v21, vcc_lo, s1, v3, vcc_lo
	s_delay_alu instid0(VALU_DEP_3) | instskip(SKIP_3) | instid1(VALU_DEP_4)
	v_add_nc_u32_e32 v36, s3, v34
	v_lshlrev_b64 v[2:3], 2, v[22:23]
	v_ashrrev_i32_e32 v25, 31, v24
	v_add_co_u32 v22, vcc_lo, s0, v37
	v_add_nc_u32_e32 v39, s3, v36
	v_ashrrev_i32_e32 v27, 31, v26
	v_add_co_ci_u32_e32 v23, vcc_lo, s1, v38, vcc_lo
	v_lshlrev_b64 v[37:38], 2, v[24:25]
	s_delay_alu instid0(VALU_DEP_4) | instskip(SKIP_2) | instid1(VALU_DEP_3)
	v_add_nc_u32_e32 v41, s3, v39
	v_add_co_u32 v24, vcc_lo, s0, v2
	v_add_co_ci_u32_e32 v25, vcc_lo, s1, v3, vcc_lo
	v_add_nc_u32_e32 v43, s3, v41
	v_ashrrev_i32_e32 v29, 31, v28
	v_lshlrev_b64 v[2:3], 2, v[26:27]
	v_add_co_u32 v26, vcc_lo, s0, v37
	s_delay_alu instid0(VALU_DEP_4) | instskip(SKIP_3) | instid1(VALU_DEP_4)
	v_add_nc_u32_e32 v46, s3, v43
	v_ashrrev_i32_e32 v31, 31, v30
	v_add_co_ci_u32_e32 v27, vcc_lo, s1, v38, vcc_lo
	v_lshlrev_b64 v[37:38], 2, v[28:29]
	v_add_nc_u32_e32 v48, s3, v46
	v_add_co_u32 v28, vcc_lo, s0, v2
	v_add_co_ci_u32_e32 v29, vcc_lo, s1, v3, vcc_lo
	s_delay_alu instid0(VALU_DEP_3) | instskip(SKIP_3) | instid1(VALU_DEP_4)
	v_add_nc_u32_e32 v50, s3, v48
	v_lshlrev_b64 v[2:3], 2, v[30:31]
	v_ashrrev_i32_e32 v33, 31, v32
	v_add_co_u32 v30, vcc_lo, s0, v37
	v_add_nc_u32_e32 v52, s3, v50
	v_ashrrev_i32_e32 v35, 31, v34
	v_add_co_ci_u32_e32 v31, vcc_lo, s1, v38, vcc_lo
	v_lshlrev_b64 v[44:45], 2, v[32:33]
	s_delay_alu instid0(VALU_DEP_4) | instskip(SKIP_2) | instid1(VALU_DEP_3)
	v_add_nc_u32_e32 v56, s3, v52
	v_add_co_u32 v32, vcc_lo, s0, v2
	v_add_co_ci_u32_e32 v33, vcc_lo, s1, v3, vcc_lo
	v_add_nc_u32_e32 v58, s3, v56
	v_lshlrev_b64 v[2:3], 2, v[34:35]
	v_ashrrev_i32_e32 v37, 31, v36
	v_add_co_u32 v34, vcc_lo, s0, v44
	s_delay_alu instid0(VALU_DEP_4) | instskip(SKIP_3) | instid1(VALU_DEP_4)
	v_add_nc_u32_e32 v60, s3, v58
	v_ashrrev_i32_e32 v40, 31, v39
	v_add_co_ci_u32_e32 v35, vcc_lo, s1, v45, vcc_lo
	v_lshlrev_b64 v[44:45], 2, v[36:37]
	v_add_nc_u32_e32 v62, s3, v60
	v_add_co_u32 v36, vcc_lo, s0, v2
	v_ashrrev_i32_e32 v42, 31, v41
	v_add_co_ci_u32_e32 v37, vcc_lo, s1, v3, vcc_lo
	s_delay_alu instid0(VALU_DEP_4) | instskip(SKIP_3) | instid1(VALU_DEP_4)
	v_add_nc_u32_e32 v64, s3, v62
	v_lshlrev_b64 v[2:3], 2, v[39:40]
	v_add_co_u32 v38, vcc_lo, s0, v44
	v_lshlrev_b64 v[53:54], 2, v[41:42]
	v_add_nc_u32_e32 v66, s3, v64
	v_ashrrev_i32_e32 v44, 31, v43
	v_add_co_ci_u32_e32 v39, vcc_lo, s1, v45, vcc_lo
	v_add_co_u32 v40, vcc_lo, s0, v2
	s_delay_alu instid0(VALU_DEP_4) | instskip(SKIP_3) | instid1(VALU_DEP_4)
	v_add_nc_u32_e32 v68, s3, v66
	v_add_co_ci_u32_e32 v41, vcc_lo, s1, v3, vcc_lo
	v_lshlrev_b64 v[2:3], 2, v[43:44]
	v_ashrrev_i32_e32 v47, 31, v46
	v_add_nc_u32_e32 v70, s3, v68
	v_add_co_u32 v44, vcc_lo, s0, v53
	v_ashrrev_i32_e32 v49, 31, v48
	v_add_co_ci_u32_e32 v45, vcc_lo, s1, v54, vcc_lo
	s_delay_alu instid0(VALU_DEP_4) | instskip(SKIP_3) | instid1(VALU_DEP_4)
	v_add_nc_u32_e32 v72, s3, v70
	v_lshlrev_b64 v[53:54], 2, v[46:47]
	v_add_co_u32 v46, vcc_lo, s0, v2
	v_add_co_ci_u32_e32 v47, vcc_lo, s1, v3, vcc_lo
	v_add_nc_u32_e32 v74, s3, v72
	v_lshlrev_b64 v[2:3], 2, v[48:49]
	v_ashrrev_i32_e32 v51, 31, v50
	v_ashrrev_i32_e32 v57, 31, v56
	;; [unrolled: 1-line block ×3, first 2 shown]
	v_add_nc_u32_e32 v76, s3, v74
	v_ashrrev_i32_e32 v61, 31, v60
	v_ashrrev_i32_e32 v63, 31, v62
	;; [unrolled: 1-line block ×3, first 2 shown]
	v_lshlrev_b64 v[58:59], 2, v[58:59]
	v_add_nc_u32_e32 v42, s3, v76
	v_ashrrev_i32_e32 v67, 31, v66
	v_lshlrev_b64 v[62:63], 2, v[62:63]
	v_ashrrev_i32_e32 v69, 31, v68
	v_ashrrev_i32_e32 v71, 31, v70
	;; [unrolled: 1-line block ×3, first 2 shown]
	v_lshlrev_b64 v[66:67], 2, v[66:67]
	v_ashrrev_i32_e32 v73, 31, v72
	v_ashrrev_i32_e32 v75, 31, v74
	v_lshlrev_b64 v[103:104], 2, v[70:71]
	v_lshlrev_b64 v[42:43], 2, v[42:43]
	v_ashrrev_i32_e32 v77, 31, v76
	v_lshlrev_b64 v[70:71], 2, v[72:73]
	s_clause 0x10
	global_load_b32 v78, v1, s[0:1]
	global_load_b32 v79, v[6:7], off
	global_load_b32 v80, v[8:9], off
	;; [unrolled: 1-line block ×16, first 2 shown]
	v_add_co_u32 v42, vcc_lo, s0, v42
	v_add_co_ci_u32_e32 v43, vcc_lo, s1, v43, vcc_lo
	v_add_co_u32 v48, vcc_lo, s0, v53
	v_ashrrev_i32_e32 v53, 31, v52
	v_add_co_ci_u32_e32 v49, vcc_lo, s1, v54, vcc_lo
	v_lshlrev_b64 v[54:55], 2, v[50:51]
	v_add_co_u32 v50, vcc_lo, s0, v2
	v_add_co_ci_u32_e32 v51, vcc_lo, s1, v3, vcc_lo
	v_lshlrev_b64 v[2:3], 2, v[52:53]
	s_delay_alu instid0(VALU_DEP_4) | instskip(SKIP_2) | instid1(VALU_DEP_3)
	v_add_co_u32 v52, vcc_lo, s0, v54
	v_add_co_ci_u32_e32 v53, vcc_lo, s1, v55, vcc_lo
	s_bitcmp0_b32 s17, 0
	v_add_co_u32 v54, vcc_lo, s0, v2
	s_delay_alu instid0(VALU_DEP_4)
	v_add_co_ci_u32_e32 v55, vcc_lo, s1, v3, vcc_lo
	v_lshlrev_b64 v[2:3], 2, v[56:57]
	s_clause 0x7
	global_load_b32 v95, v[38:39], off
	global_load_b32 v96, v[40:41], off
	;; [unrolled: 1-line block ×8, first 2 shown]
	v_add_co_u32 v56, vcc_lo, s0, v2
	v_add_co_ci_u32_e32 v57, vcc_lo, s1, v3, vcc_lo
	v_lshlrev_b64 v[2:3], 2, v[60:61]
	v_add_co_u32 v58, vcc_lo, s0, v58
	v_add_co_ci_u32_e32 v59, vcc_lo, s1, v59, vcc_lo
	s_delay_alu instid0(VALU_DEP_3) | instskip(NEXT) | instid1(VALU_DEP_4)
	v_add_co_u32 v60, vcc_lo, s0, v2
	v_add_co_ci_u32_e32 v61, vcc_lo, s1, v3, vcc_lo
	v_lshlrev_b64 v[2:3], 2, v[64:65]
	v_add_co_u32 v62, vcc_lo, s0, v62
	v_add_co_ci_u32_e32 v63, vcc_lo, s1, v63, vcc_lo
	s_delay_alu instid0(VALU_DEP_3) | instskip(NEXT) | instid1(VALU_DEP_4)
	;; [unrolled: 6-line block ×3, first 2 shown]
	v_add_co_u32 v68, vcc_lo, s0, v2
	v_add_co_ci_u32_e32 v69, vcc_lo, s1, v3, vcc_lo
	v_lshlrev_b64 v[2:3], 2, v[74:75]
	v_add_co_u32 v70, vcc_lo, s0, v70
	v_lshlrev_b64 v[74:75], 2, v[76:77]
	v_add_co_ci_u32_e32 v71, vcc_lo, s1, v71, vcc_lo
	s_delay_alu instid0(VALU_DEP_4) | instskip(SKIP_1) | instid1(VALU_DEP_4)
	v_add_co_u32 v72, vcc_lo, s0, v2
	v_add_co_ci_u32_e32 v73, vcc_lo, s1, v3, vcc_lo
	v_add_co_u32 v74, vcc_lo, s0, v74
	v_add_co_ci_u32_e32 v75, vcc_lo, s1, v75, vcc_lo
	v_add_co_u32 v76, vcc_lo, s0, v103
	v_add_co_ci_u32_e32 v77, vcc_lo, s1, v104, vcc_lo
	s_clause 0xb
	global_load_b32 v107, v[70:71], off
	global_load_b32 v108, v[72:73], off
	;; [unrolled: 1-line block ×12, first 2 shown]
	s_mov_b32 s1, -1
	s_waitcnt vmcnt(33)
	scratch_store_b128 off, v[78:81], off
	s_waitcnt vmcnt(29)
	scratch_store_b128 off, v[82:85], off offset:16
	s_waitcnt vmcnt(25)
	scratch_store_b128 off, v[86:89], off offset:32
	;; [unrolled: 2-line block ×8, first 2 shown]
	s_waitcnt vmcnt(0)
	scratch_store_b32 off, v2, off offset:144
	s_cbranch_scc1 .LBB36_154
; %bb.4:
	v_cmp_eq_u32_e64 s0, 0, v0
	s_delay_alu instid0(VALU_DEP_1)
	s_and_saveexec_b32 s1, s0
	s_cbranch_execz .LBB36_6
; %bb.5:
	v_mov_b32_e32 v2, 0
	ds_store_b32 v2, v2 offset:148
.LBB36_6:
	s_or_b32 exec_lo, exec_lo, s1
	s_waitcnt lgkmcnt(0)
	s_waitcnt_vscnt null, 0x0
	s_barrier
	buffer_gl0_inv
	scratch_load_b32 v2, v1, off
	s_mov_b32 s2, exec_lo
	s_waitcnt vmcnt(0)
	v_cmpx_eq_f32_e32 0, v2
	s_cbranch_execz .LBB36_10
; %bb.7:
	v_mov_b32_e32 v2, 0
	s_mov_b32 s3, 0
	ds_load_b32 v3, v2 offset:148
	s_waitcnt lgkmcnt(0)
	v_readfirstlane_b32 s1, v3
	v_add_nc_u32_e32 v3, 1, v0
	s_delay_alu instid0(VALU_DEP_2) | instskip(NEXT) | instid1(VALU_DEP_1)
	s_cmp_eq_u32 s1, 0
	v_cmp_gt_i32_e32 vcc_lo, s1, v3
	s_cselect_b32 s4, -1, 0
	s_delay_alu instid0(SALU_CYCLE_1) | instskip(NEXT) | instid1(SALU_CYCLE_1)
	s_or_b32 s4, s4, vcc_lo
	s_and_b32 exec_lo, exec_lo, s4
	s_cbranch_execz .LBB36_10
; %bb.8:
	v_mov_b32_e32 v78, s1
.LBB36_9:                               ; =>This Inner Loop Header: Depth=1
	ds_cmpstore_rtn_b32 v78, v2, v3, v78 offset:148
	s_waitcnt lgkmcnt(0)
	v_cmp_ne_u32_e32 vcc_lo, 0, v78
	v_cmp_le_i32_e64 s1, v78, v3
	s_delay_alu instid0(VALU_DEP_1) | instskip(NEXT) | instid1(SALU_CYCLE_1)
	s_and_b32 s1, vcc_lo, s1
	s_and_b32 s1, exec_lo, s1
	s_delay_alu instid0(SALU_CYCLE_1) | instskip(NEXT) | instid1(SALU_CYCLE_1)
	s_or_b32 s3, s1, s3
	s_and_not1_b32 exec_lo, exec_lo, s3
	s_cbranch_execnz .LBB36_9
.LBB36_10:
	s_or_b32 exec_lo, exec_lo, s2
	v_mov_b32_e32 v2, 0
	s_barrier
	buffer_gl0_inv
	ds_load_b32 v3, v2 offset:148
	s_and_saveexec_b32 s1, s0
	s_cbranch_execz .LBB36_12
; %bb.11:
	s_lshl_b64 s[2:3], s[14:15], 2
	s_delay_alu instid0(SALU_CYCLE_1)
	s_add_u32 s2, s6, s2
	s_addc_u32 s3, s7, s3
	s_waitcnt lgkmcnt(0)
	global_store_b32 v2, v3, s[2:3]
.LBB36_12:
	s_or_b32 exec_lo, exec_lo, s1
	s_waitcnt lgkmcnt(0)
	v_cmp_ne_u32_e32 vcc_lo, 0, v3
	s_mov_b32 s1, 0
	s_cbranch_vccnz .LBB36_154
; %bb.13:
	v_add_nc_u32_e32 v2, 0, v1
	scratch_load_b32 v3, v2, off
	s_waitcnt vmcnt(0)
	v_div_scale_f32 v78, null, v3, v3, 1.0
	v_div_scale_f32 v81, vcc_lo, 1.0, v3, 1.0
	s_delay_alu instid0(VALU_DEP_2) | instskip(SKIP_2) | instid1(VALU_DEP_1)
	v_rcp_f32_e32 v79, v78
	s_waitcnt_depctr 0xfff
	v_fma_f32 v80, -v78, v79, 1.0
	v_fmac_f32_e32 v79, v80, v79
	s_delay_alu instid0(VALU_DEP_1) | instskip(NEXT) | instid1(VALU_DEP_1)
	v_mul_f32_e32 v80, v81, v79
	v_fma_f32 v82, -v78, v80, v81
	s_delay_alu instid0(VALU_DEP_1) | instskip(NEXT) | instid1(VALU_DEP_1)
	v_fmac_f32_e32 v80, v82, v79
	v_fma_f32 v78, -v78, v80, v81
	s_delay_alu instid0(VALU_DEP_1) | instskip(NEXT) | instid1(VALU_DEP_1)
	v_div_fmas_f32 v78, v78, v79, v80
	v_div_fixup_f32 v3, v78, v3, 1.0
	scratch_store_b32 v2, v3, off
	scratch_load_b32 v78, off, off offset:4
	v_xor_b32_e32 v79, 0x80000000, v3
	v_add_nc_u32_e32 v3, 0xa0, v1
	s_waitcnt vmcnt(0)
	ds_store_2addr_b32 v1, v79, v78 offset1:40
	s_waitcnt lgkmcnt(0)
	s_waitcnt_vscnt null, 0x0
	s_barrier
	buffer_gl0_inv
	s_and_saveexec_b32 s1, s0
	s_cbranch_execz .LBB36_15
; %bb.14:
	scratch_load_b32 v78, v2, off
	ds_load_b32 v79, v3
	v_mov_b32_e32 v80, 0
	ds_load_b32 v80, v80 offset:4
	s_waitcnt vmcnt(0) lgkmcnt(1)
	v_fma_f32 v78, v78, v79, 0
	s_waitcnt lgkmcnt(0)
	s_delay_alu instid0(VALU_DEP_1)
	v_mul_f32_e32 v78, v78, v80
	scratch_store_b32 off, v78, off offset:4
.LBB36_15:
	s_or_b32 exec_lo, exec_lo, s1
	s_waitcnt_vscnt null, 0x0
	s_barrier
	buffer_gl0_inv
	scratch_load_b32 v78, off, off offset:8
	s_mov_b32 s1, exec_lo
	s_waitcnt vmcnt(0)
	ds_store_b32 v3, v78
	s_waitcnt lgkmcnt(0)
	s_barrier
	buffer_gl0_inv
	v_cmpx_gt_u32_e32 2, v0
	s_cbranch_execz .LBB36_17
; %bb.16:
	scratch_load_b32 v80, v2, off
	scratch_load_b32 v81, off, off offset:4
	ds_load_b32 v82, v3
	v_mov_b32_e32 v78, 0
	ds_load_2addr_b32 v[78:79], v78 offset0:2 offset1:41
	s_waitcnt vmcnt(1) lgkmcnt(1)
	v_fma_f32 v80, v80, v82, 0
	s_waitcnt vmcnt(0) lgkmcnt(0)
	s_delay_alu instid0(VALU_DEP_1) | instskip(NEXT) | instid1(VALU_DEP_1)
	v_fma_f32 v79, v81, v79, v80
	v_cndmask_b32_e64 v79, v80, v79, s0
	s_delay_alu instid0(VALU_DEP_1)
	v_mul_f32_e32 v78, v79, v78
	scratch_store_b32 off, v78, off offset:8
.LBB36_17:
	s_or_b32 exec_lo, exec_lo, s1
	s_waitcnt_vscnt null, 0x0
	s_barrier
	buffer_gl0_inv
	scratch_load_b32 v79, off, off offset:12
	v_add_nc_u32_e32 v78, -1, v0
	s_mov_b32 s0, exec_lo
	s_waitcnt vmcnt(0)
	ds_store_b32 v3, v79
	s_waitcnt lgkmcnt(0)
	s_barrier
	buffer_gl0_inv
	v_cmpx_gt_u32_e32 3, v0
	s_cbranch_execz .LBB36_21
; %bb.18:
	v_dual_mov_b32 v79, 0 :: v_dual_add_nc_u32 v80, -1, v0
	v_add_nc_u32_e32 v81, 0xa0, v1
	v_add_nc_u32_e32 v82, 0, v1
	s_mov_b32 s1, 0
.LBB36_19:                              ; =>This Inner Loop Header: Depth=1
	scratch_load_b32 v83, v82, off
	ds_load_b32 v84, v81
	v_add_nc_u32_e32 v80, 1, v80
	v_add_nc_u32_e32 v81, 4, v81
	v_add_nc_u32_e32 v82, 4, v82
	s_delay_alu instid0(VALU_DEP_3)
	v_cmp_lt_u32_e32 vcc_lo, 1, v80
	s_or_b32 s1, vcc_lo, s1
	s_waitcnt vmcnt(0) lgkmcnt(0)
	v_fmac_f32_e32 v79, v83, v84
	s_and_not1_b32 exec_lo, exec_lo, s1
	s_cbranch_execnz .LBB36_19
; %bb.20:
	s_or_b32 exec_lo, exec_lo, s1
	v_mov_b32_e32 v80, 0
	ds_load_b32 v80, v80 offset:12
	s_waitcnt lgkmcnt(0)
	v_mul_f32_e32 v79, v79, v80
	scratch_store_b32 off, v79, off offset:12
.LBB36_21:
	s_or_b32 exec_lo, exec_lo, s0
	s_waitcnt_vscnt null, 0x0
	s_barrier
	buffer_gl0_inv
	scratch_load_b32 v79, off, off offset:16
	s_mov_b32 s0, exec_lo
	s_waitcnt vmcnt(0)
	ds_store_b32 v3, v79
	s_waitcnt lgkmcnt(0)
	s_barrier
	buffer_gl0_inv
	v_cmpx_gt_u32_e32 4, v0
	s_cbranch_execz .LBB36_25
; %bb.22:
	v_dual_mov_b32 v79, 0 :: v_dual_add_nc_u32 v80, -1, v0
	v_add_nc_u32_e32 v81, 0xa0, v1
	v_add_nc_u32_e32 v82, 0, v1
	s_mov_b32 s1, 0
.LBB36_23:                              ; =>This Inner Loop Header: Depth=1
	scratch_load_b32 v83, v82, off
	ds_load_b32 v84, v81
	v_add_nc_u32_e32 v80, 1, v80
	v_add_nc_u32_e32 v81, 4, v81
	v_add_nc_u32_e32 v82, 4, v82
	s_delay_alu instid0(VALU_DEP_3)
	v_cmp_lt_u32_e32 vcc_lo, 2, v80
	s_or_b32 s1, vcc_lo, s1
	s_waitcnt vmcnt(0) lgkmcnt(0)
	v_fmac_f32_e32 v79, v83, v84
	s_and_not1_b32 exec_lo, exec_lo, s1
	s_cbranch_execnz .LBB36_23
; %bb.24:
	s_or_b32 exec_lo, exec_lo, s1
	v_mov_b32_e32 v80, 0
	ds_load_b32 v80, v80 offset:16
	s_waitcnt lgkmcnt(0)
	v_mul_f32_e32 v79, v79, v80
	scratch_store_b32 off, v79, off offset:16
.LBB36_25:
	s_or_b32 exec_lo, exec_lo, s0
	s_waitcnt_vscnt null, 0x0
	s_barrier
	buffer_gl0_inv
	scratch_load_b32 v79, off, off offset:20
	;; [unrolled: 39-line block ×21, first 2 shown]
	s_mov_b32 s0, exec_lo
	s_waitcnt vmcnt(0)
	ds_store_b32 v3, v79
	s_waitcnt lgkmcnt(0)
	s_barrier
	buffer_gl0_inv
	v_cmpx_gt_u32_e32 24, v0
	s_cbranch_execz .LBB36_105
; %bb.102:
	v_dual_mov_b32 v79, 0 :: v_dual_add_nc_u32 v80, -1, v0
	v_add_nc_u32_e32 v81, 0xa0, v1
	v_add_nc_u32_e32 v82, 0, v1
	s_mov_b32 s1, 0
.LBB36_103:                             ; =>This Inner Loop Header: Depth=1
	scratch_load_b32 v83, v82, off
	ds_load_b32 v84, v81
	v_add_nc_u32_e32 v80, 1, v80
	v_add_nc_u32_e32 v81, 4, v81
	v_add_nc_u32_e32 v82, 4, v82
	s_delay_alu instid0(VALU_DEP_3)
	v_cmp_lt_u32_e32 vcc_lo, 22, v80
	s_or_b32 s1, vcc_lo, s1
	s_waitcnt vmcnt(0) lgkmcnt(0)
	v_fmac_f32_e32 v79, v83, v84
	s_and_not1_b32 exec_lo, exec_lo, s1
	s_cbranch_execnz .LBB36_103
; %bb.104:
	s_or_b32 exec_lo, exec_lo, s1
	v_mov_b32_e32 v80, 0
	ds_load_b32 v80, v80 offset:96
	s_waitcnt lgkmcnt(0)
	v_mul_f32_e32 v79, v79, v80
	scratch_store_b32 off, v79, off offset:96
.LBB36_105:
	s_or_b32 exec_lo, exec_lo, s0
	s_waitcnt_vscnt null, 0x0
	s_barrier
	buffer_gl0_inv
	scratch_load_b32 v79, off, off offset:100
	s_mov_b32 s0, exec_lo
	s_waitcnt vmcnt(0)
	ds_store_b32 v3, v79
	s_waitcnt lgkmcnt(0)
	s_barrier
	buffer_gl0_inv
	v_cmpx_gt_u32_e32 25, v0
	s_cbranch_execz .LBB36_109
; %bb.106:
	v_dual_mov_b32 v79, 0 :: v_dual_add_nc_u32 v80, -1, v0
	v_add_nc_u32_e32 v81, 0xa0, v1
	v_add_nc_u32_e32 v82, 0, v1
	s_mov_b32 s1, 0
.LBB36_107:                             ; =>This Inner Loop Header: Depth=1
	scratch_load_b32 v83, v82, off
	ds_load_b32 v84, v81
	v_add_nc_u32_e32 v80, 1, v80
	v_add_nc_u32_e32 v81, 4, v81
	v_add_nc_u32_e32 v82, 4, v82
	s_delay_alu instid0(VALU_DEP_3)
	v_cmp_lt_u32_e32 vcc_lo, 23, v80
	s_or_b32 s1, vcc_lo, s1
	s_waitcnt vmcnt(0) lgkmcnt(0)
	v_fmac_f32_e32 v79, v83, v84
	s_and_not1_b32 exec_lo, exec_lo, s1
	s_cbranch_execnz .LBB36_107
; %bb.108:
	s_or_b32 exec_lo, exec_lo, s1
	v_mov_b32_e32 v80, 0
	ds_load_b32 v80, v80 offset:100
	s_waitcnt lgkmcnt(0)
	v_mul_f32_e32 v79, v79, v80
	scratch_store_b32 off, v79, off offset:100
.LBB36_109:
	s_or_b32 exec_lo, exec_lo, s0
	s_waitcnt_vscnt null, 0x0
	s_barrier
	buffer_gl0_inv
	scratch_load_b32 v79, off, off offset:104
	;; [unrolled: 39-line block ×11, first 2 shown]
	s_mov_b32 s0, exec_lo
	s_waitcnt vmcnt(0)
	ds_store_b32 v3, v79
	s_waitcnt lgkmcnt(0)
	s_barrier
	buffer_gl0_inv
	v_cmpx_gt_u32_e32 35, v0
	s_cbranch_execz .LBB36_149
; %bb.146:
	v_add_nc_u32_e32 v79, -1, v0
	v_add_nc_u32_e32 v80, 0xa0, v1
	v_add_nc_u32_e32 v81, 0, v1
	v_mov_b32_e32 v1, 0
	s_mov_b32 s1, 0
.LBB36_147:                             ; =>This Inner Loop Header: Depth=1
	scratch_load_b32 v82, v81, off
	ds_load_b32 v83, v80
	v_add_nc_u32_e32 v79, 1, v79
	v_add_nc_u32_e32 v80, 4, v80
	;; [unrolled: 1-line block ×3, first 2 shown]
	s_delay_alu instid0(VALU_DEP_3)
	v_cmp_lt_u32_e32 vcc_lo, 33, v79
	s_or_b32 s1, vcc_lo, s1
	s_waitcnt vmcnt(0) lgkmcnt(0)
	v_fmac_f32_e32 v1, v82, v83
	s_and_not1_b32 exec_lo, exec_lo, s1
	s_cbranch_execnz .LBB36_147
; %bb.148:
	s_or_b32 exec_lo, exec_lo, s1
	v_mov_b32_e32 v79, 0
	ds_load_b32 v79, v79 offset:140
	s_waitcnt lgkmcnt(0)
	v_mul_f32_e32 v1, v1, v79
	scratch_store_b32 off, v1, off offset:140
.LBB36_149:
	s_or_b32 exec_lo, exec_lo, s0
	s_waitcnt_vscnt null, 0x0
	s_barrier
	buffer_gl0_inv
	scratch_load_b32 v1, off, off offset:144
	s_mov_b32 s0, exec_lo
	s_waitcnt vmcnt(0)
	ds_store_b32 v3, v1
	s_waitcnt lgkmcnt(0)
	s_barrier
	buffer_gl0_inv
	v_cmpx_ne_u32_e32 36, v0
	s_cbranch_execz .LBB36_153
; %bb.150:
	v_mov_b32_e32 v1, 0
	s_mov_b32 s1, 0
.LBB36_151:                             ; =>This Inner Loop Header: Depth=1
	scratch_load_b32 v79, v2, off
	ds_load_b32 v80, v3
	v_add_nc_u32_e32 v78, 1, v78
	v_add_nc_u32_e32 v3, 4, v3
	s_waitcnt vmcnt(0) lgkmcnt(0)
	v_dual_fmac_f32 v1, v79, v80 :: v_dual_add_nc_u32 v2, 4, v2
	s_delay_alu instid0(VALU_DEP_3) | instskip(SKIP_1) | instid1(SALU_CYCLE_1)
	v_cmp_lt_u32_e32 vcc_lo, 34, v78
	s_or_b32 s1, vcc_lo, s1
	s_and_not1_b32 exec_lo, exec_lo, s1
	s_cbranch_execnz .LBB36_151
; %bb.152:
	s_or_b32 exec_lo, exec_lo, s1
	v_mov_b32_e32 v2, 0
	ds_load_b32 v2, v2 offset:144
	s_waitcnt lgkmcnt(0)
	v_mul_f32_e32 v1, v1, v2
	scratch_store_b32 off, v1, off offset:144
.LBB36_153:
	s_or_b32 exec_lo, exec_lo, s0
	s_mov_b32 s1, -1
	s_waitcnt_vscnt null, 0x0
	s_barrier
	buffer_gl0_inv
.LBB36_154:
	s_and_b32 vcc_lo, exec_lo, s1
	s_cbranch_vccz .LBB36_156
; %bb.155:
	s_lshl_b64 s[0:1], s[14:15], 2
	v_mov_b32_e32 v1, 0
	s_add_u32 s0, s6, s0
	s_addc_u32 s1, s7, s1
	global_load_b32 v1, v1, s[0:1]
	s_waitcnt vmcnt(0)
	v_cmp_ne_u32_e32 vcc_lo, 0, v1
	s_cbranch_vccz .LBB36_157
.LBB36_156:
	s_endpgm
.LBB36_157:
	v_lshl_add_u32 v1, v0, 2, 0xa0
	s_mov_b32 s0, exec_lo
	v_cmpx_eq_u32_e32 36, v0
	s_cbranch_execz .LBB36_159
; %bb.158:
	scratch_load_b32 v2, off, off offset:140
	v_mov_b32_e32 v3, 0
	scratch_store_b32 off, v3, off offset:140
	s_waitcnt vmcnt(0)
	ds_store_b32 v1, v2
.LBB36_159:
	s_or_b32 exec_lo, exec_lo, s0
	s_waitcnt lgkmcnt(0)
	s_waitcnt_vscnt null, 0x0
	s_barrier
	buffer_gl0_inv
	scratch_load_b64 v[78:79], off, off offset:140
	v_mov_b32_e32 v2, 0
	s_mov_b32 s0, exec_lo
	ds_load_b32 v3, v2 offset:304
	s_waitcnt vmcnt(0) lgkmcnt(0)
	v_fma_f32 v3, v79, v3, 0
	s_delay_alu instid0(VALU_DEP_1)
	v_sub_f32_e32 v3, v78, v3
	scratch_store_b32 off, v3, off offset:140
	v_cmpx_lt_u32_e32 34, v0
	s_cbranch_execz .LBB36_161
; %bb.160:
	scratch_load_b32 v3, off, off offset:136
	scratch_store_b32 off, v2, off offset:136
	s_waitcnt vmcnt(0)
	ds_store_b32 v1, v3
.LBB36_161:
	s_or_b32 exec_lo, exec_lo, s0
	s_waitcnt lgkmcnt(0)
	s_waitcnt_vscnt null, 0x0
	s_barrier
	buffer_gl0_inv
	scratch_load_b96 v[78:80], off, off offset:136
	ds_load_2addr_b32 v[2:3], v2 offset0:75 offset1:76
	s_mov_b32 s0, exec_lo
	s_waitcnt vmcnt(0) lgkmcnt(0)
	v_fma_f32 v2, v79, v2, 0
	s_delay_alu instid0(VALU_DEP_1) | instskip(NEXT) | instid1(VALU_DEP_1)
	v_fmac_f32_e32 v2, v80, v3
	v_sub_f32_e32 v2, v78, v2
	scratch_store_b32 off, v2, off offset:136
	v_cmpx_lt_u32_e32 33, v0
	s_cbranch_execz .LBB36_163
; %bb.162:
	scratch_load_b32 v2, off, off offset:132
	v_mov_b32_e32 v3, 0
	scratch_store_b32 off, v3, off offset:132
	s_waitcnt vmcnt(0)
	ds_store_b32 v1, v2
.LBB36_163:
	s_or_b32 exec_lo, exec_lo, s0
	s_waitcnt lgkmcnt(0)
	s_waitcnt_vscnt null, 0x0
	s_barrier
	buffer_gl0_inv
	scratch_load_b128 v[78:81], off, off offset:132
	v_mov_b32_e32 v2, 0
	ds_load_b64 v[82:83], v2 offset:296
	ds_load_b32 v3, v2 offset:304
	s_mov_b32 s0, exec_lo
	s_waitcnt vmcnt(0) lgkmcnt(1)
	v_fma_f32 v79, v79, v82, 0
	s_delay_alu instid0(VALU_DEP_1) | instskip(SKIP_1) | instid1(VALU_DEP_1)
	v_fmac_f32_e32 v79, v80, v83
	s_waitcnt lgkmcnt(0)
	v_fmac_f32_e32 v79, v81, v3
	s_delay_alu instid0(VALU_DEP_1)
	v_sub_f32_e32 v3, v78, v79
	scratch_store_b32 off, v3, off offset:132
	v_cmpx_lt_u32_e32 32, v0
	s_cbranch_execz .LBB36_165
; %bb.164:
	scratch_load_b32 v3, off, off offset:128
	scratch_store_b32 off, v2, off offset:128
	s_waitcnt vmcnt(0)
	ds_store_b32 v1, v3
.LBB36_165:
	s_or_b32 exec_lo, exec_lo, s0
	s_waitcnt lgkmcnt(0)
	s_waitcnt_vscnt null, 0x0
	s_barrier
	buffer_gl0_inv
	s_clause 0x1
	scratch_load_b128 v[78:81], off, off offset:128
	scratch_load_b32 v84, off, off offset:144
	ds_load_2addr_b32 v[82:83], v2 offset0:73 offset1:74
	ds_load_2addr_b32 v[2:3], v2 offset0:75 offset1:76
	s_mov_b32 s0, exec_lo
	s_waitcnt vmcnt(1) lgkmcnt(1)
	v_fma_f32 v79, v79, v82, 0
	s_delay_alu instid0(VALU_DEP_1) | instskip(SKIP_1) | instid1(VALU_DEP_1)
	v_fmac_f32_e32 v79, v80, v83
	s_waitcnt lgkmcnt(0)
	v_fmac_f32_e32 v79, v81, v2
	s_waitcnt vmcnt(0)
	s_delay_alu instid0(VALU_DEP_1) | instskip(NEXT) | instid1(VALU_DEP_1)
	v_fmac_f32_e32 v79, v84, v3
	v_sub_f32_e32 v2, v78, v79
	scratch_store_b32 off, v2, off offset:128
	v_cmpx_lt_u32_e32 31, v0
	s_cbranch_execz .LBB36_167
; %bb.166:
	scratch_load_b32 v2, off, off offset:124
	v_mov_b32_e32 v3, 0
	scratch_store_b32 off, v3, off offset:124
	s_waitcnt vmcnt(0)
	ds_store_b32 v1, v2
.LBB36_167:
	s_or_b32 exec_lo, exec_lo, s0
	s_waitcnt lgkmcnt(0)
	s_waitcnt_vscnt null, 0x0
	s_barrier
	buffer_gl0_inv
	s_clause 0x1
	scratch_load_b128 v[78:81], off, off offset:124
	scratch_load_b64 v[86:87], off, off offset:140
	v_mov_b32_e32 v2, 0
	ds_load_b128 v[82:85], v2 offset:288
	ds_load_b32 v3, v2 offset:304
	s_mov_b32 s0, exec_lo
	s_waitcnt vmcnt(1) lgkmcnt(1)
	v_fma_f32 v79, v79, v82, 0
	s_delay_alu instid0(VALU_DEP_1) | instskip(NEXT) | instid1(VALU_DEP_1)
	v_fmac_f32_e32 v79, v80, v83
	v_fmac_f32_e32 v79, v81, v84
	s_waitcnt vmcnt(0)
	s_delay_alu instid0(VALU_DEP_1) | instskip(SKIP_1) | instid1(VALU_DEP_1)
	v_fmac_f32_e32 v79, v86, v85
	s_waitcnt lgkmcnt(0)
	v_fmac_f32_e32 v79, v87, v3
	s_delay_alu instid0(VALU_DEP_1)
	v_sub_f32_e32 v3, v78, v79
	scratch_store_b32 off, v3, off offset:124
	v_cmpx_lt_u32_e32 30, v0
	s_cbranch_execz .LBB36_169
; %bb.168:
	scratch_load_b32 v3, off, off offset:120
	scratch_store_b32 off, v2, off offset:120
	s_waitcnt vmcnt(0)
	ds_store_b32 v1, v3
.LBB36_169:
	s_or_b32 exec_lo, exec_lo, s0
	s_waitcnt lgkmcnt(0)
	s_waitcnt_vscnt null, 0x0
	s_barrier
	buffer_gl0_inv
	s_clause 0x1
	scratch_load_b128 v[78:81], off, off offset:120
	scratch_load_b96 v[82:84], off, off offset:136
	ds_load_2addr_b32 v[85:86], v2 offset0:71 offset1:72
	ds_load_2addr_b32 v[87:88], v2 offset0:73 offset1:74
	;; [unrolled: 1-line block ×3, first 2 shown]
	s_mov_b32 s0, exec_lo
	s_waitcnt vmcnt(1) lgkmcnt(2)
	v_fma_f32 v79, v79, v85, 0
	s_delay_alu instid0(VALU_DEP_1) | instskip(SKIP_1) | instid1(VALU_DEP_1)
	v_fmac_f32_e32 v79, v80, v86
	s_waitcnt lgkmcnt(1)
	v_fmac_f32_e32 v79, v81, v87
	s_waitcnt vmcnt(0)
	s_delay_alu instid0(VALU_DEP_1) | instskip(SKIP_1) | instid1(VALU_DEP_1)
	v_fmac_f32_e32 v79, v82, v88
	s_waitcnt lgkmcnt(0)
	v_fmac_f32_e32 v79, v83, v2
	s_delay_alu instid0(VALU_DEP_1) | instskip(NEXT) | instid1(VALU_DEP_1)
	v_fmac_f32_e32 v79, v84, v3
	v_sub_f32_e32 v2, v78, v79
	scratch_store_b32 off, v2, off offset:120
	v_cmpx_lt_u32_e32 29, v0
	s_cbranch_execz .LBB36_171
; %bb.170:
	scratch_load_b32 v2, off, off offset:116
	v_mov_b32_e32 v3, 0
	scratch_store_b32 off, v3, off offset:116
	s_waitcnt vmcnt(0)
	ds_store_b32 v1, v2
.LBB36_171:
	s_or_b32 exec_lo, exec_lo, s0
	s_waitcnt lgkmcnt(0)
	s_waitcnt_vscnt null, 0x0
	s_barrier
	buffer_gl0_inv
	s_clause 0x1
	scratch_load_b128 v[78:81], off, off offset:116
	scratch_load_b128 v[82:85], off, off offset:132
	v_mov_b32_e32 v2, 0
	ds_load_2addr_b64 v[86:89], v2 offset0:35 offset1:36
	ds_load_b64 v[90:91], v2 offset:296
	s_mov_b32 s0, exec_lo
	s_waitcnt vmcnt(1) lgkmcnt(1)
	v_fma_f32 v3, v79, v86, 0
	s_delay_alu instid0(VALU_DEP_1) | instskip(SKIP_3) | instid1(VALU_DEP_1)
	v_fmac_f32_e32 v3, v80, v87
	ds_load_b32 v79, v2 offset:304
	v_fmac_f32_e32 v3, v81, v88
	s_waitcnt vmcnt(0)
	v_fmac_f32_e32 v3, v82, v89
	s_waitcnt lgkmcnt(1)
	s_delay_alu instid0(VALU_DEP_1) | instskip(NEXT) | instid1(VALU_DEP_1)
	v_fmac_f32_e32 v3, v83, v90
	v_fmac_f32_e32 v3, v84, v91
	s_waitcnt lgkmcnt(0)
	s_delay_alu instid0(VALU_DEP_1) | instskip(NEXT) | instid1(VALU_DEP_1)
	v_fmac_f32_e32 v3, v85, v79
	v_sub_f32_e32 v3, v78, v3
	scratch_store_b32 off, v3, off offset:116
	v_cmpx_lt_u32_e32 28, v0
	s_cbranch_execz .LBB36_173
; %bb.172:
	scratch_load_b32 v3, off, off offset:112
	scratch_store_b32 off, v2, off offset:112
	s_waitcnt vmcnt(0)
	ds_store_b32 v1, v3
.LBB36_173:
	s_or_b32 exec_lo, exec_lo, s0
	s_waitcnt lgkmcnt(0)
	s_waitcnt_vscnt null, 0x0
	s_barrier
	buffer_gl0_inv
	s_clause 0x2
	scratch_load_b128 v[78:81], off, off offset:112
	scratch_load_b128 v[82:85], off, off offset:128
	scratch_load_b32 v92, off, off offset:144
	ds_load_2addr_b32 v[86:87], v2 offset0:69 offset1:70
	ds_load_2addr_b32 v[88:89], v2 offset0:71 offset1:72
	;; [unrolled: 1-line block ×4, first 2 shown]
	s_mov_b32 s0, exec_lo
	s_waitcnt vmcnt(2) lgkmcnt(3)
	v_fma_f32 v79, v79, v86, 0
	s_delay_alu instid0(VALU_DEP_1) | instskip(SKIP_1) | instid1(VALU_DEP_1)
	v_fmac_f32_e32 v79, v80, v87
	s_waitcnt lgkmcnt(2)
	v_fmac_f32_e32 v79, v81, v88
	s_waitcnt vmcnt(1)
	s_delay_alu instid0(VALU_DEP_1) | instskip(SKIP_1) | instid1(VALU_DEP_1)
	v_fmac_f32_e32 v79, v82, v89
	s_waitcnt lgkmcnt(1)
	v_fmac_f32_e32 v79, v83, v90
	s_delay_alu instid0(VALU_DEP_1) | instskip(SKIP_1) | instid1(VALU_DEP_1)
	v_fmac_f32_e32 v79, v84, v91
	s_waitcnt lgkmcnt(0)
	v_fmac_f32_e32 v79, v85, v2
	s_waitcnt vmcnt(0)
	s_delay_alu instid0(VALU_DEP_1) | instskip(NEXT) | instid1(VALU_DEP_1)
	v_fmac_f32_e32 v79, v92, v3
	v_sub_f32_e32 v2, v78, v79
	scratch_store_b32 off, v2, off offset:112
	v_cmpx_lt_u32_e32 27, v0
	s_cbranch_execz .LBB36_175
; %bb.174:
	scratch_load_b32 v2, off, off offset:108
	v_mov_b32_e32 v3, 0
	scratch_store_b32 off, v3, off offset:108
	s_waitcnt vmcnt(0)
	ds_store_b32 v1, v2
.LBB36_175:
	s_or_b32 exec_lo, exec_lo, s0
	s_waitcnt lgkmcnt(0)
	s_waitcnt_vscnt null, 0x0
	s_barrier
	buffer_gl0_inv
	s_clause 0x2
	scratch_load_b128 v[78:81], off, off offset:108
	scratch_load_b128 v[82:85], off, off offset:124
	scratch_load_b64 v[94:95], off, off offset:140
	v_mov_b32_e32 v2, 0
	ds_load_b128 v[86:89], v2 offset:272
	ds_load_b128 v[90:93], v2 offset:288
	s_mov_b32 s0, exec_lo
	s_waitcnt vmcnt(2) lgkmcnt(1)
	v_fma_f32 v3, v79, v86, 0
	s_delay_alu instid0(VALU_DEP_1) | instskip(SKIP_3) | instid1(VALU_DEP_1)
	v_fmac_f32_e32 v3, v80, v87
	ds_load_b32 v79, v2 offset:304
	v_fmac_f32_e32 v3, v81, v88
	s_waitcnt vmcnt(1)
	v_fmac_f32_e32 v3, v82, v89
	s_waitcnt lgkmcnt(1)
	s_delay_alu instid0(VALU_DEP_1) | instskip(NEXT) | instid1(VALU_DEP_1)
	v_fmac_f32_e32 v3, v83, v90
	v_fmac_f32_e32 v3, v84, v91
	s_delay_alu instid0(VALU_DEP_1) | instskip(SKIP_1) | instid1(VALU_DEP_1)
	v_fmac_f32_e32 v3, v85, v92
	s_waitcnt vmcnt(0)
	v_fmac_f32_e32 v3, v94, v93
	s_waitcnt lgkmcnt(0)
	s_delay_alu instid0(VALU_DEP_1) | instskip(NEXT) | instid1(VALU_DEP_1)
	v_fmac_f32_e32 v3, v95, v79
	v_sub_f32_e32 v3, v78, v3
	scratch_store_b32 off, v3, off offset:108
	v_cmpx_lt_u32_e32 26, v0
	s_cbranch_execz .LBB36_177
; %bb.176:
	scratch_load_b32 v3, off, off offset:104
	scratch_store_b32 off, v2, off offset:104
	s_waitcnt vmcnt(0)
	ds_store_b32 v1, v3
.LBB36_177:
	s_or_b32 exec_lo, exec_lo, s0
	s_waitcnt lgkmcnt(0)
	s_waitcnt_vscnt null, 0x0
	s_barrier
	buffer_gl0_inv
	s_clause 0x2
	scratch_load_b128 v[78:81], off, off offset:104
	scratch_load_b128 v[82:85], off, off offset:120
	scratch_load_b96 v[86:88], off, off offset:136
	ds_load_2addr_b32 v[89:90], v2 offset0:67 offset1:68
	ds_load_2addr_b32 v[91:92], v2 offset0:69 offset1:70
	;; [unrolled: 1-line block ×5, first 2 shown]
	s_mov_b32 s0, exec_lo
	s_waitcnt vmcnt(2) lgkmcnt(4)
	v_fma_f32 v79, v79, v89, 0
	s_delay_alu instid0(VALU_DEP_1) | instskip(SKIP_1) | instid1(VALU_DEP_1)
	v_fmac_f32_e32 v79, v80, v90
	s_waitcnt lgkmcnt(3)
	v_fmac_f32_e32 v79, v81, v91
	s_waitcnt vmcnt(1)
	s_delay_alu instid0(VALU_DEP_1) | instskip(SKIP_1) | instid1(VALU_DEP_1)
	v_fmac_f32_e32 v79, v82, v92
	s_waitcnt lgkmcnt(2)
	v_fmac_f32_e32 v79, v83, v93
	s_delay_alu instid0(VALU_DEP_1) | instskip(SKIP_1) | instid1(VALU_DEP_1)
	v_fmac_f32_e32 v79, v84, v94
	s_waitcnt lgkmcnt(1)
	v_fmac_f32_e32 v79, v85, v95
	s_waitcnt vmcnt(0)
	s_delay_alu instid0(VALU_DEP_1) | instskip(SKIP_1) | instid1(VALU_DEP_1)
	v_fmac_f32_e32 v79, v86, v96
	s_waitcnt lgkmcnt(0)
	v_fmac_f32_e32 v79, v87, v2
	s_delay_alu instid0(VALU_DEP_1) | instskip(NEXT) | instid1(VALU_DEP_1)
	v_fmac_f32_e32 v79, v88, v3
	v_sub_f32_e32 v2, v78, v79
	scratch_store_b32 off, v2, off offset:104
	v_cmpx_lt_u32_e32 25, v0
	s_cbranch_execz .LBB36_179
; %bb.178:
	scratch_load_b32 v2, off, off offset:100
	v_mov_b32_e32 v3, 0
	scratch_store_b32 off, v3, off offset:100
	s_waitcnt vmcnt(0)
	ds_store_b32 v1, v2
.LBB36_179:
	s_or_b32 exec_lo, exec_lo, s0
	s_waitcnt lgkmcnt(0)
	s_waitcnt_vscnt null, 0x0
	s_barrier
	buffer_gl0_inv
	s_clause 0x2
	scratch_load_b128 v[78:81], off, off offset:100
	scratch_load_b128 v[82:85], off, off offset:116
	;; [unrolled: 1-line block ×3, first 2 shown]
	v_mov_b32_e32 v2, 0
	ds_load_2addr_b64 v[90:93], v2 offset0:33 offset1:34
	ds_load_2addr_b64 v[94:97], v2 offset0:35 offset1:36
	s_mov_b32 s0, exec_lo
	s_waitcnt vmcnt(2) lgkmcnt(1)
	v_fma_f32 v3, v79, v90, 0
	s_delay_alu instid0(VALU_DEP_1)
	v_fmac_f32_e32 v3, v80, v91
	ds_load_b64 v[79:80], v2 offset:296
	v_fmac_f32_e32 v3, v81, v92
	ds_load_b32 v81, v2 offset:304
	s_waitcnt vmcnt(1)
	v_fmac_f32_e32 v3, v82, v93
	s_waitcnt lgkmcnt(2)
	s_delay_alu instid0(VALU_DEP_1) | instskip(NEXT) | instid1(VALU_DEP_1)
	v_fmac_f32_e32 v3, v83, v94
	v_fmac_f32_e32 v3, v84, v95
	s_delay_alu instid0(VALU_DEP_1) | instskip(SKIP_1) | instid1(VALU_DEP_1)
	v_fmac_f32_e32 v3, v85, v96
	s_waitcnt vmcnt(0)
	v_fmac_f32_e32 v3, v86, v97
	s_waitcnt lgkmcnt(1)
	s_delay_alu instid0(VALU_DEP_1) | instskip(NEXT) | instid1(VALU_DEP_1)
	v_fmac_f32_e32 v3, v87, v79
	v_fmac_f32_e32 v3, v88, v80
	s_waitcnt lgkmcnt(0)
	s_delay_alu instid0(VALU_DEP_1) | instskip(NEXT) | instid1(VALU_DEP_1)
	v_fmac_f32_e32 v3, v89, v81
	v_sub_f32_e32 v3, v78, v3
	scratch_store_b32 off, v3, off offset:100
	v_cmpx_lt_u32_e32 24, v0
	s_cbranch_execz .LBB36_181
; %bb.180:
	scratch_load_b32 v3, off, off offset:96
	scratch_store_b32 off, v2, off offset:96
	s_waitcnt vmcnt(0)
	ds_store_b32 v1, v3
.LBB36_181:
	s_or_b32 exec_lo, exec_lo, s0
	s_waitcnt lgkmcnt(0)
	s_waitcnt_vscnt null, 0x0
	s_barrier
	buffer_gl0_inv
	s_clause 0x3
	scratch_load_b128 v[78:81], off, off offset:96
	scratch_load_b128 v[82:85], off, off offset:112
	;; [unrolled: 1-line block ×3, first 2 shown]
	scratch_load_b32 v98, off, off offset:144
	ds_load_2addr_b32 v[90:91], v2 offset0:65 offset1:66
	ds_load_2addr_b32 v[92:93], v2 offset0:67 offset1:68
	;; [unrolled: 1-line block ×4, first 2 shown]
	s_mov_b32 s0, exec_lo
	s_waitcnt vmcnt(3) lgkmcnt(3)
	v_fma_f32 v90, v79, v90, 0
	s_delay_alu instid0(VALU_DEP_1)
	v_fmac_f32_e32 v90, v80, v91
	ds_load_2addr_b32 v[79:80], v2 offset0:73 offset1:74
	ds_load_2addr_b32 v[2:3], v2 offset0:75 offset1:76
	s_waitcnt lgkmcnt(4)
	v_fmac_f32_e32 v90, v81, v92
	s_waitcnt vmcnt(2)
	s_delay_alu instid0(VALU_DEP_1) | instskip(SKIP_1) | instid1(VALU_DEP_1)
	v_fmac_f32_e32 v90, v82, v93
	s_waitcnt lgkmcnt(3)
	v_fmac_f32_e32 v90, v83, v94
	s_delay_alu instid0(VALU_DEP_1) | instskip(SKIP_1) | instid1(VALU_DEP_1)
	v_fmac_f32_e32 v90, v84, v95
	s_waitcnt lgkmcnt(2)
	v_fmac_f32_e32 v90, v85, v96
	s_waitcnt vmcnt(1)
	s_delay_alu instid0(VALU_DEP_1) | instskip(SKIP_1) | instid1(VALU_DEP_1)
	v_fmac_f32_e32 v90, v86, v97
	s_waitcnt lgkmcnt(1)
	v_fmac_f32_e32 v90, v87, v79
	s_delay_alu instid0(VALU_DEP_1) | instskip(SKIP_1) | instid1(VALU_DEP_1)
	v_fmac_f32_e32 v90, v88, v80
	s_waitcnt lgkmcnt(0)
	v_fmac_f32_e32 v90, v89, v2
	s_waitcnt vmcnt(0)
	s_delay_alu instid0(VALU_DEP_1) | instskip(NEXT) | instid1(VALU_DEP_1)
	v_fmac_f32_e32 v90, v98, v3
	v_sub_f32_e32 v2, v78, v90
	scratch_store_b32 off, v2, off offset:96
	v_cmpx_lt_u32_e32 23, v0
	s_cbranch_execz .LBB36_183
; %bb.182:
	scratch_load_b32 v2, off, off offset:92
	v_mov_b32_e32 v3, 0
	scratch_store_b32 off, v3, off offset:92
	s_waitcnt vmcnt(0)
	ds_store_b32 v1, v2
.LBB36_183:
	s_or_b32 exec_lo, exec_lo, s0
	s_waitcnt lgkmcnt(0)
	s_waitcnt_vscnt null, 0x0
	s_barrier
	buffer_gl0_inv
	s_clause 0x3
	scratch_load_b128 v[78:81], off, off offset:92
	scratch_load_b128 v[82:85], off, off offset:108
	;; [unrolled: 1-line block ×3, first 2 shown]
	scratch_load_b64 v[98:99], off, off offset:140
	v_mov_b32_e32 v2, 0
	ds_load_b128 v[90:93], v2 offset:256
	ds_load_b128 v[94:97], v2 offset:272
	s_mov_b32 s0, exec_lo
	s_waitcnt vmcnt(3) lgkmcnt(1)
	v_fma_f32 v3, v79, v90, 0
	s_delay_alu instid0(VALU_DEP_1) | instskip(NEXT) | instid1(VALU_DEP_1)
	v_fmac_f32_e32 v3, v80, v91
	v_fmac_f32_e32 v3, v81, v92
	s_waitcnt vmcnt(2)
	s_delay_alu instid0(VALU_DEP_1)
	v_fmac_f32_e32 v3, v82, v93
	ds_load_b128 v[79:82], v2 offset:288
	s_waitcnt lgkmcnt(1)
	v_fmac_f32_e32 v3, v83, v94
	ds_load_b32 v83, v2 offset:304
	v_fmac_f32_e32 v3, v84, v95
	s_delay_alu instid0(VALU_DEP_1) | instskip(SKIP_1) | instid1(VALU_DEP_1)
	v_fmac_f32_e32 v3, v85, v96
	s_waitcnt vmcnt(1)
	v_fmac_f32_e32 v3, v86, v97
	s_waitcnt lgkmcnt(1)
	s_delay_alu instid0(VALU_DEP_1) | instskip(NEXT) | instid1(VALU_DEP_1)
	v_fmac_f32_e32 v3, v87, v79
	v_fmac_f32_e32 v3, v88, v80
	s_delay_alu instid0(VALU_DEP_1) | instskip(SKIP_1) | instid1(VALU_DEP_1)
	v_fmac_f32_e32 v3, v89, v81
	s_waitcnt vmcnt(0)
	v_fmac_f32_e32 v3, v98, v82
	s_waitcnt lgkmcnt(0)
	s_delay_alu instid0(VALU_DEP_1) | instskip(NEXT) | instid1(VALU_DEP_1)
	v_fmac_f32_e32 v3, v99, v83
	v_sub_f32_e32 v3, v78, v3
	scratch_store_b32 off, v3, off offset:92
	v_cmpx_lt_u32_e32 22, v0
	s_cbranch_execz .LBB36_185
; %bb.184:
	scratch_load_b32 v3, off, off offset:88
	scratch_store_b32 off, v2, off offset:88
	s_waitcnt vmcnt(0)
	ds_store_b32 v1, v3
.LBB36_185:
	s_or_b32 exec_lo, exec_lo, s0
	s_waitcnt lgkmcnt(0)
	s_waitcnt_vscnt null, 0x0
	s_barrier
	buffer_gl0_inv
	s_clause 0x3
	scratch_load_b128 v[78:81], off, off offset:88
	scratch_load_b128 v[82:85], off, off offset:104
	;; [unrolled: 1-line block ×3, first 2 shown]
	scratch_load_b96 v[90:92], off, off offset:136
	ds_load_2addr_b32 v[93:94], v2 offset0:63 offset1:64
	ds_load_2addr_b32 v[95:96], v2 offset0:65 offset1:66
	;; [unrolled: 1-line block ×4, first 2 shown]
	s_mov_b32 s0, exec_lo
	s_waitcnt vmcnt(3) lgkmcnt(3)
	v_fma_f32 v93, v79, v93, 0
	s_delay_alu instid0(VALU_DEP_1) | instskip(SKIP_4) | instid1(VALU_DEP_1)
	v_fmac_f32_e32 v93, v80, v94
	ds_load_2addr_b32 v[79:80], v2 offset0:71 offset1:72
	s_waitcnt lgkmcnt(3)
	v_fmac_f32_e32 v93, v81, v95
	s_waitcnt vmcnt(2)
	v_fmac_f32_e32 v93, v82, v96
	ds_load_2addr_b32 v[81:82], v2 offset0:73 offset1:74
	ds_load_2addr_b32 v[2:3], v2 offset0:75 offset1:76
	s_waitcnt lgkmcnt(4)
	v_fmac_f32_e32 v93, v83, v97
	s_delay_alu instid0(VALU_DEP_1) | instskip(SKIP_1) | instid1(VALU_DEP_1)
	v_fmac_f32_e32 v93, v84, v98
	s_waitcnt lgkmcnt(3)
	v_fmac_f32_e32 v93, v85, v99
	s_waitcnt vmcnt(1)
	s_delay_alu instid0(VALU_DEP_1) | instskip(SKIP_1) | instid1(VALU_DEP_1)
	v_fmac_f32_e32 v93, v86, v100
	s_waitcnt lgkmcnt(2)
	v_fmac_f32_e32 v93, v87, v79
	s_delay_alu instid0(VALU_DEP_1) | instskip(SKIP_1) | instid1(VALU_DEP_1)
	v_fmac_f32_e32 v93, v88, v80
	s_waitcnt lgkmcnt(1)
	v_fmac_f32_e32 v93, v89, v81
	s_waitcnt vmcnt(0)
	s_delay_alu instid0(VALU_DEP_1) | instskip(SKIP_1) | instid1(VALU_DEP_1)
	v_fmac_f32_e32 v93, v90, v82
	s_waitcnt lgkmcnt(0)
	v_fmac_f32_e32 v93, v91, v2
	s_delay_alu instid0(VALU_DEP_1) | instskip(NEXT) | instid1(VALU_DEP_1)
	v_fmac_f32_e32 v93, v92, v3
	v_sub_f32_e32 v2, v78, v93
	scratch_store_b32 off, v2, off offset:88
	v_cmpx_lt_u32_e32 21, v0
	s_cbranch_execz .LBB36_187
; %bb.186:
	scratch_load_b32 v2, off, off offset:84
	v_mov_b32_e32 v3, 0
	scratch_store_b32 off, v3, off offset:84
	s_waitcnt vmcnt(0)
	ds_store_b32 v1, v2
.LBB36_187:
	s_or_b32 exec_lo, exec_lo, s0
	s_waitcnt lgkmcnt(0)
	s_waitcnt_vscnt null, 0x0
	s_barrier
	buffer_gl0_inv
	s_clause 0x3
	scratch_load_b128 v[78:81], off, off offset:84
	scratch_load_b128 v[82:85], off, off offset:100
	;; [unrolled: 1-line block ×4, first 2 shown]
	v_mov_b32_e32 v2, 0
	ds_load_2addr_b64 v[94:97], v2 offset0:31 offset1:32
	ds_load_2addr_b64 v[98:101], v2 offset0:33 offset1:34
	s_mov_b32 s0, exec_lo
	s_waitcnt vmcnt(3) lgkmcnt(1)
	v_fma_f32 v3, v79, v94, 0
	s_delay_alu instid0(VALU_DEP_1) | instskip(NEXT) | instid1(VALU_DEP_1)
	v_fmac_f32_e32 v3, v80, v95
	v_fmac_f32_e32 v3, v81, v96
	s_waitcnt vmcnt(2)
	s_delay_alu instid0(VALU_DEP_1) | instskip(SKIP_3) | instid1(VALU_DEP_1)
	v_fmac_f32_e32 v3, v82, v97
	ds_load_2addr_b64 v[79:82], v2 offset0:35 offset1:36
	s_waitcnt lgkmcnt(1)
	v_fmac_f32_e32 v3, v83, v98
	v_fmac_f32_e32 v3, v84, v99
	ds_load_b64 v[83:84], v2 offset:296
	v_fmac_f32_e32 v3, v85, v100
	s_waitcnt vmcnt(1)
	s_delay_alu instid0(VALU_DEP_1) | instskip(SKIP_1) | instid1(VALU_DEP_1)
	v_fmac_f32_e32 v3, v86, v101
	s_waitcnt lgkmcnt(1)
	v_fmac_f32_e32 v3, v87, v79
	ds_load_b32 v79, v2 offset:304
	v_fmac_f32_e32 v3, v88, v80
	s_delay_alu instid0(VALU_DEP_1) | instskip(SKIP_1) | instid1(VALU_DEP_1)
	v_fmac_f32_e32 v3, v89, v81
	s_waitcnt vmcnt(0)
	v_fmac_f32_e32 v3, v90, v82
	s_waitcnt lgkmcnt(1)
	s_delay_alu instid0(VALU_DEP_1) | instskip(NEXT) | instid1(VALU_DEP_1)
	v_fmac_f32_e32 v3, v91, v83
	v_fmac_f32_e32 v3, v92, v84
	s_waitcnt lgkmcnt(0)
	s_delay_alu instid0(VALU_DEP_1) | instskip(NEXT) | instid1(VALU_DEP_1)
	v_fmac_f32_e32 v3, v93, v79
	v_sub_f32_e32 v3, v78, v3
	scratch_store_b32 off, v3, off offset:84
	v_cmpx_lt_u32_e32 20, v0
	s_cbranch_execz .LBB36_189
; %bb.188:
	scratch_load_b32 v3, off, off offset:80
	scratch_store_b32 off, v2, off offset:80
	s_waitcnt vmcnt(0)
	ds_store_b32 v1, v3
.LBB36_189:
	s_or_b32 exec_lo, exec_lo, s0
	s_waitcnt lgkmcnt(0)
	s_waitcnt_vscnt null, 0x0
	s_barrier
	buffer_gl0_inv
	s_clause 0x4
	scratch_load_b128 v[78:81], off, off offset:80
	scratch_load_b128 v[82:85], off, off offset:96
	;; [unrolled: 1-line block ×4, first 2 shown]
	scratch_load_b32 v102, off, off offset:144
	ds_load_2addr_b32 v[94:95], v2 offset0:61 offset1:62
	ds_load_2addr_b32 v[96:97], v2 offset0:63 offset1:64
	;; [unrolled: 1-line block ×4, first 2 shown]
	s_mov_b32 s0, exec_lo
	s_waitcnt vmcnt(4) lgkmcnt(3)
	v_fma_f32 v94, v79, v94, 0
	s_delay_alu instid0(VALU_DEP_1) | instskip(SKIP_4) | instid1(VALU_DEP_1)
	v_fmac_f32_e32 v94, v80, v95
	ds_load_2addr_b32 v[79:80], v2 offset0:69 offset1:70
	s_waitcnt lgkmcnt(3)
	v_fmac_f32_e32 v94, v81, v96
	s_waitcnt vmcnt(3)
	v_fmac_f32_e32 v94, v82, v97
	ds_load_2addr_b32 v[81:82], v2 offset0:71 offset1:72
	s_waitcnt lgkmcnt(3)
	v_fmac_f32_e32 v94, v83, v98
	s_delay_alu instid0(VALU_DEP_1)
	v_fmac_f32_e32 v94, v84, v99
	ds_load_2addr_b32 v[83:84], v2 offset0:73 offset1:74
	ds_load_2addr_b32 v[2:3], v2 offset0:75 offset1:76
	s_waitcnt lgkmcnt(4)
	v_fmac_f32_e32 v94, v85, v100
	s_waitcnt vmcnt(2)
	s_delay_alu instid0(VALU_DEP_1) | instskip(SKIP_1) | instid1(VALU_DEP_1)
	v_fmac_f32_e32 v94, v86, v101
	s_waitcnt lgkmcnt(3)
	v_fmac_f32_e32 v94, v87, v79
	s_delay_alu instid0(VALU_DEP_1) | instskip(SKIP_1) | instid1(VALU_DEP_1)
	v_fmac_f32_e32 v94, v88, v80
	s_waitcnt lgkmcnt(2)
	v_fmac_f32_e32 v94, v89, v81
	s_waitcnt vmcnt(1)
	s_delay_alu instid0(VALU_DEP_1) | instskip(SKIP_1) | instid1(VALU_DEP_1)
	v_fmac_f32_e32 v94, v90, v82
	s_waitcnt lgkmcnt(1)
	v_fmac_f32_e32 v94, v91, v83
	s_delay_alu instid0(VALU_DEP_1) | instskip(SKIP_1) | instid1(VALU_DEP_1)
	v_fmac_f32_e32 v94, v92, v84
	s_waitcnt lgkmcnt(0)
	v_fmac_f32_e32 v94, v93, v2
	s_waitcnt vmcnt(0)
	s_delay_alu instid0(VALU_DEP_1) | instskip(NEXT) | instid1(VALU_DEP_1)
	v_fmac_f32_e32 v94, v102, v3
	v_sub_f32_e32 v2, v78, v94
	scratch_store_b32 off, v2, off offset:80
	v_cmpx_lt_u32_e32 19, v0
	s_cbranch_execz .LBB36_191
; %bb.190:
	scratch_load_b32 v2, off, off offset:76
	v_mov_b32_e32 v3, 0
	scratch_store_b32 off, v3, off offset:76
	s_waitcnt vmcnt(0)
	ds_store_b32 v1, v2
.LBB36_191:
	s_or_b32 exec_lo, exec_lo, s0
	s_waitcnt lgkmcnt(0)
	s_waitcnt_vscnt null, 0x0
	s_barrier
	buffer_gl0_inv
	s_clause 0x4
	scratch_load_b128 v[78:81], off, off offset:76
	scratch_load_b128 v[82:85], off, off offset:92
	;; [unrolled: 1-line block ×4, first 2 shown]
	scratch_load_b64 v[102:103], off, off offset:140
	v_mov_b32_e32 v2, 0
	ds_load_b128 v[94:97], v2 offset:240
	ds_load_b128 v[98:101], v2 offset:256
	s_mov_b32 s0, exec_lo
	s_waitcnt vmcnt(4) lgkmcnt(1)
	v_fma_f32 v3, v79, v94, 0
	s_delay_alu instid0(VALU_DEP_1) | instskip(NEXT) | instid1(VALU_DEP_1)
	v_fmac_f32_e32 v3, v80, v95
	v_fmac_f32_e32 v3, v81, v96
	s_waitcnt vmcnt(3)
	s_delay_alu instid0(VALU_DEP_1) | instskip(SKIP_3) | instid1(VALU_DEP_1)
	v_fmac_f32_e32 v3, v82, v97
	ds_load_b128 v[79:82], v2 offset:272
	s_waitcnt lgkmcnt(1)
	v_fmac_f32_e32 v3, v83, v98
	v_fmac_f32_e32 v3, v84, v99
	s_delay_alu instid0(VALU_DEP_1) | instskip(SKIP_1) | instid1(VALU_DEP_1)
	v_fmac_f32_e32 v3, v85, v100
	s_waitcnt vmcnt(2)
	v_fmac_f32_e32 v3, v86, v101
	ds_load_b128 v[83:86], v2 offset:288
	s_waitcnt lgkmcnt(1)
	v_fmac_f32_e32 v3, v87, v79
	ds_load_b32 v79, v2 offset:304
	v_fmac_f32_e32 v3, v88, v80
	s_delay_alu instid0(VALU_DEP_1) | instskip(SKIP_1) | instid1(VALU_DEP_1)
	v_fmac_f32_e32 v3, v89, v81
	s_waitcnt vmcnt(1)
	v_fmac_f32_e32 v3, v90, v82
	s_waitcnt lgkmcnt(1)
	s_delay_alu instid0(VALU_DEP_1) | instskip(NEXT) | instid1(VALU_DEP_1)
	v_fmac_f32_e32 v3, v91, v83
	v_fmac_f32_e32 v3, v92, v84
	s_delay_alu instid0(VALU_DEP_1) | instskip(SKIP_1) | instid1(VALU_DEP_1)
	v_fmac_f32_e32 v3, v93, v85
	s_waitcnt vmcnt(0)
	v_fmac_f32_e32 v3, v102, v86
	s_waitcnt lgkmcnt(0)
	s_delay_alu instid0(VALU_DEP_1) | instskip(NEXT) | instid1(VALU_DEP_1)
	v_fmac_f32_e32 v3, v103, v79
	v_sub_f32_e32 v3, v78, v3
	scratch_store_b32 off, v3, off offset:76
	v_cmpx_lt_u32_e32 18, v0
	s_cbranch_execz .LBB36_193
; %bb.192:
	scratch_load_b32 v3, off, off offset:72
	scratch_store_b32 off, v2, off offset:72
	s_waitcnt vmcnt(0)
	ds_store_b32 v1, v3
.LBB36_193:
	s_or_b32 exec_lo, exec_lo, s0
	s_waitcnt lgkmcnt(0)
	s_waitcnt_vscnt null, 0x0
	s_barrier
	buffer_gl0_inv
	s_clause 0x4
	scratch_load_b128 v[78:81], off, off offset:72
	scratch_load_b128 v[82:85], off, off offset:88
	;; [unrolled: 1-line block ×4, first 2 shown]
	scratch_load_b96 v[94:96], off, off offset:136
	ds_load_2addr_b32 v[97:98], v2 offset0:59 offset1:60
	ds_load_2addr_b32 v[99:100], v2 offset0:61 offset1:62
	;; [unrolled: 1-line block ×4, first 2 shown]
	s_mov_b32 s0, exec_lo
	s_waitcnt vmcnt(4) lgkmcnt(3)
	v_fma_f32 v97, v79, v97, 0
	s_delay_alu instid0(VALU_DEP_1) | instskip(SKIP_4) | instid1(VALU_DEP_1)
	v_fmac_f32_e32 v97, v80, v98
	ds_load_2addr_b32 v[79:80], v2 offset0:67 offset1:68
	s_waitcnt lgkmcnt(3)
	v_fmac_f32_e32 v97, v81, v99
	s_waitcnt vmcnt(3)
	v_fmac_f32_e32 v97, v82, v100
	ds_load_2addr_b32 v[81:82], v2 offset0:69 offset1:70
	s_waitcnt lgkmcnt(3)
	v_fmac_f32_e32 v97, v83, v101
	s_delay_alu instid0(VALU_DEP_1) | instskip(SKIP_1) | instid1(VALU_DEP_1)
	v_fmac_f32_e32 v97, v84, v102
	s_waitcnt lgkmcnt(2)
	v_fmac_f32_e32 v97, v85, v103
	s_waitcnt vmcnt(2)
	s_delay_alu instid0(VALU_DEP_1)
	v_fmac_f32_e32 v97, v86, v104
	ds_load_2addr_b32 v[83:84], v2 offset0:71 offset1:72
	ds_load_2addr_b32 v[85:86], v2 offset0:73 offset1:74
	;; [unrolled: 1-line block ×3, first 2 shown]
	s_waitcnt lgkmcnt(4)
	v_fmac_f32_e32 v97, v87, v79
	s_delay_alu instid0(VALU_DEP_1) | instskip(SKIP_1) | instid1(VALU_DEP_1)
	v_fmac_f32_e32 v97, v88, v80
	s_waitcnt lgkmcnt(3)
	v_fmac_f32_e32 v97, v89, v81
	s_waitcnt vmcnt(1)
	s_delay_alu instid0(VALU_DEP_1) | instskip(SKIP_1) | instid1(VALU_DEP_1)
	v_fmac_f32_e32 v97, v90, v82
	s_waitcnt lgkmcnt(2)
	v_fmac_f32_e32 v97, v91, v83
	s_delay_alu instid0(VALU_DEP_1) | instskip(SKIP_1) | instid1(VALU_DEP_1)
	v_fmac_f32_e32 v97, v92, v84
	s_waitcnt lgkmcnt(1)
	v_fmac_f32_e32 v97, v93, v85
	s_waitcnt vmcnt(0)
	s_delay_alu instid0(VALU_DEP_1) | instskip(SKIP_1) | instid1(VALU_DEP_1)
	v_fmac_f32_e32 v97, v94, v86
	s_waitcnt lgkmcnt(0)
	v_fmac_f32_e32 v97, v95, v2
	s_delay_alu instid0(VALU_DEP_1) | instskip(NEXT) | instid1(VALU_DEP_1)
	v_fmac_f32_e32 v97, v96, v3
	v_sub_f32_e32 v2, v78, v97
	scratch_store_b32 off, v2, off offset:72
	v_cmpx_lt_u32_e32 17, v0
	s_cbranch_execz .LBB36_195
; %bb.194:
	scratch_load_b32 v2, off, off offset:68
	v_mov_b32_e32 v3, 0
	scratch_store_b32 off, v3, off offset:68
	s_waitcnt vmcnt(0)
	ds_store_b32 v1, v2
.LBB36_195:
	s_or_b32 exec_lo, exec_lo, s0
	s_waitcnt lgkmcnt(0)
	s_waitcnt_vscnt null, 0x0
	s_barrier
	buffer_gl0_inv
	s_clause 0x4
	scratch_load_b128 v[78:81], off, off offset:68
	scratch_load_b128 v[82:85], off, off offset:84
	;; [unrolled: 1-line block ×5, first 2 shown]
	v_mov_b32_e32 v2, 0
	ds_load_2addr_b64 v[98:101], v2 offset0:29 offset1:30
	ds_load_2addr_b64 v[102:105], v2 offset0:31 offset1:32
	s_mov_b32 s0, exec_lo
	s_waitcnt vmcnt(4) lgkmcnt(1)
	v_fma_f32 v3, v79, v98, 0
	s_delay_alu instid0(VALU_DEP_1) | instskip(NEXT) | instid1(VALU_DEP_1)
	v_fmac_f32_e32 v3, v80, v99
	v_fmac_f32_e32 v3, v81, v100
	s_waitcnt vmcnt(3)
	s_delay_alu instid0(VALU_DEP_1) | instskip(SKIP_3) | instid1(VALU_DEP_1)
	v_fmac_f32_e32 v3, v82, v101
	ds_load_2addr_b64 v[79:82], v2 offset0:33 offset1:34
	s_waitcnt lgkmcnt(1)
	v_fmac_f32_e32 v3, v83, v102
	v_fmac_f32_e32 v3, v84, v103
	s_delay_alu instid0(VALU_DEP_1) | instskip(SKIP_1) | instid1(VALU_DEP_1)
	v_fmac_f32_e32 v3, v85, v104
	s_waitcnt vmcnt(2)
	v_fmac_f32_e32 v3, v86, v105
	ds_load_2addr_b64 v[83:86], v2 offset0:35 offset1:36
	s_waitcnt lgkmcnt(1)
	v_fmac_f32_e32 v3, v87, v79
	s_delay_alu instid0(VALU_DEP_1)
	v_fmac_f32_e32 v3, v88, v80
	ds_load_b64 v[79:80], v2 offset:296
	v_fmac_f32_e32 v3, v89, v81
	ds_load_b32 v81, v2 offset:304
	s_waitcnt vmcnt(1)
	v_fmac_f32_e32 v3, v90, v82
	s_waitcnt lgkmcnt(2)
	s_delay_alu instid0(VALU_DEP_1) | instskip(NEXT) | instid1(VALU_DEP_1)
	v_fmac_f32_e32 v3, v91, v83
	v_fmac_f32_e32 v3, v92, v84
	s_delay_alu instid0(VALU_DEP_1) | instskip(SKIP_1) | instid1(VALU_DEP_1)
	v_fmac_f32_e32 v3, v93, v85
	s_waitcnt vmcnt(0)
	v_fmac_f32_e32 v3, v94, v86
	s_waitcnt lgkmcnt(1)
	s_delay_alu instid0(VALU_DEP_1) | instskip(NEXT) | instid1(VALU_DEP_1)
	v_fmac_f32_e32 v3, v95, v79
	v_fmac_f32_e32 v3, v96, v80
	s_waitcnt lgkmcnt(0)
	s_delay_alu instid0(VALU_DEP_1) | instskip(NEXT) | instid1(VALU_DEP_1)
	v_fmac_f32_e32 v3, v97, v81
	v_sub_f32_e32 v3, v78, v3
	scratch_store_b32 off, v3, off offset:68
	v_cmpx_lt_u32_e32 16, v0
	s_cbranch_execz .LBB36_197
; %bb.196:
	scratch_load_b32 v3, off, off offset:64
	scratch_store_b32 off, v2, off offset:64
	s_waitcnt vmcnt(0)
	ds_store_b32 v1, v3
.LBB36_197:
	s_or_b32 exec_lo, exec_lo, s0
	s_waitcnt lgkmcnt(0)
	s_waitcnt_vscnt null, 0x0
	s_barrier
	buffer_gl0_inv
	s_clause 0x5
	scratch_load_b128 v[78:81], off, off offset:64
	scratch_load_b128 v[82:85], off, off offset:80
	;; [unrolled: 1-line block ×5, first 2 shown]
	scratch_load_b32 v106, off, off offset:144
	ds_load_2addr_b32 v[98:99], v2 offset0:57 offset1:58
	ds_load_2addr_b32 v[100:101], v2 offset0:59 offset1:60
	;; [unrolled: 1-line block ×4, first 2 shown]
	s_mov_b32 s0, exec_lo
	s_waitcnt vmcnt(5) lgkmcnt(3)
	v_fma_f32 v98, v79, v98, 0
	s_delay_alu instid0(VALU_DEP_1) | instskip(SKIP_4) | instid1(VALU_DEP_1)
	v_fmac_f32_e32 v98, v80, v99
	ds_load_2addr_b32 v[79:80], v2 offset0:65 offset1:66
	s_waitcnt lgkmcnt(3)
	v_fmac_f32_e32 v98, v81, v100
	s_waitcnt vmcnt(4)
	v_fmac_f32_e32 v98, v82, v101
	ds_load_2addr_b32 v[81:82], v2 offset0:67 offset1:68
	s_waitcnt lgkmcnt(3)
	v_fmac_f32_e32 v98, v83, v102
	s_delay_alu instid0(VALU_DEP_1) | instskip(SKIP_1) | instid1(VALU_DEP_1)
	v_fmac_f32_e32 v98, v84, v103
	s_waitcnt lgkmcnt(2)
	v_fmac_f32_e32 v98, v85, v104
	s_waitcnt vmcnt(3)
	s_delay_alu instid0(VALU_DEP_1) | instskip(SKIP_4) | instid1(VALU_DEP_1)
	v_fmac_f32_e32 v98, v86, v105
	ds_load_2addr_b32 v[83:84], v2 offset0:69 offset1:70
	ds_load_2addr_b32 v[85:86], v2 offset0:71 offset1:72
	s_waitcnt lgkmcnt(3)
	v_fmac_f32_e32 v98, v87, v79
	v_fmac_f32_e32 v98, v88, v80
	ds_load_2addr_b32 v[79:80], v2 offset0:73 offset1:74
	ds_load_2addr_b32 v[2:3], v2 offset0:75 offset1:76
	s_waitcnt lgkmcnt(4)
	v_fmac_f32_e32 v98, v89, v81
	s_waitcnt vmcnt(2)
	s_delay_alu instid0(VALU_DEP_1) | instskip(SKIP_1) | instid1(VALU_DEP_1)
	v_fmac_f32_e32 v98, v90, v82
	s_waitcnt lgkmcnt(3)
	v_fmac_f32_e32 v98, v91, v83
	s_delay_alu instid0(VALU_DEP_1) | instskip(SKIP_1) | instid1(VALU_DEP_1)
	v_fmac_f32_e32 v98, v92, v84
	s_waitcnt lgkmcnt(2)
	v_fmac_f32_e32 v98, v93, v85
	s_waitcnt vmcnt(1)
	s_delay_alu instid0(VALU_DEP_1) | instskip(SKIP_1) | instid1(VALU_DEP_1)
	v_fmac_f32_e32 v98, v94, v86
	s_waitcnt lgkmcnt(1)
	v_fmac_f32_e32 v98, v95, v79
	s_delay_alu instid0(VALU_DEP_1) | instskip(SKIP_1) | instid1(VALU_DEP_1)
	v_fmac_f32_e32 v98, v96, v80
	s_waitcnt lgkmcnt(0)
	v_fmac_f32_e32 v98, v97, v2
	s_waitcnt vmcnt(0)
	s_delay_alu instid0(VALU_DEP_1) | instskip(NEXT) | instid1(VALU_DEP_1)
	v_fmac_f32_e32 v98, v106, v3
	v_sub_f32_e32 v2, v78, v98
	scratch_store_b32 off, v2, off offset:64
	v_cmpx_lt_u32_e32 15, v0
	s_cbranch_execz .LBB36_199
; %bb.198:
	scratch_load_b32 v2, off, off offset:60
	v_mov_b32_e32 v3, 0
	scratch_store_b32 off, v3, off offset:60
	s_waitcnt vmcnt(0)
	ds_store_b32 v1, v2
.LBB36_199:
	s_or_b32 exec_lo, exec_lo, s0
	s_waitcnt lgkmcnt(0)
	s_waitcnt_vscnt null, 0x0
	s_barrier
	buffer_gl0_inv
	s_clause 0x5
	scratch_load_b128 v[78:81], off, off offset:60
	scratch_load_b128 v[82:85], off, off offset:76
	;; [unrolled: 1-line block ×5, first 2 shown]
	scratch_load_b64 v[106:107], off, off offset:140
	v_mov_b32_e32 v2, 0
	ds_load_b128 v[98:101], v2 offset:224
	ds_load_b128 v[102:105], v2 offset:240
	s_mov_b32 s0, exec_lo
	s_waitcnt vmcnt(5) lgkmcnt(1)
	v_fma_f32 v3, v79, v98, 0
	s_delay_alu instid0(VALU_DEP_1) | instskip(NEXT) | instid1(VALU_DEP_1)
	v_fmac_f32_e32 v3, v80, v99
	v_fmac_f32_e32 v3, v81, v100
	s_waitcnt vmcnt(4)
	s_delay_alu instid0(VALU_DEP_1) | instskip(SKIP_3) | instid1(VALU_DEP_1)
	v_fmac_f32_e32 v3, v82, v101
	ds_load_b128 v[79:82], v2 offset:256
	s_waitcnt lgkmcnt(1)
	v_fmac_f32_e32 v3, v83, v102
	v_fmac_f32_e32 v3, v84, v103
	s_delay_alu instid0(VALU_DEP_1) | instskip(SKIP_1) | instid1(VALU_DEP_1)
	v_fmac_f32_e32 v3, v85, v104
	s_waitcnt vmcnt(3)
	v_fmac_f32_e32 v3, v86, v105
	ds_load_b128 v[83:86], v2 offset:272
	s_waitcnt lgkmcnt(1)
	v_fmac_f32_e32 v3, v87, v79
	s_delay_alu instid0(VALU_DEP_1) | instskip(NEXT) | instid1(VALU_DEP_1)
	v_fmac_f32_e32 v3, v88, v80
	v_fmac_f32_e32 v3, v89, v81
	s_waitcnt vmcnt(2)
	s_delay_alu instid0(VALU_DEP_1)
	v_fmac_f32_e32 v3, v90, v82
	ds_load_b128 v[79:82], v2 offset:288
	s_waitcnt lgkmcnt(1)
	v_fmac_f32_e32 v3, v91, v83
	ds_load_b32 v83, v2 offset:304
	v_fmac_f32_e32 v3, v92, v84
	s_delay_alu instid0(VALU_DEP_1) | instskip(SKIP_1) | instid1(VALU_DEP_1)
	v_fmac_f32_e32 v3, v93, v85
	s_waitcnt vmcnt(1)
	v_fmac_f32_e32 v3, v94, v86
	s_waitcnt lgkmcnt(1)
	s_delay_alu instid0(VALU_DEP_1) | instskip(NEXT) | instid1(VALU_DEP_1)
	v_fmac_f32_e32 v3, v95, v79
	v_fmac_f32_e32 v3, v96, v80
	s_delay_alu instid0(VALU_DEP_1) | instskip(SKIP_1) | instid1(VALU_DEP_1)
	v_fmac_f32_e32 v3, v97, v81
	s_waitcnt vmcnt(0)
	v_fmac_f32_e32 v3, v106, v82
	s_waitcnt lgkmcnt(0)
	s_delay_alu instid0(VALU_DEP_1) | instskip(NEXT) | instid1(VALU_DEP_1)
	v_fmac_f32_e32 v3, v107, v83
	v_sub_f32_e32 v3, v78, v3
	scratch_store_b32 off, v3, off offset:60
	v_cmpx_lt_u32_e32 14, v0
	s_cbranch_execz .LBB36_201
; %bb.200:
	scratch_load_b32 v3, off, off offset:56
	scratch_store_b32 off, v2, off offset:56
	s_waitcnt vmcnt(0)
	ds_store_b32 v1, v3
.LBB36_201:
	s_or_b32 exec_lo, exec_lo, s0
	s_waitcnt lgkmcnt(0)
	s_waitcnt_vscnt null, 0x0
	s_barrier
	buffer_gl0_inv
	s_clause 0x5
	scratch_load_b128 v[78:81], off, off offset:56
	scratch_load_b128 v[82:85], off, off offset:72
	scratch_load_b128 v[86:89], off, off offset:88
	scratch_load_b128 v[90:93], off, off offset:104
	scratch_load_b128 v[94:97], off, off offset:120
	scratch_load_b96 v[98:100], off, off offset:136
	ds_load_2addr_b32 v[101:102], v2 offset0:55 offset1:56
	ds_load_2addr_b32 v[103:104], v2 offset0:57 offset1:58
	ds_load_2addr_b32 v[105:106], v2 offset0:59 offset1:60
	ds_load_2addr_b32 v[107:108], v2 offset0:61 offset1:62
	s_mov_b32 s0, exec_lo
	s_waitcnt vmcnt(5) lgkmcnt(3)
	v_fma_f32 v101, v79, v101, 0
	s_delay_alu instid0(VALU_DEP_1) | instskip(SKIP_4) | instid1(VALU_DEP_1)
	v_fmac_f32_e32 v101, v80, v102
	ds_load_2addr_b32 v[79:80], v2 offset0:63 offset1:64
	s_waitcnt lgkmcnt(3)
	v_fmac_f32_e32 v101, v81, v103
	s_waitcnt vmcnt(4)
	v_fmac_f32_e32 v101, v82, v104
	ds_load_2addr_b32 v[81:82], v2 offset0:65 offset1:66
	s_waitcnt lgkmcnt(3)
	v_fmac_f32_e32 v101, v83, v105
	s_delay_alu instid0(VALU_DEP_1) | instskip(SKIP_1) | instid1(VALU_DEP_1)
	v_fmac_f32_e32 v101, v84, v106
	s_waitcnt lgkmcnt(2)
	v_fmac_f32_e32 v101, v85, v107
	s_waitcnt vmcnt(3)
	s_delay_alu instid0(VALU_DEP_1) | instskip(SKIP_4) | instid1(VALU_DEP_1)
	v_fmac_f32_e32 v101, v86, v108
	ds_load_2addr_b32 v[83:84], v2 offset0:67 offset1:68
	ds_load_2addr_b32 v[85:86], v2 offset0:69 offset1:70
	s_waitcnt lgkmcnt(3)
	v_fmac_f32_e32 v101, v87, v79
	v_fmac_f32_e32 v101, v88, v80
	ds_load_2addr_b32 v[79:80], v2 offset0:71 offset1:72
	s_waitcnt lgkmcnt(3)
	v_fmac_f32_e32 v101, v89, v81
	s_waitcnt vmcnt(2)
	s_delay_alu instid0(VALU_DEP_1) | instskip(SKIP_4) | instid1(VALU_DEP_1)
	v_fmac_f32_e32 v101, v90, v82
	ds_load_2addr_b32 v[81:82], v2 offset0:73 offset1:74
	ds_load_2addr_b32 v[2:3], v2 offset0:75 offset1:76
	s_waitcnt lgkmcnt(4)
	v_fmac_f32_e32 v101, v91, v83
	v_fmac_f32_e32 v101, v92, v84
	s_waitcnt lgkmcnt(3)
	s_delay_alu instid0(VALU_DEP_1) | instskip(SKIP_1) | instid1(VALU_DEP_1)
	v_fmac_f32_e32 v101, v93, v85
	s_waitcnt vmcnt(1)
	v_fmac_f32_e32 v101, v94, v86
	s_waitcnt lgkmcnt(2)
	s_delay_alu instid0(VALU_DEP_1) | instskip(NEXT) | instid1(VALU_DEP_1)
	v_fmac_f32_e32 v101, v95, v79
	v_fmac_f32_e32 v101, v96, v80
	s_waitcnt lgkmcnt(1)
	s_delay_alu instid0(VALU_DEP_1) | instskip(SKIP_1) | instid1(VALU_DEP_1)
	v_fmac_f32_e32 v101, v97, v81
	s_waitcnt vmcnt(0)
	v_fmac_f32_e32 v101, v98, v82
	s_waitcnt lgkmcnt(0)
	s_delay_alu instid0(VALU_DEP_1) | instskip(NEXT) | instid1(VALU_DEP_1)
	v_fmac_f32_e32 v101, v99, v2
	v_fmac_f32_e32 v101, v100, v3
	s_delay_alu instid0(VALU_DEP_1)
	v_sub_f32_e32 v2, v78, v101
	scratch_store_b32 off, v2, off offset:56
	v_cmpx_lt_u32_e32 13, v0
	s_cbranch_execz .LBB36_203
; %bb.202:
	scratch_load_b32 v2, off, off offset:52
	v_mov_b32_e32 v3, 0
	scratch_store_b32 off, v3, off offset:52
	s_waitcnt vmcnt(0)
	ds_store_b32 v1, v2
.LBB36_203:
	s_or_b32 exec_lo, exec_lo, s0
	s_waitcnt lgkmcnt(0)
	s_waitcnt_vscnt null, 0x0
	s_barrier
	buffer_gl0_inv
	s_clause 0x5
	scratch_load_b128 v[78:81], off, off offset:52
	scratch_load_b128 v[82:85], off, off offset:68
	;; [unrolled: 1-line block ×6, first 2 shown]
	v_mov_b32_e32 v2, 0
	ds_load_2addr_b64 v[102:105], v2 offset0:27 offset1:28
	ds_load_2addr_b64 v[106:109], v2 offset0:29 offset1:30
	s_mov_b32 s0, exec_lo
	s_waitcnt vmcnt(5) lgkmcnt(1)
	v_fma_f32 v3, v79, v102, 0
	s_delay_alu instid0(VALU_DEP_1) | instskip(NEXT) | instid1(VALU_DEP_1)
	v_fmac_f32_e32 v3, v80, v103
	v_fmac_f32_e32 v3, v81, v104
	s_waitcnt vmcnt(4)
	s_delay_alu instid0(VALU_DEP_1) | instskip(SKIP_3) | instid1(VALU_DEP_1)
	v_fmac_f32_e32 v3, v82, v105
	ds_load_2addr_b64 v[79:82], v2 offset0:31 offset1:32
	s_waitcnt lgkmcnt(1)
	v_fmac_f32_e32 v3, v83, v106
	v_fmac_f32_e32 v3, v84, v107
	s_delay_alu instid0(VALU_DEP_1) | instskip(SKIP_1) | instid1(VALU_DEP_1)
	v_fmac_f32_e32 v3, v85, v108
	s_waitcnt vmcnt(3)
	v_fmac_f32_e32 v3, v86, v109
	ds_load_2addr_b64 v[83:86], v2 offset0:33 offset1:34
	s_waitcnt lgkmcnt(1)
	v_fmac_f32_e32 v3, v87, v79
	s_delay_alu instid0(VALU_DEP_1) | instskip(NEXT) | instid1(VALU_DEP_1)
	v_fmac_f32_e32 v3, v88, v80
	v_fmac_f32_e32 v3, v89, v81
	s_waitcnt vmcnt(2)
	s_delay_alu instid0(VALU_DEP_1) | instskip(SKIP_3) | instid1(VALU_DEP_1)
	v_fmac_f32_e32 v3, v90, v82
	ds_load_2addr_b64 v[79:82], v2 offset0:35 offset1:36
	s_waitcnt lgkmcnt(1)
	v_fmac_f32_e32 v3, v91, v83
	v_fmac_f32_e32 v3, v92, v84
	ds_load_b64 v[83:84], v2 offset:296
	v_fmac_f32_e32 v3, v93, v85
	s_waitcnt vmcnt(1)
	s_delay_alu instid0(VALU_DEP_1) | instskip(SKIP_1) | instid1(VALU_DEP_1)
	v_fmac_f32_e32 v3, v94, v86
	s_waitcnt lgkmcnt(1)
	v_fmac_f32_e32 v3, v95, v79
	ds_load_b32 v79, v2 offset:304
	v_fmac_f32_e32 v3, v96, v80
	s_delay_alu instid0(VALU_DEP_1) | instskip(SKIP_1) | instid1(VALU_DEP_1)
	v_fmac_f32_e32 v3, v97, v81
	s_waitcnt vmcnt(0)
	v_fmac_f32_e32 v3, v98, v82
	s_waitcnt lgkmcnt(1)
	s_delay_alu instid0(VALU_DEP_1) | instskip(NEXT) | instid1(VALU_DEP_1)
	v_fmac_f32_e32 v3, v99, v83
	v_fmac_f32_e32 v3, v100, v84
	s_waitcnt lgkmcnt(0)
	s_delay_alu instid0(VALU_DEP_1) | instskip(NEXT) | instid1(VALU_DEP_1)
	v_fmac_f32_e32 v3, v101, v79
	v_sub_f32_e32 v3, v78, v3
	scratch_store_b32 off, v3, off offset:52
	v_cmpx_lt_u32_e32 12, v0
	s_cbranch_execz .LBB36_205
; %bb.204:
	scratch_load_b32 v3, off, off offset:48
	scratch_store_b32 off, v2, off offset:48
	s_waitcnt vmcnt(0)
	ds_store_b32 v1, v3
.LBB36_205:
	s_or_b32 exec_lo, exec_lo, s0
	s_waitcnt lgkmcnt(0)
	s_waitcnt_vscnt null, 0x0
	s_barrier
	buffer_gl0_inv
	s_clause 0x6
	scratch_load_b128 v[78:81], off, off offset:48
	scratch_load_b128 v[82:85], off, off offset:64
	;; [unrolled: 1-line block ×6, first 2 shown]
	scratch_load_b32 v110, off, off offset:144
	ds_load_2addr_b32 v[102:103], v2 offset0:53 offset1:54
	ds_load_2addr_b32 v[104:105], v2 offset0:55 offset1:56
	;; [unrolled: 1-line block ×4, first 2 shown]
	s_mov_b32 s0, exec_lo
	s_waitcnt vmcnt(6) lgkmcnt(3)
	v_fma_f32 v102, v79, v102, 0
	s_delay_alu instid0(VALU_DEP_1) | instskip(SKIP_4) | instid1(VALU_DEP_1)
	v_fmac_f32_e32 v102, v80, v103
	ds_load_2addr_b32 v[79:80], v2 offset0:61 offset1:62
	s_waitcnt lgkmcnt(3)
	v_fmac_f32_e32 v102, v81, v104
	s_waitcnt vmcnt(5)
	v_fmac_f32_e32 v102, v82, v105
	ds_load_2addr_b32 v[81:82], v2 offset0:63 offset1:64
	s_waitcnt lgkmcnt(3)
	v_fmac_f32_e32 v102, v83, v106
	s_delay_alu instid0(VALU_DEP_1) | instskip(SKIP_1) | instid1(VALU_DEP_1)
	v_fmac_f32_e32 v102, v84, v107
	s_waitcnt lgkmcnt(2)
	v_fmac_f32_e32 v102, v85, v108
	s_waitcnt vmcnt(4)
	s_delay_alu instid0(VALU_DEP_1) | instskip(SKIP_4) | instid1(VALU_DEP_1)
	v_fmac_f32_e32 v102, v86, v109
	ds_load_2addr_b32 v[83:84], v2 offset0:65 offset1:66
	ds_load_2addr_b32 v[85:86], v2 offset0:67 offset1:68
	s_waitcnt lgkmcnt(3)
	v_fmac_f32_e32 v102, v87, v79
	v_fmac_f32_e32 v102, v88, v80
	ds_load_2addr_b32 v[79:80], v2 offset0:69 offset1:70
	s_waitcnt lgkmcnt(3)
	v_fmac_f32_e32 v102, v89, v81
	s_waitcnt vmcnt(3)
	s_delay_alu instid0(VALU_DEP_1) | instskip(SKIP_3) | instid1(VALU_DEP_1)
	v_fmac_f32_e32 v102, v90, v82
	ds_load_2addr_b32 v[81:82], v2 offset0:71 offset1:72
	s_waitcnt lgkmcnt(3)
	v_fmac_f32_e32 v102, v91, v83
	v_fmac_f32_e32 v102, v92, v84
	ds_load_2addr_b32 v[83:84], v2 offset0:73 offset1:74
	ds_load_2addr_b32 v[2:3], v2 offset0:75 offset1:76
	s_waitcnt lgkmcnt(4)
	v_fmac_f32_e32 v102, v93, v85
	s_waitcnt vmcnt(2)
	s_delay_alu instid0(VALU_DEP_1) | instskip(SKIP_1) | instid1(VALU_DEP_1)
	v_fmac_f32_e32 v102, v94, v86
	s_waitcnt lgkmcnt(3)
	v_fmac_f32_e32 v102, v95, v79
	s_delay_alu instid0(VALU_DEP_1) | instskip(SKIP_1) | instid1(VALU_DEP_1)
	v_fmac_f32_e32 v102, v96, v80
	s_waitcnt lgkmcnt(2)
	v_fmac_f32_e32 v102, v97, v81
	s_waitcnt vmcnt(1)
	s_delay_alu instid0(VALU_DEP_1) | instskip(SKIP_1) | instid1(VALU_DEP_1)
	v_fmac_f32_e32 v102, v98, v82
	s_waitcnt lgkmcnt(1)
	v_fmac_f32_e32 v102, v99, v83
	s_delay_alu instid0(VALU_DEP_1) | instskip(SKIP_1) | instid1(VALU_DEP_1)
	v_fmac_f32_e32 v102, v100, v84
	s_waitcnt lgkmcnt(0)
	v_fmac_f32_e32 v102, v101, v2
	s_waitcnt vmcnt(0)
	s_delay_alu instid0(VALU_DEP_1) | instskip(NEXT) | instid1(VALU_DEP_1)
	v_fmac_f32_e32 v102, v110, v3
	v_sub_f32_e32 v2, v78, v102
	scratch_store_b32 off, v2, off offset:48
	v_cmpx_lt_u32_e32 11, v0
	s_cbranch_execz .LBB36_207
; %bb.206:
	scratch_load_b32 v2, off, off offset:44
	v_mov_b32_e32 v3, 0
	scratch_store_b32 off, v3, off offset:44
	s_waitcnt vmcnt(0)
	ds_store_b32 v1, v2
.LBB36_207:
	s_or_b32 exec_lo, exec_lo, s0
	s_waitcnt lgkmcnt(0)
	s_waitcnt_vscnt null, 0x0
	s_barrier
	buffer_gl0_inv
	s_clause 0x6
	scratch_load_b128 v[78:81], off, off offset:44
	scratch_load_b128 v[82:85], off, off offset:60
	;; [unrolled: 1-line block ×6, first 2 shown]
	scratch_load_b64 v[110:111], off, off offset:140
	v_mov_b32_e32 v2, 0
	ds_load_b128 v[102:105], v2 offset:208
	ds_load_b128 v[106:109], v2 offset:224
	s_mov_b32 s0, exec_lo
	s_waitcnt vmcnt(6) lgkmcnt(1)
	v_fma_f32 v3, v79, v102, 0
	s_delay_alu instid0(VALU_DEP_1) | instskip(NEXT) | instid1(VALU_DEP_1)
	v_fmac_f32_e32 v3, v80, v103
	v_fmac_f32_e32 v3, v81, v104
	s_waitcnt vmcnt(5)
	s_delay_alu instid0(VALU_DEP_1) | instskip(SKIP_3) | instid1(VALU_DEP_1)
	v_fmac_f32_e32 v3, v82, v105
	ds_load_b128 v[79:82], v2 offset:240
	s_waitcnt lgkmcnt(1)
	v_fmac_f32_e32 v3, v83, v106
	v_fmac_f32_e32 v3, v84, v107
	s_delay_alu instid0(VALU_DEP_1) | instskip(SKIP_1) | instid1(VALU_DEP_1)
	v_fmac_f32_e32 v3, v85, v108
	s_waitcnt vmcnt(4)
	v_fmac_f32_e32 v3, v86, v109
	ds_load_b128 v[83:86], v2 offset:256
	s_waitcnt lgkmcnt(1)
	v_fmac_f32_e32 v3, v87, v79
	s_delay_alu instid0(VALU_DEP_1) | instskip(NEXT) | instid1(VALU_DEP_1)
	v_fmac_f32_e32 v3, v88, v80
	v_fmac_f32_e32 v3, v89, v81
	s_waitcnt vmcnt(3)
	s_delay_alu instid0(VALU_DEP_1) | instskip(SKIP_3) | instid1(VALU_DEP_1)
	v_fmac_f32_e32 v3, v90, v82
	ds_load_b128 v[79:82], v2 offset:272
	s_waitcnt lgkmcnt(1)
	v_fmac_f32_e32 v3, v91, v83
	v_fmac_f32_e32 v3, v92, v84
	s_delay_alu instid0(VALU_DEP_1) | instskip(SKIP_1) | instid1(VALU_DEP_1)
	v_fmac_f32_e32 v3, v93, v85
	s_waitcnt vmcnt(2)
	v_fmac_f32_e32 v3, v94, v86
	ds_load_b128 v[83:86], v2 offset:288
	s_waitcnt lgkmcnt(1)
	v_fmac_f32_e32 v3, v95, v79
	ds_load_b32 v79, v2 offset:304
	v_fmac_f32_e32 v3, v96, v80
	s_delay_alu instid0(VALU_DEP_1) | instskip(SKIP_1) | instid1(VALU_DEP_1)
	v_fmac_f32_e32 v3, v97, v81
	s_waitcnt vmcnt(1)
	v_fmac_f32_e32 v3, v98, v82
	s_waitcnt lgkmcnt(1)
	s_delay_alu instid0(VALU_DEP_1) | instskip(NEXT) | instid1(VALU_DEP_1)
	v_fmac_f32_e32 v3, v99, v83
	v_fmac_f32_e32 v3, v100, v84
	s_delay_alu instid0(VALU_DEP_1) | instskip(SKIP_1) | instid1(VALU_DEP_1)
	v_fmac_f32_e32 v3, v101, v85
	s_waitcnt vmcnt(0)
	v_fmac_f32_e32 v3, v110, v86
	s_waitcnt lgkmcnt(0)
	s_delay_alu instid0(VALU_DEP_1) | instskip(NEXT) | instid1(VALU_DEP_1)
	v_fmac_f32_e32 v3, v111, v79
	v_sub_f32_e32 v3, v78, v3
	scratch_store_b32 off, v3, off offset:44
	v_cmpx_lt_u32_e32 10, v0
	s_cbranch_execz .LBB36_209
; %bb.208:
	scratch_load_b32 v3, off, off offset:40
	scratch_store_b32 off, v2, off offset:40
	s_waitcnt vmcnt(0)
	ds_store_b32 v1, v3
.LBB36_209:
	s_or_b32 exec_lo, exec_lo, s0
	s_waitcnt lgkmcnt(0)
	s_waitcnt_vscnt null, 0x0
	s_barrier
	buffer_gl0_inv
	s_clause 0x6
	scratch_load_b128 v[78:81], off, off offset:40
	scratch_load_b128 v[82:85], off, off offset:56
	;; [unrolled: 1-line block ×6, first 2 shown]
	scratch_load_b96 v[102:104], off, off offset:136
	ds_load_2addr_b32 v[105:106], v2 offset0:51 offset1:52
	ds_load_2addr_b32 v[107:108], v2 offset0:53 offset1:54
	;; [unrolled: 1-line block ×4, first 2 shown]
	s_mov_b32 s0, exec_lo
	s_waitcnt vmcnt(6) lgkmcnt(3)
	v_fma_f32 v105, v79, v105, 0
	s_delay_alu instid0(VALU_DEP_1) | instskip(SKIP_4) | instid1(VALU_DEP_1)
	v_fmac_f32_e32 v105, v80, v106
	ds_load_2addr_b32 v[79:80], v2 offset0:59 offset1:60
	s_waitcnt lgkmcnt(3)
	v_fmac_f32_e32 v105, v81, v107
	s_waitcnt vmcnt(5)
	v_fmac_f32_e32 v105, v82, v108
	ds_load_2addr_b32 v[81:82], v2 offset0:61 offset1:62
	s_waitcnt lgkmcnt(3)
	v_fmac_f32_e32 v105, v83, v109
	s_delay_alu instid0(VALU_DEP_1) | instskip(SKIP_1) | instid1(VALU_DEP_1)
	v_fmac_f32_e32 v105, v84, v110
	s_waitcnt lgkmcnt(2)
	v_fmac_f32_e32 v105, v85, v111
	s_waitcnt vmcnt(4)
	s_delay_alu instid0(VALU_DEP_1) | instskip(SKIP_4) | instid1(VALU_DEP_1)
	v_fmac_f32_e32 v105, v86, v112
	ds_load_2addr_b32 v[83:84], v2 offset0:63 offset1:64
	ds_load_2addr_b32 v[85:86], v2 offset0:65 offset1:66
	s_waitcnt lgkmcnt(3)
	v_fmac_f32_e32 v105, v87, v79
	v_fmac_f32_e32 v105, v88, v80
	ds_load_2addr_b32 v[79:80], v2 offset0:67 offset1:68
	s_waitcnt lgkmcnt(3)
	v_fmac_f32_e32 v105, v89, v81
	s_waitcnt vmcnt(3)
	s_delay_alu instid0(VALU_DEP_1) | instskip(SKIP_3) | instid1(VALU_DEP_1)
	v_fmac_f32_e32 v105, v90, v82
	ds_load_2addr_b32 v[81:82], v2 offset0:69 offset1:70
	s_waitcnt lgkmcnt(3)
	v_fmac_f32_e32 v105, v91, v83
	v_fmac_f32_e32 v105, v92, v84
	s_waitcnt lgkmcnt(2)
	s_delay_alu instid0(VALU_DEP_1) | instskip(SKIP_1) | instid1(VALU_DEP_1)
	v_fmac_f32_e32 v105, v93, v85
	s_waitcnt vmcnt(2)
	v_fmac_f32_e32 v105, v94, v86
	ds_load_2addr_b32 v[83:84], v2 offset0:71 offset1:72
	ds_load_2addr_b32 v[85:86], v2 offset0:73 offset1:74
	ds_load_2addr_b32 v[2:3], v2 offset0:75 offset1:76
	s_waitcnt lgkmcnt(4)
	v_fmac_f32_e32 v105, v95, v79
	s_delay_alu instid0(VALU_DEP_1) | instskip(SKIP_1) | instid1(VALU_DEP_1)
	v_fmac_f32_e32 v105, v96, v80
	s_waitcnt lgkmcnt(3)
	v_fmac_f32_e32 v105, v97, v81
	s_waitcnt vmcnt(1)
	s_delay_alu instid0(VALU_DEP_1) | instskip(SKIP_1) | instid1(VALU_DEP_1)
	v_fmac_f32_e32 v105, v98, v82
	s_waitcnt lgkmcnt(2)
	v_fmac_f32_e32 v105, v99, v83
	s_delay_alu instid0(VALU_DEP_1) | instskip(SKIP_1) | instid1(VALU_DEP_1)
	v_fmac_f32_e32 v105, v100, v84
	s_waitcnt lgkmcnt(1)
	v_fmac_f32_e32 v105, v101, v85
	s_waitcnt vmcnt(0)
	s_delay_alu instid0(VALU_DEP_1) | instskip(SKIP_1) | instid1(VALU_DEP_1)
	v_fmac_f32_e32 v105, v102, v86
	s_waitcnt lgkmcnt(0)
	v_fmac_f32_e32 v105, v103, v2
	s_delay_alu instid0(VALU_DEP_1) | instskip(NEXT) | instid1(VALU_DEP_1)
	v_fmac_f32_e32 v105, v104, v3
	v_sub_f32_e32 v2, v78, v105
	scratch_store_b32 off, v2, off offset:40
	v_cmpx_lt_u32_e32 9, v0
	s_cbranch_execz .LBB36_211
; %bb.210:
	scratch_load_b32 v2, off, off offset:36
	v_mov_b32_e32 v3, 0
	scratch_store_b32 off, v3, off offset:36
	s_waitcnt vmcnt(0)
	ds_store_b32 v1, v2
.LBB36_211:
	s_or_b32 exec_lo, exec_lo, s0
	s_waitcnt lgkmcnt(0)
	s_waitcnt_vscnt null, 0x0
	s_barrier
	buffer_gl0_inv
	s_clause 0x6
	scratch_load_b128 v[78:81], off, off offset:36
	scratch_load_b128 v[82:85], off, off offset:52
	;; [unrolled: 1-line block ×7, first 2 shown]
	v_mov_b32_e32 v2, 0
	ds_load_2addr_b64 v[106:109], v2 offset0:25 offset1:26
	ds_load_2addr_b64 v[110:113], v2 offset0:27 offset1:28
	s_mov_b32 s0, exec_lo
	s_waitcnt vmcnt(6) lgkmcnt(1)
	v_fma_f32 v3, v79, v106, 0
	s_delay_alu instid0(VALU_DEP_1) | instskip(NEXT) | instid1(VALU_DEP_1)
	v_fmac_f32_e32 v3, v80, v107
	v_fmac_f32_e32 v3, v81, v108
	s_waitcnt vmcnt(5)
	s_delay_alu instid0(VALU_DEP_1) | instskip(SKIP_3) | instid1(VALU_DEP_1)
	v_fmac_f32_e32 v3, v82, v109
	ds_load_2addr_b64 v[79:82], v2 offset0:29 offset1:30
	s_waitcnt lgkmcnt(1)
	v_fmac_f32_e32 v3, v83, v110
	v_fmac_f32_e32 v3, v84, v111
	s_delay_alu instid0(VALU_DEP_1) | instskip(SKIP_1) | instid1(VALU_DEP_1)
	v_fmac_f32_e32 v3, v85, v112
	s_waitcnt vmcnt(4)
	v_fmac_f32_e32 v3, v86, v113
	ds_load_2addr_b64 v[83:86], v2 offset0:31 offset1:32
	s_waitcnt lgkmcnt(1)
	v_fmac_f32_e32 v3, v87, v79
	s_delay_alu instid0(VALU_DEP_1) | instskip(NEXT) | instid1(VALU_DEP_1)
	v_fmac_f32_e32 v3, v88, v80
	v_fmac_f32_e32 v3, v89, v81
	s_waitcnt vmcnt(3)
	s_delay_alu instid0(VALU_DEP_1) | instskip(SKIP_3) | instid1(VALU_DEP_1)
	v_fmac_f32_e32 v3, v90, v82
	ds_load_2addr_b64 v[79:82], v2 offset0:33 offset1:34
	s_waitcnt lgkmcnt(1)
	v_fmac_f32_e32 v3, v91, v83
	v_fmac_f32_e32 v3, v92, v84
	s_delay_alu instid0(VALU_DEP_1) | instskip(SKIP_1) | instid1(VALU_DEP_1)
	v_fmac_f32_e32 v3, v93, v85
	s_waitcnt vmcnt(2)
	v_fmac_f32_e32 v3, v94, v86
	ds_load_2addr_b64 v[83:86], v2 offset0:35 offset1:36
	s_waitcnt lgkmcnt(1)
	v_fmac_f32_e32 v3, v95, v79
	s_delay_alu instid0(VALU_DEP_1)
	v_fmac_f32_e32 v3, v96, v80
	ds_load_b64 v[79:80], v2 offset:296
	v_fmac_f32_e32 v3, v97, v81
	ds_load_b32 v81, v2 offset:304
	s_waitcnt vmcnt(1)
	v_fmac_f32_e32 v3, v98, v82
	s_waitcnt lgkmcnt(2)
	s_delay_alu instid0(VALU_DEP_1) | instskip(NEXT) | instid1(VALU_DEP_1)
	v_fmac_f32_e32 v3, v99, v83
	v_fmac_f32_e32 v3, v100, v84
	s_delay_alu instid0(VALU_DEP_1) | instskip(SKIP_1) | instid1(VALU_DEP_1)
	v_fmac_f32_e32 v3, v101, v85
	s_waitcnt vmcnt(0)
	v_fmac_f32_e32 v3, v102, v86
	s_waitcnt lgkmcnt(1)
	s_delay_alu instid0(VALU_DEP_1) | instskip(NEXT) | instid1(VALU_DEP_1)
	v_fmac_f32_e32 v3, v103, v79
	v_fmac_f32_e32 v3, v104, v80
	s_waitcnt lgkmcnt(0)
	s_delay_alu instid0(VALU_DEP_1) | instskip(NEXT) | instid1(VALU_DEP_1)
	v_fmac_f32_e32 v3, v105, v81
	v_sub_f32_e32 v3, v78, v3
	scratch_store_b32 off, v3, off offset:36
	v_cmpx_lt_u32_e32 8, v0
	s_cbranch_execz .LBB36_213
; %bb.212:
	scratch_load_b32 v3, off, off offset:32
	scratch_store_b32 off, v2, off offset:32
	s_waitcnt vmcnt(0)
	ds_store_b32 v1, v3
.LBB36_213:
	s_or_b32 exec_lo, exec_lo, s0
	s_waitcnt lgkmcnt(0)
	s_waitcnt_vscnt null, 0x0
	s_barrier
	buffer_gl0_inv
	s_clause 0x7
	scratch_load_b128 v[78:81], off, off offset:32
	scratch_load_b128 v[82:85], off, off offset:48
	;; [unrolled: 1-line block ×7, first 2 shown]
	scratch_load_b32 v114, off, off offset:144
	ds_load_2addr_b32 v[106:107], v2 offset0:49 offset1:50
	ds_load_2addr_b32 v[108:109], v2 offset0:51 offset1:52
	;; [unrolled: 1-line block ×4, first 2 shown]
	s_mov_b32 s0, exec_lo
	s_waitcnt vmcnt(7) lgkmcnt(3)
	v_fma_f32 v106, v79, v106, 0
	s_delay_alu instid0(VALU_DEP_1) | instskip(SKIP_4) | instid1(VALU_DEP_1)
	v_fmac_f32_e32 v106, v80, v107
	ds_load_2addr_b32 v[79:80], v2 offset0:57 offset1:58
	s_waitcnt lgkmcnt(3)
	v_fmac_f32_e32 v106, v81, v108
	s_waitcnt vmcnt(6)
	v_fmac_f32_e32 v106, v82, v109
	ds_load_2addr_b32 v[81:82], v2 offset0:59 offset1:60
	s_waitcnt lgkmcnt(3)
	v_fmac_f32_e32 v106, v83, v110
	s_delay_alu instid0(VALU_DEP_1) | instskip(SKIP_1) | instid1(VALU_DEP_1)
	v_fmac_f32_e32 v106, v84, v111
	s_waitcnt lgkmcnt(2)
	v_fmac_f32_e32 v106, v85, v112
	s_waitcnt vmcnt(5)
	s_delay_alu instid0(VALU_DEP_1) | instskip(SKIP_4) | instid1(VALU_DEP_1)
	v_fmac_f32_e32 v106, v86, v113
	ds_load_2addr_b32 v[83:84], v2 offset0:61 offset1:62
	ds_load_2addr_b32 v[85:86], v2 offset0:63 offset1:64
	s_waitcnt lgkmcnt(3)
	v_fmac_f32_e32 v106, v87, v79
	v_fmac_f32_e32 v106, v88, v80
	ds_load_2addr_b32 v[79:80], v2 offset0:65 offset1:66
	s_waitcnt lgkmcnt(3)
	v_fmac_f32_e32 v106, v89, v81
	s_waitcnt vmcnt(4)
	s_delay_alu instid0(VALU_DEP_1) | instskip(SKIP_3) | instid1(VALU_DEP_1)
	v_fmac_f32_e32 v106, v90, v82
	ds_load_2addr_b32 v[81:82], v2 offset0:67 offset1:68
	s_waitcnt lgkmcnt(3)
	v_fmac_f32_e32 v106, v91, v83
	v_fmac_f32_e32 v106, v92, v84
	s_waitcnt lgkmcnt(2)
	s_delay_alu instid0(VALU_DEP_1) | instskip(SKIP_1) | instid1(VALU_DEP_1)
	v_fmac_f32_e32 v106, v93, v85
	s_waitcnt vmcnt(3)
	v_fmac_f32_e32 v106, v94, v86
	ds_load_2addr_b32 v[83:84], v2 offset0:69 offset1:70
	ds_load_2addr_b32 v[85:86], v2 offset0:71 offset1:72
	s_waitcnt lgkmcnt(3)
	v_fmac_f32_e32 v106, v95, v79
	s_delay_alu instid0(VALU_DEP_1)
	v_fmac_f32_e32 v106, v96, v80
	ds_load_2addr_b32 v[79:80], v2 offset0:73 offset1:74
	ds_load_2addr_b32 v[2:3], v2 offset0:75 offset1:76
	s_waitcnt lgkmcnt(4)
	v_fmac_f32_e32 v106, v97, v81
	s_waitcnt vmcnt(2)
	s_delay_alu instid0(VALU_DEP_1) | instskip(SKIP_1) | instid1(VALU_DEP_1)
	v_fmac_f32_e32 v106, v98, v82
	s_waitcnt lgkmcnt(3)
	v_fmac_f32_e32 v106, v99, v83
	s_delay_alu instid0(VALU_DEP_1) | instskip(SKIP_1) | instid1(VALU_DEP_1)
	v_fmac_f32_e32 v106, v100, v84
	s_waitcnt lgkmcnt(2)
	v_fmac_f32_e32 v106, v101, v85
	s_waitcnt vmcnt(1)
	s_delay_alu instid0(VALU_DEP_1) | instskip(SKIP_1) | instid1(VALU_DEP_1)
	v_fmac_f32_e32 v106, v102, v86
	s_waitcnt lgkmcnt(1)
	v_fmac_f32_e32 v106, v103, v79
	s_delay_alu instid0(VALU_DEP_1) | instskip(SKIP_1) | instid1(VALU_DEP_1)
	v_fmac_f32_e32 v106, v104, v80
	s_waitcnt lgkmcnt(0)
	v_fmac_f32_e32 v106, v105, v2
	s_waitcnt vmcnt(0)
	s_delay_alu instid0(VALU_DEP_1) | instskip(NEXT) | instid1(VALU_DEP_1)
	v_fmac_f32_e32 v106, v114, v3
	v_sub_f32_e32 v2, v78, v106
	scratch_store_b32 off, v2, off offset:32
	v_cmpx_lt_u32_e32 7, v0
	s_cbranch_execz .LBB36_215
; %bb.214:
	scratch_load_b32 v2, off, off offset:28
	v_mov_b32_e32 v3, 0
	scratch_store_b32 off, v3, off offset:28
	s_waitcnt vmcnt(0)
	ds_store_b32 v1, v2
.LBB36_215:
	s_or_b32 exec_lo, exec_lo, s0
	s_waitcnt lgkmcnt(0)
	s_waitcnt_vscnt null, 0x0
	s_barrier
	buffer_gl0_inv
	s_clause 0x7
	scratch_load_b128 v[78:81], off, off offset:28
	scratch_load_b128 v[82:85], off, off offset:44
	;; [unrolled: 1-line block ×7, first 2 shown]
	scratch_load_b64 v[114:115], off, off offset:140
	v_mov_b32_e32 v2, 0
	ds_load_b128 v[106:109], v2 offset:192
	ds_load_b128 v[110:113], v2 offset:208
	s_mov_b32 s0, exec_lo
	s_waitcnt vmcnt(7) lgkmcnt(1)
	v_fma_f32 v3, v79, v106, 0
	s_delay_alu instid0(VALU_DEP_1) | instskip(NEXT) | instid1(VALU_DEP_1)
	v_fmac_f32_e32 v3, v80, v107
	v_fmac_f32_e32 v3, v81, v108
	s_waitcnt vmcnt(6)
	s_delay_alu instid0(VALU_DEP_1) | instskip(SKIP_3) | instid1(VALU_DEP_1)
	v_fmac_f32_e32 v3, v82, v109
	ds_load_b128 v[79:82], v2 offset:224
	s_waitcnt lgkmcnt(1)
	v_fmac_f32_e32 v3, v83, v110
	v_fmac_f32_e32 v3, v84, v111
	s_delay_alu instid0(VALU_DEP_1) | instskip(SKIP_1) | instid1(VALU_DEP_1)
	v_fmac_f32_e32 v3, v85, v112
	s_waitcnt vmcnt(5)
	v_fmac_f32_e32 v3, v86, v113
	ds_load_b128 v[83:86], v2 offset:240
	s_waitcnt lgkmcnt(1)
	v_fmac_f32_e32 v3, v87, v79
	s_delay_alu instid0(VALU_DEP_1) | instskip(NEXT) | instid1(VALU_DEP_1)
	v_fmac_f32_e32 v3, v88, v80
	v_fmac_f32_e32 v3, v89, v81
	s_waitcnt vmcnt(4)
	s_delay_alu instid0(VALU_DEP_1) | instskip(SKIP_3) | instid1(VALU_DEP_1)
	v_fmac_f32_e32 v3, v90, v82
	ds_load_b128 v[79:82], v2 offset:256
	s_waitcnt lgkmcnt(1)
	v_fmac_f32_e32 v3, v91, v83
	v_fmac_f32_e32 v3, v92, v84
	s_delay_alu instid0(VALU_DEP_1) | instskip(SKIP_1) | instid1(VALU_DEP_1)
	v_fmac_f32_e32 v3, v93, v85
	s_waitcnt vmcnt(3)
	v_fmac_f32_e32 v3, v94, v86
	ds_load_b128 v[83:86], v2 offset:272
	s_waitcnt lgkmcnt(1)
	v_fmac_f32_e32 v3, v95, v79
	s_delay_alu instid0(VALU_DEP_1) | instskip(NEXT) | instid1(VALU_DEP_1)
	v_fmac_f32_e32 v3, v96, v80
	v_fmac_f32_e32 v3, v97, v81
	s_waitcnt vmcnt(2)
	s_delay_alu instid0(VALU_DEP_1)
	v_fmac_f32_e32 v3, v98, v82
	ds_load_b128 v[79:82], v2 offset:288
	s_waitcnt lgkmcnt(1)
	v_fmac_f32_e32 v3, v99, v83
	ds_load_b32 v83, v2 offset:304
	v_fmac_f32_e32 v3, v100, v84
	s_delay_alu instid0(VALU_DEP_1) | instskip(SKIP_1) | instid1(VALU_DEP_1)
	v_fmac_f32_e32 v3, v101, v85
	s_waitcnt vmcnt(1)
	v_fmac_f32_e32 v3, v102, v86
	s_waitcnt lgkmcnt(1)
	s_delay_alu instid0(VALU_DEP_1) | instskip(NEXT) | instid1(VALU_DEP_1)
	v_fmac_f32_e32 v3, v103, v79
	v_fmac_f32_e32 v3, v104, v80
	s_delay_alu instid0(VALU_DEP_1) | instskip(SKIP_1) | instid1(VALU_DEP_1)
	v_fmac_f32_e32 v3, v105, v81
	s_waitcnt vmcnt(0)
	v_fmac_f32_e32 v3, v114, v82
	s_waitcnt lgkmcnt(0)
	s_delay_alu instid0(VALU_DEP_1) | instskip(NEXT) | instid1(VALU_DEP_1)
	v_fmac_f32_e32 v3, v115, v83
	v_sub_f32_e32 v3, v78, v3
	scratch_store_b32 off, v3, off offset:28
	v_cmpx_lt_u32_e32 6, v0
	s_cbranch_execz .LBB36_217
; %bb.216:
	scratch_load_b32 v3, off, off offset:24
	scratch_store_b32 off, v2, off offset:24
	s_waitcnt vmcnt(0)
	ds_store_b32 v1, v3
.LBB36_217:
	s_or_b32 exec_lo, exec_lo, s0
	s_waitcnt lgkmcnt(0)
	s_waitcnt_vscnt null, 0x0
	s_barrier
	buffer_gl0_inv
	s_clause 0x7
	scratch_load_b128 v[78:81], off, off offset:24
	scratch_load_b128 v[82:85], off, off offset:40
	;; [unrolled: 1-line block ×7, first 2 shown]
	scratch_load_b96 v[106:108], off, off offset:136
	ds_load_2addr_b32 v[109:110], v2 offset0:47 offset1:48
	ds_load_2addr_b32 v[111:112], v2 offset0:49 offset1:50
	;; [unrolled: 1-line block ×4, first 2 shown]
	s_mov_b32 s0, exec_lo
	s_waitcnt vmcnt(7) lgkmcnt(3)
	v_fma_f32 v109, v79, v109, 0
	s_delay_alu instid0(VALU_DEP_1) | instskip(SKIP_4) | instid1(VALU_DEP_1)
	v_fmac_f32_e32 v109, v80, v110
	ds_load_2addr_b32 v[79:80], v2 offset0:55 offset1:56
	s_waitcnt lgkmcnt(3)
	v_fmac_f32_e32 v109, v81, v111
	s_waitcnt vmcnt(6)
	v_fmac_f32_e32 v109, v82, v112
	ds_load_2addr_b32 v[81:82], v2 offset0:57 offset1:58
	s_waitcnt lgkmcnt(3)
	v_fmac_f32_e32 v109, v83, v113
	s_delay_alu instid0(VALU_DEP_1) | instskip(SKIP_1) | instid1(VALU_DEP_1)
	v_fmac_f32_e32 v109, v84, v114
	s_waitcnt lgkmcnt(2)
	v_fmac_f32_e32 v109, v85, v115
	s_waitcnt vmcnt(5)
	s_delay_alu instid0(VALU_DEP_1) | instskip(SKIP_4) | instid1(VALU_DEP_1)
	v_fmac_f32_e32 v109, v86, v116
	ds_load_2addr_b32 v[83:84], v2 offset0:59 offset1:60
	ds_load_2addr_b32 v[85:86], v2 offset0:61 offset1:62
	s_waitcnt lgkmcnt(3)
	v_fmac_f32_e32 v109, v87, v79
	v_fmac_f32_e32 v109, v88, v80
	ds_load_2addr_b32 v[79:80], v2 offset0:63 offset1:64
	s_waitcnt lgkmcnt(3)
	v_fmac_f32_e32 v109, v89, v81
	s_waitcnt vmcnt(4)
	s_delay_alu instid0(VALU_DEP_1) | instskip(SKIP_3) | instid1(VALU_DEP_1)
	v_fmac_f32_e32 v109, v90, v82
	ds_load_2addr_b32 v[81:82], v2 offset0:65 offset1:66
	s_waitcnt lgkmcnt(3)
	v_fmac_f32_e32 v109, v91, v83
	v_fmac_f32_e32 v109, v92, v84
	s_waitcnt lgkmcnt(2)
	s_delay_alu instid0(VALU_DEP_1) | instskip(SKIP_1) | instid1(VALU_DEP_1)
	v_fmac_f32_e32 v109, v93, v85
	s_waitcnt vmcnt(3)
	v_fmac_f32_e32 v109, v94, v86
	ds_load_2addr_b32 v[83:84], v2 offset0:67 offset1:68
	ds_load_2addr_b32 v[85:86], v2 offset0:69 offset1:70
	s_waitcnt lgkmcnt(3)
	v_fmac_f32_e32 v109, v95, v79
	s_delay_alu instid0(VALU_DEP_1) | instskip(SKIP_4) | instid1(VALU_DEP_1)
	v_fmac_f32_e32 v109, v96, v80
	ds_load_2addr_b32 v[79:80], v2 offset0:71 offset1:72
	s_waitcnt lgkmcnt(3)
	v_fmac_f32_e32 v109, v97, v81
	s_waitcnt vmcnt(2)
	v_fmac_f32_e32 v109, v98, v82
	ds_load_2addr_b32 v[81:82], v2 offset0:73 offset1:74
	ds_load_2addr_b32 v[2:3], v2 offset0:75 offset1:76
	s_waitcnt lgkmcnt(4)
	v_fmac_f32_e32 v109, v99, v83
	s_delay_alu instid0(VALU_DEP_1) | instskip(SKIP_1) | instid1(VALU_DEP_1)
	v_fmac_f32_e32 v109, v100, v84
	s_waitcnt lgkmcnt(3)
	v_fmac_f32_e32 v109, v101, v85
	s_waitcnt vmcnt(1)
	s_delay_alu instid0(VALU_DEP_1) | instskip(SKIP_1) | instid1(VALU_DEP_1)
	v_fmac_f32_e32 v109, v102, v86
	s_waitcnt lgkmcnt(2)
	v_fmac_f32_e32 v109, v103, v79
	s_delay_alu instid0(VALU_DEP_1) | instskip(SKIP_1) | instid1(VALU_DEP_1)
	v_fmac_f32_e32 v109, v104, v80
	s_waitcnt lgkmcnt(1)
	v_fmac_f32_e32 v109, v105, v81
	s_waitcnt vmcnt(0)
	s_delay_alu instid0(VALU_DEP_1) | instskip(SKIP_1) | instid1(VALU_DEP_1)
	v_fmac_f32_e32 v109, v106, v82
	s_waitcnt lgkmcnt(0)
	v_fmac_f32_e32 v109, v107, v2
	s_delay_alu instid0(VALU_DEP_1) | instskip(NEXT) | instid1(VALU_DEP_1)
	v_fmac_f32_e32 v109, v108, v3
	v_sub_f32_e32 v2, v78, v109
	scratch_store_b32 off, v2, off offset:24
	v_cmpx_lt_u32_e32 5, v0
	s_cbranch_execz .LBB36_219
; %bb.218:
	scratch_load_b32 v2, off, off offset:20
	v_mov_b32_e32 v3, 0
	scratch_store_b32 off, v3, off offset:20
	s_waitcnt vmcnt(0)
	ds_store_b32 v1, v2
.LBB36_219:
	s_or_b32 exec_lo, exec_lo, s0
	s_waitcnt lgkmcnt(0)
	s_waitcnt_vscnt null, 0x0
	s_barrier
	buffer_gl0_inv
	s_clause 0x7
	scratch_load_b128 v[78:81], off, off offset:20
	scratch_load_b128 v[82:85], off, off offset:36
	;; [unrolled: 1-line block ×8, first 2 shown]
	v_mov_b32_e32 v2, 0
	ds_load_2addr_b64 v[110:113], v2 offset0:23 offset1:24
	ds_load_2addr_b64 v[114:117], v2 offset0:25 offset1:26
	s_mov_b32 s0, exec_lo
	s_waitcnt vmcnt(7) lgkmcnt(1)
	v_fma_f32 v3, v79, v110, 0
	s_delay_alu instid0(VALU_DEP_1) | instskip(NEXT) | instid1(VALU_DEP_1)
	v_fmac_f32_e32 v3, v80, v111
	v_fmac_f32_e32 v3, v81, v112
	s_waitcnt vmcnt(6)
	s_delay_alu instid0(VALU_DEP_1) | instskip(SKIP_3) | instid1(VALU_DEP_1)
	v_fmac_f32_e32 v3, v82, v113
	ds_load_2addr_b64 v[79:82], v2 offset0:27 offset1:28
	s_waitcnt lgkmcnt(1)
	v_fmac_f32_e32 v3, v83, v114
	v_fmac_f32_e32 v3, v84, v115
	s_delay_alu instid0(VALU_DEP_1) | instskip(SKIP_1) | instid1(VALU_DEP_1)
	v_fmac_f32_e32 v3, v85, v116
	s_waitcnt vmcnt(5)
	v_fmac_f32_e32 v3, v86, v117
	ds_load_2addr_b64 v[83:86], v2 offset0:29 offset1:30
	s_waitcnt lgkmcnt(1)
	v_fmac_f32_e32 v3, v87, v79
	s_delay_alu instid0(VALU_DEP_1) | instskip(NEXT) | instid1(VALU_DEP_1)
	v_fmac_f32_e32 v3, v88, v80
	v_fmac_f32_e32 v3, v89, v81
	s_waitcnt vmcnt(4)
	s_delay_alu instid0(VALU_DEP_1) | instskip(SKIP_3) | instid1(VALU_DEP_1)
	v_fmac_f32_e32 v3, v90, v82
	ds_load_2addr_b64 v[79:82], v2 offset0:31 offset1:32
	s_waitcnt lgkmcnt(1)
	v_fmac_f32_e32 v3, v91, v83
	v_fmac_f32_e32 v3, v92, v84
	s_delay_alu instid0(VALU_DEP_1) | instskip(SKIP_1) | instid1(VALU_DEP_1)
	v_fmac_f32_e32 v3, v93, v85
	s_waitcnt vmcnt(3)
	v_fmac_f32_e32 v3, v94, v86
	ds_load_2addr_b64 v[83:86], v2 offset0:33 offset1:34
	s_waitcnt lgkmcnt(1)
	v_fmac_f32_e32 v3, v95, v79
	s_delay_alu instid0(VALU_DEP_1) | instskip(NEXT) | instid1(VALU_DEP_1)
	v_fmac_f32_e32 v3, v96, v80
	v_fmac_f32_e32 v3, v97, v81
	s_waitcnt vmcnt(2)
	s_delay_alu instid0(VALU_DEP_1) | instskip(SKIP_3) | instid1(VALU_DEP_1)
	v_fmac_f32_e32 v3, v98, v82
	ds_load_2addr_b64 v[79:82], v2 offset0:35 offset1:36
	s_waitcnt lgkmcnt(1)
	v_fmac_f32_e32 v3, v99, v83
	v_fmac_f32_e32 v3, v100, v84
	ds_load_b64 v[83:84], v2 offset:296
	v_fmac_f32_e32 v3, v101, v85
	s_waitcnt vmcnt(1)
	s_delay_alu instid0(VALU_DEP_1) | instskip(SKIP_1) | instid1(VALU_DEP_1)
	v_fmac_f32_e32 v3, v102, v86
	s_waitcnt lgkmcnt(1)
	v_fmac_f32_e32 v3, v103, v79
	ds_load_b32 v79, v2 offset:304
	v_fmac_f32_e32 v3, v104, v80
	s_delay_alu instid0(VALU_DEP_1) | instskip(SKIP_1) | instid1(VALU_DEP_1)
	v_fmac_f32_e32 v3, v105, v81
	s_waitcnt vmcnt(0)
	v_fmac_f32_e32 v3, v106, v82
	s_waitcnt lgkmcnt(1)
	s_delay_alu instid0(VALU_DEP_1) | instskip(NEXT) | instid1(VALU_DEP_1)
	v_fmac_f32_e32 v3, v107, v83
	v_fmac_f32_e32 v3, v108, v84
	s_waitcnt lgkmcnt(0)
	s_delay_alu instid0(VALU_DEP_1) | instskip(NEXT) | instid1(VALU_DEP_1)
	v_fmac_f32_e32 v3, v109, v79
	v_sub_f32_e32 v3, v78, v3
	scratch_store_b32 off, v3, off offset:20
	v_cmpx_lt_u32_e32 4, v0
	s_cbranch_execz .LBB36_221
; %bb.220:
	scratch_load_b32 v3, off, off offset:16
	scratch_store_b32 off, v2, off offset:16
	s_waitcnt vmcnt(0)
	ds_store_b32 v1, v3
.LBB36_221:
	s_or_b32 exec_lo, exec_lo, s0
	s_waitcnt lgkmcnt(0)
	s_waitcnt_vscnt null, 0x0
	s_barrier
	buffer_gl0_inv
	s_clause 0x8
	scratch_load_b128 v[78:81], off, off offset:16
	scratch_load_b128 v[82:85], off, off offset:32
	;; [unrolled: 1-line block ×8, first 2 shown]
	scratch_load_b32 v118, off, off offset:144
	ds_load_2addr_b32 v[110:111], v2 offset0:45 offset1:46
	ds_load_2addr_b32 v[112:113], v2 offset0:47 offset1:48
	;; [unrolled: 1-line block ×4, first 2 shown]
	s_mov_b32 s0, exec_lo
	s_waitcnt vmcnt(8) lgkmcnt(3)
	v_fma_f32 v110, v79, v110, 0
	s_delay_alu instid0(VALU_DEP_1) | instskip(SKIP_4) | instid1(VALU_DEP_1)
	v_fmac_f32_e32 v110, v80, v111
	ds_load_2addr_b32 v[79:80], v2 offset0:53 offset1:54
	s_waitcnt lgkmcnt(3)
	v_fmac_f32_e32 v110, v81, v112
	s_waitcnt vmcnt(7)
	v_fmac_f32_e32 v110, v82, v113
	ds_load_2addr_b32 v[81:82], v2 offset0:55 offset1:56
	s_waitcnt lgkmcnt(3)
	v_fmac_f32_e32 v110, v83, v114
	s_delay_alu instid0(VALU_DEP_1) | instskip(SKIP_1) | instid1(VALU_DEP_1)
	v_fmac_f32_e32 v110, v84, v115
	s_waitcnt lgkmcnt(2)
	v_fmac_f32_e32 v110, v85, v116
	s_waitcnt vmcnt(6)
	s_delay_alu instid0(VALU_DEP_1) | instskip(SKIP_4) | instid1(VALU_DEP_1)
	v_fmac_f32_e32 v110, v86, v117
	ds_load_2addr_b32 v[83:84], v2 offset0:57 offset1:58
	ds_load_2addr_b32 v[85:86], v2 offset0:59 offset1:60
	s_waitcnt lgkmcnt(3)
	v_fmac_f32_e32 v110, v87, v79
	v_fmac_f32_e32 v110, v88, v80
	ds_load_2addr_b32 v[79:80], v2 offset0:61 offset1:62
	s_waitcnt lgkmcnt(3)
	v_fmac_f32_e32 v110, v89, v81
	s_waitcnt vmcnt(5)
	s_delay_alu instid0(VALU_DEP_1) | instskip(SKIP_3) | instid1(VALU_DEP_1)
	v_fmac_f32_e32 v110, v90, v82
	ds_load_2addr_b32 v[81:82], v2 offset0:63 offset1:64
	s_waitcnt lgkmcnt(3)
	v_fmac_f32_e32 v110, v91, v83
	v_fmac_f32_e32 v110, v92, v84
	s_waitcnt lgkmcnt(2)
	s_delay_alu instid0(VALU_DEP_1) | instskip(SKIP_1) | instid1(VALU_DEP_1)
	v_fmac_f32_e32 v110, v93, v85
	s_waitcnt vmcnt(4)
	v_fmac_f32_e32 v110, v94, v86
	ds_load_2addr_b32 v[83:84], v2 offset0:65 offset1:66
	ds_load_2addr_b32 v[85:86], v2 offset0:67 offset1:68
	s_waitcnt lgkmcnt(3)
	v_fmac_f32_e32 v110, v95, v79
	s_delay_alu instid0(VALU_DEP_1) | instskip(SKIP_4) | instid1(VALU_DEP_1)
	v_fmac_f32_e32 v110, v96, v80
	ds_load_2addr_b32 v[79:80], v2 offset0:69 offset1:70
	s_waitcnt lgkmcnt(3)
	v_fmac_f32_e32 v110, v97, v81
	s_waitcnt vmcnt(3)
	v_fmac_f32_e32 v110, v98, v82
	ds_load_2addr_b32 v[81:82], v2 offset0:71 offset1:72
	s_waitcnt lgkmcnt(3)
	v_fmac_f32_e32 v110, v99, v83
	s_delay_alu instid0(VALU_DEP_1)
	v_fmac_f32_e32 v110, v100, v84
	ds_load_2addr_b32 v[83:84], v2 offset0:73 offset1:74
	ds_load_2addr_b32 v[2:3], v2 offset0:75 offset1:76
	s_waitcnt lgkmcnt(4)
	v_fmac_f32_e32 v110, v101, v85
	s_waitcnt vmcnt(2)
	s_delay_alu instid0(VALU_DEP_1) | instskip(SKIP_1) | instid1(VALU_DEP_1)
	v_fmac_f32_e32 v110, v102, v86
	s_waitcnt lgkmcnt(3)
	v_fmac_f32_e32 v110, v103, v79
	s_delay_alu instid0(VALU_DEP_1) | instskip(SKIP_1) | instid1(VALU_DEP_1)
	v_fmac_f32_e32 v110, v104, v80
	s_waitcnt lgkmcnt(2)
	v_fmac_f32_e32 v110, v105, v81
	s_waitcnt vmcnt(1)
	s_delay_alu instid0(VALU_DEP_1) | instskip(SKIP_1) | instid1(VALU_DEP_1)
	v_fmac_f32_e32 v110, v106, v82
	s_waitcnt lgkmcnt(1)
	v_fmac_f32_e32 v110, v107, v83
	s_delay_alu instid0(VALU_DEP_1) | instskip(SKIP_1) | instid1(VALU_DEP_1)
	v_fmac_f32_e32 v110, v108, v84
	s_waitcnt lgkmcnt(0)
	v_fmac_f32_e32 v110, v109, v2
	s_waitcnt vmcnt(0)
	s_delay_alu instid0(VALU_DEP_1) | instskip(NEXT) | instid1(VALU_DEP_1)
	v_fmac_f32_e32 v110, v118, v3
	v_sub_f32_e32 v2, v78, v110
	scratch_store_b32 off, v2, off offset:16
	v_cmpx_lt_u32_e32 3, v0
	s_cbranch_execz .LBB36_223
; %bb.222:
	scratch_load_b32 v2, off, off offset:12
	v_mov_b32_e32 v3, 0
	scratch_store_b32 off, v3, off offset:12
	s_waitcnt vmcnt(0)
	ds_store_b32 v1, v2
.LBB36_223:
	s_or_b32 exec_lo, exec_lo, s0
	s_waitcnt lgkmcnt(0)
	s_waitcnt_vscnt null, 0x0
	s_barrier
	buffer_gl0_inv
	s_clause 0x8
	scratch_load_b128 v[78:81], off, off offset:12
	scratch_load_b128 v[82:85], off, off offset:28
	;; [unrolled: 1-line block ×8, first 2 shown]
	scratch_load_b64 v[118:119], off, off offset:140
	v_mov_b32_e32 v2, 0
	ds_load_b128 v[110:113], v2 offset:176
	ds_load_b128 v[114:117], v2 offset:192
	s_mov_b32 s0, exec_lo
	s_waitcnt vmcnt(8) lgkmcnt(1)
	v_fma_f32 v3, v79, v110, 0
	s_delay_alu instid0(VALU_DEP_1) | instskip(NEXT) | instid1(VALU_DEP_1)
	v_fmac_f32_e32 v3, v80, v111
	v_fmac_f32_e32 v3, v81, v112
	s_waitcnt vmcnt(7)
	s_delay_alu instid0(VALU_DEP_1) | instskip(SKIP_3) | instid1(VALU_DEP_1)
	v_fmac_f32_e32 v3, v82, v113
	ds_load_b128 v[79:82], v2 offset:208
	s_waitcnt lgkmcnt(1)
	v_fmac_f32_e32 v3, v83, v114
	v_fmac_f32_e32 v3, v84, v115
	s_delay_alu instid0(VALU_DEP_1) | instskip(SKIP_1) | instid1(VALU_DEP_1)
	v_fmac_f32_e32 v3, v85, v116
	s_waitcnt vmcnt(6)
	v_fmac_f32_e32 v3, v86, v117
	ds_load_b128 v[83:86], v2 offset:224
	s_waitcnt lgkmcnt(1)
	v_fmac_f32_e32 v3, v87, v79
	s_delay_alu instid0(VALU_DEP_1) | instskip(NEXT) | instid1(VALU_DEP_1)
	v_fmac_f32_e32 v3, v88, v80
	v_fmac_f32_e32 v3, v89, v81
	s_waitcnt vmcnt(5)
	s_delay_alu instid0(VALU_DEP_1) | instskip(SKIP_3) | instid1(VALU_DEP_1)
	v_fmac_f32_e32 v3, v90, v82
	ds_load_b128 v[79:82], v2 offset:240
	s_waitcnt lgkmcnt(1)
	v_fmac_f32_e32 v3, v91, v83
	v_fmac_f32_e32 v3, v92, v84
	s_delay_alu instid0(VALU_DEP_1) | instskip(SKIP_1) | instid1(VALU_DEP_1)
	v_fmac_f32_e32 v3, v93, v85
	s_waitcnt vmcnt(4)
	v_fmac_f32_e32 v3, v94, v86
	ds_load_b128 v[83:86], v2 offset:256
	s_waitcnt lgkmcnt(1)
	v_fmac_f32_e32 v3, v95, v79
	;; [unrolled: 17-line block ×3, first 2 shown]
	ds_load_b32 v79, v2 offset:304
	v_fmac_f32_e32 v3, v104, v80
	s_delay_alu instid0(VALU_DEP_1) | instskip(SKIP_1) | instid1(VALU_DEP_1)
	v_fmac_f32_e32 v3, v105, v81
	s_waitcnt vmcnt(1)
	v_fmac_f32_e32 v3, v106, v82
	s_waitcnt lgkmcnt(1)
	s_delay_alu instid0(VALU_DEP_1) | instskip(NEXT) | instid1(VALU_DEP_1)
	v_fmac_f32_e32 v3, v107, v83
	v_fmac_f32_e32 v3, v108, v84
	s_delay_alu instid0(VALU_DEP_1) | instskip(SKIP_1) | instid1(VALU_DEP_1)
	v_fmac_f32_e32 v3, v109, v85
	s_waitcnt vmcnt(0)
	v_fmac_f32_e32 v3, v118, v86
	s_waitcnt lgkmcnt(0)
	s_delay_alu instid0(VALU_DEP_1) | instskip(NEXT) | instid1(VALU_DEP_1)
	v_fmac_f32_e32 v3, v119, v79
	v_sub_f32_e32 v3, v78, v3
	scratch_store_b32 off, v3, off offset:12
	v_cmpx_lt_u32_e32 2, v0
	s_cbranch_execz .LBB36_225
; %bb.224:
	scratch_load_b32 v3, off, off offset:8
	scratch_store_b32 off, v2, off offset:8
	s_waitcnt vmcnt(0)
	ds_store_b32 v1, v3
.LBB36_225:
	s_or_b32 exec_lo, exec_lo, s0
	s_waitcnt lgkmcnt(0)
	s_waitcnt_vscnt null, 0x0
	s_barrier
	buffer_gl0_inv
	s_clause 0x8
	scratch_load_b128 v[78:81], off, off offset:8
	scratch_load_b128 v[82:85], off, off offset:24
	;; [unrolled: 1-line block ×8, first 2 shown]
	scratch_load_b96 v[110:112], off, off offset:136
	ds_load_2addr_b32 v[113:114], v2 offset0:43 offset1:44
	ds_load_2addr_b32 v[115:116], v2 offset0:45 offset1:46
	;; [unrolled: 1-line block ×3, first 2 shown]
	s_mov_b32 s0, exec_lo
	s_waitcnt vmcnt(8) lgkmcnt(2)
	v_fma_f32 v113, v79, v113, 0
	s_delay_alu instid0(VALU_DEP_1) | instskip(SKIP_4) | instid1(VALU_DEP_1)
	v_fmac_f32_e32 v113, v80, v114
	ds_load_2addr_b32 v[79:80], v2 offset0:49 offset1:50
	s_waitcnt lgkmcnt(2)
	v_fmac_f32_e32 v113, v81, v115
	s_waitcnt vmcnt(7)
	v_fmac_f32_e32 v113, v82, v116
	ds_load_2addr_b32 v[81:82], v2 offset0:51 offset1:52
	s_waitcnt lgkmcnt(2)
	v_fmac_f32_e32 v113, v83, v117
	s_delay_alu instid0(VALU_DEP_1) | instskip(SKIP_4) | instid1(VALU_DEP_1)
	v_fmac_f32_e32 v113, v84, v118
	ds_load_2addr_b32 v[83:84], v2 offset0:53 offset1:54
	s_waitcnt lgkmcnt(2)
	v_fmac_f32_e32 v113, v85, v79
	s_waitcnt vmcnt(6)
	v_fmac_f32_e32 v113, v86, v80
	ds_load_2addr_b32 v[79:80], v2 offset0:55 offset1:56
	s_waitcnt lgkmcnt(2)
	v_fmac_f32_e32 v113, v87, v81
	;; [unrolled: 10-line block ×6, first 2 shown]
	s_delay_alu instid0(VALU_DEP_1)
	v_fmac_f32_e32 v113, v104, v80
	ds_load_2addr_b32 v[79:80], v2 offset0:73 offset1:74
	ds_load_2addr_b32 v[2:3], v2 offset0:75 offset1:76
	s_waitcnt lgkmcnt(3)
	v_fmac_f32_e32 v113, v105, v81
	s_waitcnt vmcnt(1)
	s_delay_alu instid0(VALU_DEP_1) | instskip(SKIP_1) | instid1(VALU_DEP_1)
	v_fmac_f32_e32 v113, v106, v82
	s_waitcnt lgkmcnt(2)
	v_fmac_f32_e32 v113, v107, v83
	s_delay_alu instid0(VALU_DEP_1) | instskip(SKIP_1) | instid1(VALU_DEP_1)
	v_fmac_f32_e32 v113, v108, v84
	s_waitcnt lgkmcnt(1)
	v_fmac_f32_e32 v113, v109, v79
	s_waitcnt vmcnt(0)
	s_delay_alu instid0(VALU_DEP_1) | instskip(SKIP_1) | instid1(VALU_DEP_1)
	v_fmac_f32_e32 v113, v110, v80
	s_waitcnt lgkmcnt(0)
	v_fmac_f32_e32 v113, v111, v2
	s_delay_alu instid0(VALU_DEP_1) | instskip(NEXT) | instid1(VALU_DEP_1)
	v_fmac_f32_e32 v113, v112, v3
	v_sub_f32_e32 v2, v78, v113
	scratch_store_b32 off, v2, off offset:8
	v_cmpx_lt_u32_e32 1, v0
	s_cbranch_execz .LBB36_227
; %bb.226:
	scratch_load_b32 v2, off, off offset:4
	v_mov_b32_e32 v3, 0
	scratch_store_b32 off, v3, off offset:4
	s_waitcnt vmcnt(0)
	ds_store_b32 v1, v2
.LBB36_227:
	s_or_b32 exec_lo, exec_lo, s0
	s_waitcnt lgkmcnt(0)
	s_waitcnt_vscnt null, 0x0
	s_barrier
	buffer_gl0_inv
	s_clause 0x8
	scratch_load_b128 v[79:82], off, off offset:4
	scratch_load_b128 v[83:86], off, off offset:20
	;; [unrolled: 1-line block ×9, first 2 shown]
	v_mov_b32_e32 v78, 0
	ds_load_2addr_b64 v[115:118], v78 offset0:21 offset1:22
	ds_load_2addr_b64 v[119:122], v78 offset0:23 offset1:24
	s_mov_b32 s0, exec_lo
	s_waitcnt vmcnt(8) lgkmcnt(1)
	v_fma_f32 v115, v80, v115, 0
	s_delay_alu instid0(VALU_DEP_1) | instskip(SKIP_3) | instid1(VALU_DEP_1)
	v_fmac_f32_e32 v115, v81, v116
	ds_load_b64 v[2:3], v78 offset:296
	v_fmac_f32_e32 v115, v82, v117
	s_waitcnt vmcnt(7)
	v_fmac_f32_e32 v115, v83, v118
	ds_load_2addr_b64 v[80:83], v78 offset0:25 offset1:26
	s_waitcnt lgkmcnt(2)
	v_fmac_f32_e32 v115, v84, v119
	s_delay_alu instid0(VALU_DEP_1) | instskip(NEXT) | instid1(VALU_DEP_1)
	v_fmac_f32_e32 v115, v85, v120
	v_fmac_f32_e32 v115, v86, v121
	s_waitcnt vmcnt(6)
	s_delay_alu instid0(VALU_DEP_1) | instskip(SKIP_3) | instid1(VALU_DEP_1)
	v_fmac_f32_e32 v115, v87, v122
	ds_load_2addr_b64 v[84:87], v78 offset0:27 offset1:28
	s_waitcnt lgkmcnt(1)
	v_fmac_f32_e32 v115, v88, v80
	v_fmac_f32_e32 v115, v89, v81
	s_delay_alu instid0(VALU_DEP_1) | instskip(SKIP_1) | instid1(VALU_DEP_1)
	v_fmac_f32_e32 v115, v90, v82
	s_waitcnt vmcnt(5)
	v_fmac_f32_e32 v115, v91, v83
	ds_load_2addr_b64 v[80:83], v78 offset0:29 offset1:30
	s_waitcnt lgkmcnt(1)
	v_fmac_f32_e32 v115, v92, v84
	s_delay_alu instid0(VALU_DEP_1) | instskip(NEXT) | instid1(VALU_DEP_1)
	v_fmac_f32_e32 v115, v93, v85
	v_fmac_f32_e32 v115, v94, v86
	s_waitcnt vmcnt(4)
	s_delay_alu instid0(VALU_DEP_1) | instskip(SKIP_3) | instid1(VALU_DEP_1)
	v_fmac_f32_e32 v115, v95, v87
	ds_load_2addr_b64 v[84:87], v78 offset0:31 offset1:32
	s_waitcnt lgkmcnt(1)
	v_fmac_f32_e32 v115, v96, v80
	v_fmac_f32_e32 v115, v97, v81
	s_delay_alu instid0(VALU_DEP_1) | instskip(SKIP_1) | instid1(VALU_DEP_1)
	v_fmac_f32_e32 v115, v98, v82
	s_waitcnt vmcnt(3)
	v_fmac_f32_e32 v115, v99, v83
	ds_load_2addr_b64 v[80:83], v78 offset0:33 offset1:34
	s_waitcnt lgkmcnt(1)
	v_fmac_f32_e32 v115, v100, v84
	s_delay_alu instid0(VALU_DEP_1) | instskip(NEXT) | instid1(VALU_DEP_1)
	v_fmac_f32_e32 v115, v101, v85
	v_fmac_f32_e32 v115, v102, v86
	s_waitcnt vmcnt(2)
	s_delay_alu instid0(VALU_DEP_1)
	v_fmac_f32_e32 v115, v103, v87
	ds_load_2addr_b64 v[84:87], v78 offset0:35 offset1:36
	s_waitcnt lgkmcnt(1)
	v_fmac_f32_e32 v115, v104, v80
	ds_load_b32 v80, v78 offset:304
	v_fmac_f32_e32 v115, v105, v81
	s_delay_alu instid0(VALU_DEP_1) | instskip(SKIP_1) | instid1(VALU_DEP_1)
	v_fmac_f32_e32 v115, v106, v82
	s_waitcnt vmcnt(1)
	v_fmac_f32_e32 v115, v107, v83
	s_waitcnt lgkmcnt(1)
	s_delay_alu instid0(VALU_DEP_1) | instskip(NEXT) | instid1(VALU_DEP_1)
	v_fmac_f32_e32 v115, v108, v84
	v_fmac_f32_e32 v115, v109, v85
	s_delay_alu instid0(VALU_DEP_1) | instskip(SKIP_1) | instid1(VALU_DEP_1)
	v_fmac_f32_e32 v115, v110, v86
	s_waitcnt vmcnt(0)
	v_fmac_f32_e32 v115, v111, v87
	s_delay_alu instid0(VALU_DEP_1) | instskip(NEXT) | instid1(VALU_DEP_1)
	v_fmac_f32_e32 v115, v112, v2
	v_fmac_f32_e32 v115, v113, v3
	s_waitcnt lgkmcnt(0)
	s_delay_alu instid0(VALU_DEP_1) | instskip(NEXT) | instid1(VALU_DEP_1)
	v_fmac_f32_e32 v115, v114, v80
	v_sub_f32_e32 v2, v79, v115
	scratch_store_b32 off, v2, off offset:4
	v_cmpx_ne_u32_e32 0, v0
	s_cbranch_execz .LBB36_229
; %bb.228:
	scratch_load_b32 v0, off, off
	scratch_store_b32 off, v78, off
	s_waitcnt vmcnt(0)
	ds_store_b32 v1, v0
.LBB36_229:
	s_or_b32 exec_lo, exec_lo, s0
	s_waitcnt lgkmcnt(0)
	s_waitcnt_vscnt null, 0x0
	s_barrier
	buffer_gl0_inv
	s_clause 0x9
	scratch_load_b128 v[79:82], off, off
	scratch_load_b128 v[83:86], off, off offset:16
	scratch_load_b128 v[87:90], off, off offset:32
	;; [unrolled: 1-line block ×8, first 2 shown]
	scratch_load_b32 v119, off, off offset:144
	ds_load_2addr_b32 v[111:112], v78 offset0:41 offset1:42
	ds_load_2addr_b32 v[113:114], v78 offset0:43 offset1:44
	;; [unrolled: 1-line block ×4, first 2 shown]
	s_and_b32 vcc_lo, exec_lo, s16
	s_waitcnt vmcnt(9) lgkmcnt(3)
	v_fma_f32 v111, v80, v111, 0
	s_delay_alu instid0(VALU_DEP_1) | instskip(SKIP_4) | instid1(VALU_DEP_1)
	v_fmac_f32_e32 v111, v81, v112
	ds_load_2addr_b32 v[80:81], v78 offset0:49 offset1:50
	s_waitcnt lgkmcnt(3)
	v_fmac_f32_e32 v111, v82, v113
	s_waitcnt vmcnt(8)
	v_fmac_f32_e32 v111, v83, v114
	ds_load_2addr_b32 v[82:83], v78 offset0:51 offset1:52
	s_waitcnt lgkmcnt(3)
	v_fmac_f32_e32 v111, v84, v115
	s_delay_alu instid0(VALU_DEP_1) | instskip(SKIP_1) | instid1(VALU_DEP_1)
	v_fmac_f32_e32 v111, v85, v116
	s_waitcnt lgkmcnt(2)
	v_fmac_f32_e32 v111, v86, v117
	s_waitcnt vmcnt(7)
	s_delay_alu instid0(VALU_DEP_1) | instskip(SKIP_4) | instid1(VALU_DEP_1)
	v_fmac_f32_e32 v111, v87, v118
	ds_load_2addr_b32 v[84:85], v78 offset0:53 offset1:54
	ds_load_2addr_b32 v[86:87], v78 offset0:55 offset1:56
	s_waitcnt lgkmcnt(3)
	v_fmac_f32_e32 v111, v88, v80
	v_fmac_f32_e32 v111, v89, v81
	ds_load_2addr_b32 v[80:81], v78 offset0:57 offset1:58
	s_waitcnt lgkmcnt(3)
	v_fmac_f32_e32 v111, v90, v82
	s_waitcnt vmcnt(6)
	s_delay_alu instid0(VALU_DEP_1) | instskip(SKIP_3) | instid1(VALU_DEP_1)
	v_fmac_f32_e32 v111, v91, v83
	ds_load_2addr_b32 v[82:83], v78 offset0:59 offset1:60
	s_waitcnt lgkmcnt(3)
	v_fmac_f32_e32 v111, v92, v84
	v_fmac_f32_e32 v111, v93, v85
	s_waitcnt lgkmcnt(2)
	s_delay_alu instid0(VALU_DEP_1) | instskip(SKIP_1) | instid1(VALU_DEP_1)
	v_fmac_f32_e32 v111, v94, v86
	s_waitcnt vmcnt(5)
	v_fmac_f32_e32 v111, v95, v87
	ds_load_2addr_b32 v[84:85], v78 offset0:61 offset1:62
	ds_load_2addr_b32 v[86:87], v78 offset0:63 offset1:64
	s_waitcnt lgkmcnt(3)
	v_fmac_f32_e32 v111, v96, v80
	s_delay_alu instid0(VALU_DEP_1) | instskip(SKIP_4) | instid1(VALU_DEP_1)
	v_fmac_f32_e32 v111, v97, v81
	ds_load_2addr_b32 v[80:81], v78 offset0:65 offset1:66
	s_waitcnt lgkmcnt(3)
	v_fmac_f32_e32 v111, v98, v82
	s_waitcnt vmcnt(4)
	v_fmac_f32_e32 v111, v99, v83
	ds_load_2addr_b32 v[82:83], v78 offset0:67 offset1:68
	s_waitcnt lgkmcnt(3)
	v_fmac_f32_e32 v111, v100, v84
	s_delay_alu instid0(VALU_DEP_1) | instskip(SKIP_1) | instid1(VALU_DEP_1)
	v_fmac_f32_e32 v111, v101, v85
	s_waitcnt lgkmcnt(2)
	v_fmac_f32_e32 v111, v102, v86
	s_waitcnt vmcnt(3)
	s_delay_alu instid0(VALU_DEP_1) | instskip(SKIP_4) | instid1(VALU_DEP_1)
	v_fmac_f32_e32 v111, v103, v87
	ds_load_2addr_b32 v[84:85], v78 offset0:69 offset1:70
	ds_load_2addr_b32 v[86:87], v78 offset0:71 offset1:72
	s_waitcnt lgkmcnt(3)
	v_fmac_f32_e32 v111, v104, v80
	v_fmac_f32_e32 v111, v105, v81
	ds_load_2addr_b32 v[80:81], v78 offset0:73 offset1:74
	s_waitcnt lgkmcnt(3)
	v_fmac_f32_e32 v111, v106, v82
	s_waitcnt vmcnt(2)
	s_delay_alu instid0(VALU_DEP_1) | instskip(SKIP_3) | instid1(VALU_DEP_1)
	v_fmac_f32_e32 v111, v107, v83
	ds_load_2addr_b32 v[82:83], v78 offset0:75 offset1:76
	s_waitcnt lgkmcnt(3)
	v_fmac_f32_e32 v111, v108, v84
	v_fmac_f32_e32 v111, v109, v85
	s_waitcnt lgkmcnt(2)
	s_delay_alu instid0(VALU_DEP_1) | instskip(SKIP_1) | instid1(VALU_DEP_1)
	v_fmac_f32_e32 v111, v110, v86
	s_waitcnt vmcnt(1)
	v_fmac_f32_e32 v111, v0, v87
	s_waitcnt lgkmcnt(1)
	s_delay_alu instid0(VALU_DEP_1) | instskip(NEXT) | instid1(VALU_DEP_1)
	v_fmac_f32_e32 v111, v1, v80
	v_fmac_f32_e32 v111, v2, v81
	s_waitcnt lgkmcnt(0)
	s_delay_alu instid0(VALU_DEP_1) | instskip(SKIP_1) | instid1(VALU_DEP_1)
	v_fmac_f32_e32 v111, v3, v82
	s_waitcnt vmcnt(0)
	v_fmac_f32_e32 v111, v119, v83
	s_delay_alu instid0(VALU_DEP_1)
	v_sub_f32_e32 v0, v79, v111
	scratch_store_b32 off, v0, off
	s_cbranch_vccz .LBB36_303
; %bb.230:
	v_dual_mov_b32 v0, s12 :: v_dual_mov_b32 v1, s13
	s_mov_b32 s0, exec_lo
	flat_load_b32 v0, v[0:1] offset:140
	s_waitcnt vmcnt(0) lgkmcnt(0)
	v_cmpx_ne_u32_e32 36, v0
	s_cbranch_execz .LBB36_232
; %bb.231:
	v_lshl_add_u32 v0, v0, 2, 0
	scratch_load_b32 v1, v0, off offset:-4
	s_waitcnt vmcnt(0)
	scratch_store_b32 off, v1, off offset:140
	scratch_store_b32 v0, v3, off offset:-4
.LBB36_232:
	s_or_b32 exec_lo, exec_lo, s0
	v_dual_mov_b32 v0, s12 :: v_dual_mov_b32 v1, s13
	s_mov_b32 s0, exec_lo
	flat_load_b32 v0, v[0:1] offset:136
	s_waitcnt vmcnt(0) lgkmcnt(0)
	v_cmpx_ne_u32_e32 35, v0
	s_cbranch_execz .LBB36_234
; %bb.233:
	v_lshl_add_u32 v0, v0, 2, 0
	scratch_load_b32 v1, v0, off offset:-4
	scratch_load_b32 v2, off, off offset:136
	s_waitcnt vmcnt(1)
	scratch_store_b32 off, v1, off offset:136
	s_waitcnt vmcnt(0)
	scratch_store_b32 v0, v2, off offset:-4
.LBB36_234:
	s_or_b32 exec_lo, exec_lo, s0
	v_dual_mov_b32 v0, s12 :: v_dual_mov_b32 v1, s13
	s_mov_b32 s0, exec_lo
	flat_load_b32 v0, v[0:1] offset:132
	s_waitcnt vmcnt(0) lgkmcnt(0)
	v_cmpx_ne_u32_e32 34, v0
	s_cbranch_execz .LBB36_236
; %bb.235:
	v_lshl_add_u32 v0, v0, 2, 0
	scratch_load_b32 v1, v0, off offset:-4
	scratch_load_b32 v2, off, off offset:132
	s_waitcnt vmcnt(1)
	scratch_store_b32 off, v1, off offset:132
	s_waitcnt vmcnt(0)
	scratch_store_b32 v0, v2, off offset:-4
.LBB36_236:
	s_or_b32 exec_lo, exec_lo, s0
	v_dual_mov_b32 v0, s12 :: v_dual_mov_b32 v1, s13
	s_mov_b32 s0, exec_lo
	flat_load_b32 v0, v[0:1] offset:128
	s_waitcnt vmcnt(0) lgkmcnt(0)
	v_cmpx_ne_u32_e32 33, v0
	s_cbranch_execz .LBB36_238
; %bb.237:
	v_lshl_add_u32 v0, v0, 2, 0
	scratch_load_b32 v1, v0, off offset:-4
	scratch_load_b32 v2, off, off offset:128
	s_waitcnt vmcnt(1)
	scratch_store_b32 off, v1, off offset:128
	s_waitcnt vmcnt(0)
	scratch_store_b32 v0, v2, off offset:-4
.LBB36_238:
	s_or_b32 exec_lo, exec_lo, s0
	v_dual_mov_b32 v0, s12 :: v_dual_mov_b32 v1, s13
	s_mov_b32 s0, exec_lo
	flat_load_b32 v0, v[0:1] offset:124
	s_waitcnt vmcnt(0) lgkmcnt(0)
	v_cmpx_ne_u32_e32 32, v0
	s_cbranch_execz .LBB36_240
; %bb.239:
	v_lshl_add_u32 v0, v0, 2, 0
	scratch_load_b32 v1, v0, off offset:-4
	scratch_load_b32 v2, off, off offset:124
	s_waitcnt vmcnt(1)
	scratch_store_b32 off, v1, off offset:124
	s_waitcnt vmcnt(0)
	scratch_store_b32 v0, v2, off offset:-4
.LBB36_240:
	s_or_b32 exec_lo, exec_lo, s0
	v_dual_mov_b32 v0, s12 :: v_dual_mov_b32 v1, s13
	s_mov_b32 s0, exec_lo
	flat_load_b32 v0, v[0:1] offset:120
	s_waitcnt vmcnt(0) lgkmcnt(0)
	v_cmpx_ne_u32_e32 31, v0
	s_cbranch_execz .LBB36_242
; %bb.241:
	v_lshl_add_u32 v0, v0, 2, 0
	scratch_load_b32 v1, v0, off offset:-4
	scratch_load_b32 v2, off, off offset:120
	s_waitcnt vmcnt(1)
	scratch_store_b32 off, v1, off offset:120
	s_waitcnt vmcnt(0)
	scratch_store_b32 v0, v2, off offset:-4
.LBB36_242:
	s_or_b32 exec_lo, exec_lo, s0
	v_dual_mov_b32 v0, s12 :: v_dual_mov_b32 v1, s13
	s_mov_b32 s0, exec_lo
	flat_load_b32 v0, v[0:1] offset:116
	s_waitcnt vmcnt(0) lgkmcnt(0)
	v_cmpx_ne_u32_e32 30, v0
	s_cbranch_execz .LBB36_244
; %bb.243:
	v_lshl_add_u32 v0, v0, 2, 0
	scratch_load_b32 v1, v0, off offset:-4
	scratch_load_b32 v2, off, off offset:116
	s_waitcnt vmcnt(1)
	scratch_store_b32 off, v1, off offset:116
	s_waitcnt vmcnt(0)
	scratch_store_b32 v0, v2, off offset:-4
.LBB36_244:
	s_or_b32 exec_lo, exec_lo, s0
	v_dual_mov_b32 v0, s12 :: v_dual_mov_b32 v1, s13
	s_mov_b32 s0, exec_lo
	flat_load_b32 v0, v[0:1] offset:112
	s_waitcnt vmcnt(0) lgkmcnt(0)
	v_cmpx_ne_u32_e32 29, v0
	s_cbranch_execz .LBB36_246
; %bb.245:
	v_lshl_add_u32 v0, v0, 2, 0
	scratch_load_b32 v1, v0, off offset:-4
	scratch_load_b32 v2, off, off offset:112
	s_waitcnt vmcnt(1)
	scratch_store_b32 off, v1, off offset:112
	s_waitcnt vmcnt(0)
	scratch_store_b32 v0, v2, off offset:-4
.LBB36_246:
	s_or_b32 exec_lo, exec_lo, s0
	v_dual_mov_b32 v0, s12 :: v_dual_mov_b32 v1, s13
	s_mov_b32 s0, exec_lo
	flat_load_b32 v0, v[0:1] offset:108
	s_waitcnt vmcnt(0) lgkmcnt(0)
	v_cmpx_ne_u32_e32 28, v0
	s_cbranch_execz .LBB36_248
; %bb.247:
	v_lshl_add_u32 v0, v0, 2, 0
	scratch_load_b32 v1, v0, off offset:-4
	scratch_load_b32 v2, off, off offset:108
	s_waitcnt vmcnt(1)
	scratch_store_b32 off, v1, off offset:108
	s_waitcnt vmcnt(0)
	scratch_store_b32 v0, v2, off offset:-4
.LBB36_248:
	s_or_b32 exec_lo, exec_lo, s0
	v_dual_mov_b32 v0, s12 :: v_dual_mov_b32 v1, s13
	s_mov_b32 s0, exec_lo
	flat_load_b32 v0, v[0:1] offset:104
	s_waitcnt vmcnt(0) lgkmcnt(0)
	v_cmpx_ne_u32_e32 27, v0
	s_cbranch_execz .LBB36_250
; %bb.249:
	v_lshl_add_u32 v0, v0, 2, 0
	scratch_load_b32 v1, v0, off offset:-4
	scratch_load_b32 v2, off, off offset:104
	s_waitcnt vmcnt(1)
	scratch_store_b32 off, v1, off offset:104
	s_waitcnt vmcnt(0)
	scratch_store_b32 v0, v2, off offset:-4
.LBB36_250:
	s_or_b32 exec_lo, exec_lo, s0
	v_dual_mov_b32 v0, s12 :: v_dual_mov_b32 v1, s13
	s_mov_b32 s0, exec_lo
	flat_load_b32 v0, v[0:1] offset:100
	s_waitcnt vmcnt(0) lgkmcnt(0)
	v_cmpx_ne_u32_e32 26, v0
	s_cbranch_execz .LBB36_252
; %bb.251:
	v_lshl_add_u32 v0, v0, 2, 0
	scratch_load_b32 v1, v0, off offset:-4
	scratch_load_b32 v2, off, off offset:100
	s_waitcnt vmcnt(1)
	scratch_store_b32 off, v1, off offset:100
	s_waitcnt vmcnt(0)
	scratch_store_b32 v0, v2, off offset:-4
.LBB36_252:
	s_or_b32 exec_lo, exec_lo, s0
	v_dual_mov_b32 v0, s12 :: v_dual_mov_b32 v1, s13
	s_mov_b32 s0, exec_lo
	flat_load_b32 v0, v[0:1] offset:96
	s_waitcnt vmcnt(0) lgkmcnt(0)
	v_cmpx_ne_u32_e32 25, v0
	s_cbranch_execz .LBB36_254
; %bb.253:
	v_lshl_add_u32 v0, v0, 2, 0
	scratch_load_b32 v1, v0, off offset:-4
	scratch_load_b32 v2, off, off offset:96
	s_waitcnt vmcnt(1)
	scratch_store_b32 off, v1, off offset:96
	s_waitcnt vmcnt(0)
	scratch_store_b32 v0, v2, off offset:-4
.LBB36_254:
	s_or_b32 exec_lo, exec_lo, s0
	v_dual_mov_b32 v0, s12 :: v_dual_mov_b32 v1, s13
	s_mov_b32 s0, exec_lo
	flat_load_b32 v0, v[0:1] offset:92
	s_waitcnt vmcnt(0) lgkmcnt(0)
	v_cmpx_ne_u32_e32 24, v0
	s_cbranch_execz .LBB36_256
; %bb.255:
	v_lshl_add_u32 v0, v0, 2, 0
	scratch_load_b32 v1, v0, off offset:-4
	scratch_load_b32 v2, off, off offset:92
	s_waitcnt vmcnt(1)
	scratch_store_b32 off, v1, off offset:92
	s_waitcnt vmcnt(0)
	scratch_store_b32 v0, v2, off offset:-4
.LBB36_256:
	s_or_b32 exec_lo, exec_lo, s0
	v_dual_mov_b32 v0, s12 :: v_dual_mov_b32 v1, s13
	s_mov_b32 s0, exec_lo
	flat_load_b32 v0, v[0:1] offset:88
	s_waitcnt vmcnt(0) lgkmcnt(0)
	v_cmpx_ne_u32_e32 23, v0
	s_cbranch_execz .LBB36_258
; %bb.257:
	v_lshl_add_u32 v0, v0, 2, 0
	scratch_load_b32 v1, v0, off offset:-4
	scratch_load_b32 v2, off, off offset:88
	s_waitcnt vmcnt(1)
	scratch_store_b32 off, v1, off offset:88
	s_waitcnt vmcnt(0)
	scratch_store_b32 v0, v2, off offset:-4
.LBB36_258:
	s_or_b32 exec_lo, exec_lo, s0
	v_dual_mov_b32 v0, s12 :: v_dual_mov_b32 v1, s13
	s_mov_b32 s0, exec_lo
	flat_load_b32 v0, v[0:1] offset:84
	s_waitcnt vmcnt(0) lgkmcnt(0)
	v_cmpx_ne_u32_e32 22, v0
	s_cbranch_execz .LBB36_260
; %bb.259:
	v_lshl_add_u32 v0, v0, 2, 0
	scratch_load_b32 v1, v0, off offset:-4
	scratch_load_b32 v2, off, off offset:84
	s_waitcnt vmcnt(1)
	scratch_store_b32 off, v1, off offset:84
	s_waitcnt vmcnt(0)
	scratch_store_b32 v0, v2, off offset:-4
.LBB36_260:
	s_or_b32 exec_lo, exec_lo, s0
	v_dual_mov_b32 v0, s12 :: v_dual_mov_b32 v1, s13
	s_mov_b32 s0, exec_lo
	flat_load_b32 v0, v[0:1] offset:80
	s_waitcnt vmcnt(0) lgkmcnt(0)
	v_cmpx_ne_u32_e32 21, v0
	s_cbranch_execz .LBB36_262
; %bb.261:
	v_lshl_add_u32 v0, v0, 2, 0
	scratch_load_b32 v1, v0, off offset:-4
	scratch_load_b32 v2, off, off offset:80
	s_waitcnt vmcnt(1)
	scratch_store_b32 off, v1, off offset:80
	s_waitcnt vmcnt(0)
	scratch_store_b32 v0, v2, off offset:-4
.LBB36_262:
	s_or_b32 exec_lo, exec_lo, s0
	v_dual_mov_b32 v0, s12 :: v_dual_mov_b32 v1, s13
	s_mov_b32 s0, exec_lo
	flat_load_b32 v0, v[0:1] offset:76
	s_waitcnt vmcnt(0) lgkmcnt(0)
	v_cmpx_ne_u32_e32 20, v0
	s_cbranch_execz .LBB36_264
; %bb.263:
	v_lshl_add_u32 v0, v0, 2, 0
	scratch_load_b32 v1, v0, off offset:-4
	scratch_load_b32 v2, off, off offset:76
	s_waitcnt vmcnt(1)
	scratch_store_b32 off, v1, off offset:76
	s_waitcnt vmcnt(0)
	scratch_store_b32 v0, v2, off offset:-4
.LBB36_264:
	s_or_b32 exec_lo, exec_lo, s0
	v_dual_mov_b32 v0, s12 :: v_dual_mov_b32 v1, s13
	s_mov_b32 s0, exec_lo
	flat_load_b32 v0, v[0:1] offset:72
	s_waitcnt vmcnt(0) lgkmcnt(0)
	v_cmpx_ne_u32_e32 19, v0
	s_cbranch_execz .LBB36_266
; %bb.265:
	v_lshl_add_u32 v0, v0, 2, 0
	scratch_load_b32 v1, v0, off offset:-4
	scratch_load_b32 v2, off, off offset:72
	s_waitcnt vmcnt(1)
	scratch_store_b32 off, v1, off offset:72
	s_waitcnt vmcnt(0)
	scratch_store_b32 v0, v2, off offset:-4
.LBB36_266:
	s_or_b32 exec_lo, exec_lo, s0
	v_dual_mov_b32 v0, s12 :: v_dual_mov_b32 v1, s13
	s_mov_b32 s0, exec_lo
	flat_load_b32 v0, v[0:1] offset:68
	s_waitcnt vmcnt(0) lgkmcnt(0)
	v_cmpx_ne_u32_e32 18, v0
	s_cbranch_execz .LBB36_268
; %bb.267:
	v_lshl_add_u32 v0, v0, 2, 0
	scratch_load_b32 v1, v0, off offset:-4
	scratch_load_b32 v2, off, off offset:68
	s_waitcnt vmcnt(1)
	scratch_store_b32 off, v1, off offset:68
	s_waitcnt vmcnt(0)
	scratch_store_b32 v0, v2, off offset:-4
.LBB36_268:
	s_or_b32 exec_lo, exec_lo, s0
	v_dual_mov_b32 v0, s12 :: v_dual_mov_b32 v1, s13
	s_mov_b32 s0, exec_lo
	flat_load_b32 v0, v[0:1] offset:64
	s_waitcnt vmcnt(0) lgkmcnt(0)
	v_cmpx_ne_u32_e32 17, v0
	s_cbranch_execz .LBB36_270
; %bb.269:
	v_lshl_add_u32 v0, v0, 2, 0
	scratch_load_b32 v1, v0, off offset:-4
	scratch_load_b32 v2, off, off offset:64
	s_waitcnt vmcnt(1)
	scratch_store_b32 off, v1, off offset:64
	s_waitcnt vmcnt(0)
	scratch_store_b32 v0, v2, off offset:-4
.LBB36_270:
	s_or_b32 exec_lo, exec_lo, s0
	v_dual_mov_b32 v0, s12 :: v_dual_mov_b32 v1, s13
	s_mov_b32 s0, exec_lo
	flat_load_b32 v0, v[0:1] offset:60
	s_waitcnt vmcnt(0) lgkmcnt(0)
	v_cmpx_ne_u32_e32 16, v0
	s_cbranch_execz .LBB36_272
; %bb.271:
	v_lshl_add_u32 v0, v0, 2, 0
	scratch_load_b32 v1, v0, off offset:-4
	scratch_load_b32 v2, off, off offset:60
	s_waitcnt vmcnt(1)
	scratch_store_b32 off, v1, off offset:60
	s_waitcnt vmcnt(0)
	scratch_store_b32 v0, v2, off offset:-4
.LBB36_272:
	s_or_b32 exec_lo, exec_lo, s0
	v_dual_mov_b32 v0, s12 :: v_dual_mov_b32 v1, s13
	s_mov_b32 s0, exec_lo
	flat_load_b32 v0, v[0:1] offset:56
	s_waitcnt vmcnt(0) lgkmcnt(0)
	v_cmpx_ne_u32_e32 15, v0
	s_cbranch_execz .LBB36_274
; %bb.273:
	v_lshl_add_u32 v0, v0, 2, 0
	scratch_load_b32 v1, v0, off offset:-4
	scratch_load_b32 v2, off, off offset:56
	s_waitcnt vmcnt(1)
	scratch_store_b32 off, v1, off offset:56
	s_waitcnt vmcnt(0)
	scratch_store_b32 v0, v2, off offset:-4
.LBB36_274:
	s_or_b32 exec_lo, exec_lo, s0
	v_dual_mov_b32 v0, s12 :: v_dual_mov_b32 v1, s13
	s_mov_b32 s0, exec_lo
	flat_load_b32 v0, v[0:1] offset:52
	s_waitcnt vmcnt(0) lgkmcnt(0)
	v_cmpx_ne_u32_e32 14, v0
	s_cbranch_execz .LBB36_276
; %bb.275:
	v_lshl_add_u32 v0, v0, 2, 0
	scratch_load_b32 v1, v0, off offset:-4
	scratch_load_b32 v2, off, off offset:52
	s_waitcnt vmcnt(1)
	scratch_store_b32 off, v1, off offset:52
	s_waitcnt vmcnt(0)
	scratch_store_b32 v0, v2, off offset:-4
.LBB36_276:
	s_or_b32 exec_lo, exec_lo, s0
	v_dual_mov_b32 v0, s12 :: v_dual_mov_b32 v1, s13
	s_mov_b32 s0, exec_lo
	flat_load_b32 v0, v[0:1] offset:48
	s_waitcnt vmcnt(0) lgkmcnt(0)
	v_cmpx_ne_u32_e32 13, v0
	s_cbranch_execz .LBB36_278
; %bb.277:
	v_lshl_add_u32 v0, v0, 2, 0
	scratch_load_b32 v1, v0, off offset:-4
	scratch_load_b32 v2, off, off offset:48
	s_waitcnt vmcnt(1)
	scratch_store_b32 off, v1, off offset:48
	s_waitcnt vmcnt(0)
	scratch_store_b32 v0, v2, off offset:-4
.LBB36_278:
	s_or_b32 exec_lo, exec_lo, s0
	v_dual_mov_b32 v0, s12 :: v_dual_mov_b32 v1, s13
	s_mov_b32 s0, exec_lo
	flat_load_b32 v0, v[0:1] offset:44
	s_waitcnt vmcnt(0) lgkmcnt(0)
	v_cmpx_ne_u32_e32 12, v0
	s_cbranch_execz .LBB36_280
; %bb.279:
	v_lshl_add_u32 v0, v0, 2, 0
	scratch_load_b32 v1, v0, off offset:-4
	scratch_load_b32 v2, off, off offset:44
	s_waitcnt vmcnt(1)
	scratch_store_b32 off, v1, off offset:44
	s_waitcnt vmcnt(0)
	scratch_store_b32 v0, v2, off offset:-4
.LBB36_280:
	s_or_b32 exec_lo, exec_lo, s0
	v_dual_mov_b32 v0, s12 :: v_dual_mov_b32 v1, s13
	s_mov_b32 s0, exec_lo
	flat_load_b32 v0, v[0:1] offset:40
	s_waitcnt vmcnt(0) lgkmcnt(0)
	v_cmpx_ne_u32_e32 11, v0
	s_cbranch_execz .LBB36_282
; %bb.281:
	v_lshl_add_u32 v0, v0, 2, 0
	scratch_load_b32 v1, v0, off offset:-4
	scratch_load_b32 v2, off, off offset:40
	s_waitcnt vmcnt(1)
	scratch_store_b32 off, v1, off offset:40
	s_waitcnt vmcnt(0)
	scratch_store_b32 v0, v2, off offset:-4
.LBB36_282:
	s_or_b32 exec_lo, exec_lo, s0
	v_dual_mov_b32 v0, s12 :: v_dual_mov_b32 v1, s13
	s_mov_b32 s0, exec_lo
	flat_load_b32 v0, v[0:1] offset:36
	s_waitcnt vmcnt(0) lgkmcnt(0)
	v_cmpx_ne_u32_e32 10, v0
	s_cbranch_execz .LBB36_284
; %bb.283:
	v_lshl_add_u32 v0, v0, 2, 0
	scratch_load_b32 v1, v0, off offset:-4
	scratch_load_b32 v2, off, off offset:36
	s_waitcnt vmcnt(1)
	scratch_store_b32 off, v1, off offset:36
	s_waitcnt vmcnt(0)
	scratch_store_b32 v0, v2, off offset:-4
.LBB36_284:
	s_or_b32 exec_lo, exec_lo, s0
	v_dual_mov_b32 v0, s12 :: v_dual_mov_b32 v1, s13
	s_mov_b32 s0, exec_lo
	flat_load_b32 v0, v[0:1] offset:32
	s_waitcnt vmcnt(0) lgkmcnt(0)
	v_cmpx_ne_u32_e32 9, v0
	s_cbranch_execz .LBB36_286
; %bb.285:
	v_lshl_add_u32 v0, v0, 2, 0
	scratch_load_b32 v1, v0, off offset:-4
	scratch_load_b32 v2, off, off offset:32
	s_waitcnt vmcnt(1)
	scratch_store_b32 off, v1, off offset:32
	s_waitcnt vmcnt(0)
	scratch_store_b32 v0, v2, off offset:-4
.LBB36_286:
	s_or_b32 exec_lo, exec_lo, s0
	v_dual_mov_b32 v0, s12 :: v_dual_mov_b32 v1, s13
	s_mov_b32 s0, exec_lo
	flat_load_b32 v0, v[0:1] offset:28
	s_waitcnt vmcnt(0) lgkmcnt(0)
	v_cmpx_ne_u32_e32 8, v0
	s_cbranch_execz .LBB36_288
; %bb.287:
	v_lshl_add_u32 v0, v0, 2, 0
	scratch_load_b32 v1, v0, off offset:-4
	scratch_load_b32 v2, off, off offset:28
	s_waitcnt vmcnt(1)
	scratch_store_b32 off, v1, off offset:28
	s_waitcnt vmcnt(0)
	scratch_store_b32 v0, v2, off offset:-4
.LBB36_288:
	s_or_b32 exec_lo, exec_lo, s0
	v_dual_mov_b32 v0, s12 :: v_dual_mov_b32 v1, s13
	s_mov_b32 s0, exec_lo
	flat_load_b32 v0, v[0:1] offset:24
	s_waitcnt vmcnt(0) lgkmcnt(0)
	v_cmpx_ne_u32_e32 7, v0
	s_cbranch_execz .LBB36_290
; %bb.289:
	v_lshl_add_u32 v0, v0, 2, 0
	scratch_load_b32 v1, v0, off offset:-4
	scratch_load_b32 v2, off, off offset:24
	s_waitcnt vmcnt(1)
	scratch_store_b32 off, v1, off offset:24
	s_waitcnt vmcnt(0)
	scratch_store_b32 v0, v2, off offset:-4
.LBB36_290:
	s_or_b32 exec_lo, exec_lo, s0
	v_dual_mov_b32 v0, s12 :: v_dual_mov_b32 v1, s13
	s_mov_b32 s0, exec_lo
	flat_load_b32 v0, v[0:1] offset:20
	s_waitcnt vmcnt(0) lgkmcnt(0)
	v_cmpx_ne_u32_e32 6, v0
	s_cbranch_execz .LBB36_292
; %bb.291:
	v_lshl_add_u32 v0, v0, 2, 0
	scratch_load_b32 v1, v0, off offset:-4
	scratch_load_b32 v2, off, off offset:20
	s_waitcnt vmcnt(1)
	scratch_store_b32 off, v1, off offset:20
	s_waitcnt vmcnt(0)
	scratch_store_b32 v0, v2, off offset:-4
.LBB36_292:
	s_or_b32 exec_lo, exec_lo, s0
	v_dual_mov_b32 v0, s12 :: v_dual_mov_b32 v1, s13
	s_mov_b32 s0, exec_lo
	flat_load_b32 v0, v[0:1] offset:16
	s_waitcnt vmcnt(0) lgkmcnt(0)
	v_cmpx_ne_u32_e32 5, v0
	s_cbranch_execz .LBB36_294
; %bb.293:
	v_lshl_add_u32 v0, v0, 2, 0
	scratch_load_b32 v1, v0, off offset:-4
	scratch_load_b32 v2, off, off offset:16
	s_waitcnt vmcnt(1)
	scratch_store_b32 off, v1, off offset:16
	s_waitcnt vmcnt(0)
	scratch_store_b32 v0, v2, off offset:-4
.LBB36_294:
	s_or_b32 exec_lo, exec_lo, s0
	v_dual_mov_b32 v0, s12 :: v_dual_mov_b32 v1, s13
	s_mov_b32 s0, exec_lo
	flat_load_b32 v0, v[0:1] offset:12
	s_waitcnt vmcnt(0) lgkmcnt(0)
	v_cmpx_ne_u32_e32 4, v0
	s_cbranch_execz .LBB36_296
; %bb.295:
	v_lshl_add_u32 v0, v0, 2, 0
	scratch_load_b32 v1, v0, off offset:-4
	scratch_load_b32 v2, off, off offset:12
	s_waitcnt vmcnt(1)
	scratch_store_b32 off, v1, off offset:12
	s_waitcnt vmcnt(0)
	scratch_store_b32 v0, v2, off offset:-4
.LBB36_296:
	s_or_b32 exec_lo, exec_lo, s0
	v_dual_mov_b32 v0, s12 :: v_dual_mov_b32 v1, s13
	s_mov_b32 s0, exec_lo
	flat_load_b32 v0, v[0:1] offset:8
	s_waitcnt vmcnt(0) lgkmcnt(0)
	v_cmpx_ne_u32_e32 3, v0
	s_cbranch_execz .LBB36_298
; %bb.297:
	v_lshl_add_u32 v0, v0, 2, 0
	scratch_load_b32 v1, v0, off offset:-4
	scratch_load_b32 v2, off, off offset:8
	s_waitcnt vmcnt(1)
	scratch_store_b32 off, v1, off offset:8
	s_waitcnt vmcnt(0)
	scratch_store_b32 v0, v2, off offset:-4
.LBB36_298:
	s_or_b32 exec_lo, exec_lo, s0
	v_dual_mov_b32 v0, s12 :: v_dual_mov_b32 v1, s13
	s_mov_b32 s0, exec_lo
	flat_load_b32 v0, v[0:1] offset:4
	s_waitcnt vmcnt(0) lgkmcnt(0)
	v_cmpx_ne_u32_e32 2, v0
	s_cbranch_execz .LBB36_300
; %bb.299:
	v_lshl_add_u32 v0, v0, 2, 0
	scratch_load_b32 v1, v0, off offset:-4
	scratch_load_b32 v2, off, off offset:4
	s_waitcnt vmcnt(1)
	scratch_store_b32 off, v1, off offset:4
	s_waitcnt vmcnt(0)
	scratch_store_b32 v0, v2, off offset:-4
.LBB36_300:
	s_or_b32 exec_lo, exec_lo, s0
	v_dual_mov_b32 v0, s12 :: v_dual_mov_b32 v1, s13
	s_mov_b32 s0, exec_lo
	flat_load_b32 v1, v[0:1]
	scratch_load_b32 v0, off, off
	s_waitcnt vmcnt(1) lgkmcnt(0)
	v_cmpx_ne_u32_e32 1, v1
	s_cbranch_execz .LBB36_302
; %bb.301:
	v_lshl_add_u32 v1, v1, 2, 0
	scratch_load_b32 v2, v1, off offset:-4
	s_waitcnt vmcnt(0)
	scratch_store_b32 off, v2, off
	scratch_store_b32 v1, v0, off offset:-4
	scratch_load_b32 v0, off, off
.LBB36_302:
	s_or_b32 exec_lo, exec_lo, s0
.LBB36_303:
	s_clause 0x8
	scratch_load_b128 v[78:81], off, off offset:4
	scratch_load_b128 v[82:85], off, off offset:20
	;; [unrolled: 1-line block ×9, first 2 shown]
	s_waitcnt vmcnt(9)
	global_store_b32 v[4:5], v0, off
	s_waitcnt vmcnt(8)
	s_clause 0x3
	global_store_b32 v[6:7], v78, off
	global_store_b32 v[8:9], v79, off
	global_store_b32 v[10:11], v80, off
	global_store_b32 v[12:13], v81, off
	s_waitcnt vmcnt(7)
	s_clause 0x3
	global_store_b32 v[14:15], v82, off
	global_store_b32 v[16:17], v83, off
	global_store_b32 v[18:19], v84, off
	;; [unrolled: 6-line block ×9, first 2 shown]
	global_store_b32 v[42:43], v113, off
	s_endpgm
	.section	.rodata,"a",@progbits
	.p2align	6, 0x0
	.amdhsa_kernel _ZN9rocsolver6v33100L18getri_kernel_smallILi37EfPfEEvT1_iilPiilS4_bb
		.amdhsa_group_segment_fixed_size 308
		.amdhsa_private_segment_fixed_size 160
		.amdhsa_kernarg_size 60
		.amdhsa_user_sgpr_count 15
		.amdhsa_user_sgpr_dispatch_ptr 0
		.amdhsa_user_sgpr_queue_ptr 0
		.amdhsa_user_sgpr_kernarg_segment_ptr 1
		.amdhsa_user_sgpr_dispatch_id 0
		.amdhsa_user_sgpr_private_segment_size 0
		.amdhsa_wavefront_size32 1
		.amdhsa_uses_dynamic_stack 0
		.amdhsa_enable_private_segment 1
		.amdhsa_system_sgpr_workgroup_id_x 1
		.amdhsa_system_sgpr_workgroup_id_y 0
		.amdhsa_system_sgpr_workgroup_id_z 0
		.amdhsa_system_sgpr_workgroup_info 0
		.amdhsa_system_vgpr_workitem_id 0
		.amdhsa_next_free_vgpr 123
		.amdhsa_next_free_sgpr 18
		.amdhsa_reserve_vcc 1
		.amdhsa_float_round_mode_32 0
		.amdhsa_float_round_mode_16_64 0
		.amdhsa_float_denorm_mode_32 3
		.amdhsa_float_denorm_mode_16_64 3
		.amdhsa_dx10_clamp 1
		.amdhsa_ieee_mode 1
		.amdhsa_fp16_overflow 0
		.amdhsa_workgroup_processor_mode 1
		.amdhsa_memory_ordered 1
		.amdhsa_forward_progress 0
		.amdhsa_shared_vgpr_count 0
		.amdhsa_exception_fp_ieee_invalid_op 0
		.amdhsa_exception_fp_denorm_src 0
		.amdhsa_exception_fp_ieee_div_zero 0
		.amdhsa_exception_fp_ieee_overflow 0
		.amdhsa_exception_fp_ieee_underflow 0
		.amdhsa_exception_fp_ieee_inexact 0
		.amdhsa_exception_int_div_zero 0
	.end_amdhsa_kernel
	.section	.text._ZN9rocsolver6v33100L18getri_kernel_smallILi37EfPfEEvT1_iilPiilS4_bb,"axG",@progbits,_ZN9rocsolver6v33100L18getri_kernel_smallILi37EfPfEEvT1_iilPiilS4_bb,comdat
.Lfunc_end36:
	.size	_ZN9rocsolver6v33100L18getri_kernel_smallILi37EfPfEEvT1_iilPiilS4_bb, .Lfunc_end36-_ZN9rocsolver6v33100L18getri_kernel_smallILi37EfPfEEvT1_iilPiilS4_bb
                                        ; -- End function
	.section	.AMDGPU.csdata,"",@progbits
; Kernel info:
; codeLenInByte = 24376
; NumSgprs: 20
; NumVgprs: 123
; ScratchSize: 160
; MemoryBound: 0
; FloatMode: 240
; IeeeMode: 1
; LDSByteSize: 308 bytes/workgroup (compile time only)
; SGPRBlocks: 2
; VGPRBlocks: 15
; NumSGPRsForWavesPerEU: 20
; NumVGPRsForWavesPerEU: 123
; Occupancy: 10
; WaveLimiterHint : 1
; COMPUTE_PGM_RSRC2:SCRATCH_EN: 1
; COMPUTE_PGM_RSRC2:USER_SGPR: 15
; COMPUTE_PGM_RSRC2:TRAP_HANDLER: 0
; COMPUTE_PGM_RSRC2:TGID_X_EN: 1
; COMPUTE_PGM_RSRC2:TGID_Y_EN: 0
; COMPUTE_PGM_RSRC2:TGID_Z_EN: 0
; COMPUTE_PGM_RSRC2:TIDIG_COMP_CNT: 0
	.section	.text._ZN9rocsolver6v33100L18getri_kernel_smallILi38EfPfEEvT1_iilPiilS4_bb,"axG",@progbits,_ZN9rocsolver6v33100L18getri_kernel_smallILi38EfPfEEvT1_iilPiilS4_bb,comdat
	.globl	_ZN9rocsolver6v33100L18getri_kernel_smallILi38EfPfEEvT1_iilPiilS4_bb ; -- Begin function _ZN9rocsolver6v33100L18getri_kernel_smallILi38EfPfEEvT1_iilPiilS4_bb
	.p2align	8
	.type	_ZN9rocsolver6v33100L18getri_kernel_smallILi38EfPfEEvT1_iilPiilS4_bb,@function
_ZN9rocsolver6v33100L18getri_kernel_smallILi38EfPfEEvT1_iilPiilS4_bb: ; @_ZN9rocsolver6v33100L18getri_kernel_smallILi38EfPfEEvT1_iilPiilS4_bb
; %bb.0:
	s_mov_b32 s2, exec_lo
	v_cmpx_gt_u32_e32 38, v0
	s_cbranch_execz .LBB37_160
; %bb.1:
	s_clause 0x2
	s_load_b32 s17, s[0:1], 0x38
	s_load_b128 s[8:11], s[0:1], 0x10
	s_load_b128 s[4:7], s[0:1], 0x28
	s_mov_b32 s14, s15
                                        ; implicit-def: $sgpr12_sgpr13
	s_waitcnt lgkmcnt(0)
	s_bitcmp1_b32 s17, 8
	s_cselect_b32 s16, -1, 0
	s_bfe_u32 s2, s17, 0x10008
	s_ashr_i32 s15, s15, 31
	s_cmp_eq_u32 s2, 0
	s_cbranch_scc1 .LBB37_3
; %bb.2:
	s_load_b32 s2, s[0:1], 0x20
	s_mul_i32 s3, s14, s5
	s_mul_hi_u32 s5, s14, s4
	s_mul_i32 s12, s15, s4
	s_add_i32 s3, s5, s3
	s_mul_i32 s4, s14, s4
	s_add_i32 s5, s3, s12
	s_delay_alu instid0(SALU_CYCLE_1)
	s_lshl_b64 s[4:5], s[4:5], 2
	s_waitcnt lgkmcnt(0)
	s_ashr_i32 s3, s2, 31
	s_add_u32 s4, s10, s4
	s_addc_u32 s5, s11, s5
	s_lshl_b64 s[2:3], s[2:3], 2
	s_delay_alu instid0(SALU_CYCLE_1)
	s_add_u32 s12, s4, s2
	s_addc_u32 s13, s5, s3
.LBB37_3:
	s_load_b128 s[0:3], s[0:1], 0x0
	s_mul_i32 s4, s14, s9
	s_mul_hi_u32 s5, s14, s8
	s_mul_i32 s9, s15, s8
	s_add_i32 s5, s5, s4
	s_mul_i32 s4, s14, s8
	s_add_i32 s5, s5, s9
	v_lshlrev_b32_e32 v81, 2, v0
	s_lshl_b64 s[4:5], s[4:5], 2
	s_waitcnt lgkmcnt(0)
	v_add3_u32 v2, s3, s3, v0
	s_ashr_i32 s9, s2, 31
	s_mov_b32 s8, s2
	s_add_u32 s2, s0, s4
	s_addc_u32 s5, s1, s5
	v_add_nc_u32_e32 v9, s3, v2
	s_lshl_b64 s[0:1], s[8:9], 2
	v_ashrrev_i32_e32 v3, 31, v2
	s_add_u32 s0, s2, s0
	s_addc_u32 s1, s5, s1
	v_add_nc_u32_e32 v11, s3, v9
	v_add_co_u32 v5, s2, s0, v81
	s_mov_b32 s4, s3
	s_ashr_i32 s5, s3, 31
	s_delay_alu instid0(VALU_DEP_2) | instskip(SKIP_3) | instid1(VALU_DEP_4)
	v_add_nc_u32_e32 v15, s3, v11
	v_add_co_ci_u32_e64 v6, null, s1, 0, s2
	v_lshlrev_b64 v[2:3], 2, v[2:3]
	v_ashrrev_i32_e32 v10, 31, v9
	v_add_nc_u32_e32 v17, s3, v15
	s_lshl_b64 s[4:5], s[4:5], 2
	v_ashrrev_i32_e32 v12, 31, v11
	v_add_co_u32 v7, vcc_lo, v5, s4
	s_delay_alu instid0(VALU_DEP_3) | instskip(SKIP_3) | instid1(VALU_DEP_4)
	v_add_nc_u32_e32 v19, s3, v17
	v_add_co_ci_u32_e32 v8, vcc_lo, s5, v6, vcc_lo
	v_lshlrev_b64 v[13:14], 2, v[9:10]
	v_add_co_u32 v9, vcc_lo, s0, v2
	v_add_nc_u32_e32 v21, s3, v19
	v_add_co_ci_u32_e32 v10, vcc_lo, s1, v3, vcc_lo
	v_lshlrev_b64 v[2:3], 2, v[11:12]
	v_ashrrev_i32_e32 v16, 31, v15
	s_delay_alu instid0(VALU_DEP_4) | instskip(SKIP_3) | instid1(VALU_DEP_4)
	v_add_nc_u32_e32 v23, s3, v21
	v_add_co_u32 v11, vcc_lo, s0, v13
	v_ashrrev_i32_e32 v18, 31, v17
	v_add_co_ci_u32_e32 v12, vcc_lo, s1, v14, vcc_lo
	v_add_nc_u32_e32 v25, s3, v23
	v_lshlrev_b64 v[15:16], 2, v[15:16]
	v_add_co_u32 v13, vcc_lo, s0, v2
	v_add_co_ci_u32_e32 v14, vcc_lo, s1, v3, vcc_lo
	s_delay_alu instid0(VALU_DEP_4) | instskip(SKIP_3) | instid1(VALU_DEP_4)
	v_add_nc_u32_e32 v27, s3, v25
	v_lshlrev_b64 v[2:3], 2, v[17:18]
	v_ashrrev_i32_e32 v20, 31, v19
	v_add_co_u32 v15, vcc_lo, s0, v15
	v_add_nc_u32_e32 v29, s3, v27
	v_ashrrev_i32_e32 v22, 31, v21
	v_add_co_ci_u32_e32 v16, vcc_lo, s1, v16, vcc_lo
	v_lshlrev_b64 v[19:20], 2, v[19:20]
	s_delay_alu instid0(VALU_DEP_4) | instskip(SKIP_2) | instid1(VALU_DEP_3)
	v_add_nc_u32_e32 v31, s3, v29
	v_add_co_u32 v17, vcc_lo, s0, v2
	v_add_co_ci_u32_e32 v18, vcc_lo, s1, v3, vcc_lo
	v_add_nc_u32_e32 v33, s3, v31
	v_lshlrev_b64 v[2:3], 2, v[21:22]
	v_ashrrev_i32_e32 v24, 31, v23
	v_add_co_u32 v19, vcc_lo, s0, v19
	s_delay_alu instid0(VALU_DEP_4) | instskip(SKIP_3) | instid1(VALU_DEP_4)
	v_add_nc_u32_e32 v35, s3, v33
	v_ashrrev_i32_e32 v26, 31, v25
	v_add_co_ci_u32_e32 v20, vcc_lo, s1, v20, vcc_lo
	v_lshlrev_b64 v[23:24], 2, v[23:24]
	v_add_nc_u32_e32 v37, s3, v35
	v_add_co_u32 v21, vcc_lo, s0, v2
	v_ashrrev_i32_e32 v28, 31, v27
	v_add_co_ci_u32_e32 v22, vcc_lo, s1, v3, vcc_lo
	s_delay_alu instid0(VALU_DEP_4) | instskip(SKIP_3) | instid1(VALU_DEP_4)
	v_add_nc_u32_e32 v39, s3, v37
	v_lshlrev_b64 v[2:3], 2, v[25:26]
	v_ashrrev_i32_e32 v30, 31, v29
	v_add_co_u32 v23, vcc_lo, s0, v23
	v_add_nc_u32_e32 v41, s3, v39
	v_lshlrev_b64 v[27:28], 2, v[27:28]
	v_ashrrev_i32_e32 v32, 31, v31
	v_add_co_ci_u32_e32 v24, vcc_lo, s1, v24, vcc_lo
	s_delay_alu instid0(VALU_DEP_4) | instskip(SKIP_3) | instid1(VALU_DEP_4)
	v_add_nc_u32_e32 v43, s3, v41
	v_add_co_u32 v25, vcc_lo, s0, v2
	v_lshlrev_b64 v[29:30], 2, v[29:30]
	v_ashrrev_i32_e32 v34, 31, v33
	v_add_nc_u32_e32 v45, s3, v43
	v_add_co_ci_u32_e32 v26, vcc_lo, s1, v3, vcc_lo
	v_add_co_u32 v27, vcc_lo, s0, v27
	s_delay_alu instid0(VALU_DEP_3) | instskip(SKIP_3) | instid1(VALU_DEP_4)
	v_add_nc_u32_e32 v47, s3, v45
	v_lshlrev_b64 v[31:32], 2, v[31:32]
	v_ashrrev_i32_e32 v36, 31, v35
	v_add_co_ci_u32_e32 v28, vcc_lo, s1, v28, vcc_lo
	v_add_nc_u32_e32 v49, s3, v47
	v_add_co_u32 v29, vcc_lo, s0, v29
	v_lshlrev_b64 v[33:34], 2, v[33:34]
	v_ashrrev_i32_e32 v38, 31, v37
	s_delay_alu instid0(VALU_DEP_4) | instskip(SKIP_2) | instid1(VALU_DEP_3)
	v_add_nc_u32_e32 v51, s3, v49
	v_add_co_ci_u32_e32 v30, vcc_lo, s1, v30, vcc_lo
	v_add_co_u32 v31, vcc_lo, s0, v31
	v_add_nc_u32_e32 v53, s3, v51
	v_lshlrev_b64 v[35:36], 2, v[35:36]
	v_ashrrev_i32_e32 v40, 31, v39
	v_add_co_ci_u32_e32 v32, vcc_lo, s1, v32, vcc_lo
	s_delay_alu instid0(VALU_DEP_4) | instskip(SKIP_3) | instid1(VALU_DEP_4)
	v_add_nc_u32_e32 v55, s3, v53
	v_add_co_u32 v33, vcc_lo, s0, v33
	v_lshlrev_b64 v[37:38], 2, v[37:38]
	v_ashrrev_i32_e32 v42, 31, v41
	v_add_nc_u32_e32 v57, s3, v55
	v_add_co_ci_u32_e32 v34, vcc_lo, s1, v34, vcc_lo
	v_add_co_u32 v35, vcc_lo, s0, v35
	s_delay_alu instid0(VALU_DEP_3) | instskip(SKIP_3) | instid1(VALU_DEP_4)
	v_add_nc_u32_e32 v59, s3, v57
	v_lshlrev_b64 v[39:40], 2, v[39:40]
	v_ashrrev_i32_e32 v44, 31, v43
	v_add_co_ci_u32_e32 v36, vcc_lo, s1, v36, vcc_lo
	v_add_nc_u32_e32 v61, s3, v59
	v_add_co_u32 v37, vcc_lo, s0, v37
	v_lshlrev_b64 v[41:42], 2, v[41:42]
	v_ashrrev_i32_e32 v46, 31, v45
	v_add_co_ci_u32_e32 v38, vcc_lo, s1, v38, vcc_lo
	v_add_co_u32 v39, vcc_lo, s0, v39
	v_lshlrev_b64 v[43:44], 2, v[43:44]
	v_ashrrev_i32_e32 v48, 31, v47
	v_add_nc_u32_e32 v63, s3, v61
	v_add_co_ci_u32_e32 v40, vcc_lo, s1, v40, vcc_lo
	v_add_co_u32 v41, vcc_lo, s0, v41
	v_lshlrev_b64 v[45:46], 2, v[45:46]
	v_ashrrev_i32_e32 v50, 31, v49
	v_add_co_ci_u32_e32 v42, vcc_lo, s1, v42, vcc_lo
	v_add_co_u32 v43, vcc_lo, s0, v43
	v_lshlrev_b64 v[47:48], 2, v[47:48]
	v_add_nc_u32_e32 v65, s3, v63
	v_ashrrev_i32_e32 v52, 31, v51
	v_add_co_ci_u32_e32 v44, vcc_lo, s1, v44, vcc_lo
	v_add_co_u32 v45, vcc_lo, s0, v45
	v_lshlrev_b64 v[49:50], 2, v[49:50]
	v_ashrrev_i32_e32 v54, 31, v53
	v_add_co_ci_u32_e32 v46, vcc_lo, s1, v46, vcc_lo
	v_add_nc_u32_e32 v67, s3, v65
	v_add_co_u32 v47, vcc_lo, s0, v47
	v_lshlrev_b64 v[51:52], 2, v[51:52]
	v_ashrrev_i32_e32 v56, 31, v55
	v_add_co_ci_u32_e32 v48, vcc_lo, s1, v48, vcc_lo
	v_add_co_u32 v49, vcc_lo, s0, v49
	v_lshlrev_b64 v[53:54], 2, v[53:54]
	v_ashrrev_i32_e32 v58, 31, v57
	v_add_nc_u32_e32 v69, s3, v67
	v_add_co_ci_u32_e32 v50, vcc_lo, s1, v50, vcc_lo
	v_add_co_u32 v51, vcc_lo, s0, v51
	v_lshlrev_b64 v[55:56], 2, v[55:56]
	v_ashrrev_i32_e32 v60, 31, v59
	v_add_co_ci_u32_e32 v52, vcc_lo, s1, v52, vcc_lo
	v_add_co_u32 v53, vcc_lo, s0, v53
	v_lshlrev_b64 v[57:58], 2, v[57:58]
	v_add_nc_u32_e32 v71, s3, v69
	v_ashrrev_i32_e32 v62, 31, v61
	v_add_co_ci_u32_e32 v54, vcc_lo, s1, v54, vcc_lo
	v_add_co_u32 v55, vcc_lo, s0, v55
	;; [unrolled: 23-line block ×3, first 2 shown]
	v_lshlrev_b64 v[69:70], 2, v[69:70]
	v_ashrrev_i32_e32 v74, 31, v73
	v_add_co_ci_u32_e32 v66, vcc_lo, s1, v66, vcc_lo
	v_add_nc_u32_e32 v79, s3, v77
	v_add_co_u32 v67, vcc_lo, s0, v67
	v_lshlrev_b64 v[71:72], 2, v[71:72]
	v_ashrrev_i32_e32 v76, 31, v75
	v_add_co_ci_u32_e32 v68, vcc_lo, s1, v68, vcc_lo
	v_add_co_u32 v69, vcc_lo, s0, v69
	v_lshlrev_b64 v[73:74], 2, v[73:74]
	v_ashrrev_i32_e32 v78, 31, v77
	v_ashrrev_i32_e32 v80, 31, v79
	v_add_co_ci_u32_e32 v70, vcc_lo, s1, v70, vcc_lo
	v_add_co_u32 v71, vcc_lo, s0, v71
	v_lshlrev_b64 v[75:76], 2, v[75:76]
	v_add_co_ci_u32_e32 v72, vcc_lo, s1, v72, vcc_lo
	v_add_co_u32 v73, vcc_lo, s0, v73
	v_lshlrev_b64 v[87:88], 2, v[77:78]
	v_lshlrev_b64 v[77:78], 2, v[79:80]
	v_add_co_ci_u32_e32 v74, vcc_lo, s1, v74, vcc_lo
	v_add_co_u32 v75, vcc_lo, s0, v75
	v_add_co_ci_u32_e32 v76, vcc_lo, s1, v76, vcc_lo
	s_delay_alu instid0(VALU_DEP_4)
	v_add_co_u32 v77, vcc_lo, s0, v77
	v_add_co_ci_u32_e32 v78, vcc_lo, s1, v78, vcc_lo
	v_add_co_u32 v79, vcc_lo, s0, v87
	s_clause 0x8
	global_load_b32 v1, v81, s[0:1]
	global_load_b32 v2, v[7:8], off
	global_load_b32 v3, v[9:10], off
	;; [unrolled: 1-line block ×8, first 2 shown]
	v_add_co_ci_u32_e32 v80, vcc_lo, s1, v88, vcc_lo
	s_clause 0x1c
	global_load_b32 v87, v[23:24], off
	global_load_b32 v88, v[25:26], off
	;; [unrolled: 1-line block ×29, first 2 shown]
	s_mov_b32 s1, -1
	s_bitcmp0_b32 s17, 0
	s_waitcnt vmcnt(34)
	scratch_store_b128 off, v[1:4], off
	s_waitcnt vmcnt(30)
	scratch_store_b128 off, v[82:85], off offset:16
	s_waitcnt vmcnt(26)
	scratch_store_b128 off, v[86:89], off offset:32
	;; [unrolled: 2-line block ×8, first 2 shown]
	s_waitcnt vmcnt(0)
	scratch_store_b64 off, v[114:115], off offset:144
	s_cbranch_scc1 .LBB37_158
; %bb.4:
	v_cmp_eq_u32_e64 s0, 0, v0
	s_delay_alu instid0(VALU_DEP_1)
	s_and_saveexec_b32 s1, s0
	s_cbranch_execz .LBB37_6
; %bb.5:
	v_mov_b32_e32 v1, 0
	ds_store_b32 v1, v1 offset:152
.LBB37_6:
	s_or_b32 exec_lo, exec_lo, s1
	s_waitcnt lgkmcnt(0)
	s_waitcnt_vscnt null, 0x0
	s_barrier
	buffer_gl0_inv
	scratch_load_b32 v1, v81, off
	s_mov_b32 s2, exec_lo
	s_waitcnt vmcnt(0)
	v_cmpx_eq_f32_e32 0, v1
	s_cbranch_execz .LBB37_10
; %bb.7:
	v_mov_b32_e32 v1, 0
	s_mov_b32 s3, 0
	ds_load_b32 v2, v1 offset:152
	s_waitcnt lgkmcnt(0)
	v_readfirstlane_b32 s1, v2
	v_add_nc_u32_e32 v2, 1, v0
	s_delay_alu instid0(VALU_DEP_2) | instskip(NEXT) | instid1(VALU_DEP_1)
	s_cmp_eq_u32 s1, 0
	v_cmp_gt_i32_e32 vcc_lo, s1, v2
	s_cselect_b32 s4, -1, 0
	s_delay_alu instid0(SALU_CYCLE_1) | instskip(NEXT) | instid1(SALU_CYCLE_1)
	s_or_b32 s4, s4, vcc_lo
	s_and_b32 exec_lo, exec_lo, s4
	s_cbranch_execz .LBB37_10
; %bb.8:
	v_mov_b32_e32 v3, s1
.LBB37_9:                               ; =>This Inner Loop Header: Depth=1
	ds_cmpstore_rtn_b32 v3, v1, v2, v3 offset:152
	s_waitcnt lgkmcnt(0)
	v_cmp_ne_u32_e32 vcc_lo, 0, v3
	v_cmp_le_i32_e64 s1, v3, v2
	s_delay_alu instid0(VALU_DEP_1) | instskip(NEXT) | instid1(SALU_CYCLE_1)
	s_and_b32 s1, vcc_lo, s1
	s_and_b32 s1, exec_lo, s1
	s_delay_alu instid0(SALU_CYCLE_1) | instskip(NEXT) | instid1(SALU_CYCLE_1)
	s_or_b32 s3, s1, s3
	s_and_not1_b32 exec_lo, exec_lo, s3
	s_cbranch_execnz .LBB37_9
.LBB37_10:
	s_or_b32 exec_lo, exec_lo, s2
	v_mov_b32_e32 v1, 0
	s_barrier
	buffer_gl0_inv
	ds_load_b32 v2, v1 offset:152
	s_and_saveexec_b32 s1, s0
	s_cbranch_execz .LBB37_12
; %bb.11:
	s_lshl_b64 s[2:3], s[14:15], 2
	s_delay_alu instid0(SALU_CYCLE_1)
	s_add_u32 s2, s6, s2
	s_addc_u32 s3, s7, s3
	s_waitcnt lgkmcnt(0)
	global_store_b32 v1, v2, s[2:3]
.LBB37_12:
	s_or_b32 exec_lo, exec_lo, s1
	s_waitcnt lgkmcnt(0)
	v_cmp_ne_u32_e32 vcc_lo, 0, v2
	s_mov_b32 s1, 0
	s_cbranch_vccnz .LBB37_158
; %bb.13:
	v_add_nc_u32_e32 v1, 0, v81
	scratch_load_b32 v2, v1, off
	s_waitcnt vmcnt(0)
	v_div_scale_f32 v3, null, v2, v2, 1.0
	v_div_scale_f32 v83, vcc_lo, 1.0, v2, 1.0
	s_delay_alu instid0(VALU_DEP_2) | instskip(SKIP_2) | instid1(VALU_DEP_1)
	v_rcp_f32_e32 v4, v3
	s_waitcnt_depctr 0xfff
	v_fma_f32 v82, -v3, v4, 1.0
	v_fmac_f32_e32 v4, v82, v4
	s_delay_alu instid0(VALU_DEP_1) | instskip(NEXT) | instid1(VALU_DEP_1)
	v_mul_f32_e32 v82, v83, v4
	v_fma_f32 v84, -v3, v82, v83
	s_delay_alu instid0(VALU_DEP_1) | instskip(NEXT) | instid1(VALU_DEP_1)
	v_fmac_f32_e32 v82, v84, v4
	v_fma_f32 v3, -v3, v82, v83
	s_delay_alu instid0(VALU_DEP_1) | instskip(NEXT) | instid1(VALU_DEP_1)
	v_div_fmas_f32 v3, v3, v4, v82
	v_div_fixup_f32 v2, v3, v2, 1.0
	scratch_store_b32 v1, v2, off
	scratch_load_b32 v3, off, off offset:4
	v_xor_b32_e32 v4, 0x80000000, v2
	v_add_nc_u32_e32 v2, 0xa0, v81
	s_waitcnt vmcnt(0)
	ds_store_2addr_b32 v81, v4, v3 offset1:40
	s_waitcnt lgkmcnt(0)
	s_waitcnt_vscnt null, 0x0
	s_barrier
	buffer_gl0_inv
	s_and_saveexec_b32 s1, s0
	s_cbranch_execz .LBB37_15
; %bb.14:
	scratch_load_b32 v3, v1, off
	ds_load_b32 v4, v2
	v_mov_b32_e32 v82, 0
	ds_load_b32 v82, v82 offset:4
	s_waitcnt vmcnt(0) lgkmcnt(1)
	v_fma_f32 v3, v3, v4, 0
	s_waitcnt lgkmcnt(0)
	s_delay_alu instid0(VALU_DEP_1)
	v_mul_f32_e32 v3, v3, v82
	scratch_store_b32 off, v3, off offset:4
.LBB37_15:
	s_or_b32 exec_lo, exec_lo, s1
	s_waitcnt_vscnt null, 0x0
	s_barrier
	buffer_gl0_inv
	scratch_load_b32 v3, off, off offset:8
	s_mov_b32 s1, exec_lo
	s_waitcnt vmcnt(0)
	ds_store_b32 v2, v3
	s_waitcnt lgkmcnt(0)
	s_barrier
	buffer_gl0_inv
	v_cmpx_gt_u32_e32 2, v0
	s_cbranch_execz .LBB37_17
; %bb.16:
	scratch_load_b32 v82, v1, off
	scratch_load_b32 v83, off, off offset:4
	ds_load_b32 v84, v2
	v_mov_b32_e32 v3, 0
	ds_load_2addr_b32 v[3:4], v3 offset0:2 offset1:41
	s_waitcnt vmcnt(1) lgkmcnt(1)
	v_fma_f32 v82, v82, v84, 0
	s_waitcnt vmcnt(0) lgkmcnt(0)
	s_delay_alu instid0(VALU_DEP_1) | instskip(NEXT) | instid1(VALU_DEP_1)
	v_fma_f32 v4, v83, v4, v82
	v_cndmask_b32_e64 v4, v82, v4, s0
	s_delay_alu instid0(VALU_DEP_1)
	v_mul_f32_e32 v3, v4, v3
	scratch_store_b32 off, v3, off offset:8
.LBB37_17:
	s_or_b32 exec_lo, exec_lo, s1
	s_waitcnt_vscnt null, 0x0
	s_barrier
	buffer_gl0_inv
	scratch_load_b32 v4, off, off offset:12
	v_add_nc_u32_e32 v3, -1, v0
	s_mov_b32 s0, exec_lo
	s_waitcnt vmcnt(0)
	ds_store_b32 v2, v4
	s_waitcnt lgkmcnt(0)
	s_barrier
	buffer_gl0_inv
	v_cmpx_gt_u32_e32 3, v0
	s_cbranch_execz .LBB37_21
; %bb.18:
	v_add_nc_u32_e32 v82, -1, v0
	v_dual_mov_b32 v4, 0 :: v_dual_add_nc_u32 v83, 0xa0, v81
	v_add_nc_u32_e32 v84, 0, v81
	s_mov_b32 s1, 0
.LBB37_19:                              ; =>This Inner Loop Header: Depth=1
	scratch_load_b32 v85, v84, off
	ds_load_b32 v86, v83
	v_add_nc_u32_e32 v82, 1, v82
	v_add_nc_u32_e32 v83, 4, v83
	v_add_nc_u32_e32 v84, 4, v84
	s_delay_alu instid0(VALU_DEP_3)
	v_cmp_lt_u32_e32 vcc_lo, 1, v82
	s_or_b32 s1, vcc_lo, s1
	s_waitcnt vmcnt(0) lgkmcnt(0)
	v_fmac_f32_e32 v4, v85, v86
	s_and_not1_b32 exec_lo, exec_lo, s1
	s_cbranch_execnz .LBB37_19
; %bb.20:
	s_or_b32 exec_lo, exec_lo, s1
	v_mov_b32_e32 v82, 0
	ds_load_b32 v82, v82 offset:12
	s_waitcnt lgkmcnt(0)
	v_mul_f32_e32 v4, v4, v82
	scratch_store_b32 off, v4, off offset:12
.LBB37_21:
	s_or_b32 exec_lo, exec_lo, s0
	s_waitcnt_vscnt null, 0x0
	s_barrier
	buffer_gl0_inv
	scratch_load_b32 v4, off, off offset:16
	s_mov_b32 s0, exec_lo
	s_waitcnt vmcnt(0)
	ds_store_b32 v2, v4
	s_waitcnt lgkmcnt(0)
	s_barrier
	buffer_gl0_inv
	v_cmpx_gt_u32_e32 4, v0
	s_cbranch_execz .LBB37_25
; %bb.22:
	v_add_nc_u32_e32 v82, -1, v0
	v_dual_mov_b32 v4, 0 :: v_dual_add_nc_u32 v83, 0xa0, v81
	v_add_nc_u32_e32 v84, 0, v81
	s_mov_b32 s1, 0
.LBB37_23:                              ; =>This Inner Loop Header: Depth=1
	scratch_load_b32 v85, v84, off
	ds_load_b32 v86, v83
	v_add_nc_u32_e32 v82, 1, v82
	v_add_nc_u32_e32 v83, 4, v83
	v_add_nc_u32_e32 v84, 4, v84
	s_delay_alu instid0(VALU_DEP_3)
	v_cmp_lt_u32_e32 vcc_lo, 2, v82
	s_or_b32 s1, vcc_lo, s1
	s_waitcnt vmcnt(0) lgkmcnt(0)
	v_fmac_f32_e32 v4, v85, v86
	s_and_not1_b32 exec_lo, exec_lo, s1
	s_cbranch_execnz .LBB37_23
; %bb.24:
	s_or_b32 exec_lo, exec_lo, s1
	v_mov_b32_e32 v82, 0
	ds_load_b32 v82, v82 offset:16
	s_waitcnt lgkmcnt(0)
	v_mul_f32_e32 v4, v4, v82
	scratch_store_b32 off, v4, off offset:16
.LBB37_25:
	s_or_b32 exec_lo, exec_lo, s0
	s_waitcnt_vscnt null, 0x0
	s_barrier
	buffer_gl0_inv
	scratch_load_b32 v4, off, off offset:20
	s_mov_b32 s0, exec_lo
	s_waitcnt vmcnt(0)
	ds_store_b32 v2, v4
	s_waitcnt lgkmcnt(0)
	s_barrier
	buffer_gl0_inv
	v_cmpx_gt_u32_e32 5, v0
	s_cbranch_execz .LBB37_29
; %bb.26:
	v_add_nc_u32_e32 v82, -1, v0
	v_dual_mov_b32 v4, 0 :: v_dual_add_nc_u32 v83, 0xa0, v81
	v_add_nc_u32_e32 v84, 0, v81
	s_mov_b32 s1, 0
.LBB37_27:                              ; =>This Inner Loop Header: Depth=1
	scratch_load_b32 v85, v84, off
	ds_load_b32 v86, v83
	v_add_nc_u32_e32 v82, 1, v82
	v_add_nc_u32_e32 v83, 4, v83
	v_add_nc_u32_e32 v84, 4, v84
	s_delay_alu instid0(VALU_DEP_3)
	v_cmp_lt_u32_e32 vcc_lo, 3, v82
	s_or_b32 s1, vcc_lo, s1
	s_waitcnt vmcnt(0) lgkmcnt(0)
	v_fmac_f32_e32 v4, v85, v86
	s_and_not1_b32 exec_lo, exec_lo, s1
	s_cbranch_execnz .LBB37_27
; %bb.28:
	s_or_b32 exec_lo, exec_lo, s1
	v_mov_b32_e32 v82, 0
	ds_load_b32 v82, v82 offset:20
	s_waitcnt lgkmcnt(0)
	v_mul_f32_e32 v4, v4, v82
	scratch_store_b32 off, v4, off offset:20
.LBB37_29:
	s_or_b32 exec_lo, exec_lo, s0
	s_waitcnt_vscnt null, 0x0
	s_barrier
	buffer_gl0_inv
	scratch_load_b32 v4, off, off offset:24
	s_mov_b32 s0, exec_lo
	s_waitcnt vmcnt(0)
	ds_store_b32 v2, v4
	s_waitcnt lgkmcnt(0)
	s_barrier
	buffer_gl0_inv
	v_cmpx_gt_u32_e32 6, v0
	s_cbranch_execz .LBB37_33
; %bb.30:
	v_add_nc_u32_e32 v82, -1, v0
	v_dual_mov_b32 v4, 0 :: v_dual_add_nc_u32 v83, 0xa0, v81
	v_add_nc_u32_e32 v84, 0, v81
	s_mov_b32 s1, 0
.LBB37_31:                              ; =>This Inner Loop Header: Depth=1
	scratch_load_b32 v85, v84, off
	ds_load_b32 v86, v83
	v_add_nc_u32_e32 v82, 1, v82
	v_add_nc_u32_e32 v83, 4, v83
	v_add_nc_u32_e32 v84, 4, v84
	s_delay_alu instid0(VALU_DEP_3)
	v_cmp_lt_u32_e32 vcc_lo, 4, v82
	s_or_b32 s1, vcc_lo, s1
	s_waitcnt vmcnt(0) lgkmcnt(0)
	v_fmac_f32_e32 v4, v85, v86
	s_and_not1_b32 exec_lo, exec_lo, s1
	s_cbranch_execnz .LBB37_31
; %bb.32:
	s_or_b32 exec_lo, exec_lo, s1
	v_mov_b32_e32 v82, 0
	ds_load_b32 v82, v82 offset:24
	s_waitcnt lgkmcnt(0)
	v_mul_f32_e32 v4, v4, v82
	scratch_store_b32 off, v4, off offset:24
.LBB37_33:
	s_or_b32 exec_lo, exec_lo, s0
	s_waitcnt_vscnt null, 0x0
	s_barrier
	buffer_gl0_inv
	scratch_load_b32 v4, off, off offset:28
	s_mov_b32 s0, exec_lo
	s_waitcnt vmcnt(0)
	ds_store_b32 v2, v4
	s_waitcnt lgkmcnt(0)
	s_barrier
	buffer_gl0_inv
	v_cmpx_gt_u32_e32 7, v0
	s_cbranch_execz .LBB37_37
; %bb.34:
	v_add_nc_u32_e32 v82, -1, v0
	v_dual_mov_b32 v4, 0 :: v_dual_add_nc_u32 v83, 0xa0, v81
	v_add_nc_u32_e32 v84, 0, v81
	s_mov_b32 s1, 0
.LBB37_35:                              ; =>This Inner Loop Header: Depth=1
	scratch_load_b32 v85, v84, off
	ds_load_b32 v86, v83
	v_add_nc_u32_e32 v82, 1, v82
	v_add_nc_u32_e32 v83, 4, v83
	v_add_nc_u32_e32 v84, 4, v84
	s_delay_alu instid0(VALU_DEP_3)
	v_cmp_lt_u32_e32 vcc_lo, 5, v82
	s_or_b32 s1, vcc_lo, s1
	s_waitcnt vmcnt(0) lgkmcnt(0)
	v_fmac_f32_e32 v4, v85, v86
	s_and_not1_b32 exec_lo, exec_lo, s1
	s_cbranch_execnz .LBB37_35
; %bb.36:
	s_or_b32 exec_lo, exec_lo, s1
	v_mov_b32_e32 v82, 0
	ds_load_b32 v82, v82 offset:28
	s_waitcnt lgkmcnt(0)
	v_mul_f32_e32 v4, v4, v82
	scratch_store_b32 off, v4, off offset:28
.LBB37_37:
	s_or_b32 exec_lo, exec_lo, s0
	s_waitcnt_vscnt null, 0x0
	s_barrier
	buffer_gl0_inv
	scratch_load_b32 v4, off, off offset:32
	s_mov_b32 s0, exec_lo
	s_waitcnt vmcnt(0)
	ds_store_b32 v2, v4
	s_waitcnt lgkmcnt(0)
	s_barrier
	buffer_gl0_inv
	v_cmpx_gt_u32_e32 8, v0
	s_cbranch_execz .LBB37_41
; %bb.38:
	v_add_nc_u32_e32 v82, -1, v0
	v_dual_mov_b32 v4, 0 :: v_dual_add_nc_u32 v83, 0xa0, v81
	v_add_nc_u32_e32 v84, 0, v81
	s_mov_b32 s1, 0
.LBB37_39:                              ; =>This Inner Loop Header: Depth=1
	scratch_load_b32 v85, v84, off
	ds_load_b32 v86, v83
	v_add_nc_u32_e32 v82, 1, v82
	v_add_nc_u32_e32 v83, 4, v83
	v_add_nc_u32_e32 v84, 4, v84
	s_delay_alu instid0(VALU_DEP_3)
	v_cmp_lt_u32_e32 vcc_lo, 6, v82
	s_or_b32 s1, vcc_lo, s1
	s_waitcnt vmcnt(0) lgkmcnt(0)
	v_fmac_f32_e32 v4, v85, v86
	s_and_not1_b32 exec_lo, exec_lo, s1
	s_cbranch_execnz .LBB37_39
; %bb.40:
	s_or_b32 exec_lo, exec_lo, s1
	v_mov_b32_e32 v82, 0
	ds_load_b32 v82, v82 offset:32
	s_waitcnt lgkmcnt(0)
	v_mul_f32_e32 v4, v4, v82
	scratch_store_b32 off, v4, off offset:32
.LBB37_41:
	s_or_b32 exec_lo, exec_lo, s0
	s_waitcnt_vscnt null, 0x0
	s_barrier
	buffer_gl0_inv
	scratch_load_b32 v4, off, off offset:36
	s_mov_b32 s0, exec_lo
	s_waitcnt vmcnt(0)
	ds_store_b32 v2, v4
	s_waitcnt lgkmcnt(0)
	s_barrier
	buffer_gl0_inv
	v_cmpx_gt_u32_e32 9, v0
	s_cbranch_execz .LBB37_45
; %bb.42:
	v_add_nc_u32_e32 v82, -1, v0
	v_dual_mov_b32 v4, 0 :: v_dual_add_nc_u32 v83, 0xa0, v81
	v_add_nc_u32_e32 v84, 0, v81
	s_mov_b32 s1, 0
.LBB37_43:                              ; =>This Inner Loop Header: Depth=1
	scratch_load_b32 v85, v84, off
	ds_load_b32 v86, v83
	v_add_nc_u32_e32 v82, 1, v82
	v_add_nc_u32_e32 v83, 4, v83
	v_add_nc_u32_e32 v84, 4, v84
	s_delay_alu instid0(VALU_DEP_3)
	v_cmp_lt_u32_e32 vcc_lo, 7, v82
	s_or_b32 s1, vcc_lo, s1
	s_waitcnt vmcnt(0) lgkmcnt(0)
	v_fmac_f32_e32 v4, v85, v86
	s_and_not1_b32 exec_lo, exec_lo, s1
	s_cbranch_execnz .LBB37_43
; %bb.44:
	s_or_b32 exec_lo, exec_lo, s1
	v_mov_b32_e32 v82, 0
	ds_load_b32 v82, v82 offset:36
	s_waitcnt lgkmcnt(0)
	v_mul_f32_e32 v4, v4, v82
	scratch_store_b32 off, v4, off offset:36
.LBB37_45:
	s_or_b32 exec_lo, exec_lo, s0
	s_waitcnt_vscnt null, 0x0
	s_barrier
	buffer_gl0_inv
	scratch_load_b32 v4, off, off offset:40
	s_mov_b32 s0, exec_lo
	s_waitcnt vmcnt(0)
	ds_store_b32 v2, v4
	s_waitcnt lgkmcnt(0)
	s_barrier
	buffer_gl0_inv
	v_cmpx_gt_u32_e32 10, v0
	s_cbranch_execz .LBB37_49
; %bb.46:
	v_add_nc_u32_e32 v82, -1, v0
	v_dual_mov_b32 v4, 0 :: v_dual_add_nc_u32 v83, 0xa0, v81
	v_add_nc_u32_e32 v84, 0, v81
	s_mov_b32 s1, 0
.LBB37_47:                              ; =>This Inner Loop Header: Depth=1
	scratch_load_b32 v85, v84, off
	ds_load_b32 v86, v83
	v_add_nc_u32_e32 v82, 1, v82
	v_add_nc_u32_e32 v83, 4, v83
	v_add_nc_u32_e32 v84, 4, v84
	s_delay_alu instid0(VALU_DEP_3)
	v_cmp_lt_u32_e32 vcc_lo, 8, v82
	s_or_b32 s1, vcc_lo, s1
	s_waitcnt vmcnt(0) lgkmcnt(0)
	v_fmac_f32_e32 v4, v85, v86
	s_and_not1_b32 exec_lo, exec_lo, s1
	s_cbranch_execnz .LBB37_47
; %bb.48:
	s_or_b32 exec_lo, exec_lo, s1
	v_mov_b32_e32 v82, 0
	ds_load_b32 v82, v82 offset:40
	s_waitcnt lgkmcnt(0)
	v_mul_f32_e32 v4, v4, v82
	scratch_store_b32 off, v4, off offset:40
.LBB37_49:
	s_or_b32 exec_lo, exec_lo, s0
	s_waitcnt_vscnt null, 0x0
	s_barrier
	buffer_gl0_inv
	scratch_load_b32 v4, off, off offset:44
	s_mov_b32 s0, exec_lo
	s_waitcnt vmcnt(0)
	ds_store_b32 v2, v4
	s_waitcnt lgkmcnt(0)
	s_barrier
	buffer_gl0_inv
	v_cmpx_gt_u32_e32 11, v0
	s_cbranch_execz .LBB37_53
; %bb.50:
	v_add_nc_u32_e32 v82, -1, v0
	v_dual_mov_b32 v4, 0 :: v_dual_add_nc_u32 v83, 0xa0, v81
	v_add_nc_u32_e32 v84, 0, v81
	s_mov_b32 s1, 0
.LBB37_51:                              ; =>This Inner Loop Header: Depth=1
	scratch_load_b32 v85, v84, off
	ds_load_b32 v86, v83
	v_add_nc_u32_e32 v82, 1, v82
	v_add_nc_u32_e32 v83, 4, v83
	v_add_nc_u32_e32 v84, 4, v84
	s_delay_alu instid0(VALU_DEP_3)
	v_cmp_lt_u32_e32 vcc_lo, 9, v82
	s_or_b32 s1, vcc_lo, s1
	s_waitcnt vmcnt(0) lgkmcnt(0)
	v_fmac_f32_e32 v4, v85, v86
	s_and_not1_b32 exec_lo, exec_lo, s1
	s_cbranch_execnz .LBB37_51
; %bb.52:
	s_or_b32 exec_lo, exec_lo, s1
	v_mov_b32_e32 v82, 0
	ds_load_b32 v82, v82 offset:44
	s_waitcnt lgkmcnt(0)
	v_mul_f32_e32 v4, v4, v82
	scratch_store_b32 off, v4, off offset:44
.LBB37_53:
	s_or_b32 exec_lo, exec_lo, s0
	s_waitcnt_vscnt null, 0x0
	s_barrier
	buffer_gl0_inv
	scratch_load_b32 v4, off, off offset:48
	s_mov_b32 s0, exec_lo
	s_waitcnt vmcnt(0)
	ds_store_b32 v2, v4
	s_waitcnt lgkmcnt(0)
	s_barrier
	buffer_gl0_inv
	v_cmpx_gt_u32_e32 12, v0
	s_cbranch_execz .LBB37_57
; %bb.54:
	v_add_nc_u32_e32 v82, -1, v0
	v_dual_mov_b32 v4, 0 :: v_dual_add_nc_u32 v83, 0xa0, v81
	v_add_nc_u32_e32 v84, 0, v81
	s_mov_b32 s1, 0
.LBB37_55:                              ; =>This Inner Loop Header: Depth=1
	scratch_load_b32 v85, v84, off
	ds_load_b32 v86, v83
	v_add_nc_u32_e32 v82, 1, v82
	v_add_nc_u32_e32 v83, 4, v83
	v_add_nc_u32_e32 v84, 4, v84
	s_delay_alu instid0(VALU_DEP_3)
	v_cmp_lt_u32_e32 vcc_lo, 10, v82
	s_or_b32 s1, vcc_lo, s1
	s_waitcnt vmcnt(0) lgkmcnt(0)
	v_fmac_f32_e32 v4, v85, v86
	s_and_not1_b32 exec_lo, exec_lo, s1
	s_cbranch_execnz .LBB37_55
; %bb.56:
	s_or_b32 exec_lo, exec_lo, s1
	v_mov_b32_e32 v82, 0
	ds_load_b32 v82, v82 offset:48
	s_waitcnt lgkmcnt(0)
	v_mul_f32_e32 v4, v4, v82
	scratch_store_b32 off, v4, off offset:48
.LBB37_57:
	s_or_b32 exec_lo, exec_lo, s0
	s_waitcnt_vscnt null, 0x0
	s_barrier
	buffer_gl0_inv
	scratch_load_b32 v4, off, off offset:52
	s_mov_b32 s0, exec_lo
	s_waitcnt vmcnt(0)
	ds_store_b32 v2, v4
	s_waitcnt lgkmcnt(0)
	s_barrier
	buffer_gl0_inv
	v_cmpx_gt_u32_e32 13, v0
	s_cbranch_execz .LBB37_61
; %bb.58:
	v_add_nc_u32_e32 v82, -1, v0
	v_dual_mov_b32 v4, 0 :: v_dual_add_nc_u32 v83, 0xa0, v81
	v_add_nc_u32_e32 v84, 0, v81
	s_mov_b32 s1, 0
.LBB37_59:                              ; =>This Inner Loop Header: Depth=1
	scratch_load_b32 v85, v84, off
	ds_load_b32 v86, v83
	v_add_nc_u32_e32 v82, 1, v82
	v_add_nc_u32_e32 v83, 4, v83
	v_add_nc_u32_e32 v84, 4, v84
	s_delay_alu instid0(VALU_DEP_3)
	v_cmp_lt_u32_e32 vcc_lo, 11, v82
	s_or_b32 s1, vcc_lo, s1
	s_waitcnt vmcnt(0) lgkmcnt(0)
	v_fmac_f32_e32 v4, v85, v86
	s_and_not1_b32 exec_lo, exec_lo, s1
	s_cbranch_execnz .LBB37_59
; %bb.60:
	s_or_b32 exec_lo, exec_lo, s1
	v_mov_b32_e32 v82, 0
	ds_load_b32 v82, v82 offset:52
	s_waitcnt lgkmcnt(0)
	v_mul_f32_e32 v4, v4, v82
	scratch_store_b32 off, v4, off offset:52
.LBB37_61:
	s_or_b32 exec_lo, exec_lo, s0
	s_waitcnt_vscnt null, 0x0
	s_barrier
	buffer_gl0_inv
	scratch_load_b32 v4, off, off offset:56
	s_mov_b32 s0, exec_lo
	s_waitcnt vmcnt(0)
	ds_store_b32 v2, v4
	s_waitcnt lgkmcnt(0)
	s_barrier
	buffer_gl0_inv
	v_cmpx_gt_u32_e32 14, v0
	s_cbranch_execz .LBB37_65
; %bb.62:
	v_add_nc_u32_e32 v82, -1, v0
	v_dual_mov_b32 v4, 0 :: v_dual_add_nc_u32 v83, 0xa0, v81
	v_add_nc_u32_e32 v84, 0, v81
	s_mov_b32 s1, 0
.LBB37_63:                              ; =>This Inner Loop Header: Depth=1
	scratch_load_b32 v85, v84, off
	ds_load_b32 v86, v83
	v_add_nc_u32_e32 v82, 1, v82
	v_add_nc_u32_e32 v83, 4, v83
	v_add_nc_u32_e32 v84, 4, v84
	s_delay_alu instid0(VALU_DEP_3)
	v_cmp_lt_u32_e32 vcc_lo, 12, v82
	s_or_b32 s1, vcc_lo, s1
	s_waitcnt vmcnt(0) lgkmcnt(0)
	v_fmac_f32_e32 v4, v85, v86
	s_and_not1_b32 exec_lo, exec_lo, s1
	s_cbranch_execnz .LBB37_63
; %bb.64:
	s_or_b32 exec_lo, exec_lo, s1
	v_mov_b32_e32 v82, 0
	ds_load_b32 v82, v82 offset:56
	s_waitcnt lgkmcnt(0)
	v_mul_f32_e32 v4, v4, v82
	scratch_store_b32 off, v4, off offset:56
.LBB37_65:
	s_or_b32 exec_lo, exec_lo, s0
	s_waitcnt_vscnt null, 0x0
	s_barrier
	buffer_gl0_inv
	scratch_load_b32 v4, off, off offset:60
	s_mov_b32 s0, exec_lo
	s_waitcnt vmcnt(0)
	ds_store_b32 v2, v4
	s_waitcnt lgkmcnt(0)
	s_barrier
	buffer_gl0_inv
	v_cmpx_gt_u32_e32 15, v0
	s_cbranch_execz .LBB37_69
; %bb.66:
	v_add_nc_u32_e32 v82, -1, v0
	v_dual_mov_b32 v4, 0 :: v_dual_add_nc_u32 v83, 0xa0, v81
	v_add_nc_u32_e32 v84, 0, v81
	s_mov_b32 s1, 0
.LBB37_67:                              ; =>This Inner Loop Header: Depth=1
	scratch_load_b32 v85, v84, off
	ds_load_b32 v86, v83
	v_add_nc_u32_e32 v82, 1, v82
	v_add_nc_u32_e32 v83, 4, v83
	v_add_nc_u32_e32 v84, 4, v84
	s_delay_alu instid0(VALU_DEP_3)
	v_cmp_lt_u32_e32 vcc_lo, 13, v82
	s_or_b32 s1, vcc_lo, s1
	s_waitcnt vmcnt(0) lgkmcnt(0)
	v_fmac_f32_e32 v4, v85, v86
	s_and_not1_b32 exec_lo, exec_lo, s1
	s_cbranch_execnz .LBB37_67
; %bb.68:
	s_or_b32 exec_lo, exec_lo, s1
	v_mov_b32_e32 v82, 0
	ds_load_b32 v82, v82 offset:60
	s_waitcnt lgkmcnt(0)
	v_mul_f32_e32 v4, v4, v82
	scratch_store_b32 off, v4, off offset:60
.LBB37_69:
	s_or_b32 exec_lo, exec_lo, s0
	s_waitcnt_vscnt null, 0x0
	s_barrier
	buffer_gl0_inv
	scratch_load_b32 v4, off, off offset:64
	s_mov_b32 s0, exec_lo
	s_waitcnt vmcnt(0)
	ds_store_b32 v2, v4
	s_waitcnt lgkmcnt(0)
	s_barrier
	buffer_gl0_inv
	v_cmpx_gt_u32_e32 16, v0
	s_cbranch_execz .LBB37_73
; %bb.70:
	v_add_nc_u32_e32 v82, -1, v0
	v_dual_mov_b32 v4, 0 :: v_dual_add_nc_u32 v83, 0xa0, v81
	v_add_nc_u32_e32 v84, 0, v81
	s_mov_b32 s1, 0
.LBB37_71:                              ; =>This Inner Loop Header: Depth=1
	scratch_load_b32 v85, v84, off
	ds_load_b32 v86, v83
	v_add_nc_u32_e32 v82, 1, v82
	v_add_nc_u32_e32 v83, 4, v83
	v_add_nc_u32_e32 v84, 4, v84
	s_delay_alu instid0(VALU_DEP_3)
	v_cmp_lt_u32_e32 vcc_lo, 14, v82
	s_or_b32 s1, vcc_lo, s1
	s_waitcnt vmcnt(0) lgkmcnt(0)
	v_fmac_f32_e32 v4, v85, v86
	s_and_not1_b32 exec_lo, exec_lo, s1
	s_cbranch_execnz .LBB37_71
; %bb.72:
	s_or_b32 exec_lo, exec_lo, s1
	v_mov_b32_e32 v82, 0
	ds_load_b32 v82, v82 offset:64
	s_waitcnt lgkmcnt(0)
	v_mul_f32_e32 v4, v4, v82
	scratch_store_b32 off, v4, off offset:64
.LBB37_73:
	s_or_b32 exec_lo, exec_lo, s0
	s_waitcnt_vscnt null, 0x0
	s_barrier
	buffer_gl0_inv
	scratch_load_b32 v4, off, off offset:68
	s_mov_b32 s0, exec_lo
	s_waitcnt vmcnt(0)
	ds_store_b32 v2, v4
	s_waitcnt lgkmcnt(0)
	s_barrier
	buffer_gl0_inv
	v_cmpx_gt_u32_e32 17, v0
	s_cbranch_execz .LBB37_77
; %bb.74:
	v_add_nc_u32_e32 v82, -1, v0
	v_dual_mov_b32 v4, 0 :: v_dual_add_nc_u32 v83, 0xa0, v81
	v_add_nc_u32_e32 v84, 0, v81
	s_mov_b32 s1, 0
.LBB37_75:                              ; =>This Inner Loop Header: Depth=1
	scratch_load_b32 v85, v84, off
	ds_load_b32 v86, v83
	v_add_nc_u32_e32 v82, 1, v82
	v_add_nc_u32_e32 v83, 4, v83
	v_add_nc_u32_e32 v84, 4, v84
	s_delay_alu instid0(VALU_DEP_3)
	v_cmp_lt_u32_e32 vcc_lo, 15, v82
	s_or_b32 s1, vcc_lo, s1
	s_waitcnt vmcnt(0) lgkmcnt(0)
	v_fmac_f32_e32 v4, v85, v86
	s_and_not1_b32 exec_lo, exec_lo, s1
	s_cbranch_execnz .LBB37_75
; %bb.76:
	s_or_b32 exec_lo, exec_lo, s1
	v_mov_b32_e32 v82, 0
	ds_load_b32 v82, v82 offset:68
	s_waitcnt lgkmcnt(0)
	v_mul_f32_e32 v4, v4, v82
	scratch_store_b32 off, v4, off offset:68
.LBB37_77:
	s_or_b32 exec_lo, exec_lo, s0
	s_waitcnt_vscnt null, 0x0
	s_barrier
	buffer_gl0_inv
	scratch_load_b32 v4, off, off offset:72
	s_mov_b32 s0, exec_lo
	s_waitcnt vmcnt(0)
	ds_store_b32 v2, v4
	s_waitcnt lgkmcnt(0)
	s_barrier
	buffer_gl0_inv
	v_cmpx_gt_u32_e32 18, v0
	s_cbranch_execz .LBB37_81
; %bb.78:
	v_add_nc_u32_e32 v82, -1, v0
	v_dual_mov_b32 v4, 0 :: v_dual_add_nc_u32 v83, 0xa0, v81
	v_add_nc_u32_e32 v84, 0, v81
	s_mov_b32 s1, 0
.LBB37_79:                              ; =>This Inner Loop Header: Depth=1
	scratch_load_b32 v85, v84, off
	ds_load_b32 v86, v83
	v_add_nc_u32_e32 v82, 1, v82
	v_add_nc_u32_e32 v83, 4, v83
	v_add_nc_u32_e32 v84, 4, v84
	s_delay_alu instid0(VALU_DEP_3)
	v_cmp_lt_u32_e32 vcc_lo, 16, v82
	s_or_b32 s1, vcc_lo, s1
	s_waitcnt vmcnt(0) lgkmcnt(0)
	v_fmac_f32_e32 v4, v85, v86
	s_and_not1_b32 exec_lo, exec_lo, s1
	s_cbranch_execnz .LBB37_79
; %bb.80:
	s_or_b32 exec_lo, exec_lo, s1
	v_mov_b32_e32 v82, 0
	ds_load_b32 v82, v82 offset:72
	s_waitcnt lgkmcnt(0)
	v_mul_f32_e32 v4, v4, v82
	scratch_store_b32 off, v4, off offset:72
.LBB37_81:
	s_or_b32 exec_lo, exec_lo, s0
	s_waitcnt_vscnt null, 0x0
	s_barrier
	buffer_gl0_inv
	scratch_load_b32 v4, off, off offset:76
	s_mov_b32 s0, exec_lo
	s_waitcnt vmcnt(0)
	ds_store_b32 v2, v4
	s_waitcnt lgkmcnt(0)
	s_barrier
	buffer_gl0_inv
	v_cmpx_gt_u32_e32 19, v0
	s_cbranch_execz .LBB37_85
; %bb.82:
	v_add_nc_u32_e32 v82, -1, v0
	v_dual_mov_b32 v4, 0 :: v_dual_add_nc_u32 v83, 0xa0, v81
	v_add_nc_u32_e32 v84, 0, v81
	s_mov_b32 s1, 0
.LBB37_83:                              ; =>This Inner Loop Header: Depth=1
	scratch_load_b32 v85, v84, off
	ds_load_b32 v86, v83
	v_add_nc_u32_e32 v82, 1, v82
	v_add_nc_u32_e32 v83, 4, v83
	v_add_nc_u32_e32 v84, 4, v84
	s_delay_alu instid0(VALU_DEP_3)
	v_cmp_lt_u32_e32 vcc_lo, 17, v82
	s_or_b32 s1, vcc_lo, s1
	s_waitcnt vmcnt(0) lgkmcnt(0)
	v_fmac_f32_e32 v4, v85, v86
	s_and_not1_b32 exec_lo, exec_lo, s1
	s_cbranch_execnz .LBB37_83
; %bb.84:
	s_or_b32 exec_lo, exec_lo, s1
	v_mov_b32_e32 v82, 0
	ds_load_b32 v82, v82 offset:76
	s_waitcnt lgkmcnt(0)
	v_mul_f32_e32 v4, v4, v82
	scratch_store_b32 off, v4, off offset:76
.LBB37_85:
	s_or_b32 exec_lo, exec_lo, s0
	s_waitcnt_vscnt null, 0x0
	s_barrier
	buffer_gl0_inv
	scratch_load_b32 v4, off, off offset:80
	s_mov_b32 s0, exec_lo
	s_waitcnt vmcnt(0)
	ds_store_b32 v2, v4
	s_waitcnt lgkmcnt(0)
	s_barrier
	buffer_gl0_inv
	v_cmpx_gt_u32_e32 20, v0
	s_cbranch_execz .LBB37_89
; %bb.86:
	v_add_nc_u32_e32 v82, -1, v0
	v_dual_mov_b32 v4, 0 :: v_dual_add_nc_u32 v83, 0xa0, v81
	v_add_nc_u32_e32 v84, 0, v81
	s_mov_b32 s1, 0
.LBB37_87:                              ; =>This Inner Loop Header: Depth=1
	scratch_load_b32 v85, v84, off
	ds_load_b32 v86, v83
	v_add_nc_u32_e32 v82, 1, v82
	v_add_nc_u32_e32 v83, 4, v83
	v_add_nc_u32_e32 v84, 4, v84
	s_delay_alu instid0(VALU_DEP_3)
	v_cmp_lt_u32_e32 vcc_lo, 18, v82
	s_or_b32 s1, vcc_lo, s1
	s_waitcnt vmcnt(0) lgkmcnt(0)
	v_fmac_f32_e32 v4, v85, v86
	s_and_not1_b32 exec_lo, exec_lo, s1
	s_cbranch_execnz .LBB37_87
; %bb.88:
	s_or_b32 exec_lo, exec_lo, s1
	v_mov_b32_e32 v82, 0
	ds_load_b32 v82, v82 offset:80
	s_waitcnt lgkmcnt(0)
	v_mul_f32_e32 v4, v4, v82
	scratch_store_b32 off, v4, off offset:80
.LBB37_89:
	s_or_b32 exec_lo, exec_lo, s0
	s_waitcnt_vscnt null, 0x0
	s_barrier
	buffer_gl0_inv
	scratch_load_b32 v4, off, off offset:84
	s_mov_b32 s0, exec_lo
	s_waitcnt vmcnt(0)
	ds_store_b32 v2, v4
	s_waitcnt lgkmcnt(0)
	s_barrier
	buffer_gl0_inv
	v_cmpx_gt_u32_e32 21, v0
	s_cbranch_execz .LBB37_93
; %bb.90:
	v_add_nc_u32_e32 v82, -1, v0
	v_dual_mov_b32 v4, 0 :: v_dual_add_nc_u32 v83, 0xa0, v81
	v_add_nc_u32_e32 v84, 0, v81
	s_mov_b32 s1, 0
.LBB37_91:                              ; =>This Inner Loop Header: Depth=1
	scratch_load_b32 v85, v84, off
	ds_load_b32 v86, v83
	v_add_nc_u32_e32 v82, 1, v82
	v_add_nc_u32_e32 v83, 4, v83
	v_add_nc_u32_e32 v84, 4, v84
	s_delay_alu instid0(VALU_DEP_3)
	v_cmp_lt_u32_e32 vcc_lo, 19, v82
	s_or_b32 s1, vcc_lo, s1
	s_waitcnt vmcnt(0) lgkmcnt(0)
	v_fmac_f32_e32 v4, v85, v86
	s_and_not1_b32 exec_lo, exec_lo, s1
	s_cbranch_execnz .LBB37_91
; %bb.92:
	s_or_b32 exec_lo, exec_lo, s1
	v_mov_b32_e32 v82, 0
	ds_load_b32 v82, v82 offset:84
	s_waitcnt lgkmcnt(0)
	v_mul_f32_e32 v4, v4, v82
	scratch_store_b32 off, v4, off offset:84
.LBB37_93:
	s_or_b32 exec_lo, exec_lo, s0
	s_waitcnt_vscnt null, 0x0
	s_barrier
	buffer_gl0_inv
	scratch_load_b32 v4, off, off offset:88
	s_mov_b32 s0, exec_lo
	s_waitcnt vmcnt(0)
	ds_store_b32 v2, v4
	s_waitcnt lgkmcnt(0)
	s_barrier
	buffer_gl0_inv
	v_cmpx_gt_u32_e32 22, v0
	s_cbranch_execz .LBB37_97
; %bb.94:
	v_add_nc_u32_e32 v82, -1, v0
	v_dual_mov_b32 v4, 0 :: v_dual_add_nc_u32 v83, 0xa0, v81
	v_add_nc_u32_e32 v84, 0, v81
	s_mov_b32 s1, 0
.LBB37_95:                              ; =>This Inner Loop Header: Depth=1
	scratch_load_b32 v85, v84, off
	ds_load_b32 v86, v83
	v_add_nc_u32_e32 v82, 1, v82
	v_add_nc_u32_e32 v83, 4, v83
	v_add_nc_u32_e32 v84, 4, v84
	s_delay_alu instid0(VALU_DEP_3)
	v_cmp_lt_u32_e32 vcc_lo, 20, v82
	s_or_b32 s1, vcc_lo, s1
	s_waitcnt vmcnt(0) lgkmcnt(0)
	v_fmac_f32_e32 v4, v85, v86
	s_and_not1_b32 exec_lo, exec_lo, s1
	s_cbranch_execnz .LBB37_95
; %bb.96:
	s_or_b32 exec_lo, exec_lo, s1
	v_mov_b32_e32 v82, 0
	ds_load_b32 v82, v82 offset:88
	s_waitcnt lgkmcnt(0)
	v_mul_f32_e32 v4, v4, v82
	scratch_store_b32 off, v4, off offset:88
.LBB37_97:
	s_or_b32 exec_lo, exec_lo, s0
	s_waitcnt_vscnt null, 0x0
	s_barrier
	buffer_gl0_inv
	scratch_load_b32 v4, off, off offset:92
	s_mov_b32 s0, exec_lo
	s_waitcnt vmcnt(0)
	ds_store_b32 v2, v4
	s_waitcnt lgkmcnt(0)
	s_barrier
	buffer_gl0_inv
	v_cmpx_gt_u32_e32 23, v0
	s_cbranch_execz .LBB37_101
; %bb.98:
	v_add_nc_u32_e32 v82, -1, v0
	v_dual_mov_b32 v4, 0 :: v_dual_add_nc_u32 v83, 0xa0, v81
	v_add_nc_u32_e32 v84, 0, v81
	s_mov_b32 s1, 0
.LBB37_99:                              ; =>This Inner Loop Header: Depth=1
	scratch_load_b32 v85, v84, off
	ds_load_b32 v86, v83
	v_add_nc_u32_e32 v82, 1, v82
	v_add_nc_u32_e32 v83, 4, v83
	v_add_nc_u32_e32 v84, 4, v84
	s_delay_alu instid0(VALU_DEP_3)
	v_cmp_lt_u32_e32 vcc_lo, 21, v82
	s_or_b32 s1, vcc_lo, s1
	s_waitcnt vmcnt(0) lgkmcnt(0)
	v_fmac_f32_e32 v4, v85, v86
	s_and_not1_b32 exec_lo, exec_lo, s1
	s_cbranch_execnz .LBB37_99
; %bb.100:
	s_or_b32 exec_lo, exec_lo, s1
	v_mov_b32_e32 v82, 0
	ds_load_b32 v82, v82 offset:92
	s_waitcnt lgkmcnt(0)
	v_mul_f32_e32 v4, v4, v82
	scratch_store_b32 off, v4, off offset:92
.LBB37_101:
	s_or_b32 exec_lo, exec_lo, s0
	s_waitcnt_vscnt null, 0x0
	s_barrier
	buffer_gl0_inv
	scratch_load_b32 v4, off, off offset:96
	s_mov_b32 s0, exec_lo
	s_waitcnt vmcnt(0)
	ds_store_b32 v2, v4
	s_waitcnt lgkmcnt(0)
	s_barrier
	buffer_gl0_inv
	v_cmpx_gt_u32_e32 24, v0
	s_cbranch_execz .LBB37_105
; %bb.102:
	v_add_nc_u32_e32 v82, -1, v0
	v_dual_mov_b32 v4, 0 :: v_dual_add_nc_u32 v83, 0xa0, v81
	v_add_nc_u32_e32 v84, 0, v81
	s_mov_b32 s1, 0
.LBB37_103:                             ; =>This Inner Loop Header: Depth=1
	scratch_load_b32 v85, v84, off
	ds_load_b32 v86, v83
	v_add_nc_u32_e32 v82, 1, v82
	v_add_nc_u32_e32 v83, 4, v83
	v_add_nc_u32_e32 v84, 4, v84
	s_delay_alu instid0(VALU_DEP_3)
	v_cmp_lt_u32_e32 vcc_lo, 22, v82
	s_or_b32 s1, vcc_lo, s1
	s_waitcnt vmcnt(0) lgkmcnt(0)
	v_fmac_f32_e32 v4, v85, v86
	s_and_not1_b32 exec_lo, exec_lo, s1
	s_cbranch_execnz .LBB37_103
; %bb.104:
	s_or_b32 exec_lo, exec_lo, s1
	v_mov_b32_e32 v82, 0
	ds_load_b32 v82, v82 offset:96
	s_waitcnt lgkmcnt(0)
	v_mul_f32_e32 v4, v4, v82
	scratch_store_b32 off, v4, off offset:96
.LBB37_105:
	s_or_b32 exec_lo, exec_lo, s0
	s_waitcnt_vscnt null, 0x0
	s_barrier
	buffer_gl0_inv
	scratch_load_b32 v4, off, off offset:100
	s_mov_b32 s0, exec_lo
	s_waitcnt vmcnt(0)
	ds_store_b32 v2, v4
	s_waitcnt lgkmcnt(0)
	s_barrier
	buffer_gl0_inv
	v_cmpx_gt_u32_e32 25, v0
	s_cbranch_execz .LBB37_109
; %bb.106:
	v_add_nc_u32_e32 v82, -1, v0
	v_dual_mov_b32 v4, 0 :: v_dual_add_nc_u32 v83, 0xa0, v81
	v_add_nc_u32_e32 v84, 0, v81
	s_mov_b32 s1, 0
.LBB37_107:                             ; =>This Inner Loop Header: Depth=1
	scratch_load_b32 v85, v84, off
	ds_load_b32 v86, v83
	v_add_nc_u32_e32 v82, 1, v82
	v_add_nc_u32_e32 v83, 4, v83
	v_add_nc_u32_e32 v84, 4, v84
	s_delay_alu instid0(VALU_DEP_3)
	v_cmp_lt_u32_e32 vcc_lo, 23, v82
	s_or_b32 s1, vcc_lo, s1
	s_waitcnt vmcnt(0) lgkmcnt(0)
	v_fmac_f32_e32 v4, v85, v86
	s_and_not1_b32 exec_lo, exec_lo, s1
	s_cbranch_execnz .LBB37_107
; %bb.108:
	s_or_b32 exec_lo, exec_lo, s1
	v_mov_b32_e32 v82, 0
	ds_load_b32 v82, v82 offset:100
	s_waitcnt lgkmcnt(0)
	v_mul_f32_e32 v4, v4, v82
	scratch_store_b32 off, v4, off offset:100
.LBB37_109:
	s_or_b32 exec_lo, exec_lo, s0
	s_waitcnt_vscnt null, 0x0
	s_barrier
	buffer_gl0_inv
	scratch_load_b32 v4, off, off offset:104
	;; [unrolled: 39-line block ×13, first 2 shown]
	s_mov_b32 s0, exec_lo
	s_waitcnt vmcnt(0)
	ds_store_b32 v2, v4
	s_waitcnt lgkmcnt(0)
	s_barrier
	buffer_gl0_inv
	v_cmpx_ne_u32_e32 37, v0
	s_cbranch_execz .LBB37_157
; %bb.154:
	v_mov_b32_e32 v4, 0
	s_mov_b32 s1, 0
.LBB37_155:                             ; =>This Inner Loop Header: Depth=1
	scratch_load_b32 v81, v1, off
	ds_load_b32 v82, v2
	v_add_nc_u32_e32 v3, 1, v3
	v_add_nc_u32_e32 v2, 4, v2
	s_waitcnt vmcnt(0) lgkmcnt(0)
	v_dual_fmac_f32 v4, v81, v82 :: v_dual_add_nc_u32 v1, 4, v1
	s_delay_alu instid0(VALU_DEP_3) | instskip(SKIP_1) | instid1(SALU_CYCLE_1)
	v_cmp_lt_u32_e32 vcc_lo, 35, v3
	s_or_b32 s1, vcc_lo, s1
	s_and_not1_b32 exec_lo, exec_lo, s1
	s_cbranch_execnz .LBB37_155
; %bb.156:
	s_or_b32 exec_lo, exec_lo, s1
	v_mov_b32_e32 v1, 0
	ds_load_b32 v1, v1 offset:148
	s_waitcnt lgkmcnt(0)
	v_mul_f32_e32 v1, v4, v1
	scratch_store_b32 off, v1, off offset:148
.LBB37_157:
	s_or_b32 exec_lo, exec_lo, s0
	s_mov_b32 s1, -1
	s_waitcnt_vscnt null, 0x0
	s_barrier
	buffer_gl0_inv
.LBB37_158:
	s_and_b32 vcc_lo, exec_lo, s1
	s_cbranch_vccz .LBB37_160
; %bb.159:
	s_lshl_b64 s[0:1], s[14:15], 2
	v_mov_b32_e32 v1, 0
	s_add_u32 s0, s6, s0
	s_addc_u32 s1, s7, s1
	global_load_b32 v1, v1, s[0:1]
	s_waitcnt vmcnt(0)
	v_cmp_ne_u32_e32 vcc_lo, 0, v1
	s_cbranch_vccz .LBB37_161
.LBB37_160:
	s_endpgm
.LBB37_161:
	v_lshl_add_u32 v1, v0, 2, 0xa0
	s_mov_b32 s0, exec_lo
	v_cmpx_eq_u32_e32 37, v0
	s_cbranch_execz .LBB37_163
; %bb.162:
	scratch_load_b32 v2, off, off offset:144
	v_mov_b32_e32 v3, 0
	scratch_store_b32 off, v3, off offset:144
	s_waitcnt vmcnt(0)
	ds_store_b32 v1, v2
.LBB37_163:
	s_or_b32 exec_lo, exec_lo, s0
	s_waitcnt lgkmcnt(0)
	s_waitcnt_vscnt null, 0x0
	s_barrier
	buffer_gl0_inv
	scratch_load_b64 v[3:4], off, off offset:144
	v_mov_b32_e32 v2, 0
	s_mov_b32 s0, exec_lo
	ds_load_b32 v81, v2 offset:308
	s_waitcnt vmcnt(0) lgkmcnt(0)
	v_fma_f32 v4, v4, v81, 0
	s_delay_alu instid0(VALU_DEP_1)
	v_sub_f32_e32 v3, v3, v4
	scratch_store_b32 off, v3, off offset:144
	v_cmpx_lt_u32_e32 35, v0
	s_cbranch_execz .LBB37_165
; %bb.164:
	scratch_load_b32 v3, off, off offset:140
	scratch_store_b32 off, v2, off offset:140
	s_waitcnt vmcnt(0)
	ds_store_b32 v1, v3
.LBB37_165:
	s_or_b32 exec_lo, exec_lo, s0
	s_waitcnt lgkmcnt(0)
	s_waitcnt_vscnt null, 0x0
	s_barrier
	buffer_gl0_inv
	scratch_load_b96 v[81:83], off, off offset:140
	ds_load_b64 v[2:3], v2 offset:304
	s_mov_b32 s0, exec_lo
	s_waitcnt vmcnt(0) lgkmcnt(0)
	v_fma_f32 v2, v82, v2, 0
	s_delay_alu instid0(VALU_DEP_1) | instskip(NEXT) | instid1(VALU_DEP_1)
	v_fmac_f32_e32 v2, v83, v3
	v_sub_f32_e32 v2, v81, v2
	scratch_store_b32 off, v2, off offset:140
	v_cmpx_lt_u32_e32 34, v0
	s_cbranch_execz .LBB37_167
; %bb.166:
	scratch_load_b32 v2, off, off offset:136
	v_mov_b32_e32 v3, 0
	scratch_store_b32 off, v3, off offset:136
	s_waitcnt vmcnt(0)
	ds_store_b32 v1, v2
.LBB37_167:
	s_or_b32 exec_lo, exec_lo, s0
	s_waitcnt lgkmcnt(0)
	s_waitcnt_vscnt null, 0x0
	s_barrier
	buffer_gl0_inv
	scratch_load_b128 v[81:84], off, off offset:136
	v_mov_b32_e32 v2, 0
	ds_load_2addr_b32 v[3:4], v2 offset0:75 offset1:76
	ds_load_b32 v85, v2 offset:308
	s_mov_b32 s0, exec_lo
	s_waitcnt vmcnt(0) lgkmcnt(1)
	v_fma_f32 v3, v82, v3, 0
	s_delay_alu instid0(VALU_DEP_1) | instskip(SKIP_1) | instid1(VALU_DEP_1)
	v_fmac_f32_e32 v3, v83, v4
	s_waitcnt lgkmcnt(0)
	v_fmac_f32_e32 v3, v84, v85
	s_delay_alu instid0(VALU_DEP_1)
	v_sub_f32_e32 v3, v81, v3
	scratch_store_b32 off, v3, off offset:136
	v_cmpx_lt_u32_e32 33, v0
	s_cbranch_execz .LBB37_169
; %bb.168:
	scratch_load_b32 v3, off, off offset:132
	scratch_store_b32 off, v2, off offset:132
	s_waitcnt vmcnt(0)
	ds_store_b32 v1, v3
.LBB37_169:
	s_or_b32 exec_lo, exec_lo, s0
	s_waitcnt lgkmcnt(0)
	s_waitcnt_vscnt null, 0x0
	s_barrier
	buffer_gl0_inv
	s_clause 0x1
	scratch_load_b128 v[81:84], off, off offset:132
	scratch_load_b32 v3, off, off offset:148
	ds_load_2addr_b64 v[85:88], v2 offset0:37 offset1:38
	s_mov_b32 s0, exec_lo
	s_waitcnt vmcnt(1) lgkmcnt(0)
	v_fma_f32 v2, v82, v85, 0
	s_delay_alu instid0(VALU_DEP_1) | instskip(NEXT) | instid1(VALU_DEP_1)
	v_fmac_f32_e32 v2, v83, v86
	v_fmac_f32_e32 v2, v84, v87
	s_waitcnt vmcnt(0)
	s_delay_alu instid0(VALU_DEP_1) | instskip(NEXT) | instid1(VALU_DEP_1)
	v_fmac_f32_e32 v2, v3, v88
	v_sub_f32_e32 v2, v81, v2
	scratch_store_b32 off, v2, off offset:132
	v_cmpx_lt_u32_e32 32, v0
	s_cbranch_execz .LBB37_171
; %bb.170:
	scratch_load_b32 v2, off, off offset:128
	v_mov_b32_e32 v3, 0
	scratch_store_b32 off, v3, off offset:128
	s_waitcnt vmcnt(0)
	ds_store_b32 v1, v2
.LBB37_171:
	s_or_b32 exec_lo, exec_lo, s0
	s_waitcnt lgkmcnt(0)
	s_waitcnt_vscnt null, 0x0
	s_barrier
	buffer_gl0_inv
	s_clause 0x1
	scratch_load_b128 v[81:84], off, off offset:128
	scratch_load_b64 v[3:4], off, off offset:144
	v_mov_b32_e32 v2, 0
	ds_load_2addr_b32 v[85:86], v2 offset0:73 offset1:74
	ds_load_2addr_b32 v[87:88], v2 offset0:75 offset1:76
	ds_load_b32 v89, v2 offset:308
	s_mov_b32 s0, exec_lo
	s_waitcnt vmcnt(1) lgkmcnt(2)
	v_fma_f32 v82, v82, v85, 0
	s_delay_alu instid0(VALU_DEP_1) | instskip(SKIP_1) | instid1(VALU_DEP_1)
	v_fmac_f32_e32 v82, v83, v86
	s_waitcnt lgkmcnt(1)
	v_fmac_f32_e32 v82, v84, v87
	s_waitcnt vmcnt(0)
	s_delay_alu instid0(VALU_DEP_1) | instskip(SKIP_1) | instid1(VALU_DEP_1)
	v_fmac_f32_e32 v82, v3, v88
	s_waitcnt lgkmcnt(0)
	v_fmac_f32_e32 v82, v4, v89
	s_delay_alu instid0(VALU_DEP_1)
	v_sub_f32_e32 v3, v81, v82
	scratch_store_b32 off, v3, off offset:128
	v_cmpx_lt_u32_e32 31, v0
	s_cbranch_execz .LBB37_173
; %bb.172:
	scratch_load_b32 v3, off, off offset:124
	scratch_store_b32 off, v2, off offset:124
	s_waitcnt vmcnt(0)
	ds_store_b32 v1, v3
.LBB37_173:
	s_or_b32 exec_lo, exec_lo, s0
	s_waitcnt lgkmcnt(0)
	s_waitcnt_vscnt null, 0x0
	s_barrier
	buffer_gl0_inv
	s_clause 0x1
	scratch_load_b128 v[81:84], off, off offset:124
	scratch_load_b96 v[89:91], off, off offset:140
	ds_load_b128 v[85:88], v2 offset:288
	ds_load_b64 v[2:3], v2 offset:304
	s_mov_b32 s0, exec_lo
	s_waitcnt vmcnt(1) lgkmcnt(1)
	v_fma_f32 v4, v82, v85, 0
	s_delay_alu instid0(VALU_DEP_1) | instskip(NEXT) | instid1(VALU_DEP_1)
	v_fmac_f32_e32 v4, v83, v86
	v_fmac_f32_e32 v4, v84, v87
	s_waitcnt vmcnt(0)
	s_delay_alu instid0(VALU_DEP_1) | instskip(SKIP_1) | instid1(VALU_DEP_1)
	v_fmac_f32_e32 v4, v89, v88
	s_waitcnt lgkmcnt(0)
	v_fmac_f32_e32 v4, v90, v2
	s_delay_alu instid0(VALU_DEP_1) | instskip(NEXT) | instid1(VALU_DEP_1)
	v_fmac_f32_e32 v4, v91, v3
	v_sub_f32_e32 v2, v81, v4
	scratch_store_b32 off, v2, off offset:124
	v_cmpx_lt_u32_e32 30, v0
	s_cbranch_execz .LBB37_175
; %bb.174:
	scratch_load_b32 v2, off, off offset:120
	v_mov_b32_e32 v3, 0
	scratch_store_b32 off, v3, off offset:120
	s_waitcnt vmcnt(0)
	ds_store_b32 v1, v2
.LBB37_175:
	s_or_b32 exec_lo, exec_lo, s0
	s_waitcnt lgkmcnt(0)
	s_waitcnt_vscnt null, 0x0
	s_barrier
	buffer_gl0_inv
	s_clause 0x1
	scratch_load_b128 v[81:84], off, off offset:120
	scratch_load_b128 v[85:88], off, off offset:136
	v_mov_b32_e32 v2, 0
	ds_load_2addr_b32 v[3:4], v2 offset0:71 offset1:72
	ds_load_2addr_b32 v[89:90], v2 offset0:73 offset1:74
	;; [unrolled: 1-line block ×3, first 2 shown]
	ds_load_b32 v93, v2 offset:308
	s_mov_b32 s0, exec_lo
	s_waitcnt vmcnt(1) lgkmcnt(3)
	v_fma_f32 v3, v82, v3, 0
	s_delay_alu instid0(VALU_DEP_1) | instskip(SKIP_1) | instid1(VALU_DEP_1)
	v_fmac_f32_e32 v3, v83, v4
	s_waitcnt lgkmcnt(2)
	v_fmac_f32_e32 v3, v84, v89
	s_waitcnt vmcnt(0)
	s_delay_alu instid0(VALU_DEP_1) | instskip(SKIP_1) | instid1(VALU_DEP_1)
	v_fmac_f32_e32 v3, v85, v90
	s_waitcnt lgkmcnt(1)
	v_fmac_f32_e32 v3, v86, v91
	s_delay_alu instid0(VALU_DEP_1) | instskip(SKIP_1) | instid1(VALU_DEP_1)
	v_fmac_f32_e32 v3, v87, v92
	s_waitcnt lgkmcnt(0)
	v_fmac_f32_e32 v3, v88, v93
	s_delay_alu instid0(VALU_DEP_1)
	v_sub_f32_e32 v3, v81, v3
	scratch_store_b32 off, v3, off offset:120
	v_cmpx_lt_u32_e32 29, v0
	s_cbranch_execz .LBB37_177
; %bb.176:
	scratch_load_b32 v3, off, off offset:116
	scratch_store_b32 off, v2, off offset:116
	s_waitcnt vmcnt(0)
	ds_store_b32 v1, v3
.LBB37_177:
	s_or_b32 exec_lo, exec_lo, s0
	s_waitcnt lgkmcnt(0)
	s_waitcnt_vscnt null, 0x0
	s_barrier
	buffer_gl0_inv
	s_clause 0x2
	scratch_load_b128 v[81:84], off, off offset:116
	scratch_load_b128 v[85:88], off, off offset:132
	scratch_load_b32 v3, off, off offset:148
	ds_load_2addr_b64 v[89:92], v2 offset0:35 offset1:36
	ds_load_2addr_b64 v[93:96], v2 offset0:37 offset1:38
	s_mov_b32 s0, exec_lo
	s_waitcnt vmcnt(2) lgkmcnt(1)
	v_fma_f32 v2, v82, v89, 0
	s_delay_alu instid0(VALU_DEP_1) | instskip(NEXT) | instid1(VALU_DEP_1)
	v_fmac_f32_e32 v2, v83, v90
	v_fmac_f32_e32 v2, v84, v91
	s_waitcnt vmcnt(1)
	s_delay_alu instid0(VALU_DEP_1) | instskip(SKIP_1) | instid1(VALU_DEP_1)
	v_fmac_f32_e32 v2, v85, v92
	s_waitcnt lgkmcnt(0)
	v_fmac_f32_e32 v2, v86, v93
	s_delay_alu instid0(VALU_DEP_1) | instskip(NEXT) | instid1(VALU_DEP_1)
	v_fmac_f32_e32 v2, v87, v94
	v_fmac_f32_e32 v2, v88, v95
	s_waitcnt vmcnt(0)
	s_delay_alu instid0(VALU_DEP_1) | instskip(NEXT) | instid1(VALU_DEP_1)
	v_fmac_f32_e32 v2, v3, v96
	v_sub_f32_e32 v2, v81, v2
	scratch_store_b32 off, v2, off offset:116
	v_cmpx_lt_u32_e32 28, v0
	s_cbranch_execz .LBB37_179
; %bb.178:
	scratch_load_b32 v2, off, off offset:112
	v_mov_b32_e32 v3, 0
	scratch_store_b32 off, v3, off offset:112
	s_waitcnt vmcnt(0)
	ds_store_b32 v1, v2
.LBB37_179:
	s_or_b32 exec_lo, exec_lo, s0
	s_waitcnt lgkmcnt(0)
	s_waitcnt_vscnt null, 0x0
	s_barrier
	buffer_gl0_inv
	s_clause 0x2
	scratch_load_b128 v[81:84], off, off offset:112
	scratch_load_b128 v[85:88], off, off offset:128
	scratch_load_b64 v[3:4], off, off offset:144
	v_mov_b32_e32 v2, 0
	ds_load_2addr_b32 v[89:90], v2 offset0:69 offset1:70
	ds_load_2addr_b32 v[91:92], v2 offset0:71 offset1:72
	;; [unrolled: 1-line block ×4, first 2 shown]
	s_mov_b32 s0, exec_lo
	s_waitcnt vmcnt(2) lgkmcnt(3)
	v_fma_f32 v82, v82, v89, 0
	s_delay_alu instid0(VALU_DEP_1) | instskip(SKIP_4) | instid1(VALU_DEP_1)
	v_fmac_f32_e32 v82, v83, v90
	ds_load_b32 v83, v2 offset:308
	s_waitcnt lgkmcnt(3)
	v_fmac_f32_e32 v82, v84, v91
	s_waitcnt vmcnt(1)
	v_fmac_f32_e32 v82, v85, v92
	s_waitcnt lgkmcnt(2)
	s_delay_alu instid0(VALU_DEP_1) | instskip(NEXT) | instid1(VALU_DEP_1)
	v_fmac_f32_e32 v82, v86, v93
	v_fmac_f32_e32 v82, v87, v94
	s_waitcnt lgkmcnt(1)
	s_delay_alu instid0(VALU_DEP_1) | instskip(SKIP_1) | instid1(VALU_DEP_1)
	v_fmac_f32_e32 v82, v88, v95
	s_waitcnt vmcnt(0)
	v_fmac_f32_e32 v82, v3, v96
	s_waitcnt lgkmcnt(0)
	s_delay_alu instid0(VALU_DEP_1) | instskip(NEXT) | instid1(VALU_DEP_1)
	v_fmac_f32_e32 v82, v4, v83
	v_sub_f32_e32 v3, v81, v82
	scratch_store_b32 off, v3, off offset:112
	v_cmpx_lt_u32_e32 27, v0
	s_cbranch_execz .LBB37_181
; %bb.180:
	scratch_load_b32 v3, off, off offset:108
	scratch_store_b32 off, v2, off offset:108
	s_waitcnt vmcnt(0)
	ds_store_b32 v1, v3
.LBB37_181:
	s_or_b32 exec_lo, exec_lo, s0
	s_waitcnt lgkmcnt(0)
	s_waitcnt_vscnt null, 0x0
	s_barrier
	buffer_gl0_inv
	s_clause 0x2
	scratch_load_b128 v[81:84], off, off offset:108
	scratch_load_b128 v[85:88], off, off offset:124
	scratch_load_b96 v[97:99], off, off offset:140
	ds_load_b128 v[89:92], v2 offset:272
	ds_load_b128 v[93:96], v2 offset:288
	ds_load_b64 v[2:3], v2 offset:304
	s_mov_b32 s0, exec_lo
	s_waitcnt vmcnt(2) lgkmcnt(2)
	v_fma_f32 v4, v82, v89, 0
	s_delay_alu instid0(VALU_DEP_1) | instskip(NEXT) | instid1(VALU_DEP_1)
	v_fmac_f32_e32 v4, v83, v90
	v_fmac_f32_e32 v4, v84, v91
	s_waitcnt vmcnt(1)
	s_delay_alu instid0(VALU_DEP_1) | instskip(SKIP_1) | instid1(VALU_DEP_1)
	v_fmac_f32_e32 v4, v85, v92
	s_waitcnt lgkmcnt(1)
	v_fmac_f32_e32 v4, v86, v93
	s_delay_alu instid0(VALU_DEP_1) | instskip(NEXT) | instid1(VALU_DEP_1)
	v_fmac_f32_e32 v4, v87, v94
	v_fmac_f32_e32 v4, v88, v95
	s_waitcnt vmcnt(0)
	s_delay_alu instid0(VALU_DEP_1) | instskip(SKIP_1) | instid1(VALU_DEP_1)
	v_fmac_f32_e32 v4, v97, v96
	s_waitcnt lgkmcnt(0)
	v_fmac_f32_e32 v4, v98, v2
	s_delay_alu instid0(VALU_DEP_1) | instskip(NEXT) | instid1(VALU_DEP_1)
	v_fmac_f32_e32 v4, v99, v3
	v_sub_f32_e32 v2, v81, v4
	scratch_store_b32 off, v2, off offset:108
	v_cmpx_lt_u32_e32 26, v0
	s_cbranch_execz .LBB37_183
; %bb.182:
	scratch_load_b32 v2, off, off offset:104
	v_mov_b32_e32 v3, 0
	scratch_store_b32 off, v3, off offset:104
	s_waitcnt vmcnt(0)
	ds_store_b32 v1, v2
.LBB37_183:
	s_or_b32 exec_lo, exec_lo, s0
	s_waitcnt lgkmcnt(0)
	s_waitcnt_vscnt null, 0x0
	s_barrier
	buffer_gl0_inv
	s_clause 0x2
	scratch_load_b128 v[81:84], off, off offset:104
	scratch_load_b128 v[85:88], off, off offset:120
	;; [unrolled: 1-line block ×3, first 2 shown]
	v_mov_b32_e32 v2, 0
	ds_load_2addr_b32 v[3:4], v2 offset0:67 offset1:68
	ds_load_2addr_b32 v[93:94], v2 offset0:69 offset1:70
	;; [unrolled: 1-line block ×4, first 2 shown]
	s_mov_b32 s0, exec_lo
	s_waitcnt vmcnt(2) lgkmcnt(3)
	v_fma_f32 v82, v82, v3, 0
	s_delay_alu instid0(VALU_DEP_1)
	v_fmac_f32_e32 v82, v83, v4
	ds_load_2addr_b32 v[3:4], v2 offset0:75 offset1:76
	ds_load_b32 v83, v2 offset:308
	s_waitcnt lgkmcnt(4)
	v_fmac_f32_e32 v82, v84, v93
	s_waitcnt vmcnt(1)
	s_delay_alu instid0(VALU_DEP_1) | instskip(SKIP_1) | instid1(VALU_DEP_1)
	v_fmac_f32_e32 v82, v85, v94
	s_waitcnt lgkmcnt(3)
	v_fmac_f32_e32 v82, v86, v95
	s_delay_alu instid0(VALU_DEP_1) | instskip(SKIP_1) | instid1(VALU_DEP_1)
	v_fmac_f32_e32 v82, v87, v96
	s_waitcnt lgkmcnt(2)
	v_fmac_f32_e32 v82, v88, v97
	s_waitcnt vmcnt(0)
	s_delay_alu instid0(VALU_DEP_1) | instskip(SKIP_1) | instid1(VALU_DEP_1)
	v_fmac_f32_e32 v82, v89, v98
	s_waitcnt lgkmcnt(1)
	v_fmac_f32_e32 v82, v90, v3
	s_delay_alu instid0(VALU_DEP_1) | instskip(SKIP_1) | instid1(VALU_DEP_1)
	v_fmac_f32_e32 v82, v91, v4
	s_waitcnt lgkmcnt(0)
	v_fmac_f32_e32 v82, v92, v83
	s_delay_alu instid0(VALU_DEP_1)
	v_sub_f32_e32 v3, v81, v82
	scratch_store_b32 off, v3, off offset:104
	v_cmpx_lt_u32_e32 25, v0
	s_cbranch_execz .LBB37_185
; %bb.184:
	scratch_load_b32 v3, off, off offset:100
	scratch_store_b32 off, v2, off offset:100
	s_waitcnt vmcnt(0)
	ds_store_b32 v1, v3
.LBB37_185:
	s_or_b32 exec_lo, exec_lo, s0
	s_waitcnt lgkmcnt(0)
	s_waitcnt_vscnt null, 0x0
	s_barrier
	buffer_gl0_inv
	s_clause 0x3
	scratch_load_b128 v[81:84], off, off offset:100
	scratch_load_b128 v[85:88], off, off offset:116
	;; [unrolled: 1-line block ×3, first 2 shown]
	scratch_load_b32 v3, off, off offset:148
	ds_load_2addr_b64 v[93:96], v2 offset0:33 offset1:34
	ds_load_2addr_b64 v[97:100], v2 offset0:35 offset1:36
	s_mov_b32 s0, exec_lo
	s_waitcnt vmcnt(3) lgkmcnt(1)
	v_fma_f32 v4, v82, v93, 0
	s_delay_alu instid0(VALU_DEP_1) | instskip(NEXT) | instid1(VALU_DEP_1)
	v_fmac_f32_e32 v4, v83, v94
	v_fmac_f32_e32 v4, v84, v95
	s_waitcnt vmcnt(2)
	s_delay_alu instid0(VALU_DEP_1) | instskip(SKIP_3) | instid1(VALU_DEP_1)
	v_fmac_f32_e32 v4, v85, v96
	ds_load_2addr_b64 v[82:85], v2 offset0:37 offset1:38
	s_waitcnt lgkmcnt(1)
	v_fmac_f32_e32 v4, v86, v97
	v_fmac_f32_e32 v4, v87, v98
	s_delay_alu instid0(VALU_DEP_1) | instskip(SKIP_1) | instid1(VALU_DEP_1)
	v_fmac_f32_e32 v4, v88, v99
	s_waitcnt vmcnt(1)
	v_fmac_f32_e32 v4, v89, v100
	s_waitcnt lgkmcnt(0)
	s_delay_alu instid0(VALU_DEP_1) | instskip(NEXT) | instid1(VALU_DEP_1)
	v_fmac_f32_e32 v4, v90, v82
	v_fmac_f32_e32 v4, v91, v83
	s_delay_alu instid0(VALU_DEP_1) | instskip(SKIP_1) | instid1(VALU_DEP_1)
	v_fmac_f32_e32 v4, v92, v84
	s_waitcnt vmcnt(0)
	v_fmac_f32_e32 v4, v3, v85
	s_delay_alu instid0(VALU_DEP_1)
	v_sub_f32_e32 v2, v81, v4
	scratch_store_b32 off, v2, off offset:100
	v_cmpx_lt_u32_e32 24, v0
	s_cbranch_execz .LBB37_187
; %bb.186:
	scratch_load_b32 v2, off, off offset:96
	v_mov_b32_e32 v3, 0
	scratch_store_b32 off, v3, off offset:96
	s_waitcnt vmcnt(0)
	ds_store_b32 v1, v2
.LBB37_187:
	s_or_b32 exec_lo, exec_lo, s0
	s_waitcnt lgkmcnt(0)
	s_waitcnt_vscnt null, 0x0
	s_barrier
	buffer_gl0_inv
	s_clause 0x3
	scratch_load_b128 v[81:84], off, off offset:96
	scratch_load_b128 v[85:88], off, off offset:112
	;; [unrolled: 1-line block ×3, first 2 shown]
	scratch_load_b64 v[3:4], off, off offset:144
	v_mov_b32_e32 v2, 0
	ds_load_2addr_b32 v[93:94], v2 offset0:65 offset1:66
	ds_load_2addr_b32 v[95:96], v2 offset0:67 offset1:68
	;; [unrolled: 1-line block ×4, first 2 shown]
	s_mov_b32 s0, exec_lo
	s_waitcnt vmcnt(3) lgkmcnt(3)
	v_fma_f32 v93, v82, v93, 0
	s_delay_alu instid0(VALU_DEP_1) | instskip(SKIP_4) | instid1(VALU_DEP_1)
	v_fmac_f32_e32 v93, v83, v94
	ds_load_2addr_b32 v[82:83], v2 offset0:73 offset1:74
	s_waitcnt lgkmcnt(3)
	v_fmac_f32_e32 v93, v84, v95
	s_waitcnt vmcnt(2)
	v_fmac_f32_e32 v93, v85, v96
	ds_load_2addr_b32 v[84:85], v2 offset0:75 offset1:76
	s_waitcnt lgkmcnt(3)
	v_fmac_f32_e32 v93, v86, v97
	ds_load_b32 v86, v2 offset:308
	v_fmac_f32_e32 v93, v87, v98
	s_waitcnt lgkmcnt(3)
	s_delay_alu instid0(VALU_DEP_1) | instskip(SKIP_1) | instid1(VALU_DEP_1)
	v_fmac_f32_e32 v93, v88, v99
	s_waitcnt vmcnt(1)
	v_fmac_f32_e32 v93, v89, v100
	s_waitcnt lgkmcnt(2)
	s_delay_alu instid0(VALU_DEP_1) | instskip(NEXT) | instid1(VALU_DEP_1)
	v_fmac_f32_e32 v93, v90, v82
	v_fmac_f32_e32 v93, v91, v83
	s_waitcnt lgkmcnt(1)
	s_delay_alu instid0(VALU_DEP_1) | instskip(SKIP_1) | instid1(VALU_DEP_1)
	v_fmac_f32_e32 v93, v92, v84
	s_waitcnt vmcnt(0)
	v_fmac_f32_e32 v93, v3, v85
	s_waitcnt lgkmcnt(0)
	s_delay_alu instid0(VALU_DEP_1) | instskip(NEXT) | instid1(VALU_DEP_1)
	v_fmac_f32_e32 v93, v4, v86
	v_sub_f32_e32 v3, v81, v93
	scratch_store_b32 off, v3, off offset:96
	v_cmpx_lt_u32_e32 23, v0
	s_cbranch_execz .LBB37_189
; %bb.188:
	scratch_load_b32 v3, off, off offset:92
	scratch_store_b32 off, v2, off offset:92
	s_waitcnt vmcnt(0)
	ds_store_b32 v1, v3
.LBB37_189:
	s_or_b32 exec_lo, exec_lo, s0
	s_waitcnt lgkmcnt(0)
	s_waitcnt_vscnt null, 0x0
	s_barrier
	buffer_gl0_inv
	s_clause 0x3
	scratch_load_b128 v[81:84], off, off offset:92
	scratch_load_b128 v[85:88], off, off offset:108
	;; [unrolled: 1-line block ×3, first 2 shown]
	scratch_load_b96 v[101:103], off, off offset:140
	ds_load_b128 v[93:96], v2 offset:256
	ds_load_b128 v[97:100], v2 offset:272
	s_mov_b32 s0, exec_lo
	s_waitcnt vmcnt(3) lgkmcnt(1)
	v_fma_f32 v4, v82, v93, 0
	s_delay_alu instid0(VALU_DEP_1) | instskip(NEXT) | instid1(VALU_DEP_1)
	v_fmac_f32_e32 v4, v83, v94
	v_fmac_f32_e32 v4, v84, v95
	s_waitcnt vmcnt(2)
	s_delay_alu instid0(VALU_DEP_1) | instskip(SKIP_4) | instid1(VALU_DEP_1)
	v_fmac_f32_e32 v4, v85, v96
	ds_load_b128 v[82:85], v2 offset:288
	ds_load_b64 v[2:3], v2 offset:304
	s_waitcnt lgkmcnt(2)
	v_fmac_f32_e32 v4, v86, v97
	v_fmac_f32_e32 v4, v87, v98
	s_delay_alu instid0(VALU_DEP_1) | instskip(SKIP_1) | instid1(VALU_DEP_1)
	v_fmac_f32_e32 v4, v88, v99
	s_waitcnt vmcnt(1)
	v_fmac_f32_e32 v4, v89, v100
	s_waitcnt lgkmcnt(1)
	s_delay_alu instid0(VALU_DEP_1) | instskip(NEXT) | instid1(VALU_DEP_1)
	v_fmac_f32_e32 v4, v90, v82
	v_fmac_f32_e32 v4, v91, v83
	s_delay_alu instid0(VALU_DEP_1) | instskip(SKIP_1) | instid1(VALU_DEP_1)
	v_fmac_f32_e32 v4, v92, v84
	s_waitcnt vmcnt(0)
	v_fmac_f32_e32 v4, v101, v85
	s_waitcnt lgkmcnt(0)
	s_delay_alu instid0(VALU_DEP_1) | instskip(NEXT) | instid1(VALU_DEP_1)
	v_fmac_f32_e32 v4, v102, v2
	v_fmac_f32_e32 v4, v103, v3
	s_delay_alu instid0(VALU_DEP_1)
	v_sub_f32_e32 v2, v81, v4
	scratch_store_b32 off, v2, off offset:92
	v_cmpx_lt_u32_e32 22, v0
	s_cbranch_execz .LBB37_191
; %bb.190:
	scratch_load_b32 v2, off, off offset:88
	v_mov_b32_e32 v3, 0
	scratch_store_b32 off, v3, off offset:88
	s_waitcnt vmcnt(0)
	ds_store_b32 v1, v2
.LBB37_191:
	s_or_b32 exec_lo, exec_lo, s0
	s_waitcnt lgkmcnt(0)
	s_waitcnt_vscnt null, 0x0
	s_barrier
	buffer_gl0_inv
	s_clause 0x3
	scratch_load_b128 v[81:84], off, off offset:88
	scratch_load_b128 v[85:88], off, off offset:104
	;; [unrolled: 1-line block ×4, first 2 shown]
	v_mov_b32_e32 v2, 0
	ds_load_2addr_b32 v[3:4], v2 offset0:63 offset1:64
	ds_load_2addr_b32 v[97:98], v2 offset0:65 offset1:66
	;; [unrolled: 1-line block ×4, first 2 shown]
	s_mov_b32 s0, exec_lo
	s_waitcnt vmcnt(3) lgkmcnt(3)
	v_fma_f32 v103, v82, v3, 0
	s_delay_alu instid0(VALU_DEP_1)
	v_fmac_f32_e32 v103, v83, v4
	ds_load_2addr_b32 v[3:4], v2 offset0:71 offset1:72
	ds_load_2addr_b32 v[82:83], v2 offset0:73 offset1:74
	s_waitcnt lgkmcnt(4)
	v_fmac_f32_e32 v103, v84, v97
	s_waitcnt vmcnt(2)
	s_delay_alu instid0(VALU_DEP_1) | instskip(SKIP_1) | instid1(VALU_DEP_1)
	v_fmac_f32_e32 v103, v85, v98
	s_waitcnt lgkmcnt(3)
	v_fmac_f32_e32 v103, v86, v99
	ds_load_2addr_b32 v[84:85], v2 offset0:75 offset1:76
	ds_load_b32 v86, v2 offset:308
	v_fmac_f32_e32 v103, v87, v100
	s_waitcnt lgkmcnt(4)
	s_delay_alu instid0(VALU_DEP_1) | instskip(SKIP_1) | instid1(VALU_DEP_1)
	v_fmac_f32_e32 v103, v88, v101
	s_waitcnt vmcnt(1)
	v_fmac_f32_e32 v103, v89, v102
	s_waitcnt lgkmcnt(3)
	s_delay_alu instid0(VALU_DEP_1) | instskip(NEXT) | instid1(VALU_DEP_1)
	v_fmac_f32_e32 v103, v90, v3
	v_fmac_f32_e32 v103, v91, v4
	s_waitcnt lgkmcnt(2)
	s_delay_alu instid0(VALU_DEP_1) | instskip(SKIP_1) | instid1(VALU_DEP_1)
	v_fmac_f32_e32 v103, v92, v82
	s_waitcnt vmcnt(0)
	v_fmac_f32_e32 v103, v93, v83
	s_waitcnt lgkmcnt(1)
	s_delay_alu instid0(VALU_DEP_1) | instskip(NEXT) | instid1(VALU_DEP_1)
	v_fmac_f32_e32 v103, v94, v84
	v_fmac_f32_e32 v103, v95, v85
	s_waitcnt lgkmcnt(0)
	s_delay_alu instid0(VALU_DEP_1) | instskip(NEXT) | instid1(VALU_DEP_1)
	v_fmac_f32_e32 v103, v96, v86
	v_sub_f32_e32 v3, v81, v103
	scratch_store_b32 off, v3, off offset:88
	v_cmpx_lt_u32_e32 21, v0
	s_cbranch_execz .LBB37_193
; %bb.192:
	scratch_load_b32 v3, off, off offset:84
	scratch_store_b32 off, v2, off offset:84
	s_waitcnt vmcnt(0)
	ds_store_b32 v1, v3
.LBB37_193:
	s_or_b32 exec_lo, exec_lo, s0
	s_waitcnt lgkmcnt(0)
	s_waitcnt_vscnt null, 0x0
	s_barrier
	buffer_gl0_inv
	s_clause 0x4
	scratch_load_b128 v[81:84], off, off offset:84
	scratch_load_b128 v[85:88], off, off offset:100
	scratch_load_b128 v[89:92], off, off offset:116
	scratch_load_b128 v[93:96], off, off offset:132
	scratch_load_b32 v3, off, off offset:148
	ds_load_2addr_b64 v[97:100], v2 offset0:31 offset1:32
	ds_load_2addr_b64 v[101:104], v2 offset0:33 offset1:34
	s_mov_b32 s0, exec_lo
	s_waitcnt vmcnt(4) lgkmcnt(1)
	v_fma_f32 v4, v82, v97, 0
	s_delay_alu instid0(VALU_DEP_1) | instskip(NEXT) | instid1(VALU_DEP_1)
	v_fmac_f32_e32 v4, v83, v98
	v_fmac_f32_e32 v4, v84, v99
	s_waitcnt vmcnt(3)
	s_delay_alu instid0(VALU_DEP_1) | instskip(SKIP_3) | instid1(VALU_DEP_1)
	v_fmac_f32_e32 v4, v85, v100
	ds_load_2addr_b64 v[82:85], v2 offset0:35 offset1:36
	s_waitcnt lgkmcnt(1)
	v_fmac_f32_e32 v4, v86, v101
	v_fmac_f32_e32 v4, v87, v102
	s_delay_alu instid0(VALU_DEP_1) | instskip(SKIP_1) | instid1(VALU_DEP_1)
	v_fmac_f32_e32 v4, v88, v103
	s_waitcnt vmcnt(2)
	v_fmac_f32_e32 v4, v89, v104
	ds_load_2addr_b64 v[86:89], v2 offset0:37 offset1:38
	s_waitcnt lgkmcnt(1)
	v_fmac_f32_e32 v4, v90, v82
	s_delay_alu instid0(VALU_DEP_1) | instskip(NEXT) | instid1(VALU_DEP_1)
	v_fmac_f32_e32 v4, v91, v83
	v_fmac_f32_e32 v4, v92, v84
	s_waitcnt vmcnt(1)
	s_delay_alu instid0(VALU_DEP_1) | instskip(SKIP_1) | instid1(VALU_DEP_1)
	v_fmac_f32_e32 v4, v93, v85
	s_waitcnt lgkmcnt(0)
	v_fmac_f32_e32 v4, v94, v86
	s_delay_alu instid0(VALU_DEP_1) | instskip(NEXT) | instid1(VALU_DEP_1)
	v_fmac_f32_e32 v4, v95, v87
	v_fmac_f32_e32 v4, v96, v88
	s_waitcnt vmcnt(0)
	s_delay_alu instid0(VALU_DEP_1) | instskip(NEXT) | instid1(VALU_DEP_1)
	v_fmac_f32_e32 v4, v3, v89
	v_sub_f32_e32 v2, v81, v4
	scratch_store_b32 off, v2, off offset:84
	v_cmpx_lt_u32_e32 20, v0
	s_cbranch_execz .LBB37_195
; %bb.194:
	scratch_load_b32 v2, off, off offset:80
	v_mov_b32_e32 v3, 0
	scratch_store_b32 off, v3, off offset:80
	s_waitcnt vmcnt(0)
	ds_store_b32 v1, v2
.LBB37_195:
	s_or_b32 exec_lo, exec_lo, s0
	s_waitcnt lgkmcnt(0)
	s_waitcnt_vscnt null, 0x0
	s_barrier
	buffer_gl0_inv
	s_clause 0x4
	scratch_load_b128 v[81:84], off, off offset:80
	scratch_load_b128 v[85:88], off, off offset:96
	;; [unrolled: 1-line block ×4, first 2 shown]
	scratch_load_b64 v[3:4], off, off offset:144
	v_mov_b32_e32 v2, 0
	ds_load_2addr_b32 v[97:98], v2 offset0:61 offset1:62
	ds_load_2addr_b32 v[99:100], v2 offset0:63 offset1:64
	;; [unrolled: 1-line block ×4, first 2 shown]
	s_mov_b32 s0, exec_lo
	s_waitcnt vmcnt(4) lgkmcnt(3)
	v_fma_f32 v97, v82, v97, 0
	s_delay_alu instid0(VALU_DEP_1) | instskip(SKIP_4) | instid1(VALU_DEP_1)
	v_fmac_f32_e32 v97, v83, v98
	ds_load_2addr_b32 v[82:83], v2 offset0:69 offset1:70
	s_waitcnt lgkmcnt(3)
	v_fmac_f32_e32 v97, v84, v99
	s_waitcnt vmcnt(3)
	v_fmac_f32_e32 v97, v85, v100
	ds_load_2addr_b32 v[84:85], v2 offset0:71 offset1:72
	s_waitcnt lgkmcnt(3)
	v_fmac_f32_e32 v97, v86, v101
	s_delay_alu instid0(VALU_DEP_1) | instskip(SKIP_1) | instid1(VALU_DEP_1)
	v_fmac_f32_e32 v97, v87, v102
	s_waitcnt lgkmcnt(2)
	v_fmac_f32_e32 v97, v88, v103
	s_waitcnt vmcnt(2)
	s_delay_alu instid0(VALU_DEP_1)
	v_fmac_f32_e32 v97, v89, v104
	ds_load_2addr_b32 v[86:87], v2 offset0:73 offset1:74
	ds_load_2addr_b32 v[88:89], v2 offset0:75 offset1:76
	s_waitcnt lgkmcnt(3)
	v_fmac_f32_e32 v97, v90, v82
	ds_load_b32 v82, v2 offset:308
	v_fmac_f32_e32 v97, v91, v83
	s_waitcnt lgkmcnt(3)
	s_delay_alu instid0(VALU_DEP_1) | instskip(SKIP_1) | instid1(VALU_DEP_1)
	v_fmac_f32_e32 v97, v92, v84
	s_waitcnt vmcnt(1)
	v_fmac_f32_e32 v97, v93, v85
	s_waitcnt lgkmcnt(2)
	s_delay_alu instid0(VALU_DEP_1) | instskip(NEXT) | instid1(VALU_DEP_1)
	v_fmac_f32_e32 v97, v94, v86
	v_fmac_f32_e32 v97, v95, v87
	s_waitcnt lgkmcnt(1)
	s_delay_alu instid0(VALU_DEP_1) | instskip(SKIP_1) | instid1(VALU_DEP_1)
	v_fmac_f32_e32 v97, v96, v88
	s_waitcnt vmcnt(0)
	v_fmac_f32_e32 v97, v3, v89
	s_waitcnt lgkmcnt(0)
	s_delay_alu instid0(VALU_DEP_1) | instskip(NEXT) | instid1(VALU_DEP_1)
	v_fmac_f32_e32 v97, v4, v82
	v_sub_f32_e32 v3, v81, v97
	scratch_store_b32 off, v3, off offset:80
	v_cmpx_lt_u32_e32 19, v0
	s_cbranch_execz .LBB37_197
; %bb.196:
	scratch_load_b32 v3, off, off offset:76
	scratch_store_b32 off, v2, off offset:76
	s_waitcnt vmcnt(0)
	ds_store_b32 v1, v3
.LBB37_197:
	s_or_b32 exec_lo, exec_lo, s0
	s_waitcnt lgkmcnt(0)
	s_waitcnt_vscnt null, 0x0
	s_barrier
	buffer_gl0_inv
	s_clause 0x4
	scratch_load_b128 v[81:84], off, off offset:76
	scratch_load_b128 v[85:88], off, off offset:92
	;; [unrolled: 1-line block ×4, first 2 shown]
	scratch_load_b96 v[105:107], off, off offset:140
	ds_load_b128 v[97:100], v2 offset:240
	ds_load_b128 v[101:104], v2 offset:256
	s_mov_b32 s0, exec_lo
	s_waitcnt vmcnt(4) lgkmcnt(1)
	v_fma_f32 v4, v82, v97, 0
	s_delay_alu instid0(VALU_DEP_1) | instskip(NEXT) | instid1(VALU_DEP_1)
	v_fmac_f32_e32 v4, v83, v98
	v_fmac_f32_e32 v4, v84, v99
	s_waitcnt vmcnt(3)
	s_delay_alu instid0(VALU_DEP_1) | instskip(SKIP_3) | instid1(VALU_DEP_1)
	v_fmac_f32_e32 v4, v85, v100
	ds_load_b128 v[82:85], v2 offset:272
	s_waitcnt lgkmcnt(1)
	v_fmac_f32_e32 v4, v86, v101
	v_fmac_f32_e32 v4, v87, v102
	s_delay_alu instid0(VALU_DEP_1) | instskip(SKIP_1) | instid1(VALU_DEP_1)
	v_fmac_f32_e32 v4, v88, v103
	s_waitcnt vmcnt(2)
	v_fmac_f32_e32 v4, v89, v104
	ds_load_b128 v[86:89], v2 offset:288
	ds_load_b64 v[2:3], v2 offset:304
	s_waitcnt lgkmcnt(2)
	v_fmac_f32_e32 v4, v90, v82
	s_delay_alu instid0(VALU_DEP_1) | instskip(NEXT) | instid1(VALU_DEP_1)
	v_fmac_f32_e32 v4, v91, v83
	v_fmac_f32_e32 v4, v92, v84
	s_waitcnt vmcnt(1)
	s_delay_alu instid0(VALU_DEP_1) | instskip(SKIP_1) | instid1(VALU_DEP_1)
	v_fmac_f32_e32 v4, v93, v85
	s_waitcnt lgkmcnt(1)
	v_fmac_f32_e32 v4, v94, v86
	s_delay_alu instid0(VALU_DEP_1) | instskip(NEXT) | instid1(VALU_DEP_1)
	v_fmac_f32_e32 v4, v95, v87
	v_fmac_f32_e32 v4, v96, v88
	s_waitcnt vmcnt(0)
	s_delay_alu instid0(VALU_DEP_1) | instskip(SKIP_1) | instid1(VALU_DEP_1)
	v_fmac_f32_e32 v4, v105, v89
	s_waitcnt lgkmcnt(0)
	v_fmac_f32_e32 v4, v106, v2
	s_delay_alu instid0(VALU_DEP_1) | instskip(NEXT) | instid1(VALU_DEP_1)
	v_fmac_f32_e32 v4, v107, v3
	v_sub_f32_e32 v2, v81, v4
	scratch_store_b32 off, v2, off offset:76
	v_cmpx_lt_u32_e32 18, v0
	s_cbranch_execz .LBB37_199
; %bb.198:
	scratch_load_b32 v2, off, off offset:72
	v_mov_b32_e32 v3, 0
	scratch_store_b32 off, v3, off offset:72
	s_waitcnt vmcnt(0)
	ds_store_b32 v1, v2
.LBB37_199:
	s_or_b32 exec_lo, exec_lo, s0
	s_waitcnt lgkmcnt(0)
	s_waitcnt_vscnt null, 0x0
	s_barrier
	buffer_gl0_inv
	s_clause 0x4
	scratch_load_b128 v[81:84], off, off offset:72
	scratch_load_b128 v[85:88], off, off offset:88
	;; [unrolled: 1-line block ×5, first 2 shown]
	v_mov_b32_e32 v2, 0
	ds_load_2addr_b32 v[3:4], v2 offset0:59 offset1:60
	ds_load_2addr_b32 v[101:102], v2 offset0:61 offset1:62
	;; [unrolled: 1-line block ×4, first 2 shown]
	s_mov_b32 s0, exec_lo
	s_waitcnt vmcnt(4) lgkmcnt(3)
	v_fma_f32 v107, v82, v3, 0
	s_delay_alu instid0(VALU_DEP_1)
	v_fmac_f32_e32 v107, v83, v4
	ds_load_2addr_b32 v[3:4], v2 offset0:67 offset1:68
	ds_load_2addr_b32 v[82:83], v2 offset0:69 offset1:70
	s_waitcnt lgkmcnt(4)
	v_fmac_f32_e32 v107, v84, v101
	s_waitcnt vmcnt(3)
	s_delay_alu instid0(VALU_DEP_1) | instskip(SKIP_1) | instid1(VALU_DEP_1)
	v_fmac_f32_e32 v107, v85, v102
	s_waitcnt lgkmcnt(3)
	v_fmac_f32_e32 v107, v86, v103
	s_delay_alu instid0(VALU_DEP_1)
	v_fmac_f32_e32 v107, v87, v104
	ds_load_2addr_b32 v[84:85], v2 offset0:71 offset1:72
	ds_load_2addr_b32 v[86:87], v2 offset0:73 offset1:74
	s_waitcnt lgkmcnt(4)
	v_fmac_f32_e32 v107, v88, v105
	s_waitcnt vmcnt(2)
	s_delay_alu instid0(VALU_DEP_1) | instskip(SKIP_1) | instid1(VALU_DEP_1)
	v_fmac_f32_e32 v107, v89, v106
	s_waitcnt lgkmcnt(3)
	v_fmac_f32_e32 v107, v90, v3
	s_delay_alu instid0(VALU_DEP_1)
	v_fmac_f32_e32 v107, v91, v4
	ds_load_2addr_b32 v[3:4], v2 offset0:75 offset1:76
	s_waitcnt lgkmcnt(3)
	v_fmac_f32_e32 v107, v92, v82
	ds_load_b32 v82, v2 offset:308
	s_waitcnt vmcnt(1)
	v_fmac_f32_e32 v107, v93, v83
	s_waitcnt lgkmcnt(3)
	s_delay_alu instid0(VALU_DEP_1) | instskip(NEXT) | instid1(VALU_DEP_1)
	v_fmac_f32_e32 v107, v94, v84
	v_fmac_f32_e32 v107, v95, v85
	s_waitcnt lgkmcnt(2)
	s_delay_alu instid0(VALU_DEP_1) | instskip(SKIP_1) | instid1(VALU_DEP_1)
	v_fmac_f32_e32 v107, v96, v86
	s_waitcnt vmcnt(0)
	v_fmac_f32_e32 v107, v97, v87
	s_waitcnt lgkmcnt(1)
	s_delay_alu instid0(VALU_DEP_1) | instskip(NEXT) | instid1(VALU_DEP_1)
	v_fmac_f32_e32 v107, v98, v3
	v_fmac_f32_e32 v107, v99, v4
	s_waitcnt lgkmcnt(0)
	s_delay_alu instid0(VALU_DEP_1) | instskip(NEXT) | instid1(VALU_DEP_1)
	v_fmac_f32_e32 v107, v100, v82
	v_sub_f32_e32 v3, v81, v107
	scratch_store_b32 off, v3, off offset:72
	v_cmpx_lt_u32_e32 17, v0
	s_cbranch_execz .LBB37_201
; %bb.200:
	scratch_load_b32 v3, off, off offset:68
	scratch_store_b32 off, v2, off offset:68
	s_waitcnt vmcnt(0)
	ds_store_b32 v1, v3
.LBB37_201:
	s_or_b32 exec_lo, exec_lo, s0
	s_waitcnt lgkmcnt(0)
	s_waitcnt_vscnt null, 0x0
	s_barrier
	buffer_gl0_inv
	s_clause 0x5
	scratch_load_b128 v[81:84], off, off offset:68
	scratch_load_b128 v[85:88], off, off offset:84
	;; [unrolled: 1-line block ×5, first 2 shown]
	scratch_load_b32 v3, off, off offset:148
	ds_load_2addr_b64 v[101:104], v2 offset0:29 offset1:30
	ds_load_2addr_b64 v[105:108], v2 offset0:31 offset1:32
	s_mov_b32 s0, exec_lo
	s_waitcnt vmcnt(5) lgkmcnt(1)
	v_fma_f32 v4, v82, v101, 0
	s_delay_alu instid0(VALU_DEP_1) | instskip(NEXT) | instid1(VALU_DEP_1)
	v_fmac_f32_e32 v4, v83, v102
	v_fmac_f32_e32 v4, v84, v103
	s_waitcnt vmcnt(4)
	s_delay_alu instid0(VALU_DEP_1) | instskip(SKIP_3) | instid1(VALU_DEP_1)
	v_fmac_f32_e32 v4, v85, v104
	ds_load_2addr_b64 v[82:85], v2 offset0:33 offset1:34
	s_waitcnt lgkmcnt(1)
	v_fmac_f32_e32 v4, v86, v105
	v_fmac_f32_e32 v4, v87, v106
	s_delay_alu instid0(VALU_DEP_1) | instskip(SKIP_1) | instid1(VALU_DEP_1)
	v_fmac_f32_e32 v4, v88, v107
	s_waitcnt vmcnt(3)
	v_fmac_f32_e32 v4, v89, v108
	ds_load_2addr_b64 v[86:89], v2 offset0:35 offset1:36
	s_waitcnt lgkmcnt(1)
	v_fmac_f32_e32 v4, v90, v82
	s_delay_alu instid0(VALU_DEP_1) | instskip(NEXT) | instid1(VALU_DEP_1)
	v_fmac_f32_e32 v4, v91, v83
	v_fmac_f32_e32 v4, v92, v84
	s_waitcnt vmcnt(2)
	s_delay_alu instid0(VALU_DEP_1) | instskip(SKIP_3) | instid1(VALU_DEP_1)
	v_fmac_f32_e32 v4, v93, v85
	ds_load_2addr_b64 v[82:85], v2 offset0:37 offset1:38
	s_waitcnt lgkmcnt(1)
	v_fmac_f32_e32 v4, v94, v86
	v_fmac_f32_e32 v4, v95, v87
	s_delay_alu instid0(VALU_DEP_1) | instskip(SKIP_1) | instid1(VALU_DEP_1)
	v_fmac_f32_e32 v4, v96, v88
	s_waitcnt vmcnt(1)
	v_fmac_f32_e32 v4, v97, v89
	s_waitcnt lgkmcnt(0)
	s_delay_alu instid0(VALU_DEP_1) | instskip(NEXT) | instid1(VALU_DEP_1)
	v_fmac_f32_e32 v4, v98, v82
	v_fmac_f32_e32 v4, v99, v83
	s_delay_alu instid0(VALU_DEP_1) | instskip(SKIP_1) | instid1(VALU_DEP_1)
	v_fmac_f32_e32 v4, v100, v84
	s_waitcnt vmcnt(0)
	v_fmac_f32_e32 v4, v3, v85
	s_delay_alu instid0(VALU_DEP_1)
	v_sub_f32_e32 v2, v81, v4
	scratch_store_b32 off, v2, off offset:68
	v_cmpx_lt_u32_e32 16, v0
	s_cbranch_execz .LBB37_203
; %bb.202:
	scratch_load_b32 v2, off, off offset:64
	v_mov_b32_e32 v3, 0
	scratch_store_b32 off, v3, off offset:64
	s_waitcnt vmcnt(0)
	ds_store_b32 v1, v2
.LBB37_203:
	s_or_b32 exec_lo, exec_lo, s0
	s_waitcnt lgkmcnt(0)
	s_waitcnt_vscnt null, 0x0
	s_barrier
	buffer_gl0_inv
	s_clause 0x5
	scratch_load_b128 v[81:84], off, off offset:64
	scratch_load_b128 v[85:88], off, off offset:80
	;; [unrolled: 1-line block ×5, first 2 shown]
	scratch_load_b64 v[3:4], off, off offset:144
	v_mov_b32_e32 v2, 0
	ds_load_2addr_b32 v[101:102], v2 offset0:57 offset1:58
	ds_load_2addr_b32 v[103:104], v2 offset0:59 offset1:60
	ds_load_2addr_b32 v[105:106], v2 offset0:61 offset1:62
	ds_load_2addr_b32 v[107:108], v2 offset0:63 offset1:64
	s_mov_b32 s0, exec_lo
	s_waitcnt vmcnt(5) lgkmcnt(3)
	v_fma_f32 v101, v82, v101, 0
	s_delay_alu instid0(VALU_DEP_1) | instskip(SKIP_4) | instid1(VALU_DEP_1)
	v_fmac_f32_e32 v101, v83, v102
	ds_load_2addr_b32 v[82:83], v2 offset0:65 offset1:66
	s_waitcnt lgkmcnt(3)
	v_fmac_f32_e32 v101, v84, v103
	s_waitcnt vmcnt(4)
	v_fmac_f32_e32 v101, v85, v104
	ds_load_2addr_b32 v[84:85], v2 offset0:67 offset1:68
	s_waitcnt lgkmcnt(3)
	v_fmac_f32_e32 v101, v86, v105
	s_delay_alu instid0(VALU_DEP_1) | instskip(SKIP_1) | instid1(VALU_DEP_1)
	v_fmac_f32_e32 v101, v87, v106
	s_waitcnt lgkmcnt(2)
	v_fmac_f32_e32 v101, v88, v107
	s_waitcnt vmcnt(3)
	s_delay_alu instid0(VALU_DEP_1) | instskip(SKIP_4) | instid1(VALU_DEP_1)
	v_fmac_f32_e32 v101, v89, v108
	ds_load_2addr_b32 v[86:87], v2 offset0:69 offset1:70
	ds_load_2addr_b32 v[88:89], v2 offset0:71 offset1:72
	s_waitcnt lgkmcnt(3)
	v_fmac_f32_e32 v101, v90, v82
	v_fmac_f32_e32 v101, v91, v83
	ds_load_2addr_b32 v[82:83], v2 offset0:73 offset1:74
	s_waitcnt lgkmcnt(3)
	v_fmac_f32_e32 v101, v92, v84
	s_waitcnt vmcnt(2)
	s_delay_alu instid0(VALU_DEP_1)
	v_fmac_f32_e32 v101, v93, v85
	ds_load_2addr_b32 v[84:85], v2 offset0:75 offset1:76
	s_waitcnt lgkmcnt(3)
	v_fmac_f32_e32 v101, v94, v86
	ds_load_b32 v86, v2 offset:308
	v_fmac_f32_e32 v101, v95, v87
	s_waitcnt lgkmcnt(3)
	s_delay_alu instid0(VALU_DEP_1) | instskip(SKIP_1) | instid1(VALU_DEP_1)
	v_fmac_f32_e32 v101, v96, v88
	s_waitcnt vmcnt(1)
	v_fmac_f32_e32 v101, v97, v89
	s_waitcnt lgkmcnt(2)
	s_delay_alu instid0(VALU_DEP_1) | instskip(NEXT) | instid1(VALU_DEP_1)
	v_fmac_f32_e32 v101, v98, v82
	v_fmac_f32_e32 v101, v99, v83
	s_waitcnt lgkmcnt(1)
	s_delay_alu instid0(VALU_DEP_1) | instskip(SKIP_1) | instid1(VALU_DEP_1)
	v_fmac_f32_e32 v101, v100, v84
	s_waitcnt vmcnt(0)
	v_fmac_f32_e32 v101, v3, v85
	s_waitcnt lgkmcnt(0)
	s_delay_alu instid0(VALU_DEP_1) | instskip(NEXT) | instid1(VALU_DEP_1)
	v_fmac_f32_e32 v101, v4, v86
	v_sub_f32_e32 v3, v81, v101
	scratch_store_b32 off, v3, off offset:64
	v_cmpx_lt_u32_e32 15, v0
	s_cbranch_execz .LBB37_205
; %bb.204:
	scratch_load_b32 v3, off, off offset:60
	scratch_store_b32 off, v2, off offset:60
	s_waitcnt vmcnt(0)
	ds_store_b32 v1, v3
.LBB37_205:
	s_or_b32 exec_lo, exec_lo, s0
	s_waitcnt lgkmcnt(0)
	s_waitcnt_vscnt null, 0x0
	s_barrier
	buffer_gl0_inv
	s_clause 0x5
	scratch_load_b128 v[81:84], off, off offset:60
	scratch_load_b128 v[85:88], off, off offset:76
	;; [unrolled: 1-line block ×5, first 2 shown]
	scratch_load_b96 v[109:111], off, off offset:140
	ds_load_b128 v[101:104], v2 offset:224
	ds_load_b128 v[105:108], v2 offset:240
	s_mov_b32 s0, exec_lo
	s_waitcnt vmcnt(5) lgkmcnt(1)
	v_fma_f32 v4, v82, v101, 0
	s_delay_alu instid0(VALU_DEP_1) | instskip(NEXT) | instid1(VALU_DEP_1)
	v_fmac_f32_e32 v4, v83, v102
	v_fmac_f32_e32 v4, v84, v103
	s_waitcnt vmcnt(4)
	s_delay_alu instid0(VALU_DEP_1) | instskip(SKIP_3) | instid1(VALU_DEP_1)
	v_fmac_f32_e32 v4, v85, v104
	ds_load_b128 v[82:85], v2 offset:256
	s_waitcnt lgkmcnt(1)
	v_fmac_f32_e32 v4, v86, v105
	v_fmac_f32_e32 v4, v87, v106
	s_delay_alu instid0(VALU_DEP_1) | instskip(SKIP_1) | instid1(VALU_DEP_1)
	v_fmac_f32_e32 v4, v88, v107
	s_waitcnt vmcnt(3)
	v_fmac_f32_e32 v4, v89, v108
	ds_load_b128 v[86:89], v2 offset:272
	s_waitcnt lgkmcnt(1)
	v_fmac_f32_e32 v4, v90, v82
	s_delay_alu instid0(VALU_DEP_1) | instskip(NEXT) | instid1(VALU_DEP_1)
	v_fmac_f32_e32 v4, v91, v83
	v_fmac_f32_e32 v4, v92, v84
	s_waitcnt vmcnt(2)
	s_delay_alu instid0(VALU_DEP_1) | instskip(SKIP_4) | instid1(VALU_DEP_1)
	v_fmac_f32_e32 v4, v93, v85
	ds_load_b128 v[82:85], v2 offset:288
	ds_load_b64 v[2:3], v2 offset:304
	s_waitcnt lgkmcnt(2)
	v_fmac_f32_e32 v4, v94, v86
	v_fmac_f32_e32 v4, v95, v87
	s_delay_alu instid0(VALU_DEP_1) | instskip(SKIP_1) | instid1(VALU_DEP_1)
	v_fmac_f32_e32 v4, v96, v88
	s_waitcnt vmcnt(1)
	v_fmac_f32_e32 v4, v97, v89
	s_waitcnt lgkmcnt(1)
	s_delay_alu instid0(VALU_DEP_1) | instskip(NEXT) | instid1(VALU_DEP_1)
	v_fmac_f32_e32 v4, v98, v82
	v_fmac_f32_e32 v4, v99, v83
	s_delay_alu instid0(VALU_DEP_1) | instskip(SKIP_1) | instid1(VALU_DEP_1)
	v_fmac_f32_e32 v4, v100, v84
	s_waitcnt vmcnt(0)
	v_fmac_f32_e32 v4, v109, v85
	s_waitcnt lgkmcnt(0)
	s_delay_alu instid0(VALU_DEP_1) | instskip(NEXT) | instid1(VALU_DEP_1)
	v_fmac_f32_e32 v4, v110, v2
	v_fmac_f32_e32 v4, v111, v3
	s_delay_alu instid0(VALU_DEP_1)
	v_sub_f32_e32 v2, v81, v4
	scratch_store_b32 off, v2, off offset:60
	v_cmpx_lt_u32_e32 14, v0
	s_cbranch_execz .LBB37_207
; %bb.206:
	scratch_load_b32 v2, off, off offset:56
	v_mov_b32_e32 v3, 0
	scratch_store_b32 off, v3, off offset:56
	s_waitcnt vmcnt(0)
	ds_store_b32 v1, v2
.LBB37_207:
	s_or_b32 exec_lo, exec_lo, s0
	s_waitcnt lgkmcnt(0)
	s_waitcnt_vscnt null, 0x0
	s_barrier
	buffer_gl0_inv
	s_clause 0x5
	scratch_load_b128 v[81:84], off, off offset:56
	scratch_load_b128 v[85:88], off, off offset:72
	;; [unrolled: 1-line block ×6, first 2 shown]
	v_mov_b32_e32 v2, 0
	ds_load_2addr_b32 v[3:4], v2 offset0:55 offset1:56
	ds_load_2addr_b32 v[105:106], v2 offset0:57 offset1:58
	;; [unrolled: 1-line block ×4, first 2 shown]
	s_mov_b32 s0, exec_lo
	s_waitcnt vmcnt(5) lgkmcnt(3)
	v_fma_f32 v111, v82, v3, 0
	s_delay_alu instid0(VALU_DEP_1)
	v_fmac_f32_e32 v111, v83, v4
	ds_load_2addr_b32 v[3:4], v2 offset0:63 offset1:64
	ds_load_2addr_b32 v[82:83], v2 offset0:65 offset1:66
	s_waitcnt lgkmcnt(4)
	v_fmac_f32_e32 v111, v84, v105
	s_waitcnt vmcnt(4)
	s_delay_alu instid0(VALU_DEP_1) | instskip(SKIP_1) | instid1(VALU_DEP_1)
	v_fmac_f32_e32 v111, v85, v106
	s_waitcnt lgkmcnt(3)
	v_fmac_f32_e32 v111, v86, v107
	s_delay_alu instid0(VALU_DEP_1)
	v_fmac_f32_e32 v111, v87, v108
	ds_load_2addr_b32 v[84:85], v2 offset0:67 offset1:68
	ds_load_2addr_b32 v[86:87], v2 offset0:69 offset1:70
	s_waitcnt lgkmcnt(4)
	v_fmac_f32_e32 v111, v88, v109
	s_waitcnt vmcnt(3)
	s_delay_alu instid0(VALU_DEP_1) | instskip(SKIP_1) | instid1(VALU_DEP_1)
	v_fmac_f32_e32 v111, v89, v110
	s_waitcnt lgkmcnt(3)
	v_fmac_f32_e32 v111, v90, v3
	s_delay_alu instid0(VALU_DEP_1) | instskip(SKIP_4) | instid1(VALU_DEP_1)
	v_fmac_f32_e32 v111, v91, v4
	ds_load_2addr_b32 v[3:4], v2 offset0:71 offset1:72
	s_waitcnt lgkmcnt(3)
	v_fmac_f32_e32 v111, v92, v82
	s_waitcnt vmcnt(2)
	v_fmac_f32_e32 v111, v93, v83
	ds_load_2addr_b32 v[82:83], v2 offset0:73 offset1:74
	s_waitcnt lgkmcnt(3)
	v_fmac_f32_e32 v111, v94, v84
	s_delay_alu instid0(VALU_DEP_1) | instskip(SKIP_1) | instid1(VALU_DEP_1)
	v_fmac_f32_e32 v111, v95, v85
	s_waitcnt lgkmcnt(2)
	v_fmac_f32_e32 v111, v96, v86
	ds_load_2addr_b32 v[84:85], v2 offset0:75 offset1:76
	ds_load_b32 v86, v2 offset:308
	s_waitcnt vmcnt(1)
	v_fmac_f32_e32 v111, v97, v87
	s_waitcnt lgkmcnt(3)
	s_delay_alu instid0(VALU_DEP_1) | instskip(NEXT) | instid1(VALU_DEP_1)
	v_fmac_f32_e32 v111, v98, v3
	v_fmac_f32_e32 v111, v99, v4
	s_waitcnt lgkmcnt(2)
	s_delay_alu instid0(VALU_DEP_1) | instskip(SKIP_1) | instid1(VALU_DEP_1)
	v_fmac_f32_e32 v111, v100, v82
	s_waitcnt vmcnt(0)
	v_fmac_f32_e32 v111, v101, v83
	s_waitcnt lgkmcnt(1)
	s_delay_alu instid0(VALU_DEP_1) | instskip(NEXT) | instid1(VALU_DEP_1)
	v_fmac_f32_e32 v111, v102, v84
	v_fmac_f32_e32 v111, v103, v85
	s_waitcnt lgkmcnt(0)
	s_delay_alu instid0(VALU_DEP_1) | instskip(NEXT) | instid1(VALU_DEP_1)
	v_fmac_f32_e32 v111, v104, v86
	v_sub_f32_e32 v3, v81, v111
	scratch_store_b32 off, v3, off offset:56
	v_cmpx_lt_u32_e32 13, v0
	s_cbranch_execz .LBB37_209
; %bb.208:
	scratch_load_b32 v3, off, off offset:52
	scratch_store_b32 off, v2, off offset:52
	s_waitcnt vmcnt(0)
	ds_store_b32 v1, v3
.LBB37_209:
	s_or_b32 exec_lo, exec_lo, s0
	s_waitcnt lgkmcnt(0)
	s_waitcnt_vscnt null, 0x0
	s_barrier
	buffer_gl0_inv
	s_clause 0x6
	scratch_load_b128 v[81:84], off, off offset:52
	scratch_load_b128 v[85:88], off, off offset:68
	;; [unrolled: 1-line block ×6, first 2 shown]
	scratch_load_b32 v3, off, off offset:148
	ds_load_2addr_b64 v[105:108], v2 offset0:27 offset1:28
	ds_load_2addr_b64 v[109:112], v2 offset0:29 offset1:30
	s_mov_b32 s0, exec_lo
	s_waitcnt vmcnt(6) lgkmcnt(1)
	v_fma_f32 v4, v82, v105, 0
	s_delay_alu instid0(VALU_DEP_1) | instskip(NEXT) | instid1(VALU_DEP_1)
	v_fmac_f32_e32 v4, v83, v106
	v_fmac_f32_e32 v4, v84, v107
	s_waitcnt vmcnt(5)
	s_delay_alu instid0(VALU_DEP_1) | instskip(SKIP_3) | instid1(VALU_DEP_1)
	v_fmac_f32_e32 v4, v85, v108
	ds_load_2addr_b64 v[82:85], v2 offset0:31 offset1:32
	s_waitcnt lgkmcnt(1)
	v_fmac_f32_e32 v4, v86, v109
	v_fmac_f32_e32 v4, v87, v110
	s_delay_alu instid0(VALU_DEP_1) | instskip(SKIP_1) | instid1(VALU_DEP_1)
	v_fmac_f32_e32 v4, v88, v111
	s_waitcnt vmcnt(4)
	v_fmac_f32_e32 v4, v89, v112
	ds_load_2addr_b64 v[86:89], v2 offset0:33 offset1:34
	s_waitcnt lgkmcnt(1)
	v_fmac_f32_e32 v4, v90, v82
	s_delay_alu instid0(VALU_DEP_1) | instskip(NEXT) | instid1(VALU_DEP_1)
	v_fmac_f32_e32 v4, v91, v83
	v_fmac_f32_e32 v4, v92, v84
	s_waitcnt vmcnt(3)
	s_delay_alu instid0(VALU_DEP_1) | instskip(SKIP_3) | instid1(VALU_DEP_1)
	v_fmac_f32_e32 v4, v93, v85
	ds_load_2addr_b64 v[82:85], v2 offset0:35 offset1:36
	s_waitcnt lgkmcnt(1)
	v_fmac_f32_e32 v4, v94, v86
	v_fmac_f32_e32 v4, v95, v87
	s_delay_alu instid0(VALU_DEP_1) | instskip(SKIP_1) | instid1(VALU_DEP_1)
	v_fmac_f32_e32 v4, v96, v88
	s_waitcnt vmcnt(2)
	v_fmac_f32_e32 v4, v97, v89
	ds_load_2addr_b64 v[86:89], v2 offset0:37 offset1:38
	s_waitcnt lgkmcnt(1)
	v_fmac_f32_e32 v4, v98, v82
	s_delay_alu instid0(VALU_DEP_1) | instskip(NEXT) | instid1(VALU_DEP_1)
	v_fmac_f32_e32 v4, v99, v83
	v_fmac_f32_e32 v4, v100, v84
	s_waitcnt vmcnt(1)
	s_delay_alu instid0(VALU_DEP_1) | instskip(SKIP_1) | instid1(VALU_DEP_1)
	v_fmac_f32_e32 v4, v101, v85
	s_waitcnt lgkmcnt(0)
	v_fmac_f32_e32 v4, v102, v86
	s_delay_alu instid0(VALU_DEP_1) | instskip(NEXT) | instid1(VALU_DEP_1)
	v_fmac_f32_e32 v4, v103, v87
	v_fmac_f32_e32 v4, v104, v88
	s_waitcnt vmcnt(0)
	s_delay_alu instid0(VALU_DEP_1) | instskip(NEXT) | instid1(VALU_DEP_1)
	v_fmac_f32_e32 v4, v3, v89
	v_sub_f32_e32 v2, v81, v4
	scratch_store_b32 off, v2, off offset:52
	v_cmpx_lt_u32_e32 12, v0
	s_cbranch_execz .LBB37_211
; %bb.210:
	scratch_load_b32 v2, off, off offset:48
	v_mov_b32_e32 v3, 0
	scratch_store_b32 off, v3, off offset:48
	s_waitcnt vmcnt(0)
	ds_store_b32 v1, v2
.LBB37_211:
	s_or_b32 exec_lo, exec_lo, s0
	s_waitcnt lgkmcnt(0)
	s_waitcnt_vscnt null, 0x0
	s_barrier
	buffer_gl0_inv
	s_clause 0x6
	scratch_load_b128 v[81:84], off, off offset:48
	scratch_load_b128 v[85:88], off, off offset:64
	;; [unrolled: 1-line block ×6, first 2 shown]
	scratch_load_b64 v[3:4], off, off offset:144
	v_mov_b32_e32 v2, 0
	ds_load_2addr_b32 v[105:106], v2 offset0:53 offset1:54
	ds_load_2addr_b32 v[107:108], v2 offset0:55 offset1:56
	;; [unrolled: 1-line block ×4, first 2 shown]
	s_mov_b32 s0, exec_lo
	s_waitcnt vmcnt(6) lgkmcnt(3)
	v_fma_f32 v105, v82, v105, 0
	s_delay_alu instid0(VALU_DEP_1) | instskip(SKIP_4) | instid1(VALU_DEP_1)
	v_fmac_f32_e32 v105, v83, v106
	ds_load_2addr_b32 v[82:83], v2 offset0:61 offset1:62
	s_waitcnt lgkmcnt(3)
	v_fmac_f32_e32 v105, v84, v107
	s_waitcnt vmcnt(5)
	v_fmac_f32_e32 v105, v85, v108
	ds_load_2addr_b32 v[84:85], v2 offset0:63 offset1:64
	s_waitcnt lgkmcnt(3)
	v_fmac_f32_e32 v105, v86, v109
	s_delay_alu instid0(VALU_DEP_1) | instskip(SKIP_1) | instid1(VALU_DEP_1)
	v_fmac_f32_e32 v105, v87, v110
	s_waitcnt lgkmcnt(2)
	v_fmac_f32_e32 v105, v88, v111
	s_waitcnt vmcnt(4)
	s_delay_alu instid0(VALU_DEP_1) | instskip(SKIP_4) | instid1(VALU_DEP_1)
	v_fmac_f32_e32 v105, v89, v112
	ds_load_2addr_b32 v[86:87], v2 offset0:65 offset1:66
	ds_load_2addr_b32 v[88:89], v2 offset0:67 offset1:68
	s_waitcnt lgkmcnt(3)
	v_fmac_f32_e32 v105, v90, v82
	v_fmac_f32_e32 v105, v91, v83
	ds_load_2addr_b32 v[82:83], v2 offset0:69 offset1:70
	s_waitcnt lgkmcnt(3)
	v_fmac_f32_e32 v105, v92, v84
	s_waitcnt vmcnt(3)
	s_delay_alu instid0(VALU_DEP_1) | instskip(SKIP_3) | instid1(VALU_DEP_1)
	v_fmac_f32_e32 v105, v93, v85
	ds_load_2addr_b32 v[84:85], v2 offset0:71 offset1:72
	s_waitcnt lgkmcnt(3)
	v_fmac_f32_e32 v105, v94, v86
	v_fmac_f32_e32 v105, v95, v87
	s_waitcnt lgkmcnt(2)
	s_delay_alu instid0(VALU_DEP_1) | instskip(SKIP_1) | instid1(VALU_DEP_1)
	v_fmac_f32_e32 v105, v96, v88
	s_waitcnt vmcnt(2)
	v_fmac_f32_e32 v105, v97, v89
	ds_load_2addr_b32 v[86:87], v2 offset0:73 offset1:74
	ds_load_2addr_b32 v[88:89], v2 offset0:75 offset1:76
	s_waitcnt lgkmcnt(3)
	v_fmac_f32_e32 v105, v98, v82
	ds_load_b32 v82, v2 offset:308
	v_fmac_f32_e32 v105, v99, v83
	s_waitcnt lgkmcnt(3)
	s_delay_alu instid0(VALU_DEP_1) | instskip(SKIP_1) | instid1(VALU_DEP_1)
	v_fmac_f32_e32 v105, v100, v84
	s_waitcnt vmcnt(1)
	v_fmac_f32_e32 v105, v101, v85
	s_waitcnt lgkmcnt(2)
	s_delay_alu instid0(VALU_DEP_1) | instskip(NEXT) | instid1(VALU_DEP_1)
	v_fmac_f32_e32 v105, v102, v86
	v_fmac_f32_e32 v105, v103, v87
	s_waitcnt lgkmcnt(1)
	s_delay_alu instid0(VALU_DEP_1) | instskip(SKIP_1) | instid1(VALU_DEP_1)
	v_fmac_f32_e32 v105, v104, v88
	s_waitcnt vmcnt(0)
	v_fmac_f32_e32 v105, v3, v89
	s_waitcnt lgkmcnt(0)
	s_delay_alu instid0(VALU_DEP_1) | instskip(NEXT) | instid1(VALU_DEP_1)
	v_fmac_f32_e32 v105, v4, v82
	v_sub_f32_e32 v3, v81, v105
	scratch_store_b32 off, v3, off offset:48
	v_cmpx_lt_u32_e32 11, v0
	s_cbranch_execz .LBB37_213
; %bb.212:
	scratch_load_b32 v3, off, off offset:44
	scratch_store_b32 off, v2, off offset:44
	s_waitcnt vmcnt(0)
	ds_store_b32 v1, v3
.LBB37_213:
	s_or_b32 exec_lo, exec_lo, s0
	s_waitcnt lgkmcnt(0)
	s_waitcnt_vscnt null, 0x0
	s_barrier
	buffer_gl0_inv
	s_clause 0x6
	scratch_load_b128 v[81:84], off, off offset:44
	scratch_load_b128 v[85:88], off, off offset:60
	;; [unrolled: 1-line block ×6, first 2 shown]
	scratch_load_b96 v[113:115], off, off offset:140
	ds_load_b128 v[105:108], v2 offset:208
	ds_load_b128 v[109:112], v2 offset:224
	s_mov_b32 s0, exec_lo
	s_waitcnt vmcnt(6) lgkmcnt(1)
	v_fma_f32 v4, v82, v105, 0
	s_delay_alu instid0(VALU_DEP_1) | instskip(NEXT) | instid1(VALU_DEP_1)
	v_fmac_f32_e32 v4, v83, v106
	v_fmac_f32_e32 v4, v84, v107
	s_waitcnt vmcnt(5)
	s_delay_alu instid0(VALU_DEP_1) | instskip(SKIP_3) | instid1(VALU_DEP_1)
	v_fmac_f32_e32 v4, v85, v108
	ds_load_b128 v[82:85], v2 offset:240
	s_waitcnt lgkmcnt(1)
	v_fmac_f32_e32 v4, v86, v109
	v_fmac_f32_e32 v4, v87, v110
	s_delay_alu instid0(VALU_DEP_1) | instskip(SKIP_1) | instid1(VALU_DEP_1)
	v_fmac_f32_e32 v4, v88, v111
	s_waitcnt vmcnt(4)
	v_fmac_f32_e32 v4, v89, v112
	ds_load_b128 v[86:89], v2 offset:256
	s_waitcnt lgkmcnt(1)
	v_fmac_f32_e32 v4, v90, v82
	s_delay_alu instid0(VALU_DEP_1) | instskip(NEXT) | instid1(VALU_DEP_1)
	v_fmac_f32_e32 v4, v91, v83
	v_fmac_f32_e32 v4, v92, v84
	s_waitcnt vmcnt(3)
	s_delay_alu instid0(VALU_DEP_1) | instskip(SKIP_3) | instid1(VALU_DEP_1)
	v_fmac_f32_e32 v4, v93, v85
	ds_load_b128 v[82:85], v2 offset:272
	s_waitcnt lgkmcnt(1)
	v_fmac_f32_e32 v4, v94, v86
	v_fmac_f32_e32 v4, v95, v87
	s_delay_alu instid0(VALU_DEP_1) | instskip(SKIP_1) | instid1(VALU_DEP_1)
	v_fmac_f32_e32 v4, v96, v88
	s_waitcnt vmcnt(2)
	v_fmac_f32_e32 v4, v97, v89
	ds_load_b128 v[86:89], v2 offset:288
	ds_load_b64 v[2:3], v2 offset:304
	s_waitcnt lgkmcnt(2)
	v_fmac_f32_e32 v4, v98, v82
	s_delay_alu instid0(VALU_DEP_1) | instskip(NEXT) | instid1(VALU_DEP_1)
	v_fmac_f32_e32 v4, v99, v83
	v_fmac_f32_e32 v4, v100, v84
	s_waitcnt vmcnt(1)
	s_delay_alu instid0(VALU_DEP_1) | instskip(SKIP_1) | instid1(VALU_DEP_1)
	v_fmac_f32_e32 v4, v101, v85
	s_waitcnt lgkmcnt(1)
	v_fmac_f32_e32 v4, v102, v86
	s_delay_alu instid0(VALU_DEP_1) | instskip(NEXT) | instid1(VALU_DEP_1)
	v_fmac_f32_e32 v4, v103, v87
	v_fmac_f32_e32 v4, v104, v88
	s_waitcnt vmcnt(0)
	s_delay_alu instid0(VALU_DEP_1) | instskip(SKIP_1) | instid1(VALU_DEP_1)
	v_fmac_f32_e32 v4, v113, v89
	s_waitcnt lgkmcnt(0)
	v_fmac_f32_e32 v4, v114, v2
	s_delay_alu instid0(VALU_DEP_1) | instskip(NEXT) | instid1(VALU_DEP_1)
	v_fmac_f32_e32 v4, v115, v3
	v_sub_f32_e32 v2, v81, v4
	scratch_store_b32 off, v2, off offset:44
	v_cmpx_lt_u32_e32 10, v0
	s_cbranch_execz .LBB37_215
; %bb.214:
	scratch_load_b32 v2, off, off offset:40
	v_mov_b32_e32 v3, 0
	scratch_store_b32 off, v3, off offset:40
	s_waitcnt vmcnt(0)
	ds_store_b32 v1, v2
.LBB37_215:
	s_or_b32 exec_lo, exec_lo, s0
	s_waitcnt lgkmcnt(0)
	s_waitcnt_vscnt null, 0x0
	s_barrier
	buffer_gl0_inv
	s_clause 0x6
	scratch_load_b128 v[81:84], off, off offset:40
	scratch_load_b128 v[85:88], off, off offset:56
	;; [unrolled: 1-line block ×7, first 2 shown]
	v_mov_b32_e32 v2, 0
	ds_load_2addr_b32 v[3:4], v2 offset0:51 offset1:52
	ds_load_2addr_b32 v[109:110], v2 offset0:53 offset1:54
	;; [unrolled: 1-line block ×4, first 2 shown]
	s_mov_b32 s0, exec_lo
	s_waitcnt vmcnt(6) lgkmcnt(3)
	v_fma_f32 v115, v82, v3, 0
	s_delay_alu instid0(VALU_DEP_1)
	v_fmac_f32_e32 v115, v83, v4
	ds_load_2addr_b32 v[3:4], v2 offset0:59 offset1:60
	ds_load_2addr_b32 v[82:83], v2 offset0:61 offset1:62
	s_waitcnt lgkmcnt(4)
	v_fmac_f32_e32 v115, v84, v109
	s_waitcnt vmcnt(5)
	s_delay_alu instid0(VALU_DEP_1) | instskip(SKIP_1) | instid1(VALU_DEP_1)
	v_fmac_f32_e32 v115, v85, v110
	s_waitcnt lgkmcnt(3)
	v_fmac_f32_e32 v115, v86, v111
	s_delay_alu instid0(VALU_DEP_1)
	v_fmac_f32_e32 v115, v87, v112
	ds_load_2addr_b32 v[84:85], v2 offset0:63 offset1:64
	ds_load_2addr_b32 v[86:87], v2 offset0:65 offset1:66
	s_waitcnt lgkmcnt(4)
	v_fmac_f32_e32 v115, v88, v113
	s_waitcnt vmcnt(4)
	s_delay_alu instid0(VALU_DEP_1) | instskip(SKIP_1) | instid1(VALU_DEP_1)
	v_fmac_f32_e32 v115, v89, v114
	s_waitcnt lgkmcnt(3)
	v_fmac_f32_e32 v115, v90, v3
	s_delay_alu instid0(VALU_DEP_1) | instskip(SKIP_4) | instid1(VALU_DEP_1)
	v_fmac_f32_e32 v115, v91, v4
	ds_load_2addr_b32 v[3:4], v2 offset0:67 offset1:68
	s_waitcnt lgkmcnt(3)
	v_fmac_f32_e32 v115, v92, v82
	s_waitcnt vmcnt(3)
	v_fmac_f32_e32 v115, v93, v83
	ds_load_2addr_b32 v[82:83], v2 offset0:69 offset1:70
	s_waitcnt lgkmcnt(3)
	v_fmac_f32_e32 v115, v94, v84
	s_delay_alu instid0(VALU_DEP_1) | instskip(SKIP_1) | instid1(VALU_DEP_1)
	v_fmac_f32_e32 v115, v95, v85
	s_waitcnt lgkmcnt(2)
	v_fmac_f32_e32 v115, v96, v86
	s_waitcnt vmcnt(2)
	s_delay_alu instid0(VALU_DEP_1) | instskip(SKIP_4) | instid1(VALU_DEP_1)
	v_fmac_f32_e32 v115, v97, v87
	ds_load_2addr_b32 v[84:85], v2 offset0:71 offset1:72
	ds_load_2addr_b32 v[86:87], v2 offset0:73 offset1:74
	s_waitcnt lgkmcnt(3)
	v_fmac_f32_e32 v115, v98, v3
	v_fmac_f32_e32 v115, v99, v4
	ds_load_2addr_b32 v[3:4], v2 offset0:75 offset1:76
	s_waitcnt lgkmcnt(3)
	v_fmac_f32_e32 v115, v100, v82
	ds_load_b32 v82, v2 offset:308
	s_waitcnt vmcnt(1)
	v_fmac_f32_e32 v115, v101, v83
	s_waitcnt lgkmcnt(3)
	s_delay_alu instid0(VALU_DEP_1) | instskip(NEXT) | instid1(VALU_DEP_1)
	v_fmac_f32_e32 v115, v102, v84
	v_fmac_f32_e32 v115, v103, v85
	s_waitcnt lgkmcnt(2)
	s_delay_alu instid0(VALU_DEP_1) | instskip(SKIP_1) | instid1(VALU_DEP_1)
	v_fmac_f32_e32 v115, v104, v86
	s_waitcnt vmcnt(0)
	v_fmac_f32_e32 v115, v105, v87
	s_waitcnt lgkmcnt(1)
	s_delay_alu instid0(VALU_DEP_1) | instskip(NEXT) | instid1(VALU_DEP_1)
	v_fmac_f32_e32 v115, v106, v3
	v_fmac_f32_e32 v115, v107, v4
	s_waitcnt lgkmcnt(0)
	s_delay_alu instid0(VALU_DEP_1) | instskip(NEXT) | instid1(VALU_DEP_1)
	v_fmac_f32_e32 v115, v108, v82
	v_sub_f32_e32 v3, v81, v115
	scratch_store_b32 off, v3, off offset:40
	v_cmpx_lt_u32_e32 9, v0
	s_cbranch_execz .LBB37_217
; %bb.216:
	scratch_load_b32 v3, off, off offset:36
	scratch_store_b32 off, v2, off offset:36
	s_waitcnt vmcnt(0)
	ds_store_b32 v1, v3
.LBB37_217:
	s_or_b32 exec_lo, exec_lo, s0
	s_waitcnt lgkmcnt(0)
	s_waitcnt_vscnt null, 0x0
	s_barrier
	buffer_gl0_inv
	s_clause 0x7
	scratch_load_b128 v[81:84], off, off offset:36
	scratch_load_b128 v[85:88], off, off offset:52
	;; [unrolled: 1-line block ×7, first 2 shown]
	scratch_load_b32 v3, off, off offset:148
	ds_load_2addr_b64 v[109:112], v2 offset0:25 offset1:26
	ds_load_2addr_b64 v[113:116], v2 offset0:27 offset1:28
	s_mov_b32 s0, exec_lo
	s_waitcnt vmcnt(7) lgkmcnt(1)
	v_fma_f32 v4, v82, v109, 0
	s_delay_alu instid0(VALU_DEP_1) | instskip(NEXT) | instid1(VALU_DEP_1)
	v_fmac_f32_e32 v4, v83, v110
	v_fmac_f32_e32 v4, v84, v111
	s_waitcnt vmcnt(6)
	s_delay_alu instid0(VALU_DEP_1) | instskip(SKIP_3) | instid1(VALU_DEP_1)
	v_fmac_f32_e32 v4, v85, v112
	ds_load_2addr_b64 v[82:85], v2 offset0:29 offset1:30
	s_waitcnt lgkmcnt(1)
	v_fmac_f32_e32 v4, v86, v113
	v_fmac_f32_e32 v4, v87, v114
	s_delay_alu instid0(VALU_DEP_1) | instskip(SKIP_1) | instid1(VALU_DEP_1)
	v_fmac_f32_e32 v4, v88, v115
	s_waitcnt vmcnt(5)
	v_fmac_f32_e32 v4, v89, v116
	ds_load_2addr_b64 v[86:89], v2 offset0:31 offset1:32
	s_waitcnt lgkmcnt(1)
	v_fmac_f32_e32 v4, v90, v82
	s_delay_alu instid0(VALU_DEP_1) | instskip(NEXT) | instid1(VALU_DEP_1)
	v_fmac_f32_e32 v4, v91, v83
	v_fmac_f32_e32 v4, v92, v84
	s_waitcnt vmcnt(4)
	s_delay_alu instid0(VALU_DEP_1) | instskip(SKIP_3) | instid1(VALU_DEP_1)
	v_fmac_f32_e32 v4, v93, v85
	ds_load_2addr_b64 v[82:85], v2 offset0:33 offset1:34
	s_waitcnt lgkmcnt(1)
	v_fmac_f32_e32 v4, v94, v86
	v_fmac_f32_e32 v4, v95, v87
	s_delay_alu instid0(VALU_DEP_1) | instskip(SKIP_1) | instid1(VALU_DEP_1)
	v_fmac_f32_e32 v4, v96, v88
	s_waitcnt vmcnt(3)
	v_fmac_f32_e32 v4, v97, v89
	ds_load_2addr_b64 v[86:89], v2 offset0:35 offset1:36
	s_waitcnt lgkmcnt(1)
	v_fmac_f32_e32 v4, v98, v82
	s_delay_alu instid0(VALU_DEP_1) | instskip(NEXT) | instid1(VALU_DEP_1)
	v_fmac_f32_e32 v4, v99, v83
	v_fmac_f32_e32 v4, v100, v84
	s_waitcnt vmcnt(2)
	s_delay_alu instid0(VALU_DEP_1) | instskip(SKIP_3) | instid1(VALU_DEP_1)
	v_fmac_f32_e32 v4, v101, v85
	ds_load_2addr_b64 v[82:85], v2 offset0:37 offset1:38
	s_waitcnt lgkmcnt(1)
	v_fmac_f32_e32 v4, v102, v86
	v_fmac_f32_e32 v4, v103, v87
	s_delay_alu instid0(VALU_DEP_1) | instskip(SKIP_1) | instid1(VALU_DEP_1)
	v_fmac_f32_e32 v4, v104, v88
	s_waitcnt vmcnt(1)
	v_fmac_f32_e32 v4, v105, v89
	s_waitcnt lgkmcnt(0)
	s_delay_alu instid0(VALU_DEP_1) | instskip(NEXT) | instid1(VALU_DEP_1)
	v_fmac_f32_e32 v4, v106, v82
	v_fmac_f32_e32 v4, v107, v83
	s_delay_alu instid0(VALU_DEP_1) | instskip(SKIP_1) | instid1(VALU_DEP_1)
	v_fmac_f32_e32 v4, v108, v84
	s_waitcnt vmcnt(0)
	v_fmac_f32_e32 v4, v3, v85
	s_delay_alu instid0(VALU_DEP_1)
	v_sub_f32_e32 v2, v81, v4
	scratch_store_b32 off, v2, off offset:36
	v_cmpx_lt_u32_e32 8, v0
	s_cbranch_execz .LBB37_219
; %bb.218:
	scratch_load_b32 v2, off, off offset:32
	v_mov_b32_e32 v3, 0
	scratch_store_b32 off, v3, off offset:32
	s_waitcnt vmcnt(0)
	ds_store_b32 v1, v2
.LBB37_219:
	s_or_b32 exec_lo, exec_lo, s0
	s_waitcnt lgkmcnt(0)
	s_waitcnt_vscnt null, 0x0
	s_barrier
	buffer_gl0_inv
	s_clause 0x7
	scratch_load_b128 v[81:84], off, off offset:32
	scratch_load_b128 v[85:88], off, off offset:48
	;; [unrolled: 1-line block ×7, first 2 shown]
	scratch_load_b64 v[3:4], off, off offset:144
	v_mov_b32_e32 v2, 0
	ds_load_2addr_b32 v[109:110], v2 offset0:49 offset1:50
	ds_load_2addr_b32 v[111:112], v2 offset0:51 offset1:52
	;; [unrolled: 1-line block ×4, first 2 shown]
	s_mov_b32 s0, exec_lo
	s_waitcnt vmcnt(7) lgkmcnt(3)
	v_fma_f32 v109, v82, v109, 0
	s_delay_alu instid0(VALU_DEP_1) | instskip(SKIP_4) | instid1(VALU_DEP_1)
	v_fmac_f32_e32 v109, v83, v110
	ds_load_2addr_b32 v[82:83], v2 offset0:57 offset1:58
	s_waitcnt lgkmcnt(3)
	v_fmac_f32_e32 v109, v84, v111
	s_waitcnt vmcnt(6)
	v_fmac_f32_e32 v109, v85, v112
	ds_load_2addr_b32 v[84:85], v2 offset0:59 offset1:60
	s_waitcnt lgkmcnt(3)
	v_fmac_f32_e32 v109, v86, v113
	s_delay_alu instid0(VALU_DEP_1) | instskip(SKIP_1) | instid1(VALU_DEP_1)
	v_fmac_f32_e32 v109, v87, v114
	s_waitcnt lgkmcnt(2)
	v_fmac_f32_e32 v109, v88, v115
	s_waitcnt vmcnt(5)
	s_delay_alu instid0(VALU_DEP_1) | instskip(SKIP_4) | instid1(VALU_DEP_1)
	v_fmac_f32_e32 v109, v89, v116
	ds_load_2addr_b32 v[86:87], v2 offset0:61 offset1:62
	ds_load_2addr_b32 v[88:89], v2 offset0:63 offset1:64
	s_waitcnt lgkmcnt(3)
	v_fmac_f32_e32 v109, v90, v82
	v_fmac_f32_e32 v109, v91, v83
	ds_load_2addr_b32 v[82:83], v2 offset0:65 offset1:66
	s_waitcnt lgkmcnt(3)
	v_fmac_f32_e32 v109, v92, v84
	s_waitcnt vmcnt(4)
	s_delay_alu instid0(VALU_DEP_1) | instskip(SKIP_3) | instid1(VALU_DEP_1)
	v_fmac_f32_e32 v109, v93, v85
	ds_load_2addr_b32 v[84:85], v2 offset0:67 offset1:68
	s_waitcnt lgkmcnt(3)
	v_fmac_f32_e32 v109, v94, v86
	v_fmac_f32_e32 v109, v95, v87
	s_waitcnt lgkmcnt(2)
	s_delay_alu instid0(VALU_DEP_1) | instskip(SKIP_1) | instid1(VALU_DEP_1)
	v_fmac_f32_e32 v109, v96, v88
	s_waitcnt vmcnt(3)
	v_fmac_f32_e32 v109, v97, v89
	ds_load_2addr_b32 v[86:87], v2 offset0:69 offset1:70
	ds_load_2addr_b32 v[88:89], v2 offset0:71 offset1:72
	s_waitcnt lgkmcnt(3)
	v_fmac_f32_e32 v109, v98, v82
	s_delay_alu instid0(VALU_DEP_1) | instskip(SKIP_4) | instid1(VALU_DEP_1)
	v_fmac_f32_e32 v109, v99, v83
	ds_load_2addr_b32 v[82:83], v2 offset0:73 offset1:74
	s_waitcnt lgkmcnt(3)
	v_fmac_f32_e32 v109, v100, v84
	s_waitcnt vmcnt(2)
	v_fmac_f32_e32 v109, v101, v85
	ds_load_2addr_b32 v[84:85], v2 offset0:75 offset1:76
	s_waitcnt lgkmcnt(3)
	v_fmac_f32_e32 v109, v102, v86
	ds_load_b32 v86, v2 offset:308
	v_fmac_f32_e32 v109, v103, v87
	s_waitcnt lgkmcnt(3)
	s_delay_alu instid0(VALU_DEP_1) | instskip(SKIP_1) | instid1(VALU_DEP_1)
	v_fmac_f32_e32 v109, v104, v88
	s_waitcnt vmcnt(1)
	v_fmac_f32_e32 v109, v105, v89
	s_waitcnt lgkmcnt(2)
	s_delay_alu instid0(VALU_DEP_1) | instskip(NEXT) | instid1(VALU_DEP_1)
	v_fmac_f32_e32 v109, v106, v82
	v_fmac_f32_e32 v109, v107, v83
	s_waitcnt lgkmcnt(1)
	s_delay_alu instid0(VALU_DEP_1) | instskip(SKIP_1) | instid1(VALU_DEP_1)
	v_fmac_f32_e32 v109, v108, v84
	s_waitcnt vmcnt(0)
	v_fmac_f32_e32 v109, v3, v85
	s_waitcnt lgkmcnt(0)
	s_delay_alu instid0(VALU_DEP_1) | instskip(NEXT) | instid1(VALU_DEP_1)
	v_fmac_f32_e32 v109, v4, v86
	v_sub_f32_e32 v3, v81, v109
	scratch_store_b32 off, v3, off offset:32
	v_cmpx_lt_u32_e32 7, v0
	s_cbranch_execz .LBB37_221
; %bb.220:
	scratch_load_b32 v3, off, off offset:28
	scratch_store_b32 off, v2, off offset:28
	s_waitcnt vmcnt(0)
	ds_store_b32 v1, v3
.LBB37_221:
	s_or_b32 exec_lo, exec_lo, s0
	s_waitcnt lgkmcnt(0)
	s_waitcnt_vscnt null, 0x0
	s_barrier
	buffer_gl0_inv
	s_clause 0x7
	scratch_load_b128 v[81:84], off, off offset:28
	scratch_load_b128 v[85:88], off, off offset:44
	;; [unrolled: 1-line block ×7, first 2 shown]
	scratch_load_b96 v[117:119], off, off offset:140
	ds_load_b128 v[109:112], v2 offset:192
	ds_load_b128 v[113:116], v2 offset:208
	s_mov_b32 s0, exec_lo
	s_waitcnt vmcnt(7) lgkmcnt(1)
	v_fma_f32 v4, v82, v109, 0
	s_delay_alu instid0(VALU_DEP_1) | instskip(NEXT) | instid1(VALU_DEP_1)
	v_fmac_f32_e32 v4, v83, v110
	v_fmac_f32_e32 v4, v84, v111
	s_waitcnt vmcnt(6)
	s_delay_alu instid0(VALU_DEP_1) | instskip(SKIP_3) | instid1(VALU_DEP_1)
	v_fmac_f32_e32 v4, v85, v112
	ds_load_b128 v[82:85], v2 offset:224
	s_waitcnt lgkmcnt(1)
	v_fmac_f32_e32 v4, v86, v113
	v_fmac_f32_e32 v4, v87, v114
	s_delay_alu instid0(VALU_DEP_1) | instskip(SKIP_1) | instid1(VALU_DEP_1)
	v_fmac_f32_e32 v4, v88, v115
	s_waitcnt vmcnt(5)
	v_fmac_f32_e32 v4, v89, v116
	ds_load_b128 v[86:89], v2 offset:240
	s_waitcnt lgkmcnt(1)
	v_fmac_f32_e32 v4, v90, v82
	s_delay_alu instid0(VALU_DEP_1) | instskip(NEXT) | instid1(VALU_DEP_1)
	v_fmac_f32_e32 v4, v91, v83
	v_fmac_f32_e32 v4, v92, v84
	s_waitcnt vmcnt(4)
	s_delay_alu instid0(VALU_DEP_1) | instskip(SKIP_3) | instid1(VALU_DEP_1)
	v_fmac_f32_e32 v4, v93, v85
	ds_load_b128 v[82:85], v2 offset:256
	s_waitcnt lgkmcnt(1)
	v_fmac_f32_e32 v4, v94, v86
	v_fmac_f32_e32 v4, v95, v87
	s_delay_alu instid0(VALU_DEP_1) | instskip(SKIP_1) | instid1(VALU_DEP_1)
	v_fmac_f32_e32 v4, v96, v88
	s_waitcnt vmcnt(3)
	v_fmac_f32_e32 v4, v97, v89
	ds_load_b128 v[86:89], v2 offset:272
	s_waitcnt lgkmcnt(1)
	v_fmac_f32_e32 v4, v98, v82
	s_delay_alu instid0(VALU_DEP_1) | instskip(NEXT) | instid1(VALU_DEP_1)
	v_fmac_f32_e32 v4, v99, v83
	v_fmac_f32_e32 v4, v100, v84
	s_waitcnt vmcnt(2)
	s_delay_alu instid0(VALU_DEP_1) | instskip(SKIP_4) | instid1(VALU_DEP_1)
	v_fmac_f32_e32 v4, v101, v85
	ds_load_b128 v[82:85], v2 offset:288
	ds_load_b64 v[2:3], v2 offset:304
	s_waitcnt lgkmcnt(2)
	v_fmac_f32_e32 v4, v102, v86
	v_fmac_f32_e32 v4, v103, v87
	s_delay_alu instid0(VALU_DEP_1) | instskip(SKIP_1) | instid1(VALU_DEP_1)
	v_fmac_f32_e32 v4, v104, v88
	s_waitcnt vmcnt(1)
	v_fmac_f32_e32 v4, v105, v89
	s_waitcnt lgkmcnt(1)
	s_delay_alu instid0(VALU_DEP_1) | instskip(NEXT) | instid1(VALU_DEP_1)
	v_fmac_f32_e32 v4, v106, v82
	v_fmac_f32_e32 v4, v107, v83
	s_delay_alu instid0(VALU_DEP_1) | instskip(SKIP_1) | instid1(VALU_DEP_1)
	v_fmac_f32_e32 v4, v108, v84
	s_waitcnt vmcnt(0)
	v_fmac_f32_e32 v4, v117, v85
	s_waitcnt lgkmcnt(0)
	s_delay_alu instid0(VALU_DEP_1) | instskip(NEXT) | instid1(VALU_DEP_1)
	v_fmac_f32_e32 v4, v118, v2
	v_fmac_f32_e32 v4, v119, v3
	s_delay_alu instid0(VALU_DEP_1)
	v_sub_f32_e32 v2, v81, v4
	scratch_store_b32 off, v2, off offset:28
	v_cmpx_lt_u32_e32 6, v0
	s_cbranch_execz .LBB37_223
; %bb.222:
	scratch_load_b32 v2, off, off offset:24
	v_mov_b32_e32 v3, 0
	scratch_store_b32 off, v3, off offset:24
	s_waitcnt vmcnt(0)
	ds_store_b32 v1, v2
.LBB37_223:
	s_or_b32 exec_lo, exec_lo, s0
	s_waitcnt lgkmcnt(0)
	s_waitcnt_vscnt null, 0x0
	s_barrier
	buffer_gl0_inv
	s_clause 0x7
	scratch_load_b128 v[81:84], off, off offset:24
	scratch_load_b128 v[85:88], off, off offset:40
	;; [unrolled: 1-line block ×8, first 2 shown]
	v_mov_b32_e32 v2, 0
	ds_load_2addr_b32 v[3:4], v2 offset0:47 offset1:48
	ds_load_2addr_b32 v[113:114], v2 offset0:49 offset1:50
	;; [unrolled: 1-line block ×4, first 2 shown]
	s_mov_b32 s0, exec_lo
	s_waitcnt vmcnt(7) lgkmcnt(3)
	v_fma_f32 v119, v82, v3, 0
	s_delay_alu instid0(VALU_DEP_1)
	v_fmac_f32_e32 v119, v83, v4
	ds_load_2addr_b32 v[3:4], v2 offset0:55 offset1:56
	ds_load_2addr_b32 v[82:83], v2 offset0:57 offset1:58
	s_waitcnt lgkmcnt(4)
	v_fmac_f32_e32 v119, v84, v113
	s_waitcnt vmcnt(6)
	s_delay_alu instid0(VALU_DEP_1) | instskip(SKIP_1) | instid1(VALU_DEP_1)
	v_fmac_f32_e32 v119, v85, v114
	s_waitcnt lgkmcnt(3)
	v_fmac_f32_e32 v119, v86, v115
	s_delay_alu instid0(VALU_DEP_1)
	v_fmac_f32_e32 v119, v87, v116
	ds_load_2addr_b32 v[84:85], v2 offset0:59 offset1:60
	ds_load_2addr_b32 v[86:87], v2 offset0:61 offset1:62
	s_waitcnt lgkmcnt(4)
	v_fmac_f32_e32 v119, v88, v117
	s_waitcnt vmcnt(5)
	s_delay_alu instid0(VALU_DEP_1) | instskip(SKIP_1) | instid1(VALU_DEP_1)
	v_fmac_f32_e32 v119, v89, v118
	s_waitcnt lgkmcnt(3)
	v_fmac_f32_e32 v119, v90, v3
	s_delay_alu instid0(VALU_DEP_1) | instskip(SKIP_4) | instid1(VALU_DEP_1)
	v_fmac_f32_e32 v119, v91, v4
	ds_load_2addr_b32 v[3:4], v2 offset0:63 offset1:64
	s_waitcnt lgkmcnt(3)
	v_fmac_f32_e32 v119, v92, v82
	s_waitcnt vmcnt(4)
	v_fmac_f32_e32 v119, v93, v83
	ds_load_2addr_b32 v[82:83], v2 offset0:65 offset1:66
	s_waitcnt lgkmcnt(3)
	v_fmac_f32_e32 v119, v94, v84
	s_delay_alu instid0(VALU_DEP_1) | instskip(SKIP_1) | instid1(VALU_DEP_1)
	v_fmac_f32_e32 v119, v95, v85
	s_waitcnt lgkmcnt(2)
	v_fmac_f32_e32 v119, v96, v86
	s_waitcnt vmcnt(3)
	s_delay_alu instid0(VALU_DEP_1) | instskip(SKIP_4) | instid1(VALU_DEP_1)
	v_fmac_f32_e32 v119, v97, v87
	ds_load_2addr_b32 v[84:85], v2 offset0:67 offset1:68
	ds_load_2addr_b32 v[86:87], v2 offset0:69 offset1:70
	s_waitcnt lgkmcnt(3)
	v_fmac_f32_e32 v119, v98, v3
	v_fmac_f32_e32 v119, v99, v4
	ds_load_2addr_b32 v[3:4], v2 offset0:71 offset1:72
	s_waitcnt lgkmcnt(3)
	v_fmac_f32_e32 v119, v100, v82
	s_waitcnt vmcnt(2)
	s_delay_alu instid0(VALU_DEP_1) | instskip(SKIP_3) | instid1(VALU_DEP_1)
	v_fmac_f32_e32 v119, v101, v83
	ds_load_2addr_b32 v[82:83], v2 offset0:73 offset1:74
	s_waitcnt lgkmcnt(3)
	v_fmac_f32_e32 v119, v102, v84
	v_fmac_f32_e32 v119, v103, v85
	s_waitcnt lgkmcnt(2)
	s_delay_alu instid0(VALU_DEP_1)
	v_fmac_f32_e32 v119, v104, v86
	ds_load_2addr_b32 v[84:85], v2 offset0:75 offset1:76
	ds_load_b32 v86, v2 offset:308
	s_waitcnt vmcnt(1)
	v_fmac_f32_e32 v119, v105, v87
	s_waitcnt lgkmcnt(3)
	s_delay_alu instid0(VALU_DEP_1) | instskip(NEXT) | instid1(VALU_DEP_1)
	v_fmac_f32_e32 v119, v106, v3
	v_fmac_f32_e32 v119, v107, v4
	s_waitcnt lgkmcnt(2)
	s_delay_alu instid0(VALU_DEP_1) | instskip(SKIP_1) | instid1(VALU_DEP_1)
	v_fmac_f32_e32 v119, v108, v82
	s_waitcnt vmcnt(0)
	v_fmac_f32_e32 v119, v109, v83
	s_waitcnt lgkmcnt(1)
	s_delay_alu instid0(VALU_DEP_1) | instskip(NEXT) | instid1(VALU_DEP_1)
	v_fmac_f32_e32 v119, v110, v84
	v_fmac_f32_e32 v119, v111, v85
	s_waitcnt lgkmcnt(0)
	s_delay_alu instid0(VALU_DEP_1) | instskip(NEXT) | instid1(VALU_DEP_1)
	v_fmac_f32_e32 v119, v112, v86
	v_sub_f32_e32 v3, v81, v119
	scratch_store_b32 off, v3, off offset:24
	v_cmpx_lt_u32_e32 5, v0
	s_cbranch_execz .LBB37_225
; %bb.224:
	scratch_load_b32 v3, off, off offset:20
	scratch_store_b32 off, v2, off offset:20
	s_waitcnt vmcnt(0)
	ds_store_b32 v1, v3
.LBB37_225:
	s_or_b32 exec_lo, exec_lo, s0
	s_waitcnt lgkmcnt(0)
	s_waitcnt_vscnt null, 0x0
	s_barrier
	buffer_gl0_inv
	s_clause 0x8
	scratch_load_b128 v[81:84], off, off offset:20
	scratch_load_b128 v[85:88], off, off offset:36
	;; [unrolled: 1-line block ×8, first 2 shown]
	scratch_load_b32 v3, off, off offset:148
	ds_load_2addr_b64 v[113:116], v2 offset0:23 offset1:24
	ds_load_2addr_b64 v[117:120], v2 offset0:25 offset1:26
	s_mov_b32 s0, exec_lo
	s_waitcnt vmcnt(8) lgkmcnt(1)
	v_fma_f32 v4, v82, v113, 0
	s_delay_alu instid0(VALU_DEP_1) | instskip(NEXT) | instid1(VALU_DEP_1)
	v_fmac_f32_e32 v4, v83, v114
	v_fmac_f32_e32 v4, v84, v115
	s_waitcnt vmcnt(7)
	s_delay_alu instid0(VALU_DEP_1) | instskip(SKIP_3) | instid1(VALU_DEP_1)
	v_fmac_f32_e32 v4, v85, v116
	ds_load_2addr_b64 v[82:85], v2 offset0:27 offset1:28
	s_waitcnt lgkmcnt(1)
	v_fmac_f32_e32 v4, v86, v117
	v_fmac_f32_e32 v4, v87, v118
	s_delay_alu instid0(VALU_DEP_1) | instskip(SKIP_1) | instid1(VALU_DEP_1)
	v_fmac_f32_e32 v4, v88, v119
	s_waitcnt vmcnt(6)
	v_fmac_f32_e32 v4, v89, v120
	ds_load_2addr_b64 v[86:89], v2 offset0:29 offset1:30
	s_waitcnt lgkmcnt(1)
	v_fmac_f32_e32 v4, v90, v82
	s_delay_alu instid0(VALU_DEP_1) | instskip(NEXT) | instid1(VALU_DEP_1)
	v_fmac_f32_e32 v4, v91, v83
	v_fmac_f32_e32 v4, v92, v84
	s_waitcnt vmcnt(5)
	s_delay_alu instid0(VALU_DEP_1) | instskip(SKIP_3) | instid1(VALU_DEP_1)
	v_fmac_f32_e32 v4, v93, v85
	ds_load_2addr_b64 v[82:85], v2 offset0:31 offset1:32
	s_waitcnt lgkmcnt(1)
	v_fmac_f32_e32 v4, v94, v86
	v_fmac_f32_e32 v4, v95, v87
	s_delay_alu instid0(VALU_DEP_1) | instskip(SKIP_1) | instid1(VALU_DEP_1)
	v_fmac_f32_e32 v4, v96, v88
	s_waitcnt vmcnt(4)
	v_fmac_f32_e32 v4, v97, v89
	ds_load_2addr_b64 v[86:89], v2 offset0:33 offset1:34
	s_waitcnt lgkmcnt(1)
	v_fmac_f32_e32 v4, v98, v82
	;; [unrolled: 17-line block ×3, first 2 shown]
	s_delay_alu instid0(VALU_DEP_1) | instskip(NEXT) | instid1(VALU_DEP_1)
	v_fmac_f32_e32 v4, v107, v83
	v_fmac_f32_e32 v4, v108, v84
	s_waitcnt vmcnt(1)
	s_delay_alu instid0(VALU_DEP_1) | instskip(SKIP_1) | instid1(VALU_DEP_1)
	v_fmac_f32_e32 v4, v109, v85
	s_waitcnt lgkmcnt(0)
	v_fmac_f32_e32 v4, v110, v86
	s_delay_alu instid0(VALU_DEP_1) | instskip(NEXT) | instid1(VALU_DEP_1)
	v_fmac_f32_e32 v4, v111, v87
	v_fmac_f32_e32 v4, v112, v88
	s_waitcnt vmcnt(0)
	s_delay_alu instid0(VALU_DEP_1) | instskip(NEXT) | instid1(VALU_DEP_1)
	v_fmac_f32_e32 v4, v3, v89
	v_sub_f32_e32 v2, v81, v4
	scratch_store_b32 off, v2, off offset:20
	v_cmpx_lt_u32_e32 4, v0
	s_cbranch_execz .LBB37_227
; %bb.226:
	scratch_load_b32 v2, off, off offset:16
	v_mov_b32_e32 v3, 0
	scratch_store_b32 off, v3, off offset:16
	s_waitcnt vmcnt(0)
	ds_store_b32 v1, v2
.LBB37_227:
	s_or_b32 exec_lo, exec_lo, s0
	s_waitcnt lgkmcnt(0)
	s_waitcnt_vscnt null, 0x0
	s_barrier
	buffer_gl0_inv
	s_clause 0x8
	scratch_load_b128 v[81:84], off, off offset:16
	scratch_load_b128 v[85:88], off, off offset:32
	;; [unrolled: 1-line block ×8, first 2 shown]
	scratch_load_b64 v[3:4], off, off offset:144
	v_mov_b32_e32 v2, 0
	ds_load_2addr_b32 v[113:114], v2 offset0:45 offset1:46
	ds_load_2addr_b32 v[115:116], v2 offset0:47 offset1:48
	;; [unrolled: 1-line block ×4, first 2 shown]
	s_mov_b32 s0, exec_lo
	s_waitcnt vmcnt(8) lgkmcnt(3)
	v_fma_f32 v113, v82, v113, 0
	s_delay_alu instid0(VALU_DEP_1) | instskip(SKIP_4) | instid1(VALU_DEP_1)
	v_fmac_f32_e32 v113, v83, v114
	ds_load_2addr_b32 v[82:83], v2 offset0:53 offset1:54
	s_waitcnt lgkmcnt(3)
	v_fmac_f32_e32 v113, v84, v115
	s_waitcnt vmcnt(7)
	v_fmac_f32_e32 v113, v85, v116
	ds_load_2addr_b32 v[84:85], v2 offset0:55 offset1:56
	s_waitcnt lgkmcnt(3)
	v_fmac_f32_e32 v113, v86, v117
	s_delay_alu instid0(VALU_DEP_1) | instskip(SKIP_1) | instid1(VALU_DEP_1)
	v_fmac_f32_e32 v113, v87, v118
	s_waitcnt lgkmcnt(2)
	v_fmac_f32_e32 v113, v88, v119
	s_waitcnt vmcnt(6)
	s_delay_alu instid0(VALU_DEP_1) | instskip(SKIP_4) | instid1(VALU_DEP_1)
	v_fmac_f32_e32 v113, v89, v120
	ds_load_2addr_b32 v[86:87], v2 offset0:57 offset1:58
	ds_load_2addr_b32 v[88:89], v2 offset0:59 offset1:60
	s_waitcnt lgkmcnt(3)
	v_fmac_f32_e32 v113, v90, v82
	v_fmac_f32_e32 v113, v91, v83
	ds_load_2addr_b32 v[82:83], v2 offset0:61 offset1:62
	s_waitcnt lgkmcnt(3)
	v_fmac_f32_e32 v113, v92, v84
	s_waitcnt vmcnt(5)
	s_delay_alu instid0(VALU_DEP_1) | instskip(SKIP_3) | instid1(VALU_DEP_1)
	v_fmac_f32_e32 v113, v93, v85
	ds_load_2addr_b32 v[84:85], v2 offset0:63 offset1:64
	s_waitcnt lgkmcnt(3)
	v_fmac_f32_e32 v113, v94, v86
	v_fmac_f32_e32 v113, v95, v87
	s_waitcnt lgkmcnt(2)
	s_delay_alu instid0(VALU_DEP_1) | instskip(SKIP_1) | instid1(VALU_DEP_1)
	v_fmac_f32_e32 v113, v96, v88
	s_waitcnt vmcnt(4)
	v_fmac_f32_e32 v113, v97, v89
	ds_load_2addr_b32 v[86:87], v2 offset0:65 offset1:66
	ds_load_2addr_b32 v[88:89], v2 offset0:67 offset1:68
	s_waitcnt lgkmcnt(3)
	v_fmac_f32_e32 v113, v98, v82
	s_delay_alu instid0(VALU_DEP_1) | instskip(SKIP_4) | instid1(VALU_DEP_1)
	v_fmac_f32_e32 v113, v99, v83
	ds_load_2addr_b32 v[82:83], v2 offset0:69 offset1:70
	s_waitcnt lgkmcnt(3)
	v_fmac_f32_e32 v113, v100, v84
	s_waitcnt vmcnt(3)
	v_fmac_f32_e32 v113, v101, v85
	ds_load_2addr_b32 v[84:85], v2 offset0:71 offset1:72
	s_waitcnt lgkmcnt(3)
	v_fmac_f32_e32 v113, v102, v86
	s_delay_alu instid0(VALU_DEP_1) | instskip(SKIP_1) | instid1(VALU_DEP_1)
	v_fmac_f32_e32 v113, v103, v87
	s_waitcnt lgkmcnt(2)
	v_fmac_f32_e32 v113, v104, v88
	s_waitcnt vmcnt(2)
	s_delay_alu instid0(VALU_DEP_1)
	v_fmac_f32_e32 v113, v105, v89
	ds_load_2addr_b32 v[86:87], v2 offset0:73 offset1:74
	ds_load_2addr_b32 v[88:89], v2 offset0:75 offset1:76
	s_waitcnt lgkmcnt(3)
	v_fmac_f32_e32 v113, v106, v82
	ds_load_b32 v82, v2 offset:308
	v_fmac_f32_e32 v113, v107, v83
	s_waitcnt lgkmcnt(3)
	s_delay_alu instid0(VALU_DEP_1) | instskip(SKIP_1) | instid1(VALU_DEP_1)
	v_fmac_f32_e32 v113, v108, v84
	s_waitcnt vmcnt(1)
	v_fmac_f32_e32 v113, v109, v85
	s_waitcnt lgkmcnt(2)
	s_delay_alu instid0(VALU_DEP_1) | instskip(NEXT) | instid1(VALU_DEP_1)
	v_fmac_f32_e32 v113, v110, v86
	v_fmac_f32_e32 v113, v111, v87
	s_waitcnt lgkmcnt(1)
	s_delay_alu instid0(VALU_DEP_1) | instskip(SKIP_1) | instid1(VALU_DEP_1)
	v_fmac_f32_e32 v113, v112, v88
	s_waitcnt vmcnt(0)
	v_fmac_f32_e32 v113, v3, v89
	s_waitcnt lgkmcnt(0)
	s_delay_alu instid0(VALU_DEP_1) | instskip(NEXT) | instid1(VALU_DEP_1)
	v_fmac_f32_e32 v113, v4, v82
	v_sub_f32_e32 v3, v81, v113
	scratch_store_b32 off, v3, off offset:16
	v_cmpx_lt_u32_e32 3, v0
	s_cbranch_execz .LBB37_229
; %bb.228:
	scratch_load_b32 v3, off, off offset:12
	scratch_store_b32 off, v2, off offset:12
	s_waitcnt vmcnt(0)
	ds_store_b32 v1, v3
.LBB37_229:
	s_or_b32 exec_lo, exec_lo, s0
	s_waitcnt lgkmcnt(0)
	s_waitcnt_vscnt null, 0x0
	s_barrier
	buffer_gl0_inv
	s_clause 0x8
	scratch_load_b128 v[81:84], off, off offset:12
	scratch_load_b128 v[85:88], off, off offset:28
	;; [unrolled: 1-line block ×8, first 2 shown]
	scratch_load_b96 v[121:123], off, off offset:140
	ds_load_b128 v[113:116], v2 offset:176
	ds_load_b128 v[117:120], v2 offset:192
	s_mov_b32 s0, exec_lo
	s_waitcnt vmcnt(8) lgkmcnt(1)
	v_fma_f32 v4, v82, v113, 0
	s_delay_alu instid0(VALU_DEP_1) | instskip(NEXT) | instid1(VALU_DEP_1)
	v_fmac_f32_e32 v4, v83, v114
	v_fmac_f32_e32 v4, v84, v115
	s_waitcnt vmcnt(7)
	s_delay_alu instid0(VALU_DEP_1) | instskip(SKIP_3) | instid1(VALU_DEP_1)
	v_fmac_f32_e32 v4, v85, v116
	ds_load_b128 v[82:85], v2 offset:208
	s_waitcnt lgkmcnt(1)
	v_fmac_f32_e32 v4, v86, v117
	v_fmac_f32_e32 v4, v87, v118
	s_delay_alu instid0(VALU_DEP_1) | instskip(SKIP_1) | instid1(VALU_DEP_1)
	v_fmac_f32_e32 v4, v88, v119
	s_waitcnt vmcnt(6)
	v_fmac_f32_e32 v4, v89, v120
	ds_load_b128 v[86:89], v2 offset:224
	s_waitcnt lgkmcnt(1)
	v_fmac_f32_e32 v4, v90, v82
	s_delay_alu instid0(VALU_DEP_1) | instskip(NEXT) | instid1(VALU_DEP_1)
	v_fmac_f32_e32 v4, v91, v83
	v_fmac_f32_e32 v4, v92, v84
	s_waitcnt vmcnt(5)
	s_delay_alu instid0(VALU_DEP_1) | instskip(SKIP_3) | instid1(VALU_DEP_1)
	v_fmac_f32_e32 v4, v93, v85
	ds_load_b128 v[82:85], v2 offset:240
	s_waitcnt lgkmcnt(1)
	v_fmac_f32_e32 v4, v94, v86
	v_fmac_f32_e32 v4, v95, v87
	s_delay_alu instid0(VALU_DEP_1) | instskip(SKIP_1) | instid1(VALU_DEP_1)
	v_fmac_f32_e32 v4, v96, v88
	s_waitcnt vmcnt(4)
	v_fmac_f32_e32 v4, v97, v89
	ds_load_b128 v[86:89], v2 offset:256
	s_waitcnt lgkmcnt(1)
	v_fmac_f32_e32 v4, v98, v82
	s_delay_alu instid0(VALU_DEP_1) | instskip(NEXT) | instid1(VALU_DEP_1)
	v_fmac_f32_e32 v4, v99, v83
	v_fmac_f32_e32 v4, v100, v84
	s_waitcnt vmcnt(3)
	s_delay_alu instid0(VALU_DEP_1) | instskip(SKIP_3) | instid1(VALU_DEP_1)
	v_fmac_f32_e32 v4, v101, v85
	ds_load_b128 v[82:85], v2 offset:272
	s_waitcnt lgkmcnt(1)
	v_fmac_f32_e32 v4, v102, v86
	v_fmac_f32_e32 v4, v103, v87
	s_delay_alu instid0(VALU_DEP_1) | instskip(SKIP_1) | instid1(VALU_DEP_1)
	v_fmac_f32_e32 v4, v104, v88
	s_waitcnt vmcnt(2)
	v_fmac_f32_e32 v4, v105, v89
	ds_load_b128 v[86:89], v2 offset:288
	ds_load_b64 v[2:3], v2 offset:304
	s_waitcnt lgkmcnt(2)
	v_fmac_f32_e32 v4, v106, v82
	s_delay_alu instid0(VALU_DEP_1) | instskip(NEXT) | instid1(VALU_DEP_1)
	v_fmac_f32_e32 v4, v107, v83
	v_fmac_f32_e32 v4, v108, v84
	s_waitcnt vmcnt(1)
	s_delay_alu instid0(VALU_DEP_1) | instskip(SKIP_1) | instid1(VALU_DEP_1)
	v_fmac_f32_e32 v4, v109, v85
	s_waitcnt lgkmcnt(1)
	v_fmac_f32_e32 v4, v110, v86
	s_delay_alu instid0(VALU_DEP_1) | instskip(NEXT) | instid1(VALU_DEP_1)
	v_fmac_f32_e32 v4, v111, v87
	v_fmac_f32_e32 v4, v112, v88
	s_waitcnt vmcnt(0)
	s_delay_alu instid0(VALU_DEP_1) | instskip(SKIP_1) | instid1(VALU_DEP_1)
	v_fmac_f32_e32 v4, v121, v89
	s_waitcnt lgkmcnt(0)
	v_fmac_f32_e32 v4, v122, v2
	s_delay_alu instid0(VALU_DEP_1) | instskip(NEXT) | instid1(VALU_DEP_1)
	v_fmac_f32_e32 v4, v123, v3
	v_sub_f32_e32 v2, v81, v4
	scratch_store_b32 off, v2, off offset:12
	v_cmpx_lt_u32_e32 2, v0
	s_cbranch_execz .LBB37_231
; %bb.230:
	scratch_load_b32 v2, off, off offset:8
	v_mov_b32_e32 v3, 0
	scratch_store_b32 off, v3, off offset:8
	s_waitcnt vmcnt(0)
	ds_store_b32 v1, v2
.LBB37_231:
	s_or_b32 exec_lo, exec_lo, s0
	s_waitcnt lgkmcnt(0)
	s_waitcnt_vscnt null, 0x0
	s_barrier
	buffer_gl0_inv
	s_clause 0x8
	scratch_load_b128 v[81:84], off, off offset:8
	scratch_load_b128 v[85:88], off, off offset:24
	;; [unrolled: 1-line block ×9, first 2 shown]
	v_mov_b32_e32 v2, 0
	ds_load_2addr_b32 v[3:4], v2 offset0:43 offset1:44
	ds_load_2addr_b32 v[117:118], v2 offset0:45 offset1:46
	;; [unrolled: 1-line block ×4, first 2 shown]
	s_mov_b32 s0, exec_lo
	s_waitcnt vmcnt(8) lgkmcnt(3)
	v_fma_f32 v123, v82, v3, 0
	s_delay_alu instid0(VALU_DEP_1)
	v_fmac_f32_e32 v123, v83, v4
	ds_load_2addr_b32 v[3:4], v2 offset0:51 offset1:52
	ds_load_2addr_b32 v[82:83], v2 offset0:53 offset1:54
	s_waitcnt lgkmcnt(4)
	v_fmac_f32_e32 v123, v84, v117
	s_waitcnt vmcnt(7)
	s_delay_alu instid0(VALU_DEP_1) | instskip(SKIP_1) | instid1(VALU_DEP_1)
	v_fmac_f32_e32 v123, v85, v118
	s_waitcnt lgkmcnt(3)
	v_fmac_f32_e32 v123, v86, v119
	s_delay_alu instid0(VALU_DEP_1)
	v_fmac_f32_e32 v123, v87, v120
	ds_load_2addr_b32 v[84:85], v2 offset0:55 offset1:56
	ds_load_2addr_b32 v[86:87], v2 offset0:57 offset1:58
	s_waitcnt lgkmcnt(4)
	v_fmac_f32_e32 v123, v88, v121
	s_waitcnt vmcnt(6)
	s_delay_alu instid0(VALU_DEP_1) | instskip(SKIP_1) | instid1(VALU_DEP_1)
	v_fmac_f32_e32 v123, v89, v122
	s_waitcnt lgkmcnt(3)
	v_fmac_f32_e32 v123, v90, v3
	s_delay_alu instid0(VALU_DEP_1) | instskip(SKIP_4) | instid1(VALU_DEP_1)
	v_fmac_f32_e32 v123, v91, v4
	ds_load_2addr_b32 v[3:4], v2 offset0:59 offset1:60
	s_waitcnt lgkmcnt(3)
	v_fmac_f32_e32 v123, v92, v82
	s_waitcnt vmcnt(5)
	v_fmac_f32_e32 v123, v93, v83
	ds_load_2addr_b32 v[82:83], v2 offset0:61 offset1:62
	s_waitcnt lgkmcnt(3)
	v_fmac_f32_e32 v123, v94, v84
	s_delay_alu instid0(VALU_DEP_1) | instskip(SKIP_1) | instid1(VALU_DEP_1)
	v_fmac_f32_e32 v123, v95, v85
	s_waitcnt lgkmcnt(2)
	v_fmac_f32_e32 v123, v96, v86
	s_waitcnt vmcnt(4)
	s_delay_alu instid0(VALU_DEP_1) | instskip(SKIP_4) | instid1(VALU_DEP_1)
	v_fmac_f32_e32 v123, v97, v87
	ds_load_2addr_b32 v[84:85], v2 offset0:63 offset1:64
	ds_load_2addr_b32 v[86:87], v2 offset0:65 offset1:66
	s_waitcnt lgkmcnt(3)
	v_fmac_f32_e32 v123, v98, v3
	v_fmac_f32_e32 v123, v99, v4
	ds_load_2addr_b32 v[3:4], v2 offset0:67 offset1:68
	s_waitcnt lgkmcnt(3)
	v_fmac_f32_e32 v123, v100, v82
	s_waitcnt vmcnt(3)
	s_delay_alu instid0(VALU_DEP_1) | instskip(SKIP_3) | instid1(VALU_DEP_1)
	v_fmac_f32_e32 v123, v101, v83
	ds_load_2addr_b32 v[82:83], v2 offset0:69 offset1:70
	s_waitcnt lgkmcnt(3)
	v_fmac_f32_e32 v123, v102, v84
	v_fmac_f32_e32 v123, v103, v85
	s_waitcnt lgkmcnt(2)
	s_delay_alu instid0(VALU_DEP_1) | instskip(SKIP_1) | instid1(VALU_DEP_1)
	v_fmac_f32_e32 v123, v104, v86
	s_waitcnt vmcnt(2)
	v_fmac_f32_e32 v123, v105, v87
	ds_load_2addr_b32 v[84:85], v2 offset0:71 offset1:72
	ds_load_2addr_b32 v[86:87], v2 offset0:73 offset1:74
	s_waitcnt lgkmcnt(3)
	v_fmac_f32_e32 v123, v106, v3
	s_delay_alu instid0(VALU_DEP_1)
	v_fmac_f32_e32 v123, v107, v4
	ds_load_2addr_b32 v[3:4], v2 offset0:75 offset1:76
	s_waitcnt lgkmcnt(3)
	v_fmac_f32_e32 v123, v108, v82
	ds_load_b32 v82, v2 offset:308
	s_waitcnt vmcnt(1)
	v_fmac_f32_e32 v123, v109, v83
	s_waitcnt lgkmcnt(3)
	s_delay_alu instid0(VALU_DEP_1) | instskip(NEXT) | instid1(VALU_DEP_1)
	v_fmac_f32_e32 v123, v110, v84
	v_fmac_f32_e32 v123, v111, v85
	s_waitcnt lgkmcnt(2)
	s_delay_alu instid0(VALU_DEP_1) | instskip(SKIP_1) | instid1(VALU_DEP_1)
	v_fmac_f32_e32 v123, v112, v86
	s_waitcnt vmcnt(0)
	v_fmac_f32_e32 v123, v113, v87
	s_waitcnt lgkmcnt(1)
	s_delay_alu instid0(VALU_DEP_1) | instskip(NEXT) | instid1(VALU_DEP_1)
	v_fmac_f32_e32 v123, v114, v3
	v_fmac_f32_e32 v123, v115, v4
	s_waitcnt lgkmcnt(0)
	s_delay_alu instid0(VALU_DEP_1) | instskip(NEXT) | instid1(VALU_DEP_1)
	v_fmac_f32_e32 v123, v116, v82
	v_sub_f32_e32 v3, v81, v123
	scratch_store_b32 off, v3, off offset:8
	v_cmpx_lt_u32_e32 1, v0
	s_cbranch_execz .LBB37_233
; %bb.232:
	scratch_load_b32 v3, off, off offset:4
	scratch_store_b32 off, v2, off offset:4
	s_waitcnt vmcnt(0)
	ds_store_b32 v1, v3
.LBB37_233:
	s_or_b32 exec_lo, exec_lo, s0
	s_waitcnt lgkmcnt(0)
	s_waitcnt_vscnt null, 0x0
	s_barrier
	buffer_gl0_inv
	s_clause 0x9
	scratch_load_b128 v[81:84], off, off offset:4
	scratch_load_b128 v[85:88], off, off offset:20
	;; [unrolled: 1-line block ×9, first 2 shown]
	scratch_load_b32 v3, off, off offset:148
	ds_load_2addr_b64 v[117:120], v2 offset0:21 offset1:22
	ds_load_2addr_b64 v[121:124], v2 offset0:23 offset1:24
	s_mov_b32 s0, exec_lo
	s_waitcnt vmcnt(9) lgkmcnt(1)
	v_fma_f32 v4, v82, v117, 0
	s_delay_alu instid0(VALU_DEP_1) | instskip(NEXT) | instid1(VALU_DEP_1)
	v_fmac_f32_e32 v4, v83, v118
	v_fmac_f32_e32 v4, v84, v119
	s_waitcnt vmcnt(8)
	s_delay_alu instid0(VALU_DEP_1) | instskip(SKIP_3) | instid1(VALU_DEP_1)
	v_fmac_f32_e32 v4, v85, v120
	ds_load_2addr_b64 v[82:85], v2 offset0:25 offset1:26
	s_waitcnt lgkmcnt(1)
	v_fmac_f32_e32 v4, v86, v121
	v_fmac_f32_e32 v4, v87, v122
	s_delay_alu instid0(VALU_DEP_1) | instskip(SKIP_1) | instid1(VALU_DEP_1)
	v_fmac_f32_e32 v4, v88, v123
	s_waitcnt vmcnt(7)
	v_fmac_f32_e32 v4, v89, v124
	ds_load_2addr_b64 v[86:89], v2 offset0:27 offset1:28
	s_waitcnt lgkmcnt(1)
	v_fmac_f32_e32 v4, v90, v82
	s_delay_alu instid0(VALU_DEP_1) | instskip(NEXT) | instid1(VALU_DEP_1)
	v_fmac_f32_e32 v4, v91, v83
	v_fmac_f32_e32 v4, v92, v84
	s_waitcnt vmcnt(6)
	s_delay_alu instid0(VALU_DEP_1) | instskip(SKIP_3) | instid1(VALU_DEP_1)
	v_fmac_f32_e32 v4, v93, v85
	ds_load_2addr_b64 v[82:85], v2 offset0:29 offset1:30
	s_waitcnt lgkmcnt(1)
	v_fmac_f32_e32 v4, v94, v86
	v_fmac_f32_e32 v4, v95, v87
	s_delay_alu instid0(VALU_DEP_1) | instskip(SKIP_1) | instid1(VALU_DEP_1)
	v_fmac_f32_e32 v4, v96, v88
	s_waitcnt vmcnt(5)
	v_fmac_f32_e32 v4, v97, v89
	ds_load_2addr_b64 v[86:89], v2 offset0:31 offset1:32
	s_waitcnt lgkmcnt(1)
	v_fmac_f32_e32 v4, v98, v82
	;; [unrolled: 17-line block ×3, first 2 shown]
	s_delay_alu instid0(VALU_DEP_1) | instskip(NEXT) | instid1(VALU_DEP_1)
	v_fmac_f32_e32 v4, v107, v83
	v_fmac_f32_e32 v4, v108, v84
	s_waitcnt vmcnt(2)
	s_delay_alu instid0(VALU_DEP_1) | instskip(SKIP_3) | instid1(VALU_DEP_1)
	v_fmac_f32_e32 v4, v109, v85
	ds_load_2addr_b64 v[82:85], v2 offset0:37 offset1:38
	s_waitcnt lgkmcnt(1)
	v_fmac_f32_e32 v4, v110, v86
	v_fmac_f32_e32 v4, v111, v87
	s_delay_alu instid0(VALU_DEP_1) | instskip(SKIP_1) | instid1(VALU_DEP_1)
	v_fmac_f32_e32 v4, v112, v88
	s_waitcnt vmcnt(1)
	v_fmac_f32_e32 v4, v113, v89
	s_waitcnt lgkmcnt(0)
	s_delay_alu instid0(VALU_DEP_1) | instskip(NEXT) | instid1(VALU_DEP_1)
	v_fmac_f32_e32 v4, v114, v82
	v_fmac_f32_e32 v4, v115, v83
	s_delay_alu instid0(VALU_DEP_1) | instskip(SKIP_1) | instid1(VALU_DEP_1)
	v_fmac_f32_e32 v4, v116, v84
	s_waitcnt vmcnt(0)
	v_fmac_f32_e32 v4, v3, v85
	s_delay_alu instid0(VALU_DEP_1)
	v_sub_f32_e32 v2, v81, v4
	scratch_store_b32 off, v2, off offset:4
	v_cmpx_ne_u32_e32 0, v0
	s_cbranch_execz .LBB37_235
; %bb.234:
	scratch_load_b32 v0, off, off
	v_mov_b32_e32 v2, 0
	scratch_store_b32 off, v2, off
	s_waitcnt vmcnt(0)
	ds_store_b32 v1, v0
.LBB37_235:
	s_or_b32 exec_lo, exec_lo, s0
	s_waitcnt lgkmcnt(0)
	s_waitcnt_vscnt null, 0x0
	s_barrier
	buffer_gl0_inv
	s_clause 0x9
	scratch_load_b128 v[81:84], off, off
	scratch_load_b128 v[85:88], off, off offset:16
	scratch_load_b128 v[89:92], off, off offset:32
	;; [unrolled: 1-line block ×8, first 2 shown]
	scratch_load_b64 v[0:1], off, off offset:144
	v_mov_b32_e32 v4, 0
	ds_load_2addr_b32 v[2:3], v4 offset0:41 offset1:42
	ds_load_2addr_b32 v[117:118], v4 offset0:43 offset1:44
	;; [unrolled: 1-line block ×4, first 2 shown]
	s_and_b32 vcc_lo, exec_lo, s16
	s_waitcnt vmcnt(9) lgkmcnt(3)
	v_fma_f32 v123, v82, v2, 0
	s_delay_alu instid0(VALU_DEP_1)
	v_fmac_f32_e32 v123, v83, v3
	ds_load_2addr_b32 v[2:3], v4 offset0:49 offset1:50
	ds_load_2addr_b32 v[82:83], v4 offset0:51 offset1:52
	s_waitcnt lgkmcnt(4)
	v_fmac_f32_e32 v123, v84, v117
	s_waitcnt vmcnt(8)
	s_delay_alu instid0(VALU_DEP_1) | instskip(SKIP_1) | instid1(VALU_DEP_1)
	v_fmac_f32_e32 v123, v85, v118
	s_waitcnt lgkmcnt(3)
	v_fmac_f32_e32 v123, v86, v119
	s_delay_alu instid0(VALU_DEP_1)
	v_fmac_f32_e32 v123, v87, v120
	ds_load_2addr_b32 v[84:85], v4 offset0:53 offset1:54
	ds_load_2addr_b32 v[86:87], v4 offset0:55 offset1:56
	s_waitcnt lgkmcnt(4)
	v_fmac_f32_e32 v123, v88, v121
	s_waitcnt vmcnt(7)
	s_delay_alu instid0(VALU_DEP_1) | instskip(SKIP_1) | instid1(VALU_DEP_1)
	v_fmac_f32_e32 v123, v89, v122
	s_waitcnt lgkmcnt(3)
	v_fmac_f32_e32 v123, v90, v2
	s_delay_alu instid0(VALU_DEP_1) | instskip(SKIP_4) | instid1(VALU_DEP_1)
	v_fmac_f32_e32 v123, v91, v3
	ds_load_2addr_b32 v[2:3], v4 offset0:57 offset1:58
	s_waitcnt lgkmcnt(3)
	v_fmac_f32_e32 v123, v92, v82
	s_waitcnt vmcnt(6)
	v_fmac_f32_e32 v123, v93, v83
	ds_load_2addr_b32 v[82:83], v4 offset0:59 offset1:60
	s_waitcnt lgkmcnt(3)
	v_fmac_f32_e32 v123, v94, v84
	s_delay_alu instid0(VALU_DEP_1) | instskip(SKIP_1) | instid1(VALU_DEP_1)
	v_fmac_f32_e32 v123, v95, v85
	s_waitcnt lgkmcnt(2)
	v_fmac_f32_e32 v123, v96, v86
	s_waitcnt vmcnt(5)
	s_delay_alu instid0(VALU_DEP_1) | instskip(SKIP_4) | instid1(VALU_DEP_1)
	v_fmac_f32_e32 v123, v97, v87
	ds_load_2addr_b32 v[84:85], v4 offset0:61 offset1:62
	ds_load_2addr_b32 v[86:87], v4 offset0:63 offset1:64
	s_waitcnt lgkmcnt(3)
	v_fmac_f32_e32 v123, v98, v2
	v_fmac_f32_e32 v123, v99, v3
	ds_load_2addr_b32 v[2:3], v4 offset0:65 offset1:66
	s_waitcnt lgkmcnt(3)
	v_fmac_f32_e32 v123, v100, v82
	s_waitcnt vmcnt(4)
	s_delay_alu instid0(VALU_DEP_1) | instskip(SKIP_3) | instid1(VALU_DEP_1)
	v_fmac_f32_e32 v123, v101, v83
	ds_load_2addr_b32 v[82:83], v4 offset0:67 offset1:68
	s_waitcnt lgkmcnt(3)
	v_fmac_f32_e32 v123, v102, v84
	v_fmac_f32_e32 v123, v103, v85
	s_waitcnt lgkmcnt(2)
	s_delay_alu instid0(VALU_DEP_1) | instskip(SKIP_1) | instid1(VALU_DEP_1)
	v_fmac_f32_e32 v123, v104, v86
	s_waitcnt vmcnt(3)
	v_fmac_f32_e32 v123, v105, v87
	ds_load_2addr_b32 v[84:85], v4 offset0:69 offset1:70
	ds_load_2addr_b32 v[86:87], v4 offset0:71 offset1:72
	s_waitcnt lgkmcnt(3)
	v_fmac_f32_e32 v123, v106, v2
	s_delay_alu instid0(VALU_DEP_1) | instskip(SKIP_4) | instid1(VALU_DEP_1)
	v_fmac_f32_e32 v123, v107, v3
	ds_load_2addr_b32 v[2:3], v4 offset0:73 offset1:74
	s_waitcnt lgkmcnt(3)
	v_fmac_f32_e32 v123, v108, v82
	s_waitcnt vmcnt(2)
	v_fmac_f32_e32 v123, v109, v83
	ds_load_2addr_b32 v[82:83], v4 offset0:75 offset1:76
	ds_load_b32 v4, v4 offset:308
	s_waitcnt lgkmcnt(4)
	v_fmac_f32_e32 v123, v110, v84
	s_delay_alu instid0(VALU_DEP_1) | instskip(SKIP_1) | instid1(VALU_DEP_1)
	v_fmac_f32_e32 v123, v111, v85
	s_waitcnt lgkmcnt(3)
	v_fmac_f32_e32 v123, v112, v86
	s_waitcnt vmcnt(1)
	s_delay_alu instid0(VALU_DEP_1) | instskip(SKIP_1) | instid1(VALU_DEP_1)
	v_fmac_f32_e32 v123, v113, v87
	s_waitcnt lgkmcnt(2)
	v_fmac_f32_e32 v123, v114, v2
	s_delay_alu instid0(VALU_DEP_1) | instskip(SKIP_1) | instid1(VALU_DEP_1)
	v_fmac_f32_e32 v123, v115, v3
	s_waitcnt lgkmcnt(1)
	v_fmac_f32_e32 v123, v116, v82
	s_waitcnt vmcnt(0)
	s_delay_alu instid0(VALU_DEP_1) | instskip(SKIP_1) | instid1(VALU_DEP_1)
	v_fmac_f32_e32 v123, v0, v83
	s_waitcnt lgkmcnt(0)
	v_fmac_f32_e32 v123, v1, v4
	s_delay_alu instid0(VALU_DEP_1)
	v_sub_f32_e32 v1, v81, v123
	scratch_store_b32 off, v1, off
	s_cbranch_vccz .LBB37_311
; %bb.236:
	v_dual_mov_b32 v1, s12 :: v_dual_mov_b32 v2, s13
	s_mov_b32 s0, exec_lo
	flat_load_b32 v1, v[1:2] offset:144
	s_waitcnt vmcnt(0) lgkmcnt(0)
	v_cmpx_ne_u32_e32 37, v1
	s_cbranch_execz .LBB37_238
; %bb.237:
	v_lshl_add_u32 v1, v1, 2, 0
	scratch_load_b32 v2, v1, off offset:-4
	s_waitcnt vmcnt(0)
	scratch_store_b32 off, v2, off offset:144
	scratch_store_b32 v1, v0, off offset:-4
.LBB37_238:
	s_or_b32 exec_lo, exec_lo, s0
	v_dual_mov_b32 v0, s12 :: v_dual_mov_b32 v1, s13
	s_mov_b32 s0, exec_lo
	flat_load_b32 v0, v[0:1] offset:140
	s_waitcnt vmcnt(0) lgkmcnt(0)
	v_cmpx_ne_u32_e32 36, v0
	s_cbranch_execz .LBB37_240
; %bb.239:
	v_lshl_add_u32 v0, v0, 2, 0
	scratch_load_b32 v1, v0, off offset:-4
	scratch_load_b32 v2, off, off offset:140
	s_waitcnt vmcnt(1)
	scratch_store_b32 off, v1, off offset:140
	s_waitcnt vmcnt(0)
	scratch_store_b32 v0, v2, off offset:-4
.LBB37_240:
	s_or_b32 exec_lo, exec_lo, s0
	v_dual_mov_b32 v0, s12 :: v_dual_mov_b32 v1, s13
	s_mov_b32 s0, exec_lo
	flat_load_b32 v0, v[0:1] offset:136
	s_waitcnt vmcnt(0) lgkmcnt(0)
	v_cmpx_ne_u32_e32 35, v0
	s_cbranch_execz .LBB37_242
; %bb.241:
	v_lshl_add_u32 v0, v0, 2, 0
	scratch_load_b32 v1, v0, off offset:-4
	scratch_load_b32 v2, off, off offset:136
	s_waitcnt vmcnt(1)
	scratch_store_b32 off, v1, off offset:136
	s_waitcnt vmcnt(0)
	scratch_store_b32 v0, v2, off offset:-4
.LBB37_242:
	;; [unrolled: 16-line block ×35, first 2 shown]
	s_or_b32 exec_lo, exec_lo, s0
	v_dual_mov_b32 v0, s12 :: v_dual_mov_b32 v1, s13
	s_mov_b32 s0, exec_lo
	flat_load_b32 v0, v[0:1]
	scratch_load_b32 v1, off, off
	s_waitcnt vmcnt(1) lgkmcnt(0)
	v_cmpx_ne_u32_e32 1, v0
	s_cbranch_execz .LBB37_310
; %bb.309:
	v_lshl_add_u32 v0, v0, 2, 0
	scratch_load_b32 v2, v0, off offset:-4
	s_waitcnt vmcnt(0)
	scratch_store_b32 off, v2, off
	scratch_store_b32 v0, v1, off offset:-4
	scratch_load_b32 v1, off, off
.LBB37_310:
	s_or_b32 exec_lo, exec_lo, s0
.LBB37_311:
	s_clause 0x9
	scratch_load_b128 v[81:84], off, off offset:4
	scratch_load_b128 v[85:88], off, off offset:20
	;; [unrolled: 1-line block ×9, first 2 shown]
	scratch_load_b32 v0, off, off offset:148
	s_waitcnt vmcnt(10)
	global_store_b32 v[5:6], v1, off
	s_waitcnt vmcnt(9)
	s_clause 0x3
	global_store_b32 v[7:8], v81, off
	global_store_b32 v[9:10], v82, off
	global_store_b32 v[11:12], v83, off
	global_store_b32 v[13:14], v84, off
	s_waitcnt vmcnt(8)
	s_clause 0x3
	global_store_b32 v[15:16], v85, off
	global_store_b32 v[17:18], v86, off
	global_store_b32 v[19:20], v87, off
	;; [unrolled: 6-line block ×9, first 2 shown]
	global_store_b32 v[79:80], v116, off
	s_waitcnt vmcnt(0)
	global_store_b32 v[77:78], v0, off
	s_endpgm
	.section	.rodata,"a",@progbits
	.p2align	6, 0x0
	.amdhsa_kernel _ZN9rocsolver6v33100L18getri_kernel_smallILi38EfPfEEvT1_iilPiilS4_bb
		.amdhsa_group_segment_fixed_size 312
		.amdhsa_private_segment_fixed_size 160
		.amdhsa_kernarg_size 60
		.amdhsa_user_sgpr_count 15
		.amdhsa_user_sgpr_dispatch_ptr 0
		.amdhsa_user_sgpr_queue_ptr 0
		.amdhsa_user_sgpr_kernarg_segment_ptr 1
		.amdhsa_user_sgpr_dispatch_id 0
		.amdhsa_user_sgpr_private_segment_size 0
		.amdhsa_wavefront_size32 1
		.amdhsa_uses_dynamic_stack 0
		.amdhsa_enable_private_segment 1
		.amdhsa_system_sgpr_workgroup_id_x 1
		.amdhsa_system_sgpr_workgroup_id_y 0
		.amdhsa_system_sgpr_workgroup_id_z 0
		.amdhsa_system_sgpr_workgroup_info 0
		.amdhsa_system_vgpr_workitem_id 0
		.amdhsa_next_free_vgpr 125
		.amdhsa_next_free_sgpr 18
		.amdhsa_reserve_vcc 1
		.amdhsa_float_round_mode_32 0
		.amdhsa_float_round_mode_16_64 0
		.amdhsa_float_denorm_mode_32 3
		.amdhsa_float_denorm_mode_16_64 3
		.amdhsa_dx10_clamp 1
		.amdhsa_ieee_mode 1
		.amdhsa_fp16_overflow 0
		.amdhsa_workgroup_processor_mode 1
		.amdhsa_memory_ordered 1
		.amdhsa_forward_progress 0
		.amdhsa_shared_vgpr_count 0
		.amdhsa_exception_fp_ieee_invalid_op 0
		.amdhsa_exception_fp_denorm_src 0
		.amdhsa_exception_fp_ieee_div_zero 0
		.amdhsa_exception_fp_ieee_overflow 0
		.amdhsa_exception_fp_ieee_underflow 0
		.amdhsa_exception_fp_ieee_inexact 0
		.amdhsa_exception_int_div_zero 0
	.end_amdhsa_kernel
	.section	.text._ZN9rocsolver6v33100L18getri_kernel_smallILi38EfPfEEvT1_iilPiilS4_bb,"axG",@progbits,_ZN9rocsolver6v33100L18getri_kernel_smallILi38EfPfEEvT1_iilPiilS4_bb,comdat
.Lfunc_end37:
	.size	_ZN9rocsolver6v33100L18getri_kernel_smallILi38EfPfEEvT1_iilPiilS4_bb, .Lfunc_end37-_ZN9rocsolver6v33100L18getri_kernel_smallILi38EfPfEEvT1_iilPiilS4_bb
                                        ; -- End function
	.section	.AMDGPU.csdata,"",@progbits
; Kernel info:
; codeLenInByte = 25256
; NumSgprs: 20
; NumVgprs: 125
; ScratchSize: 160
; MemoryBound: 0
; FloatMode: 240
; IeeeMode: 1
; LDSByteSize: 312 bytes/workgroup (compile time only)
; SGPRBlocks: 2
; VGPRBlocks: 15
; NumSGPRsForWavesPerEU: 20
; NumVGPRsForWavesPerEU: 125
; Occupancy: 10
; WaveLimiterHint : 1
; COMPUTE_PGM_RSRC2:SCRATCH_EN: 1
; COMPUTE_PGM_RSRC2:USER_SGPR: 15
; COMPUTE_PGM_RSRC2:TRAP_HANDLER: 0
; COMPUTE_PGM_RSRC2:TGID_X_EN: 1
; COMPUTE_PGM_RSRC2:TGID_Y_EN: 0
; COMPUTE_PGM_RSRC2:TGID_Z_EN: 0
; COMPUTE_PGM_RSRC2:TIDIG_COMP_CNT: 0
	.section	.text._ZN9rocsolver6v33100L18getri_kernel_smallILi39EfPfEEvT1_iilPiilS4_bb,"axG",@progbits,_ZN9rocsolver6v33100L18getri_kernel_smallILi39EfPfEEvT1_iilPiilS4_bb,comdat
	.globl	_ZN9rocsolver6v33100L18getri_kernel_smallILi39EfPfEEvT1_iilPiilS4_bb ; -- Begin function _ZN9rocsolver6v33100L18getri_kernel_smallILi39EfPfEEvT1_iilPiilS4_bb
	.p2align	8
	.type	_ZN9rocsolver6v33100L18getri_kernel_smallILi39EfPfEEvT1_iilPiilS4_bb,@function
_ZN9rocsolver6v33100L18getri_kernel_smallILi39EfPfEEvT1_iilPiilS4_bb: ; @_ZN9rocsolver6v33100L18getri_kernel_smallILi39EfPfEEvT1_iilPiilS4_bb
; %bb.0:
	s_mov_b32 s2, exec_lo
	v_cmpx_gt_u32_e32 39, v0
	s_cbranch_execz .LBB38_164
; %bb.1:
	s_clause 0x2
	s_load_b32 s17, s[0:1], 0x38
	s_load_b128 s[8:11], s[0:1], 0x10
	s_load_b128 s[4:7], s[0:1], 0x28
	s_mov_b32 s14, s15
                                        ; implicit-def: $sgpr12_sgpr13
	s_waitcnt lgkmcnt(0)
	s_bitcmp1_b32 s17, 8
	s_cselect_b32 s16, -1, 0
	s_bfe_u32 s2, s17, 0x10008
	s_ashr_i32 s15, s15, 31
	s_cmp_eq_u32 s2, 0
	s_cbranch_scc1 .LBB38_3
; %bb.2:
	s_load_b32 s2, s[0:1], 0x20
	s_mul_i32 s3, s14, s5
	s_mul_hi_u32 s5, s14, s4
	s_mul_i32 s12, s15, s4
	s_add_i32 s3, s5, s3
	s_mul_i32 s4, s14, s4
	s_add_i32 s5, s3, s12
	s_delay_alu instid0(SALU_CYCLE_1)
	s_lshl_b64 s[4:5], s[4:5], 2
	s_waitcnt lgkmcnt(0)
	s_ashr_i32 s3, s2, 31
	s_add_u32 s4, s10, s4
	s_addc_u32 s5, s11, s5
	s_lshl_b64 s[2:3], s[2:3], 2
	s_delay_alu instid0(SALU_CYCLE_1)
	s_add_u32 s12, s4, s2
	s_addc_u32 s13, s5, s3
.LBB38_3:
	s_load_b128 s[0:3], s[0:1], 0x0
	s_mul_i32 s4, s14, s9
	s_mul_hi_u32 s5, s14, s8
	s_mul_i32 s9, s15, s8
	s_add_i32 s5, s5, s4
	s_mul_i32 s4, s14, s8
	s_add_i32 s5, s5, s9
	v_lshlrev_b32_e32 v83, 2, v0
	s_lshl_b64 s[4:5], s[4:5], 2
	s_waitcnt lgkmcnt(0)
	v_add3_u32 v2, s3, s3, v0
	s_ashr_i32 s9, s2, 31
	s_mov_b32 s8, s2
	s_add_u32 s2, s0, s4
	s_addc_u32 s4, s1, s5
	v_add_nc_u32_e32 v9, s3, v2
	s_lshl_b64 s[0:1], s[8:9], 2
	v_ashrrev_i32_e32 v3, 31, v2
	s_add_u32 s0, s2, s0
	s_addc_u32 s1, s4, s1
	v_add_nc_u32_e32 v11, s3, v9
	v_add_co_u32 v5, s2, s0, v83
	v_ashrrev_i32_e32 v10, 31, v9
	s_mov_b32 s10, s3
	s_delay_alu instid0(VALU_DEP_3) | instskip(SKIP_3) | instid1(VALU_DEP_3)
	v_add_nc_u32_e32 v13, s3, v11
	s_ashr_i32 s11, s3, 31
	v_add_co_ci_u32_e64 v6, null, s1, 0, s2
	v_lshlrev_b64 v[2:3], 2, v[2:3]
	v_add_nc_u32_e32 v15, s3, v13
	s_lshl_b64 s[4:5], s[10:11], 2
	v_lshlrev_b64 v[38:39], 2, v[9:10]
	v_add_co_u32 v7, vcc_lo, v5, s4
	s_delay_alu instid0(VALU_DEP_3) | instskip(SKIP_3) | instid1(VALU_DEP_4)
	v_add_nc_u32_e32 v17, s3, v15
	v_ashrrev_i32_e32 v12, 31, v11
	v_add_co_ci_u32_e32 v8, vcc_lo, s5, v6, vcc_lo
	v_add_co_u32 v9, vcc_lo, s0, v2
	v_add_nc_u32_e32 v19, s3, v17
	v_ashrrev_i32_e32 v14, 31, v13
	v_add_co_ci_u32_e32 v10, vcc_lo, s1, v3, vcc_lo
	v_lshlrev_b64 v[2:3], 2, v[11:12]
	s_delay_alu instid0(VALU_DEP_4) | instskip(SKIP_2) | instid1(VALU_DEP_3)
	v_add_nc_u32_e32 v21, s3, v19
	v_add_co_u32 v11, vcc_lo, s0, v38
	v_add_co_ci_u32_e32 v12, vcc_lo, s1, v39, vcc_lo
	v_add_nc_u32_e32 v23, s3, v21
	v_lshlrev_b64 v[38:39], 2, v[13:14]
	v_ashrrev_i32_e32 v16, 31, v15
	v_add_co_u32 v13, vcc_lo, s0, v2
	s_delay_alu instid0(VALU_DEP_4) | instskip(SKIP_3) | instid1(VALU_DEP_4)
	v_add_nc_u32_e32 v25, s3, v23
	v_ashrrev_i32_e32 v18, 31, v17
	v_add_co_ci_u32_e32 v14, vcc_lo, s1, v3, vcc_lo
	v_lshlrev_b64 v[2:3], 2, v[15:16]
	v_add_nc_u32_e32 v27, s3, v25
	v_add_co_u32 v15, vcc_lo, s0, v38
	v_add_co_ci_u32_e32 v16, vcc_lo, s1, v39, vcc_lo
	s_delay_alu instid0(VALU_DEP_3) | instskip(SKIP_3) | instid1(VALU_DEP_4)
	v_add_nc_u32_e32 v29, s3, v27
	v_lshlrev_b64 v[38:39], 2, v[17:18]
	v_ashrrev_i32_e32 v20, 31, v19
	v_add_co_u32 v17, vcc_lo, s0, v2
	v_add_nc_u32_e32 v31, s3, v29
	v_ashrrev_i32_e32 v22, 31, v21
	v_add_co_ci_u32_e32 v18, vcc_lo, s1, v3, vcc_lo
	v_lshlrev_b64 v[2:3], 2, v[19:20]
	s_delay_alu instid0(VALU_DEP_4) | instskip(SKIP_3) | instid1(VALU_DEP_4)
	v_add_nc_u32_e32 v33, s3, v31
	v_add_co_u32 v19, vcc_lo, s0, v38
	v_ashrrev_i32_e32 v24, 31, v23
	v_add_co_ci_u32_e32 v20, vcc_lo, s1, v39, vcc_lo
	v_add_nc_u32_e32 v35, s3, v33
	v_lshlrev_b64 v[38:39], 2, v[21:22]
	v_add_co_u32 v21, vcc_lo, s0, v2
	v_lshlrev_b64 v[47:48], 2, v[23:24]
	s_delay_alu instid0(VALU_DEP_4) | instskip(SKIP_3) | instid1(VALU_DEP_4)
	v_add_nc_u32_e32 v37, s3, v35
	v_ashrrev_i32_e32 v26, 31, v25
	v_add_co_ci_u32_e32 v22, vcc_lo, s1, v3, vcc_lo
	v_add_co_u32 v23, vcc_lo, s0, v38
	v_add_nc_u32_e32 v40, s3, v37
	v_ashrrev_i32_e32 v28, 31, v27
	v_add_co_ci_u32_e32 v24, vcc_lo, s1, v39, vcc_lo
	v_lshlrev_b64 v[38:39], 2, v[25:26]
	s_delay_alu instid0(VALU_DEP_4) | instskip(SKIP_2) | instid1(VALU_DEP_3)
	v_add_nc_u32_e32 v42, s3, v40
	v_add_co_u32 v25, vcc_lo, s0, v47
	v_add_co_ci_u32_e32 v26, vcc_lo, s1, v48, vcc_lo
	v_add_nc_u32_e32 v44, s3, v42
	v_lshlrev_b64 v[47:48], 2, v[27:28]
	v_ashrrev_i32_e32 v30, 31, v29
	v_add_co_u32 v27, vcc_lo, s0, v38
	s_delay_alu instid0(VALU_DEP_4) | instskip(SKIP_3) | instid1(VALU_DEP_4)
	v_add_nc_u32_e32 v46, s3, v44
	v_ashrrev_i32_e32 v32, 31, v31
	v_add_co_ci_u32_e32 v28, vcc_lo, s1, v39, vcc_lo
	v_lshlrev_b64 v[38:39], 2, v[29:30]
	v_add_nc_u32_e32 v49, s3, v46
	v_add_co_u32 v29, vcc_lo, s0, v47
	v_ashrrev_i32_e32 v34, 31, v33
	v_add_co_ci_u32_e32 v30, vcc_lo, s1, v48, vcc_lo
	s_delay_alu instid0(VALU_DEP_4) | instskip(SKIP_3) | instid1(VALU_DEP_4)
	v_add_nc_u32_e32 v51, s3, v49
	v_lshlrev_b64 v[47:48], 2, v[31:32]
	v_add_co_u32 v31, vcc_lo, s0, v38
	v_lshlrev_b64 v[54:55], 2, v[33:34]
	v_add_nc_u32_e32 v53, s3, v51
	v_ashrrev_i32_e32 v36, 31, v35
	v_add_co_ci_u32_e32 v32, vcc_lo, s1, v39, vcc_lo
	v_add_co_u32 v33, vcc_lo, s0, v47
	s_delay_alu instid0(VALU_DEP_4) | instskip(SKIP_3) | instid1(VALU_DEP_4)
	v_add_nc_u32_e32 v57, s3, v53
	v_ashrrev_i32_e32 v38, 31, v37
	v_add_co_ci_u32_e32 v34, vcc_lo, s1, v48, vcc_lo
	v_lshlrev_b64 v[47:48], 2, v[35:36]
	v_add_nc_u32_e32 v59, s3, v57
	v_add_co_u32 v35, vcc_lo, s0, v54
	v_add_co_ci_u32_e32 v36, vcc_lo, s1, v55, vcc_lo
	s_delay_alu instid0(VALU_DEP_3) | instskip(SKIP_3) | instid1(VALU_DEP_4)
	v_add_nc_u32_e32 v61, s3, v59
	v_lshlrev_b64 v[54:55], 2, v[37:38]
	v_ashrrev_i32_e32 v41, 31, v40
	v_add_co_u32 v37, vcc_lo, s0, v47
	v_add_nc_u32_e32 v63, s3, v61
	v_ashrrev_i32_e32 v43, 31, v42
	v_add_co_ci_u32_e32 v38, vcc_lo, s1, v48, vcc_lo
	v_lshlrev_b64 v[47:48], 2, v[40:41]
	s_delay_alu instid0(VALU_DEP_4) | instskip(SKIP_2) | instid1(VALU_DEP_3)
	v_add_nc_u32_e32 v65, s3, v63
	v_add_co_u32 v39, vcc_lo, s0, v54
	v_add_co_ci_u32_e32 v40, vcc_lo, s1, v55, vcc_lo
	v_add_nc_u32_e32 v67, s3, v65
	v_lshlrev_b64 v[54:55], 2, v[42:43]
	v_ashrrev_i32_e32 v45, 31, v44
	v_add_co_u32 v41, vcc_lo, s0, v47
	s_delay_alu instid0(VALU_DEP_4) | instskip(SKIP_3) | instid1(VALU_DEP_4)
	v_add_nc_u32_e32 v69, s3, v67
	v_add_co_ci_u32_e32 v42, vcc_lo, s1, v48, vcc_lo
	v_ashrrev_i32_e32 v47, 31, v46
	v_add_co_u32 v43, vcc_lo, s0, v54
	v_add_nc_u32_e32 v71, s3, v69
	v_lshlrev_b64 v[80:81], 2, v[44:45]
	v_add_co_ci_u32_e32 v44, vcc_lo, s1, v55, vcc_lo
	v_lshlrev_b64 v[45:46], 2, v[46:47]
	s_delay_alu instid0(VALU_DEP_4) | instskip(SKIP_3) | instid1(VALU_DEP_4)
	v_add_nc_u32_e32 v73, s3, v71
	v_ashrrev_i32_e32 v50, 31, v49
	v_add_co_u32 v47, vcc_lo, s0, v80
	v_add_co_ci_u32_e32 v48, vcc_lo, s1, v81, vcc_lo
	v_add_nc_u32_e32 v75, s3, v73
	s_delay_alu instid0(VALU_DEP_4) | instskip(SKIP_2) | instid1(VALU_DEP_4)
	v_lshlrev_b64 v[80:81], 2, v[49:50]
	v_ashrrev_i32_e32 v52, 31, v51
	v_add_co_u32 v49, vcc_lo, s0, v45
	v_add_nc_u32_e32 v77, s3, v75
	v_add_co_ci_u32_e32 v50, vcc_lo, s1, v46, vcc_lo
	v_ashrrev_i32_e32 v54, 31, v53
	v_lshlrev_b64 v[97:98], 2, v[51:52]
	s_delay_alu instid0(VALU_DEP_4) | instskip(SKIP_3) | instid1(VALU_DEP_4)
	v_add_nc_u32_e32 v79, s3, v77
	v_add_co_u32 v51, vcc_lo, s0, v80
	v_ashrrev_i32_e32 v58, 31, v57
	v_add_co_ci_u32_e32 v52, vcc_lo, s1, v81, vcc_lo
	v_add_nc_u32_e32 v113, s3, v79
	v_ashrrev_i32_e32 v60, 31, v59
	s_delay_alu instid0(VALU_DEP_4)
	v_lshlrev_b64 v[57:58], 2, v[57:58]
	v_ashrrev_i32_e32 v62, 31, v61
	v_ashrrev_i32_e32 v64, 31, v63
	v_add_nc_u32_e32 v55, s3, v113
	v_lshlrev_b64 v[59:60], 2, v[59:60]
	v_ashrrev_i32_e32 v66, 31, v65
	v_lshlrev_b64 v[61:62], 2, v[61:62]
	v_lshlrev_b64 v[63:64], 2, v[63:64]
	v_ashrrev_i32_e32 v56, 31, v55
	v_ashrrev_i32_e32 v68, 31, v67
	v_lshlrev_b64 v[65:66], 2, v[65:66]
	v_ashrrev_i32_e32 v70, 31, v69
	v_ashrrev_i32_e32 v72, 31, v71
	v_lshlrev_b64 v[45:46], 2, v[55:56]
	v_lshlrev_b64 v[55:56], 2, v[53:54]
	;; [unrolled: 1-line block ×4, first 2 shown]
	v_ashrrev_i32_e32 v74, 31, v73
	v_lshlrev_b64 v[71:72], 2, v[71:72]
	v_add_co_u32 v45, vcc_lo, s0, v45
	v_add_co_ci_u32_e32 v46, vcc_lo, s1, v46, vcc_lo
	v_add_co_u32 v53, vcc_lo, s0, v97
	v_add_co_ci_u32_e32 v54, vcc_lo, s1, v98, vcc_lo
	;; [unrolled: 2-line block ×8, first 2 shown]
	v_add_co_u32 v67, vcc_lo, s0, v67
	v_ashrrev_i32_e32 v76, 31, v75
	v_add_co_ci_u32_e32 v68, vcc_lo, s1, v68, vcc_lo
	v_add_co_u32 v69, vcc_lo, s0, v69
	v_lshlrev_b64 v[73:74], 2, v[73:74]
	v_ashrrev_i32_e32 v78, 31, v77
	v_add_co_ci_u32_e32 v70, vcc_lo, s1, v70, vcc_lo
	v_add_co_u32 v71, vcc_lo, s0, v71
	v_lshlrev_b64 v[75:76], 2, v[75:76]
	;; [unrolled: 4-line block ×4, first 2 shown]
	v_add_co_ci_u32_e32 v76, vcc_lo, s1, v76, vcc_lo
	v_add_co_u32 v77, vcc_lo, s0, v77
	v_lshlrev_b64 v[81:82], 2, v[113:114]
	v_add_co_ci_u32_e32 v78, vcc_lo, s1, v78, vcc_lo
	v_add_co_u32 v79, vcc_lo, s0, v79
	v_add_co_ci_u32_e32 v80, vcc_lo, s1, v80, vcc_lo
	s_delay_alu instid0(VALU_DEP_4)
	v_add_co_u32 v81, vcc_lo, s0, v81
	s_clause 0x1f
	global_load_b32 v1, v83, s[0:1]
	global_load_b32 v2, v[7:8], off
	global_load_b32 v3, v[9:10], off
	global_load_b32 v4, v[11:12], off
	global_load_b32 v84, v[13:14], off
	global_load_b32 v85, v[15:16], off
	global_load_b32 v86, v[17:18], off
	global_load_b32 v87, v[19:20], off
	global_load_b32 v88, v[21:22], off
	global_load_b32 v89, v[23:24], off
	global_load_b32 v90, v[25:26], off
	global_load_b32 v91, v[27:28], off
	global_load_b32 v92, v[29:30], off
	global_load_b32 v93, v[31:32], off
	global_load_b32 v94, v[33:34], off
	global_load_b32 v95, v[35:36], off
	global_load_b32 v96, v[37:38], off
	global_load_b32 v97, v[39:40], off
	global_load_b32 v98, v[41:42], off
	global_load_b32 v99, v[43:44], off
	global_load_b32 v100, v[47:48], off
	global_load_b32 v101, v[49:50], off
	global_load_b32 v102, v[51:52], off
	global_load_b32 v103, v[53:54], off
	global_load_b32 v104, v[55:56], off
	global_load_b32 v105, v[57:58], off
	global_load_b32 v106, v[59:60], off
	global_load_b32 v107, v[61:62], off
	global_load_b32 v108, v[63:64], off
	global_load_b32 v109, v[65:66], off
	global_load_b32 v110, v[67:68], off
	global_load_b32 v111, v[69:70], off
	global_load_b32 v112, v[71:72], off
	v_add_co_ci_u32_e32 v82, vcc_lo, s1, v82, vcc_lo
	s_clause 0x5
	global_load_b32 v113, v[73:74], off
	global_load_b32 v114, v[75:76], off
	;; [unrolled: 1-line block ×6, first 2 shown]
	s_mov_b32 s1, -1
	s_bitcmp0_b32 s17, 0
	s_waitcnt vmcnt(35)
	scratch_store_b128 off, v[1:4], off
	s_waitcnt vmcnt(31)
	scratch_store_b128 off, v[84:87], off offset:16
	s_waitcnt vmcnt(27)
	scratch_store_b128 off, v[88:91], off offset:32
	;; [unrolled: 2-line block ×8, first 2 shown]
	s_waitcnt vmcnt(0)
	scratch_store_b96 off, v[116:118], off offset:144
	s_cbranch_scc1 .LBB38_162
; %bb.4:
	v_cmp_eq_u32_e64 s0, 0, v0
	s_delay_alu instid0(VALU_DEP_1)
	s_and_saveexec_b32 s1, s0
	s_cbranch_execz .LBB38_6
; %bb.5:
	v_mov_b32_e32 v1, 0
	ds_store_b32 v1, v1 offset:156
.LBB38_6:
	s_or_b32 exec_lo, exec_lo, s1
	s_waitcnt lgkmcnt(0)
	s_waitcnt_vscnt null, 0x0
	s_barrier
	buffer_gl0_inv
	scratch_load_b32 v1, v83, off
	s_mov_b32 s2, exec_lo
	s_waitcnt vmcnt(0)
	v_cmpx_eq_f32_e32 0, v1
	s_cbranch_execz .LBB38_10
; %bb.7:
	v_mov_b32_e32 v1, 0
	s_mov_b32 s3, 0
	ds_load_b32 v2, v1 offset:156
	s_waitcnt lgkmcnt(0)
	v_readfirstlane_b32 s1, v2
	v_add_nc_u32_e32 v2, 1, v0
	s_delay_alu instid0(VALU_DEP_2) | instskip(NEXT) | instid1(VALU_DEP_1)
	s_cmp_eq_u32 s1, 0
	v_cmp_gt_i32_e32 vcc_lo, s1, v2
	s_cselect_b32 s4, -1, 0
	s_delay_alu instid0(SALU_CYCLE_1) | instskip(NEXT) | instid1(SALU_CYCLE_1)
	s_or_b32 s4, s4, vcc_lo
	s_and_b32 exec_lo, exec_lo, s4
	s_cbranch_execz .LBB38_10
; %bb.8:
	v_mov_b32_e32 v3, s1
.LBB38_9:                               ; =>This Inner Loop Header: Depth=1
	ds_cmpstore_rtn_b32 v3, v1, v2, v3 offset:156
	s_waitcnt lgkmcnt(0)
	v_cmp_ne_u32_e32 vcc_lo, 0, v3
	v_cmp_le_i32_e64 s1, v3, v2
	s_delay_alu instid0(VALU_DEP_1) | instskip(NEXT) | instid1(SALU_CYCLE_1)
	s_and_b32 s1, vcc_lo, s1
	s_and_b32 s1, exec_lo, s1
	s_delay_alu instid0(SALU_CYCLE_1) | instskip(NEXT) | instid1(SALU_CYCLE_1)
	s_or_b32 s3, s1, s3
	s_and_not1_b32 exec_lo, exec_lo, s3
	s_cbranch_execnz .LBB38_9
.LBB38_10:
	s_or_b32 exec_lo, exec_lo, s2
	v_mov_b32_e32 v1, 0
	s_barrier
	buffer_gl0_inv
	ds_load_b32 v2, v1 offset:156
	s_and_saveexec_b32 s1, s0
	s_cbranch_execz .LBB38_12
; %bb.11:
	s_lshl_b64 s[2:3], s[14:15], 2
	s_delay_alu instid0(SALU_CYCLE_1)
	s_add_u32 s2, s6, s2
	s_addc_u32 s3, s7, s3
	s_waitcnt lgkmcnt(0)
	global_store_b32 v1, v2, s[2:3]
.LBB38_12:
	s_or_b32 exec_lo, exec_lo, s1
	s_waitcnt lgkmcnt(0)
	v_cmp_ne_u32_e32 vcc_lo, 0, v2
	s_mov_b32 s1, 0
	s_cbranch_vccnz .LBB38_162
; %bb.13:
	v_add_nc_u32_e32 v1, 0, v83
	scratch_load_b32 v2, v1, off
	s_waitcnt vmcnt(0)
	v_div_scale_f32 v3, null, v2, v2, 1.0
	v_div_scale_f32 v85, vcc_lo, 1.0, v2, 1.0
	s_delay_alu instid0(VALU_DEP_2) | instskip(SKIP_2) | instid1(VALU_DEP_1)
	v_rcp_f32_e32 v4, v3
	s_waitcnt_depctr 0xfff
	v_fma_f32 v84, -v3, v4, 1.0
	v_fmac_f32_e32 v4, v84, v4
	s_delay_alu instid0(VALU_DEP_1) | instskip(NEXT) | instid1(VALU_DEP_1)
	v_mul_f32_e32 v84, v85, v4
	v_fma_f32 v86, -v3, v84, v85
	s_delay_alu instid0(VALU_DEP_1) | instskip(NEXT) | instid1(VALU_DEP_1)
	v_fmac_f32_e32 v84, v86, v4
	v_fma_f32 v3, -v3, v84, v85
	s_delay_alu instid0(VALU_DEP_1) | instskip(NEXT) | instid1(VALU_DEP_1)
	v_div_fmas_f32 v3, v3, v4, v84
	v_div_fixup_f32 v2, v3, v2, 1.0
	scratch_store_b32 v1, v2, off
	scratch_load_b32 v3, off, off offset:4
	v_xor_b32_e32 v4, 0x80000000, v2
	v_add_nc_u32_e32 v2, 0xa0, v83
	s_waitcnt vmcnt(0)
	ds_store_2addr_b32 v83, v4, v3 offset1:40
	s_waitcnt lgkmcnt(0)
	s_waitcnt_vscnt null, 0x0
	s_barrier
	buffer_gl0_inv
	s_and_saveexec_b32 s1, s0
	s_cbranch_execz .LBB38_15
; %bb.14:
	scratch_load_b32 v3, v1, off
	ds_load_b32 v4, v2
	v_mov_b32_e32 v84, 0
	ds_load_b32 v84, v84 offset:4
	s_waitcnt vmcnt(0) lgkmcnt(1)
	v_fma_f32 v3, v3, v4, 0
	s_waitcnt lgkmcnt(0)
	s_delay_alu instid0(VALU_DEP_1)
	v_mul_f32_e32 v3, v3, v84
	scratch_store_b32 off, v3, off offset:4
.LBB38_15:
	s_or_b32 exec_lo, exec_lo, s1
	s_waitcnt_vscnt null, 0x0
	s_barrier
	buffer_gl0_inv
	scratch_load_b32 v3, off, off offset:8
	s_mov_b32 s1, exec_lo
	s_waitcnt vmcnt(0)
	ds_store_b32 v2, v3
	s_waitcnt lgkmcnt(0)
	s_barrier
	buffer_gl0_inv
	v_cmpx_gt_u32_e32 2, v0
	s_cbranch_execz .LBB38_17
; %bb.16:
	scratch_load_b32 v84, v1, off
	scratch_load_b32 v85, off, off offset:4
	ds_load_b32 v86, v2
	v_mov_b32_e32 v3, 0
	ds_load_2addr_b32 v[3:4], v3 offset0:2 offset1:41
	s_waitcnt vmcnt(1) lgkmcnt(1)
	v_fma_f32 v84, v84, v86, 0
	s_waitcnt vmcnt(0) lgkmcnt(0)
	s_delay_alu instid0(VALU_DEP_1) | instskip(NEXT) | instid1(VALU_DEP_1)
	v_fma_f32 v4, v85, v4, v84
	v_cndmask_b32_e64 v4, v84, v4, s0
	s_delay_alu instid0(VALU_DEP_1)
	v_mul_f32_e32 v3, v4, v3
	scratch_store_b32 off, v3, off offset:8
.LBB38_17:
	s_or_b32 exec_lo, exec_lo, s1
	s_waitcnt_vscnt null, 0x0
	s_barrier
	buffer_gl0_inv
	scratch_load_b32 v4, off, off offset:12
	v_add_nc_u32_e32 v3, -1, v0
	s_mov_b32 s0, exec_lo
	s_waitcnt vmcnt(0)
	ds_store_b32 v2, v4
	s_waitcnt lgkmcnt(0)
	s_barrier
	buffer_gl0_inv
	v_cmpx_gt_u32_e32 3, v0
	s_cbranch_execz .LBB38_21
; %bb.18:
	v_add_nc_u32_e32 v84, -1, v0
	v_dual_mov_b32 v4, 0 :: v_dual_add_nc_u32 v85, 0xa0, v83
	v_add_nc_u32_e32 v86, 0, v83
	s_mov_b32 s1, 0
.LBB38_19:                              ; =>This Inner Loop Header: Depth=1
	scratch_load_b32 v87, v86, off
	ds_load_b32 v88, v85
	v_add_nc_u32_e32 v84, 1, v84
	v_add_nc_u32_e32 v85, 4, v85
	v_add_nc_u32_e32 v86, 4, v86
	s_delay_alu instid0(VALU_DEP_3)
	v_cmp_lt_u32_e32 vcc_lo, 1, v84
	s_or_b32 s1, vcc_lo, s1
	s_waitcnt vmcnt(0) lgkmcnt(0)
	v_fmac_f32_e32 v4, v87, v88
	s_and_not1_b32 exec_lo, exec_lo, s1
	s_cbranch_execnz .LBB38_19
; %bb.20:
	s_or_b32 exec_lo, exec_lo, s1
	v_mov_b32_e32 v84, 0
	ds_load_b32 v84, v84 offset:12
	s_waitcnt lgkmcnt(0)
	v_mul_f32_e32 v4, v4, v84
	scratch_store_b32 off, v4, off offset:12
.LBB38_21:
	s_or_b32 exec_lo, exec_lo, s0
	s_waitcnt_vscnt null, 0x0
	s_barrier
	buffer_gl0_inv
	scratch_load_b32 v4, off, off offset:16
	s_mov_b32 s0, exec_lo
	s_waitcnt vmcnt(0)
	ds_store_b32 v2, v4
	s_waitcnt lgkmcnt(0)
	s_barrier
	buffer_gl0_inv
	v_cmpx_gt_u32_e32 4, v0
	s_cbranch_execz .LBB38_25
; %bb.22:
	v_add_nc_u32_e32 v84, -1, v0
	v_dual_mov_b32 v4, 0 :: v_dual_add_nc_u32 v85, 0xa0, v83
	v_add_nc_u32_e32 v86, 0, v83
	s_mov_b32 s1, 0
.LBB38_23:                              ; =>This Inner Loop Header: Depth=1
	scratch_load_b32 v87, v86, off
	ds_load_b32 v88, v85
	v_add_nc_u32_e32 v84, 1, v84
	v_add_nc_u32_e32 v85, 4, v85
	v_add_nc_u32_e32 v86, 4, v86
	s_delay_alu instid0(VALU_DEP_3)
	v_cmp_lt_u32_e32 vcc_lo, 2, v84
	s_or_b32 s1, vcc_lo, s1
	s_waitcnt vmcnt(0) lgkmcnt(0)
	v_fmac_f32_e32 v4, v87, v88
	s_and_not1_b32 exec_lo, exec_lo, s1
	s_cbranch_execnz .LBB38_23
; %bb.24:
	s_or_b32 exec_lo, exec_lo, s1
	v_mov_b32_e32 v84, 0
	ds_load_b32 v84, v84 offset:16
	s_waitcnt lgkmcnt(0)
	v_mul_f32_e32 v4, v4, v84
	scratch_store_b32 off, v4, off offset:16
.LBB38_25:
	s_or_b32 exec_lo, exec_lo, s0
	s_waitcnt_vscnt null, 0x0
	s_barrier
	buffer_gl0_inv
	scratch_load_b32 v4, off, off offset:20
	;; [unrolled: 39-line block ×21, first 2 shown]
	s_mov_b32 s0, exec_lo
	s_waitcnt vmcnt(0)
	ds_store_b32 v2, v4
	s_waitcnt lgkmcnt(0)
	s_barrier
	buffer_gl0_inv
	v_cmpx_gt_u32_e32 24, v0
	s_cbranch_execz .LBB38_105
; %bb.102:
	v_add_nc_u32_e32 v84, -1, v0
	v_dual_mov_b32 v4, 0 :: v_dual_add_nc_u32 v85, 0xa0, v83
	v_add_nc_u32_e32 v86, 0, v83
	s_mov_b32 s1, 0
.LBB38_103:                             ; =>This Inner Loop Header: Depth=1
	scratch_load_b32 v87, v86, off
	ds_load_b32 v88, v85
	v_add_nc_u32_e32 v84, 1, v84
	v_add_nc_u32_e32 v85, 4, v85
	v_add_nc_u32_e32 v86, 4, v86
	s_delay_alu instid0(VALU_DEP_3)
	v_cmp_lt_u32_e32 vcc_lo, 22, v84
	s_or_b32 s1, vcc_lo, s1
	s_waitcnt vmcnt(0) lgkmcnt(0)
	v_fmac_f32_e32 v4, v87, v88
	s_and_not1_b32 exec_lo, exec_lo, s1
	s_cbranch_execnz .LBB38_103
; %bb.104:
	s_or_b32 exec_lo, exec_lo, s1
	v_mov_b32_e32 v84, 0
	ds_load_b32 v84, v84 offset:96
	s_waitcnt lgkmcnt(0)
	v_mul_f32_e32 v4, v4, v84
	scratch_store_b32 off, v4, off offset:96
.LBB38_105:
	s_or_b32 exec_lo, exec_lo, s0
	s_waitcnt_vscnt null, 0x0
	s_barrier
	buffer_gl0_inv
	scratch_load_b32 v4, off, off offset:100
	s_mov_b32 s0, exec_lo
	s_waitcnt vmcnt(0)
	ds_store_b32 v2, v4
	s_waitcnt lgkmcnt(0)
	s_barrier
	buffer_gl0_inv
	v_cmpx_gt_u32_e32 25, v0
	s_cbranch_execz .LBB38_109
; %bb.106:
	v_add_nc_u32_e32 v84, -1, v0
	v_dual_mov_b32 v4, 0 :: v_dual_add_nc_u32 v85, 0xa0, v83
	v_add_nc_u32_e32 v86, 0, v83
	s_mov_b32 s1, 0
.LBB38_107:                             ; =>This Inner Loop Header: Depth=1
	scratch_load_b32 v87, v86, off
	ds_load_b32 v88, v85
	v_add_nc_u32_e32 v84, 1, v84
	v_add_nc_u32_e32 v85, 4, v85
	v_add_nc_u32_e32 v86, 4, v86
	s_delay_alu instid0(VALU_DEP_3)
	v_cmp_lt_u32_e32 vcc_lo, 23, v84
	s_or_b32 s1, vcc_lo, s1
	s_waitcnt vmcnt(0) lgkmcnt(0)
	v_fmac_f32_e32 v4, v87, v88
	s_and_not1_b32 exec_lo, exec_lo, s1
	s_cbranch_execnz .LBB38_107
; %bb.108:
	s_or_b32 exec_lo, exec_lo, s1
	v_mov_b32_e32 v84, 0
	ds_load_b32 v84, v84 offset:100
	s_waitcnt lgkmcnt(0)
	v_mul_f32_e32 v4, v4, v84
	scratch_store_b32 off, v4, off offset:100
.LBB38_109:
	s_or_b32 exec_lo, exec_lo, s0
	s_waitcnt_vscnt null, 0x0
	s_barrier
	buffer_gl0_inv
	scratch_load_b32 v4, off, off offset:104
	;; [unrolled: 39-line block ×14, first 2 shown]
	s_mov_b32 s0, exec_lo
	s_waitcnt vmcnt(0)
	ds_store_b32 v2, v4
	s_waitcnt lgkmcnt(0)
	s_barrier
	buffer_gl0_inv
	v_cmpx_ne_u32_e32 38, v0
	s_cbranch_execz .LBB38_161
; %bb.158:
	v_mov_b32_e32 v4, 0
	s_mov_b32 s1, 0
.LBB38_159:                             ; =>This Inner Loop Header: Depth=1
	scratch_load_b32 v83, v1, off
	ds_load_b32 v84, v2
	v_add_nc_u32_e32 v3, 1, v3
	v_add_nc_u32_e32 v2, 4, v2
	s_waitcnt vmcnt(0) lgkmcnt(0)
	v_dual_fmac_f32 v4, v83, v84 :: v_dual_add_nc_u32 v1, 4, v1
	s_delay_alu instid0(VALU_DEP_3) | instskip(SKIP_1) | instid1(SALU_CYCLE_1)
	v_cmp_lt_u32_e32 vcc_lo, 36, v3
	s_or_b32 s1, vcc_lo, s1
	s_and_not1_b32 exec_lo, exec_lo, s1
	s_cbranch_execnz .LBB38_159
; %bb.160:
	s_or_b32 exec_lo, exec_lo, s1
	v_mov_b32_e32 v1, 0
	ds_load_b32 v1, v1 offset:152
	s_waitcnt lgkmcnt(0)
	v_mul_f32_e32 v1, v4, v1
	scratch_store_b32 off, v1, off offset:152
.LBB38_161:
	s_or_b32 exec_lo, exec_lo, s0
	s_mov_b32 s1, -1
	s_waitcnt_vscnt null, 0x0
	s_barrier
	buffer_gl0_inv
.LBB38_162:
	s_and_b32 vcc_lo, exec_lo, s1
	s_cbranch_vccz .LBB38_164
; %bb.163:
	s_lshl_b64 s[0:1], s[14:15], 2
	v_mov_b32_e32 v1, 0
	s_add_u32 s0, s6, s0
	s_addc_u32 s1, s7, s1
	global_load_b32 v1, v1, s[0:1]
	s_waitcnt vmcnt(0)
	v_cmp_ne_u32_e32 vcc_lo, 0, v1
	s_cbranch_vccz .LBB38_165
.LBB38_164:
	s_endpgm
.LBB38_165:
	v_lshl_add_u32 v1, v0, 2, 0xa0
	s_mov_b32 s0, exec_lo
	v_cmpx_eq_u32_e32 38, v0
	s_cbranch_execz .LBB38_167
; %bb.166:
	scratch_load_b32 v2, off, off offset:148
	v_mov_b32_e32 v3, 0
	scratch_store_b32 off, v3, off offset:148
	s_waitcnt vmcnt(0)
	ds_store_b32 v1, v2
.LBB38_167:
	s_or_b32 exec_lo, exec_lo, s0
	s_waitcnt lgkmcnt(0)
	s_waitcnt_vscnt null, 0x0
	s_barrier
	buffer_gl0_inv
	scratch_load_b64 v[3:4], off, off offset:148
	v_mov_b32_e32 v2, 0
	s_mov_b32 s0, exec_lo
	ds_load_b32 v83, v2 offset:312
	s_waitcnt vmcnt(0) lgkmcnt(0)
	v_fma_f32 v4, v4, v83, 0
	s_delay_alu instid0(VALU_DEP_1)
	v_sub_f32_e32 v3, v3, v4
	scratch_store_b32 off, v3, off offset:148
	v_cmpx_lt_u32_e32 36, v0
	s_cbranch_execz .LBB38_169
; %bb.168:
	scratch_load_b32 v3, off, off offset:144
	scratch_store_b32 off, v2, off offset:144
	s_waitcnt vmcnt(0)
	ds_store_b32 v1, v3
.LBB38_169:
	s_or_b32 exec_lo, exec_lo, s0
	s_waitcnt lgkmcnt(0)
	s_waitcnt_vscnt null, 0x0
	s_barrier
	buffer_gl0_inv
	scratch_load_b96 v[83:85], off, off offset:144
	ds_load_2addr_b32 v[2:3], v2 offset0:77 offset1:78
	s_mov_b32 s0, exec_lo
	s_waitcnt vmcnt(0) lgkmcnt(0)
	v_fma_f32 v2, v84, v2, 0
	s_delay_alu instid0(VALU_DEP_1) | instskip(NEXT) | instid1(VALU_DEP_1)
	v_fmac_f32_e32 v2, v85, v3
	v_sub_f32_e32 v2, v83, v2
	scratch_store_b32 off, v2, off offset:144
	v_cmpx_lt_u32_e32 35, v0
	s_cbranch_execz .LBB38_171
; %bb.170:
	scratch_load_b32 v2, off, off offset:140
	v_mov_b32_e32 v3, 0
	scratch_store_b32 off, v3, off offset:140
	s_waitcnt vmcnt(0)
	ds_store_b32 v1, v2
.LBB38_171:
	s_or_b32 exec_lo, exec_lo, s0
	s_waitcnt lgkmcnt(0)
	s_waitcnt_vscnt null, 0x0
	s_barrier
	buffer_gl0_inv
	scratch_load_b128 v[83:86], off, off offset:140
	v_mov_b32_e32 v2, 0
	s_mov_b32 s0, exec_lo
	ds_load_b96 v[87:89], v2 offset:304
	s_waitcnt vmcnt(0) lgkmcnt(0)
	v_fma_f32 v3, v84, v87, 0
	s_delay_alu instid0(VALU_DEP_1) | instskip(NEXT) | instid1(VALU_DEP_1)
	v_fmac_f32_e32 v3, v85, v88
	v_fmac_f32_e32 v3, v86, v89
	s_delay_alu instid0(VALU_DEP_1)
	v_sub_f32_e32 v3, v83, v3
	scratch_store_b32 off, v3, off offset:140
	v_cmpx_lt_u32_e32 34, v0
	s_cbranch_execz .LBB38_173
; %bb.172:
	scratch_load_b32 v3, off, off offset:136
	scratch_store_b32 off, v2, off offset:136
	s_waitcnt vmcnt(0)
	ds_store_b32 v1, v3
.LBB38_173:
	s_or_b32 exec_lo, exec_lo, s0
	s_waitcnt lgkmcnt(0)
	s_waitcnt_vscnt null, 0x0
	s_barrier
	buffer_gl0_inv
	s_clause 0x1
	scratch_load_b128 v[83:86], off, off offset:136
	scratch_load_b32 v89, off, off offset:152
	ds_load_2addr_b32 v[3:4], v2 offset0:75 offset1:76
	ds_load_2addr_b32 v[87:88], v2 offset0:77 offset1:78
	s_mov_b32 s0, exec_lo
	s_waitcnt vmcnt(1) lgkmcnt(1)
	v_fma_f32 v2, v84, v3, 0
	s_delay_alu instid0(VALU_DEP_1) | instskip(SKIP_1) | instid1(VALU_DEP_1)
	v_fmac_f32_e32 v2, v85, v4
	s_waitcnt lgkmcnt(0)
	v_fmac_f32_e32 v2, v86, v87
	s_waitcnt vmcnt(0)
	s_delay_alu instid0(VALU_DEP_1) | instskip(NEXT) | instid1(VALU_DEP_1)
	v_fmac_f32_e32 v2, v89, v88
	v_sub_f32_e32 v2, v83, v2
	scratch_store_b32 off, v2, off offset:136
	v_cmpx_lt_u32_e32 33, v0
	s_cbranch_execz .LBB38_175
; %bb.174:
	scratch_load_b32 v2, off, off offset:132
	v_mov_b32_e32 v3, 0
	scratch_store_b32 off, v3, off offset:132
	s_waitcnt vmcnt(0)
	ds_store_b32 v1, v2
.LBB38_175:
	s_or_b32 exec_lo, exec_lo, s0
	s_waitcnt lgkmcnt(0)
	s_waitcnt_vscnt null, 0x0
	s_barrier
	buffer_gl0_inv
	s_clause 0x1
	scratch_load_b128 v[83:86], off, off offset:132
	scratch_load_b64 v[3:4], off, off offset:148
	v_mov_b32_e32 v2, 0
	ds_load_2addr_b64 v[87:90], v2 offset0:37 offset1:38
	ds_load_b32 v91, v2 offset:312
	s_mov_b32 s0, exec_lo
	s_waitcnt vmcnt(1) lgkmcnt(1)
	v_fma_f32 v84, v84, v87, 0
	s_delay_alu instid0(VALU_DEP_1) | instskip(NEXT) | instid1(VALU_DEP_1)
	v_fmac_f32_e32 v84, v85, v88
	v_fmac_f32_e32 v84, v86, v89
	s_waitcnt vmcnt(0)
	s_delay_alu instid0(VALU_DEP_1) | instskip(SKIP_1) | instid1(VALU_DEP_1)
	v_fmac_f32_e32 v84, v3, v90
	s_waitcnt lgkmcnt(0)
	v_fmac_f32_e32 v84, v4, v91
	s_delay_alu instid0(VALU_DEP_1)
	v_sub_f32_e32 v3, v83, v84
	scratch_store_b32 off, v3, off offset:132
	v_cmpx_lt_u32_e32 32, v0
	s_cbranch_execz .LBB38_177
; %bb.176:
	scratch_load_b32 v3, off, off offset:128
	scratch_store_b32 off, v2, off offset:128
	s_waitcnt vmcnt(0)
	ds_store_b32 v1, v3
.LBB38_177:
	s_or_b32 exec_lo, exec_lo, s0
	s_waitcnt lgkmcnt(0)
	s_waitcnt_vscnt null, 0x0
	s_barrier
	buffer_gl0_inv
	s_clause 0x1
	scratch_load_b128 v[83:86], off, off offset:128
	scratch_load_b96 v[87:89], off, off offset:144
	ds_load_2addr_b32 v[3:4], v2 offset0:73 offset1:74
	ds_load_2addr_b32 v[90:91], v2 offset0:75 offset1:76
	;; [unrolled: 1-line block ×3, first 2 shown]
	s_mov_b32 s0, exec_lo
	s_waitcnt vmcnt(1) lgkmcnt(2)
	v_fma_f32 v2, v84, v3, 0
	s_delay_alu instid0(VALU_DEP_1) | instskip(SKIP_1) | instid1(VALU_DEP_1)
	v_fmac_f32_e32 v2, v85, v4
	s_waitcnt lgkmcnt(1)
	v_fmac_f32_e32 v2, v86, v90
	s_waitcnt vmcnt(0)
	s_delay_alu instid0(VALU_DEP_1) | instskip(SKIP_1) | instid1(VALU_DEP_1)
	v_fmac_f32_e32 v2, v87, v91
	s_waitcnt lgkmcnt(0)
	v_fmac_f32_e32 v2, v88, v92
	s_delay_alu instid0(VALU_DEP_1) | instskip(NEXT) | instid1(VALU_DEP_1)
	v_fmac_f32_e32 v2, v89, v93
	v_sub_f32_e32 v2, v83, v2
	scratch_store_b32 off, v2, off offset:128
	v_cmpx_lt_u32_e32 31, v0
	s_cbranch_execz .LBB38_179
; %bb.178:
	scratch_load_b32 v2, off, off offset:124
	v_mov_b32_e32 v3, 0
	scratch_store_b32 off, v3, off offset:124
	s_waitcnt vmcnt(0)
	ds_store_b32 v1, v2
.LBB38_179:
	s_or_b32 exec_lo, exec_lo, s0
	s_waitcnt lgkmcnt(0)
	s_waitcnt_vscnt null, 0x0
	s_barrier
	buffer_gl0_inv
	s_clause 0x1
	scratch_load_b128 v[83:86], off, off offset:124
	scratch_load_b128 v[87:90], off, off offset:140
	v_mov_b32_e32 v2, 0
	ds_load_b128 v[91:94], v2 offset:288
	ds_load_b96 v[95:97], v2 offset:304
	s_mov_b32 s0, exec_lo
	s_waitcnt vmcnt(1) lgkmcnt(1)
	v_fma_f32 v3, v84, v91, 0
	s_delay_alu instid0(VALU_DEP_1) | instskip(NEXT) | instid1(VALU_DEP_1)
	v_fmac_f32_e32 v3, v85, v92
	v_fmac_f32_e32 v3, v86, v93
	s_waitcnt vmcnt(0)
	s_delay_alu instid0(VALU_DEP_1) | instskip(SKIP_1) | instid1(VALU_DEP_1)
	v_fmac_f32_e32 v3, v87, v94
	s_waitcnt lgkmcnt(0)
	v_fmac_f32_e32 v3, v88, v95
	s_delay_alu instid0(VALU_DEP_1) | instskip(NEXT) | instid1(VALU_DEP_1)
	v_fmac_f32_e32 v3, v89, v96
	v_fmac_f32_e32 v3, v90, v97
	s_delay_alu instid0(VALU_DEP_1)
	v_sub_f32_e32 v3, v83, v3
	scratch_store_b32 off, v3, off offset:124
	v_cmpx_lt_u32_e32 30, v0
	s_cbranch_execz .LBB38_181
; %bb.180:
	scratch_load_b32 v3, off, off offset:120
	scratch_store_b32 off, v2, off offset:120
	s_waitcnt vmcnt(0)
	ds_store_b32 v1, v3
.LBB38_181:
	s_or_b32 exec_lo, exec_lo, s0
	s_waitcnt lgkmcnt(0)
	s_waitcnt_vscnt null, 0x0
	s_barrier
	buffer_gl0_inv
	s_clause 0x2
	scratch_load_b128 v[83:86], off, off offset:120
	scratch_load_b128 v[87:90], off, off offset:136
	scratch_load_b32 v97, off, off offset:152
	ds_load_2addr_b32 v[3:4], v2 offset0:71 offset1:72
	ds_load_2addr_b32 v[91:92], v2 offset0:73 offset1:74
	;; [unrolled: 1-line block ×4, first 2 shown]
	s_mov_b32 s0, exec_lo
	s_waitcnt vmcnt(2) lgkmcnt(3)
	v_fma_f32 v2, v84, v3, 0
	s_delay_alu instid0(VALU_DEP_1) | instskip(SKIP_1) | instid1(VALU_DEP_1)
	v_fmac_f32_e32 v2, v85, v4
	s_waitcnt lgkmcnt(2)
	v_fmac_f32_e32 v2, v86, v91
	s_waitcnt vmcnt(1)
	s_delay_alu instid0(VALU_DEP_1) | instskip(SKIP_1) | instid1(VALU_DEP_1)
	v_fmac_f32_e32 v2, v87, v92
	s_waitcnt lgkmcnt(1)
	v_fmac_f32_e32 v2, v88, v93
	s_delay_alu instid0(VALU_DEP_1) | instskip(SKIP_1) | instid1(VALU_DEP_1)
	v_fmac_f32_e32 v2, v89, v94
	s_waitcnt lgkmcnt(0)
	v_fmac_f32_e32 v2, v90, v95
	s_waitcnt vmcnt(0)
	s_delay_alu instid0(VALU_DEP_1) | instskip(NEXT) | instid1(VALU_DEP_1)
	v_fmac_f32_e32 v2, v97, v96
	v_sub_f32_e32 v2, v83, v2
	scratch_store_b32 off, v2, off offset:120
	v_cmpx_lt_u32_e32 29, v0
	s_cbranch_execz .LBB38_183
; %bb.182:
	scratch_load_b32 v2, off, off offset:116
	v_mov_b32_e32 v3, 0
	scratch_store_b32 off, v3, off offset:116
	s_waitcnt vmcnt(0)
	ds_store_b32 v1, v2
.LBB38_183:
	s_or_b32 exec_lo, exec_lo, s0
	s_waitcnt lgkmcnt(0)
	s_waitcnt_vscnt null, 0x0
	s_barrier
	buffer_gl0_inv
	s_clause 0x2
	scratch_load_b128 v[83:86], off, off offset:116
	scratch_load_b128 v[87:90], off, off offset:132
	scratch_load_b64 v[3:4], off, off offset:148
	v_mov_b32_e32 v2, 0
	ds_load_2addr_b64 v[91:94], v2 offset0:35 offset1:36
	ds_load_2addr_b64 v[95:98], v2 offset0:37 offset1:38
	s_mov_b32 s0, exec_lo
	s_waitcnt vmcnt(2) lgkmcnt(1)
	v_fma_f32 v84, v84, v91, 0
	s_delay_alu instid0(VALU_DEP_1) | instskip(SKIP_3) | instid1(VALU_DEP_1)
	v_fmac_f32_e32 v84, v85, v92
	ds_load_b32 v85, v2 offset:312
	v_fmac_f32_e32 v84, v86, v93
	s_waitcnt vmcnt(1)
	v_fmac_f32_e32 v84, v87, v94
	s_waitcnt lgkmcnt(1)
	s_delay_alu instid0(VALU_DEP_1) | instskip(NEXT) | instid1(VALU_DEP_1)
	v_fmac_f32_e32 v84, v88, v95
	v_fmac_f32_e32 v84, v89, v96
	s_delay_alu instid0(VALU_DEP_1) | instskip(SKIP_1) | instid1(VALU_DEP_1)
	v_fmac_f32_e32 v84, v90, v97
	s_waitcnt vmcnt(0)
	v_fmac_f32_e32 v84, v3, v98
	s_waitcnt lgkmcnt(0)
	s_delay_alu instid0(VALU_DEP_1) | instskip(NEXT) | instid1(VALU_DEP_1)
	v_fmac_f32_e32 v84, v4, v85
	v_sub_f32_e32 v3, v83, v84
	scratch_store_b32 off, v3, off offset:116
	v_cmpx_lt_u32_e32 28, v0
	s_cbranch_execz .LBB38_185
; %bb.184:
	scratch_load_b32 v3, off, off offset:112
	scratch_store_b32 off, v2, off offset:112
	s_waitcnt vmcnt(0)
	ds_store_b32 v1, v3
.LBB38_185:
	s_or_b32 exec_lo, exec_lo, s0
	s_waitcnt lgkmcnt(0)
	s_waitcnt_vscnt null, 0x0
	s_barrier
	buffer_gl0_inv
	s_clause 0x2
	scratch_load_b128 v[83:86], off, off offset:112
	scratch_load_b128 v[87:90], off, off offset:128
	scratch_load_b96 v[91:93], off, off offset:144
	ds_load_2addr_b32 v[3:4], v2 offset0:69 offset1:70
	ds_load_2addr_b32 v[94:95], v2 offset0:71 offset1:72
	;; [unrolled: 1-line block ×4, first 2 shown]
	s_mov_b32 s0, exec_lo
	s_waitcnt vmcnt(2) lgkmcnt(3)
	v_fma_f32 v84, v84, v3, 0
	ds_load_2addr_b32 v[2:3], v2 offset0:77 offset1:78
	v_fmac_f32_e32 v84, v85, v4
	s_waitcnt lgkmcnt(3)
	s_delay_alu instid0(VALU_DEP_1) | instskip(SKIP_1) | instid1(VALU_DEP_1)
	v_fmac_f32_e32 v84, v86, v94
	s_waitcnt vmcnt(1)
	v_fmac_f32_e32 v84, v87, v95
	s_waitcnt lgkmcnt(2)
	s_delay_alu instid0(VALU_DEP_1) | instskip(NEXT) | instid1(VALU_DEP_1)
	v_fmac_f32_e32 v84, v88, v96
	v_fmac_f32_e32 v84, v89, v97
	s_waitcnt lgkmcnt(1)
	s_delay_alu instid0(VALU_DEP_1) | instskip(SKIP_1) | instid1(VALU_DEP_1)
	v_fmac_f32_e32 v84, v90, v98
	s_waitcnt vmcnt(0)
	v_fmac_f32_e32 v84, v91, v99
	s_waitcnt lgkmcnt(0)
	s_delay_alu instid0(VALU_DEP_1) | instskip(NEXT) | instid1(VALU_DEP_1)
	v_fmac_f32_e32 v84, v92, v2
	v_fmac_f32_e32 v84, v93, v3
	s_delay_alu instid0(VALU_DEP_1)
	v_sub_f32_e32 v2, v83, v84
	scratch_store_b32 off, v2, off offset:112
	v_cmpx_lt_u32_e32 27, v0
	s_cbranch_execz .LBB38_187
; %bb.186:
	scratch_load_b32 v2, off, off offset:108
	v_mov_b32_e32 v3, 0
	scratch_store_b32 off, v3, off offset:108
	s_waitcnt vmcnt(0)
	ds_store_b32 v1, v2
.LBB38_187:
	s_or_b32 exec_lo, exec_lo, s0
	s_waitcnt lgkmcnt(0)
	s_waitcnt_vscnt null, 0x0
	s_barrier
	buffer_gl0_inv
	s_clause 0x2
	scratch_load_b128 v[83:86], off, off offset:108
	scratch_load_b128 v[87:90], off, off offset:124
	;; [unrolled: 1-line block ×3, first 2 shown]
	v_mov_b32_e32 v2, 0
	ds_load_b128 v[95:98], v2 offset:272
	ds_load_b128 v[99:102], v2 offset:288
	s_mov_b32 s0, exec_lo
	s_waitcnt vmcnt(2) lgkmcnt(1)
	v_fma_f32 v3, v84, v95, 0
	s_delay_alu instid0(VALU_DEP_1) | instskip(NEXT) | instid1(VALU_DEP_1)
	v_fmac_f32_e32 v3, v85, v96
	v_fmac_f32_e32 v3, v86, v97
	ds_load_b96 v[84:86], v2 offset:304
	s_waitcnt vmcnt(1)
	v_fmac_f32_e32 v3, v87, v98
	s_waitcnt lgkmcnt(1)
	s_delay_alu instid0(VALU_DEP_1) | instskip(NEXT) | instid1(VALU_DEP_1)
	v_fmac_f32_e32 v3, v88, v99
	v_fmac_f32_e32 v3, v89, v100
	s_delay_alu instid0(VALU_DEP_1) | instskip(SKIP_1) | instid1(VALU_DEP_1)
	v_fmac_f32_e32 v3, v90, v101
	s_waitcnt vmcnt(0)
	v_fmac_f32_e32 v3, v91, v102
	s_waitcnt lgkmcnt(0)
	s_delay_alu instid0(VALU_DEP_1) | instskip(NEXT) | instid1(VALU_DEP_1)
	v_fmac_f32_e32 v3, v92, v84
	v_fmac_f32_e32 v3, v93, v85
	s_delay_alu instid0(VALU_DEP_1) | instskip(NEXT) | instid1(VALU_DEP_1)
	v_fmac_f32_e32 v3, v94, v86
	v_sub_f32_e32 v3, v83, v3
	scratch_store_b32 off, v3, off offset:108
	v_cmpx_lt_u32_e32 26, v0
	s_cbranch_execz .LBB38_189
; %bb.188:
	scratch_load_b32 v3, off, off offset:104
	scratch_store_b32 off, v2, off offset:104
	s_waitcnt vmcnt(0)
	ds_store_b32 v1, v3
.LBB38_189:
	s_or_b32 exec_lo, exec_lo, s0
	s_waitcnt lgkmcnt(0)
	s_waitcnt_vscnt null, 0x0
	s_barrier
	buffer_gl0_inv
	s_clause 0x3
	scratch_load_b128 v[83:86], off, off offset:104
	scratch_load_b128 v[87:90], off, off offset:120
	;; [unrolled: 1-line block ×3, first 2 shown]
	scratch_load_b32 v101, off, off offset:152
	ds_load_2addr_b32 v[3:4], v2 offset0:67 offset1:68
	ds_load_2addr_b32 v[95:96], v2 offset0:69 offset1:70
	;; [unrolled: 1-line block ×4, first 2 shown]
	s_mov_b32 s0, exec_lo
	s_waitcnt vmcnt(3) lgkmcnt(3)
	v_fma_f32 v102, v84, v3, 0
	s_delay_alu instid0(VALU_DEP_1)
	v_fmac_f32_e32 v102, v85, v4
	ds_load_2addr_b32 v[3:4], v2 offset0:75 offset1:76
	ds_load_2addr_b32 v[84:85], v2 offset0:77 offset1:78
	s_waitcnt lgkmcnt(4)
	v_fmac_f32_e32 v102, v86, v95
	s_waitcnt vmcnt(2)
	s_delay_alu instid0(VALU_DEP_1) | instskip(SKIP_1) | instid1(VALU_DEP_1)
	v_fmac_f32_e32 v102, v87, v96
	s_waitcnt lgkmcnt(3)
	v_fmac_f32_e32 v102, v88, v97
	s_delay_alu instid0(VALU_DEP_1) | instskip(SKIP_1) | instid1(VALU_DEP_1)
	v_fmac_f32_e32 v102, v89, v98
	s_waitcnt lgkmcnt(2)
	v_fmac_f32_e32 v102, v90, v99
	s_waitcnt vmcnt(1)
	s_delay_alu instid0(VALU_DEP_1) | instskip(SKIP_1) | instid1(VALU_DEP_1)
	v_fmac_f32_e32 v102, v91, v100
	s_waitcnt lgkmcnt(1)
	v_fmac_f32_e32 v102, v92, v3
	s_delay_alu instid0(VALU_DEP_1) | instskip(SKIP_1) | instid1(VALU_DEP_1)
	v_fmac_f32_e32 v102, v93, v4
	s_waitcnt lgkmcnt(0)
	v_fmac_f32_e32 v102, v94, v84
	s_waitcnt vmcnt(0)
	s_delay_alu instid0(VALU_DEP_1) | instskip(NEXT) | instid1(VALU_DEP_1)
	v_fmac_f32_e32 v102, v101, v85
	v_sub_f32_e32 v2, v83, v102
	scratch_store_b32 off, v2, off offset:104
	v_cmpx_lt_u32_e32 25, v0
	s_cbranch_execz .LBB38_191
; %bb.190:
	scratch_load_b32 v2, off, off offset:100
	v_mov_b32_e32 v3, 0
	scratch_store_b32 off, v3, off offset:100
	s_waitcnt vmcnt(0)
	ds_store_b32 v1, v2
.LBB38_191:
	s_or_b32 exec_lo, exec_lo, s0
	s_waitcnt lgkmcnt(0)
	s_waitcnt_vscnt null, 0x0
	s_barrier
	buffer_gl0_inv
	s_clause 0x3
	scratch_load_b128 v[83:86], off, off offset:100
	scratch_load_b128 v[87:90], off, off offset:116
	;; [unrolled: 1-line block ×3, first 2 shown]
	scratch_load_b64 v[3:4], off, off offset:148
	v_mov_b32_e32 v2, 0
	ds_load_2addr_b64 v[95:98], v2 offset0:33 offset1:34
	ds_load_2addr_b64 v[99:102], v2 offset0:35 offset1:36
	s_mov_b32 s0, exec_lo
	s_waitcnt vmcnt(3) lgkmcnt(1)
	v_fma_f32 v95, v84, v95, 0
	s_delay_alu instid0(VALU_DEP_1) | instskip(NEXT) | instid1(VALU_DEP_1)
	v_fmac_f32_e32 v95, v85, v96
	v_fmac_f32_e32 v95, v86, v97
	s_waitcnt vmcnt(2)
	s_delay_alu instid0(VALU_DEP_1)
	v_fmac_f32_e32 v95, v87, v98
	ds_load_2addr_b64 v[84:87], v2 offset0:37 offset1:38
	s_waitcnt lgkmcnt(1)
	v_fmac_f32_e32 v95, v88, v99
	ds_load_b32 v88, v2 offset:312
	v_fmac_f32_e32 v95, v89, v100
	s_delay_alu instid0(VALU_DEP_1) | instskip(SKIP_1) | instid1(VALU_DEP_1)
	v_fmac_f32_e32 v95, v90, v101
	s_waitcnt vmcnt(1)
	v_fmac_f32_e32 v95, v91, v102
	s_waitcnt lgkmcnt(1)
	s_delay_alu instid0(VALU_DEP_1) | instskip(NEXT) | instid1(VALU_DEP_1)
	v_fmac_f32_e32 v95, v92, v84
	v_fmac_f32_e32 v95, v93, v85
	s_delay_alu instid0(VALU_DEP_1) | instskip(SKIP_1) | instid1(VALU_DEP_1)
	v_fmac_f32_e32 v95, v94, v86
	s_waitcnt vmcnt(0)
	v_fmac_f32_e32 v95, v3, v87
	s_waitcnt lgkmcnt(0)
	s_delay_alu instid0(VALU_DEP_1) | instskip(NEXT) | instid1(VALU_DEP_1)
	v_fmac_f32_e32 v95, v4, v88
	v_sub_f32_e32 v3, v83, v95
	scratch_store_b32 off, v3, off offset:100
	v_cmpx_lt_u32_e32 24, v0
	s_cbranch_execz .LBB38_193
; %bb.192:
	scratch_load_b32 v3, off, off offset:96
	scratch_store_b32 off, v2, off offset:96
	s_waitcnt vmcnt(0)
	ds_store_b32 v1, v3
.LBB38_193:
	s_or_b32 exec_lo, exec_lo, s0
	s_waitcnt lgkmcnt(0)
	s_waitcnt_vscnt null, 0x0
	s_barrier
	buffer_gl0_inv
	s_clause 0x3
	scratch_load_b128 v[83:86], off, off offset:96
	scratch_load_b128 v[87:90], off, off offset:112
	;; [unrolled: 1-line block ×3, first 2 shown]
	scratch_load_b96 v[95:97], off, off offset:144
	ds_load_2addr_b32 v[3:4], v2 offset0:65 offset1:66
	ds_load_2addr_b32 v[98:99], v2 offset0:67 offset1:68
	;; [unrolled: 1-line block ×4, first 2 shown]
	s_mov_b32 s0, exec_lo
	s_waitcnt vmcnt(3) lgkmcnt(3)
	v_fma_f32 v104, v84, v3, 0
	s_delay_alu instid0(VALU_DEP_1)
	v_fmac_f32_e32 v104, v85, v4
	ds_load_2addr_b32 v[3:4], v2 offset0:73 offset1:74
	ds_load_2addr_b32 v[84:85], v2 offset0:75 offset1:76
	s_waitcnt lgkmcnt(4)
	v_fmac_f32_e32 v104, v86, v98
	s_waitcnt vmcnt(2)
	s_delay_alu instid0(VALU_DEP_1) | instskip(SKIP_3) | instid1(VALU_DEP_1)
	v_fmac_f32_e32 v104, v87, v99
	ds_load_2addr_b32 v[86:87], v2 offset0:77 offset1:78
	s_waitcnt lgkmcnt(4)
	v_fmac_f32_e32 v104, v88, v100
	v_fmac_f32_e32 v104, v89, v101
	s_waitcnt lgkmcnt(3)
	s_delay_alu instid0(VALU_DEP_1) | instskip(SKIP_1) | instid1(VALU_DEP_1)
	v_fmac_f32_e32 v104, v90, v102
	s_waitcnt vmcnt(1)
	v_fmac_f32_e32 v104, v91, v103
	s_waitcnt lgkmcnt(2)
	s_delay_alu instid0(VALU_DEP_1) | instskip(NEXT) | instid1(VALU_DEP_1)
	v_fmac_f32_e32 v104, v92, v3
	v_fmac_f32_e32 v104, v93, v4
	s_waitcnt lgkmcnt(1)
	s_delay_alu instid0(VALU_DEP_1) | instskip(SKIP_1) | instid1(VALU_DEP_1)
	v_fmac_f32_e32 v104, v94, v84
	s_waitcnt vmcnt(0)
	v_fmac_f32_e32 v104, v95, v85
	s_waitcnt lgkmcnt(0)
	s_delay_alu instid0(VALU_DEP_1) | instskip(NEXT) | instid1(VALU_DEP_1)
	v_fmac_f32_e32 v104, v96, v86
	v_fmac_f32_e32 v104, v97, v87
	s_delay_alu instid0(VALU_DEP_1)
	v_sub_f32_e32 v2, v83, v104
	scratch_store_b32 off, v2, off offset:96
	v_cmpx_lt_u32_e32 23, v0
	s_cbranch_execz .LBB38_195
; %bb.194:
	scratch_load_b32 v2, off, off offset:92
	v_mov_b32_e32 v3, 0
	scratch_store_b32 off, v3, off offset:92
	s_waitcnt vmcnt(0)
	ds_store_b32 v1, v2
.LBB38_195:
	s_or_b32 exec_lo, exec_lo, s0
	s_waitcnt lgkmcnt(0)
	s_waitcnt_vscnt null, 0x0
	s_barrier
	buffer_gl0_inv
	s_clause 0x3
	scratch_load_b128 v[83:86], off, off offset:92
	scratch_load_b128 v[87:90], off, off offset:108
	;; [unrolled: 1-line block ×4, first 2 shown]
	v_mov_b32_e32 v2, 0
	ds_load_b128 v[99:102], v2 offset:256
	ds_load_b128 v[103:106], v2 offset:272
	s_mov_b32 s0, exec_lo
	s_waitcnt vmcnt(3) lgkmcnt(1)
	v_fma_f32 v3, v84, v99, 0
	s_delay_alu instid0(VALU_DEP_1) | instskip(NEXT) | instid1(VALU_DEP_1)
	v_fmac_f32_e32 v3, v85, v100
	v_fmac_f32_e32 v3, v86, v101
	s_waitcnt vmcnt(2)
	s_delay_alu instid0(VALU_DEP_1) | instskip(SKIP_3) | instid1(VALU_DEP_1)
	v_fmac_f32_e32 v3, v87, v102
	ds_load_b128 v[84:87], v2 offset:288
	s_waitcnt lgkmcnt(1)
	v_fmac_f32_e32 v3, v88, v103
	v_fmac_f32_e32 v3, v89, v104
	s_delay_alu instid0(VALU_DEP_1) | instskip(SKIP_4) | instid1(VALU_DEP_1)
	v_fmac_f32_e32 v3, v90, v105
	ds_load_b96 v[88:90], v2 offset:304
	s_waitcnt vmcnt(1)
	v_fmac_f32_e32 v3, v91, v106
	s_waitcnt lgkmcnt(1)
	v_fmac_f32_e32 v3, v92, v84
	s_delay_alu instid0(VALU_DEP_1) | instskip(NEXT) | instid1(VALU_DEP_1)
	v_fmac_f32_e32 v3, v93, v85
	v_fmac_f32_e32 v3, v94, v86
	s_waitcnt vmcnt(0)
	s_delay_alu instid0(VALU_DEP_1) | instskip(SKIP_1) | instid1(VALU_DEP_1)
	v_fmac_f32_e32 v3, v95, v87
	s_waitcnt lgkmcnt(0)
	v_fmac_f32_e32 v3, v96, v88
	s_delay_alu instid0(VALU_DEP_1) | instskip(NEXT) | instid1(VALU_DEP_1)
	v_fmac_f32_e32 v3, v97, v89
	v_fmac_f32_e32 v3, v98, v90
	s_delay_alu instid0(VALU_DEP_1)
	v_sub_f32_e32 v3, v83, v3
	scratch_store_b32 off, v3, off offset:92
	v_cmpx_lt_u32_e32 22, v0
	s_cbranch_execz .LBB38_197
; %bb.196:
	scratch_load_b32 v3, off, off offset:88
	scratch_store_b32 off, v2, off offset:88
	s_waitcnt vmcnt(0)
	ds_store_b32 v1, v3
.LBB38_197:
	s_or_b32 exec_lo, exec_lo, s0
	s_waitcnt lgkmcnt(0)
	s_waitcnt_vscnt null, 0x0
	s_barrier
	buffer_gl0_inv
	s_clause 0x4
	scratch_load_b128 v[83:86], off, off offset:88
	scratch_load_b128 v[87:90], off, off offset:104
	;; [unrolled: 1-line block ×4, first 2 shown]
	scratch_load_b32 v105, off, off offset:152
	ds_load_2addr_b32 v[3:4], v2 offset0:63 offset1:64
	ds_load_2addr_b32 v[99:100], v2 offset0:65 offset1:66
	;; [unrolled: 1-line block ×4, first 2 shown]
	s_mov_b32 s0, exec_lo
	s_waitcnt vmcnt(4) lgkmcnt(3)
	v_fma_f32 v106, v84, v3, 0
	s_delay_alu instid0(VALU_DEP_1)
	v_fmac_f32_e32 v106, v85, v4
	ds_load_2addr_b32 v[3:4], v2 offset0:71 offset1:72
	ds_load_2addr_b32 v[84:85], v2 offset0:73 offset1:74
	s_waitcnt lgkmcnt(4)
	v_fmac_f32_e32 v106, v86, v99
	s_waitcnt vmcnt(3)
	s_delay_alu instid0(VALU_DEP_1) | instskip(SKIP_1) | instid1(VALU_DEP_1)
	v_fmac_f32_e32 v106, v87, v100
	s_waitcnt lgkmcnt(3)
	v_fmac_f32_e32 v106, v88, v101
	s_delay_alu instid0(VALU_DEP_1)
	v_fmac_f32_e32 v106, v89, v102
	ds_load_2addr_b32 v[86:87], v2 offset0:75 offset1:76
	ds_load_2addr_b32 v[88:89], v2 offset0:77 offset1:78
	s_waitcnt lgkmcnt(4)
	v_fmac_f32_e32 v106, v90, v103
	s_waitcnt vmcnt(2)
	s_delay_alu instid0(VALU_DEP_1) | instskip(SKIP_1) | instid1(VALU_DEP_1)
	v_fmac_f32_e32 v106, v91, v104
	s_waitcnt lgkmcnt(3)
	v_fmac_f32_e32 v106, v92, v3
	s_delay_alu instid0(VALU_DEP_1) | instskip(SKIP_1) | instid1(VALU_DEP_1)
	v_fmac_f32_e32 v106, v93, v4
	s_waitcnt lgkmcnt(2)
	v_fmac_f32_e32 v106, v94, v84
	s_waitcnt vmcnt(1)
	s_delay_alu instid0(VALU_DEP_1) | instskip(SKIP_1) | instid1(VALU_DEP_1)
	v_fmac_f32_e32 v106, v95, v85
	s_waitcnt lgkmcnt(1)
	v_fmac_f32_e32 v106, v96, v86
	s_delay_alu instid0(VALU_DEP_1) | instskip(SKIP_1) | instid1(VALU_DEP_1)
	v_fmac_f32_e32 v106, v97, v87
	s_waitcnt lgkmcnt(0)
	v_fmac_f32_e32 v106, v98, v88
	s_waitcnt vmcnt(0)
	s_delay_alu instid0(VALU_DEP_1) | instskip(NEXT) | instid1(VALU_DEP_1)
	v_fmac_f32_e32 v106, v105, v89
	v_sub_f32_e32 v2, v83, v106
	scratch_store_b32 off, v2, off offset:88
	v_cmpx_lt_u32_e32 21, v0
	s_cbranch_execz .LBB38_199
; %bb.198:
	scratch_load_b32 v2, off, off offset:84
	v_mov_b32_e32 v3, 0
	scratch_store_b32 off, v3, off offset:84
	s_waitcnt vmcnt(0)
	ds_store_b32 v1, v2
.LBB38_199:
	s_or_b32 exec_lo, exec_lo, s0
	s_waitcnt lgkmcnt(0)
	s_waitcnt_vscnt null, 0x0
	s_barrier
	buffer_gl0_inv
	s_clause 0x4
	scratch_load_b128 v[83:86], off, off offset:84
	scratch_load_b128 v[87:90], off, off offset:100
	;; [unrolled: 1-line block ×4, first 2 shown]
	scratch_load_b64 v[3:4], off, off offset:148
	v_mov_b32_e32 v2, 0
	ds_load_2addr_b64 v[99:102], v2 offset0:31 offset1:32
	ds_load_2addr_b64 v[103:106], v2 offset0:33 offset1:34
	s_mov_b32 s0, exec_lo
	s_waitcnt vmcnt(4) lgkmcnt(1)
	v_fma_f32 v99, v84, v99, 0
	s_delay_alu instid0(VALU_DEP_1) | instskip(NEXT) | instid1(VALU_DEP_1)
	v_fmac_f32_e32 v99, v85, v100
	v_fmac_f32_e32 v99, v86, v101
	s_waitcnt vmcnt(3)
	s_delay_alu instid0(VALU_DEP_1) | instskip(SKIP_3) | instid1(VALU_DEP_1)
	v_fmac_f32_e32 v99, v87, v102
	ds_load_2addr_b64 v[84:87], v2 offset0:35 offset1:36
	s_waitcnt lgkmcnt(1)
	v_fmac_f32_e32 v99, v88, v103
	v_fmac_f32_e32 v99, v89, v104
	s_delay_alu instid0(VALU_DEP_1) | instskip(SKIP_1) | instid1(VALU_DEP_1)
	v_fmac_f32_e32 v99, v90, v105
	s_waitcnt vmcnt(2)
	v_fmac_f32_e32 v99, v91, v106
	ds_load_2addr_b64 v[88:91], v2 offset0:37 offset1:38
	s_waitcnt lgkmcnt(1)
	v_fmac_f32_e32 v99, v92, v84
	ds_load_b32 v84, v2 offset:312
	v_fmac_f32_e32 v99, v93, v85
	s_delay_alu instid0(VALU_DEP_1) | instskip(SKIP_1) | instid1(VALU_DEP_1)
	v_fmac_f32_e32 v99, v94, v86
	s_waitcnt vmcnt(1)
	v_fmac_f32_e32 v99, v95, v87
	s_waitcnt lgkmcnt(1)
	s_delay_alu instid0(VALU_DEP_1) | instskip(NEXT) | instid1(VALU_DEP_1)
	v_fmac_f32_e32 v99, v96, v88
	v_fmac_f32_e32 v99, v97, v89
	s_delay_alu instid0(VALU_DEP_1) | instskip(SKIP_1) | instid1(VALU_DEP_1)
	v_fmac_f32_e32 v99, v98, v90
	s_waitcnt vmcnt(0)
	v_fmac_f32_e32 v99, v3, v91
	s_waitcnt lgkmcnt(0)
	s_delay_alu instid0(VALU_DEP_1) | instskip(NEXT) | instid1(VALU_DEP_1)
	v_fmac_f32_e32 v99, v4, v84
	v_sub_f32_e32 v3, v83, v99
	scratch_store_b32 off, v3, off offset:84
	v_cmpx_lt_u32_e32 20, v0
	s_cbranch_execz .LBB38_201
; %bb.200:
	scratch_load_b32 v3, off, off offset:80
	scratch_store_b32 off, v2, off offset:80
	s_waitcnt vmcnt(0)
	ds_store_b32 v1, v3
.LBB38_201:
	s_or_b32 exec_lo, exec_lo, s0
	s_waitcnt lgkmcnt(0)
	s_waitcnt_vscnt null, 0x0
	s_barrier
	buffer_gl0_inv
	s_clause 0x4
	scratch_load_b128 v[83:86], off, off offset:80
	scratch_load_b128 v[87:90], off, off offset:96
	;; [unrolled: 1-line block ×4, first 2 shown]
	scratch_load_b96 v[99:101], off, off offset:144
	ds_load_2addr_b32 v[3:4], v2 offset0:61 offset1:62
	ds_load_2addr_b32 v[102:103], v2 offset0:63 offset1:64
	;; [unrolled: 1-line block ×4, first 2 shown]
	s_mov_b32 s0, exec_lo
	s_waitcnt vmcnt(4) lgkmcnt(3)
	v_fma_f32 v108, v84, v3, 0
	s_delay_alu instid0(VALU_DEP_1)
	v_fmac_f32_e32 v108, v85, v4
	ds_load_2addr_b32 v[3:4], v2 offset0:69 offset1:70
	ds_load_2addr_b32 v[84:85], v2 offset0:71 offset1:72
	s_waitcnt lgkmcnt(4)
	v_fmac_f32_e32 v108, v86, v102
	s_waitcnt vmcnt(3)
	s_delay_alu instid0(VALU_DEP_1) | instskip(SKIP_1) | instid1(VALU_DEP_1)
	v_fmac_f32_e32 v108, v87, v103
	s_waitcnt lgkmcnt(3)
	v_fmac_f32_e32 v108, v88, v104
	s_delay_alu instid0(VALU_DEP_1)
	v_fmac_f32_e32 v108, v89, v105
	ds_load_2addr_b32 v[86:87], v2 offset0:73 offset1:74
	ds_load_2addr_b32 v[88:89], v2 offset0:75 offset1:76
	s_waitcnt lgkmcnt(4)
	v_fmac_f32_e32 v108, v90, v106
	s_waitcnt vmcnt(2)
	s_delay_alu instid0(VALU_DEP_1) | instskip(SKIP_1) | instid1(VALU_DEP_1)
	v_fmac_f32_e32 v108, v91, v107
	s_waitcnt lgkmcnt(3)
	v_fmac_f32_e32 v108, v92, v3
	ds_load_2addr_b32 v[2:3], v2 offset0:77 offset1:78
	v_fmac_f32_e32 v108, v93, v4
	s_waitcnt lgkmcnt(3)
	s_delay_alu instid0(VALU_DEP_1) | instskip(SKIP_1) | instid1(VALU_DEP_1)
	v_fmac_f32_e32 v108, v94, v84
	s_waitcnt vmcnt(1)
	v_fmac_f32_e32 v108, v95, v85
	s_waitcnt lgkmcnt(2)
	s_delay_alu instid0(VALU_DEP_1) | instskip(NEXT) | instid1(VALU_DEP_1)
	v_fmac_f32_e32 v108, v96, v86
	v_fmac_f32_e32 v108, v97, v87
	s_waitcnt lgkmcnt(1)
	s_delay_alu instid0(VALU_DEP_1) | instskip(SKIP_1) | instid1(VALU_DEP_1)
	v_fmac_f32_e32 v108, v98, v88
	s_waitcnt vmcnt(0)
	v_fmac_f32_e32 v108, v99, v89
	s_waitcnt lgkmcnt(0)
	s_delay_alu instid0(VALU_DEP_1) | instskip(NEXT) | instid1(VALU_DEP_1)
	v_fmac_f32_e32 v108, v100, v2
	v_fmac_f32_e32 v108, v101, v3
	s_delay_alu instid0(VALU_DEP_1)
	v_sub_f32_e32 v2, v83, v108
	scratch_store_b32 off, v2, off offset:80
	v_cmpx_lt_u32_e32 19, v0
	s_cbranch_execz .LBB38_203
; %bb.202:
	scratch_load_b32 v2, off, off offset:76
	v_mov_b32_e32 v3, 0
	scratch_store_b32 off, v3, off offset:76
	s_waitcnt vmcnt(0)
	ds_store_b32 v1, v2
.LBB38_203:
	s_or_b32 exec_lo, exec_lo, s0
	s_waitcnt lgkmcnt(0)
	s_waitcnt_vscnt null, 0x0
	s_barrier
	buffer_gl0_inv
	s_clause 0x4
	scratch_load_b128 v[83:86], off, off offset:76
	scratch_load_b128 v[87:90], off, off offset:92
	;; [unrolled: 1-line block ×5, first 2 shown]
	v_mov_b32_e32 v2, 0
	ds_load_b128 v[103:106], v2 offset:240
	ds_load_b128 v[107:110], v2 offset:256
	s_mov_b32 s0, exec_lo
	s_waitcnt vmcnt(4) lgkmcnt(1)
	v_fma_f32 v3, v84, v103, 0
	s_delay_alu instid0(VALU_DEP_1) | instskip(NEXT) | instid1(VALU_DEP_1)
	v_fmac_f32_e32 v3, v85, v104
	v_fmac_f32_e32 v3, v86, v105
	s_waitcnt vmcnt(3)
	s_delay_alu instid0(VALU_DEP_1) | instskip(SKIP_3) | instid1(VALU_DEP_1)
	v_fmac_f32_e32 v3, v87, v106
	ds_load_b128 v[84:87], v2 offset:272
	s_waitcnt lgkmcnt(1)
	v_fmac_f32_e32 v3, v88, v107
	v_fmac_f32_e32 v3, v89, v108
	s_delay_alu instid0(VALU_DEP_1) | instskip(SKIP_1) | instid1(VALU_DEP_1)
	v_fmac_f32_e32 v3, v90, v109
	s_waitcnt vmcnt(2)
	v_fmac_f32_e32 v3, v91, v110
	ds_load_b128 v[88:91], v2 offset:288
	s_waitcnt lgkmcnt(1)
	v_fmac_f32_e32 v3, v92, v84
	s_delay_alu instid0(VALU_DEP_1) | instskip(NEXT) | instid1(VALU_DEP_1)
	v_fmac_f32_e32 v3, v93, v85
	v_fmac_f32_e32 v3, v94, v86
	ds_load_b96 v[84:86], v2 offset:304
	s_waitcnt vmcnt(1)
	v_fmac_f32_e32 v3, v95, v87
	s_waitcnt lgkmcnt(1)
	s_delay_alu instid0(VALU_DEP_1) | instskip(NEXT) | instid1(VALU_DEP_1)
	v_fmac_f32_e32 v3, v96, v88
	v_fmac_f32_e32 v3, v97, v89
	s_delay_alu instid0(VALU_DEP_1) | instskip(SKIP_1) | instid1(VALU_DEP_1)
	v_fmac_f32_e32 v3, v98, v90
	s_waitcnt vmcnt(0)
	v_fmac_f32_e32 v3, v99, v91
	s_waitcnt lgkmcnt(0)
	s_delay_alu instid0(VALU_DEP_1) | instskip(NEXT) | instid1(VALU_DEP_1)
	v_fmac_f32_e32 v3, v100, v84
	v_fmac_f32_e32 v3, v101, v85
	s_delay_alu instid0(VALU_DEP_1) | instskip(NEXT) | instid1(VALU_DEP_1)
	v_fmac_f32_e32 v3, v102, v86
	v_sub_f32_e32 v3, v83, v3
	scratch_store_b32 off, v3, off offset:76
	v_cmpx_lt_u32_e32 18, v0
	s_cbranch_execz .LBB38_205
; %bb.204:
	scratch_load_b32 v3, off, off offset:72
	scratch_store_b32 off, v2, off offset:72
	s_waitcnt vmcnt(0)
	ds_store_b32 v1, v3
.LBB38_205:
	s_or_b32 exec_lo, exec_lo, s0
	s_waitcnt lgkmcnt(0)
	s_waitcnt_vscnt null, 0x0
	s_barrier
	buffer_gl0_inv
	s_clause 0x5
	scratch_load_b128 v[83:86], off, off offset:72
	scratch_load_b128 v[87:90], off, off offset:88
	;; [unrolled: 1-line block ×5, first 2 shown]
	scratch_load_b32 v109, off, off offset:152
	ds_load_2addr_b32 v[3:4], v2 offset0:59 offset1:60
	ds_load_2addr_b32 v[103:104], v2 offset0:61 offset1:62
	;; [unrolled: 1-line block ×4, first 2 shown]
	s_mov_b32 s0, exec_lo
	s_waitcnt vmcnt(5) lgkmcnt(3)
	v_fma_f32 v110, v84, v3, 0
	s_delay_alu instid0(VALU_DEP_1)
	v_fmac_f32_e32 v110, v85, v4
	ds_load_2addr_b32 v[3:4], v2 offset0:67 offset1:68
	ds_load_2addr_b32 v[84:85], v2 offset0:69 offset1:70
	s_waitcnt lgkmcnt(4)
	v_fmac_f32_e32 v110, v86, v103
	s_waitcnt vmcnt(4)
	s_delay_alu instid0(VALU_DEP_1) | instskip(SKIP_1) | instid1(VALU_DEP_1)
	v_fmac_f32_e32 v110, v87, v104
	s_waitcnt lgkmcnt(3)
	v_fmac_f32_e32 v110, v88, v105
	s_delay_alu instid0(VALU_DEP_1)
	v_fmac_f32_e32 v110, v89, v106
	ds_load_2addr_b32 v[86:87], v2 offset0:71 offset1:72
	ds_load_2addr_b32 v[88:89], v2 offset0:73 offset1:74
	s_waitcnt lgkmcnt(4)
	v_fmac_f32_e32 v110, v90, v107
	s_waitcnt vmcnt(3)
	s_delay_alu instid0(VALU_DEP_1) | instskip(SKIP_1) | instid1(VALU_DEP_1)
	v_fmac_f32_e32 v110, v91, v108
	s_waitcnt lgkmcnt(3)
	v_fmac_f32_e32 v110, v92, v3
	s_delay_alu instid0(VALU_DEP_1) | instskip(SKIP_4) | instid1(VALU_DEP_1)
	v_fmac_f32_e32 v110, v93, v4
	ds_load_2addr_b32 v[3:4], v2 offset0:75 offset1:76
	s_waitcnt lgkmcnt(3)
	v_fmac_f32_e32 v110, v94, v84
	s_waitcnt vmcnt(2)
	v_fmac_f32_e32 v110, v95, v85
	ds_load_2addr_b32 v[84:85], v2 offset0:77 offset1:78
	s_waitcnt lgkmcnt(3)
	v_fmac_f32_e32 v110, v96, v86
	s_delay_alu instid0(VALU_DEP_1) | instskip(SKIP_1) | instid1(VALU_DEP_1)
	v_fmac_f32_e32 v110, v97, v87
	s_waitcnt lgkmcnt(2)
	v_fmac_f32_e32 v110, v98, v88
	s_waitcnt vmcnt(1)
	s_delay_alu instid0(VALU_DEP_1) | instskip(SKIP_1) | instid1(VALU_DEP_1)
	v_fmac_f32_e32 v110, v99, v89
	s_waitcnt lgkmcnt(1)
	v_fmac_f32_e32 v110, v100, v3
	s_delay_alu instid0(VALU_DEP_1) | instskip(SKIP_1) | instid1(VALU_DEP_1)
	v_fmac_f32_e32 v110, v101, v4
	s_waitcnt lgkmcnt(0)
	v_fmac_f32_e32 v110, v102, v84
	s_waitcnt vmcnt(0)
	s_delay_alu instid0(VALU_DEP_1) | instskip(NEXT) | instid1(VALU_DEP_1)
	v_fmac_f32_e32 v110, v109, v85
	v_sub_f32_e32 v2, v83, v110
	scratch_store_b32 off, v2, off offset:72
	v_cmpx_lt_u32_e32 17, v0
	s_cbranch_execz .LBB38_207
; %bb.206:
	scratch_load_b32 v2, off, off offset:68
	v_mov_b32_e32 v3, 0
	scratch_store_b32 off, v3, off offset:68
	s_waitcnt vmcnt(0)
	ds_store_b32 v1, v2
.LBB38_207:
	s_or_b32 exec_lo, exec_lo, s0
	s_waitcnt lgkmcnt(0)
	s_waitcnt_vscnt null, 0x0
	s_barrier
	buffer_gl0_inv
	s_clause 0x5
	scratch_load_b128 v[83:86], off, off offset:68
	scratch_load_b128 v[87:90], off, off offset:84
	;; [unrolled: 1-line block ×5, first 2 shown]
	scratch_load_b64 v[3:4], off, off offset:148
	v_mov_b32_e32 v2, 0
	ds_load_2addr_b64 v[103:106], v2 offset0:29 offset1:30
	ds_load_2addr_b64 v[107:110], v2 offset0:31 offset1:32
	s_mov_b32 s0, exec_lo
	s_waitcnt vmcnt(5) lgkmcnt(1)
	v_fma_f32 v103, v84, v103, 0
	s_delay_alu instid0(VALU_DEP_1) | instskip(NEXT) | instid1(VALU_DEP_1)
	v_fmac_f32_e32 v103, v85, v104
	v_fmac_f32_e32 v103, v86, v105
	s_waitcnt vmcnt(4)
	s_delay_alu instid0(VALU_DEP_1) | instskip(SKIP_3) | instid1(VALU_DEP_1)
	v_fmac_f32_e32 v103, v87, v106
	ds_load_2addr_b64 v[84:87], v2 offset0:33 offset1:34
	s_waitcnt lgkmcnt(1)
	v_fmac_f32_e32 v103, v88, v107
	v_fmac_f32_e32 v103, v89, v108
	s_delay_alu instid0(VALU_DEP_1) | instskip(SKIP_1) | instid1(VALU_DEP_1)
	v_fmac_f32_e32 v103, v90, v109
	s_waitcnt vmcnt(3)
	v_fmac_f32_e32 v103, v91, v110
	ds_load_2addr_b64 v[88:91], v2 offset0:35 offset1:36
	s_waitcnt lgkmcnt(1)
	v_fmac_f32_e32 v103, v92, v84
	s_delay_alu instid0(VALU_DEP_1) | instskip(NEXT) | instid1(VALU_DEP_1)
	v_fmac_f32_e32 v103, v93, v85
	v_fmac_f32_e32 v103, v94, v86
	s_waitcnt vmcnt(2)
	s_delay_alu instid0(VALU_DEP_1)
	v_fmac_f32_e32 v103, v95, v87
	ds_load_2addr_b64 v[84:87], v2 offset0:37 offset1:38
	s_waitcnt lgkmcnt(1)
	v_fmac_f32_e32 v103, v96, v88
	ds_load_b32 v88, v2 offset:312
	v_fmac_f32_e32 v103, v97, v89
	s_delay_alu instid0(VALU_DEP_1) | instskip(SKIP_1) | instid1(VALU_DEP_1)
	v_fmac_f32_e32 v103, v98, v90
	s_waitcnt vmcnt(1)
	v_fmac_f32_e32 v103, v99, v91
	s_waitcnt lgkmcnt(1)
	s_delay_alu instid0(VALU_DEP_1) | instskip(NEXT) | instid1(VALU_DEP_1)
	v_fmac_f32_e32 v103, v100, v84
	v_fmac_f32_e32 v103, v101, v85
	s_delay_alu instid0(VALU_DEP_1) | instskip(SKIP_1) | instid1(VALU_DEP_1)
	v_fmac_f32_e32 v103, v102, v86
	s_waitcnt vmcnt(0)
	v_fmac_f32_e32 v103, v3, v87
	s_waitcnt lgkmcnt(0)
	s_delay_alu instid0(VALU_DEP_1) | instskip(NEXT) | instid1(VALU_DEP_1)
	v_fmac_f32_e32 v103, v4, v88
	v_sub_f32_e32 v3, v83, v103
	scratch_store_b32 off, v3, off offset:68
	v_cmpx_lt_u32_e32 16, v0
	s_cbranch_execz .LBB38_209
; %bb.208:
	scratch_load_b32 v3, off, off offset:64
	scratch_store_b32 off, v2, off offset:64
	s_waitcnt vmcnt(0)
	ds_store_b32 v1, v3
.LBB38_209:
	s_or_b32 exec_lo, exec_lo, s0
	s_waitcnt lgkmcnt(0)
	s_waitcnt_vscnt null, 0x0
	s_barrier
	buffer_gl0_inv
	s_clause 0x5
	scratch_load_b128 v[83:86], off, off offset:64
	scratch_load_b128 v[87:90], off, off offset:80
	;; [unrolled: 1-line block ×5, first 2 shown]
	scratch_load_b96 v[103:105], off, off offset:144
	ds_load_2addr_b32 v[3:4], v2 offset0:57 offset1:58
	ds_load_2addr_b32 v[106:107], v2 offset0:59 offset1:60
	;; [unrolled: 1-line block ×4, first 2 shown]
	s_mov_b32 s0, exec_lo
	s_waitcnt vmcnt(5) lgkmcnt(3)
	v_fma_f32 v112, v84, v3, 0
	s_delay_alu instid0(VALU_DEP_1)
	v_fmac_f32_e32 v112, v85, v4
	ds_load_2addr_b32 v[3:4], v2 offset0:65 offset1:66
	ds_load_2addr_b32 v[84:85], v2 offset0:67 offset1:68
	s_waitcnt lgkmcnt(4)
	v_fmac_f32_e32 v112, v86, v106
	s_waitcnt vmcnt(4)
	s_delay_alu instid0(VALU_DEP_1) | instskip(SKIP_1) | instid1(VALU_DEP_1)
	v_fmac_f32_e32 v112, v87, v107
	s_waitcnt lgkmcnt(3)
	v_fmac_f32_e32 v112, v88, v108
	s_delay_alu instid0(VALU_DEP_1)
	v_fmac_f32_e32 v112, v89, v109
	ds_load_2addr_b32 v[86:87], v2 offset0:69 offset1:70
	ds_load_2addr_b32 v[88:89], v2 offset0:71 offset1:72
	s_waitcnt lgkmcnt(4)
	v_fmac_f32_e32 v112, v90, v110
	s_waitcnt vmcnt(3)
	s_delay_alu instid0(VALU_DEP_1) | instskip(SKIP_1) | instid1(VALU_DEP_1)
	v_fmac_f32_e32 v112, v91, v111
	s_waitcnt lgkmcnt(3)
	v_fmac_f32_e32 v112, v92, v3
	s_delay_alu instid0(VALU_DEP_1) | instskip(SKIP_4) | instid1(VALU_DEP_1)
	v_fmac_f32_e32 v112, v93, v4
	ds_load_2addr_b32 v[3:4], v2 offset0:73 offset1:74
	s_waitcnt lgkmcnt(3)
	v_fmac_f32_e32 v112, v94, v84
	s_waitcnt vmcnt(2)
	v_fmac_f32_e32 v112, v95, v85
	ds_load_2addr_b32 v[84:85], v2 offset0:75 offset1:76
	s_waitcnt lgkmcnt(3)
	v_fmac_f32_e32 v112, v96, v86
	s_delay_alu instid0(VALU_DEP_1) | instskip(SKIP_4) | instid1(VALU_DEP_1)
	v_fmac_f32_e32 v112, v97, v87
	ds_load_2addr_b32 v[86:87], v2 offset0:77 offset1:78
	s_waitcnt lgkmcnt(3)
	v_fmac_f32_e32 v112, v98, v88
	s_waitcnt vmcnt(1)
	v_fmac_f32_e32 v112, v99, v89
	s_waitcnt lgkmcnt(2)
	s_delay_alu instid0(VALU_DEP_1) | instskip(NEXT) | instid1(VALU_DEP_1)
	v_fmac_f32_e32 v112, v100, v3
	v_fmac_f32_e32 v112, v101, v4
	s_waitcnt lgkmcnt(1)
	s_delay_alu instid0(VALU_DEP_1) | instskip(SKIP_1) | instid1(VALU_DEP_1)
	v_fmac_f32_e32 v112, v102, v84
	s_waitcnt vmcnt(0)
	v_fmac_f32_e32 v112, v103, v85
	s_waitcnt lgkmcnt(0)
	s_delay_alu instid0(VALU_DEP_1) | instskip(NEXT) | instid1(VALU_DEP_1)
	v_fmac_f32_e32 v112, v104, v86
	v_fmac_f32_e32 v112, v105, v87
	s_delay_alu instid0(VALU_DEP_1)
	v_sub_f32_e32 v2, v83, v112
	scratch_store_b32 off, v2, off offset:64
	v_cmpx_lt_u32_e32 15, v0
	s_cbranch_execz .LBB38_211
; %bb.210:
	scratch_load_b32 v2, off, off offset:60
	v_mov_b32_e32 v3, 0
	scratch_store_b32 off, v3, off offset:60
	s_waitcnt vmcnt(0)
	ds_store_b32 v1, v2
.LBB38_211:
	s_or_b32 exec_lo, exec_lo, s0
	s_waitcnt lgkmcnt(0)
	s_waitcnt_vscnt null, 0x0
	s_barrier
	buffer_gl0_inv
	s_clause 0x5
	scratch_load_b128 v[83:86], off, off offset:60
	scratch_load_b128 v[87:90], off, off offset:76
	;; [unrolled: 1-line block ×6, first 2 shown]
	v_mov_b32_e32 v2, 0
	ds_load_b128 v[107:110], v2 offset:224
	ds_load_b128 v[111:114], v2 offset:240
	s_mov_b32 s0, exec_lo
	s_waitcnt vmcnt(5) lgkmcnt(1)
	v_fma_f32 v3, v84, v107, 0
	s_delay_alu instid0(VALU_DEP_1) | instskip(NEXT) | instid1(VALU_DEP_1)
	v_fmac_f32_e32 v3, v85, v108
	v_fmac_f32_e32 v3, v86, v109
	s_waitcnt vmcnt(4)
	s_delay_alu instid0(VALU_DEP_1) | instskip(SKIP_3) | instid1(VALU_DEP_1)
	v_fmac_f32_e32 v3, v87, v110
	ds_load_b128 v[84:87], v2 offset:256
	s_waitcnt lgkmcnt(1)
	v_fmac_f32_e32 v3, v88, v111
	v_fmac_f32_e32 v3, v89, v112
	s_delay_alu instid0(VALU_DEP_1) | instskip(SKIP_1) | instid1(VALU_DEP_1)
	v_fmac_f32_e32 v3, v90, v113
	s_waitcnt vmcnt(3)
	v_fmac_f32_e32 v3, v91, v114
	ds_load_b128 v[88:91], v2 offset:272
	s_waitcnt lgkmcnt(1)
	v_fmac_f32_e32 v3, v92, v84
	s_delay_alu instid0(VALU_DEP_1) | instskip(NEXT) | instid1(VALU_DEP_1)
	v_fmac_f32_e32 v3, v93, v85
	v_fmac_f32_e32 v3, v94, v86
	s_waitcnt vmcnt(2)
	s_delay_alu instid0(VALU_DEP_1) | instskip(SKIP_3) | instid1(VALU_DEP_1)
	v_fmac_f32_e32 v3, v95, v87
	ds_load_b128 v[84:87], v2 offset:288
	s_waitcnt lgkmcnt(1)
	v_fmac_f32_e32 v3, v96, v88
	v_fmac_f32_e32 v3, v97, v89
	s_delay_alu instid0(VALU_DEP_1) | instskip(SKIP_4) | instid1(VALU_DEP_1)
	v_fmac_f32_e32 v3, v98, v90
	ds_load_b96 v[88:90], v2 offset:304
	s_waitcnt vmcnt(1)
	v_fmac_f32_e32 v3, v99, v91
	s_waitcnt lgkmcnt(1)
	v_fmac_f32_e32 v3, v100, v84
	s_delay_alu instid0(VALU_DEP_1) | instskip(NEXT) | instid1(VALU_DEP_1)
	v_fmac_f32_e32 v3, v101, v85
	v_fmac_f32_e32 v3, v102, v86
	s_waitcnt vmcnt(0)
	s_delay_alu instid0(VALU_DEP_1) | instskip(SKIP_1) | instid1(VALU_DEP_1)
	v_fmac_f32_e32 v3, v103, v87
	s_waitcnt lgkmcnt(0)
	v_fmac_f32_e32 v3, v104, v88
	s_delay_alu instid0(VALU_DEP_1) | instskip(NEXT) | instid1(VALU_DEP_1)
	v_fmac_f32_e32 v3, v105, v89
	v_fmac_f32_e32 v3, v106, v90
	s_delay_alu instid0(VALU_DEP_1)
	v_sub_f32_e32 v3, v83, v3
	scratch_store_b32 off, v3, off offset:60
	v_cmpx_lt_u32_e32 14, v0
	s_cbranch_execz .LBB38_213
; %bb.212:
	scratch_load_b32 v3, off, off offset:56
	scratch_store_b32 off, v2, off offset:56
	s_waitcnt vmcnt(0)
	ds_store_b32 v1, v3
.LBB38_213:
	s_or_b32 exec_lo, exec_lo, s0
	s_waitcnt lgkmcnt(0)
	s_waitcnt_vscnt null, 0x0
	s_barrier
	buffer_gl0_inv
	s_clause 0x6
	scratch_load_b128 v[83:86], off, off offset:56
	scratch_load_b128 v[87:90], off, off offset:72
	;; [unrolled: 1-line block ×6, first 2 shown]
	scratch_load_b32 v113, off, off offset:152
	ds_load_2addr_b32 v[3:4], v2 offset0:55 offset1:56
	ds_load_2addr_b32 v[107:108], v2 offset0:57 offset1:58
	;; [unrolled: 1-line block ×4, first 2 shown]
	s_mov_b32 s0, exec_lo
	s_waitcnt vmcnt(6) lgkmcnt(3)
	v_fma_f32 v114, v84, v3, 0
	s_delay_alu instid0(VALU_DEP_1)
	v_fmac_f32_e32 v114, v85, v4
	ds_load_2addr_b32 v[3:4], v2 offset0:63 offset1:64
	ds_load_2addr_b32 v[84:85], v2 offset0:65 offset1:66
	s_waitcnt lgkmcnt(4)
	v_fmac_f32_e32 v114, v86, v107
	s_waitcnt vmcnt(5)
	s_delay_alu instid0(VALU_DEP_1) | instskip(SKIP_1) | instid1(VALU_DEP_1)
	v_fmac_f32_e32 v114, v87, v108
	s_waitcnt lgkmcnt(3)
	v_fmac_f32_e32 v114, v88, v109
	s_delay_alu instid0(VALU_DEP_1)
	v_fmac_f32_e32 v114, v89, v110
	ds_load_2addr_b32 v[86:87], v2 offset0:67 offset1:68
	ds_load_2addr_b32 v[88:89], v2 offset0:69 offset1:70
	s_waitcnt lgkmcnt(4)
	v_fmac_f32_e32 v114, v90, v111
	s_waitcnt vmcnt(4)
	s_delay_alu instid0(VALU_DEP_1) | instskip(SKIP_1) | instid1(VALU_DEP_1)
	v_fmac_f32_e32 v114, v91, v112
	s_waitcnt lgkmcnt(3)
	v_fmac_f32_e32 v114, v92, v3
	s_delay_alu instid0(VALU_DEP_1) | instskip(SKIP_4) | instid1(VALU_DEP_1)
	v_fmac_f32_e32 v114, v93, v4
	ds_load_2addr_b32 v[3:4], v2 offset0:71 offset1:72
	s_waitcnt lgkmcnt(3)
	v_fmac_f32_e32 v114, v94, v84
	s_waitcnt vmcnt(3)
	v_fmac_f32_e32 v114, v95, v85
	ds_load_2addr_b32 v[84:85], v2 offset0:73 offset1:74
	s_waitcnt lgkmcnt(3)
	v_fmac_f32_e32 v114, v96, v86
	s_delay_alu instid0(VALU_DEP_1) | instskip(SKIP_1) | instid1(VALU_DEP_1)
	v_fmac_f32_e32 v114, v97, v87
	s_waitcnt lgkmcnt(2)
	v_fmac_f32_e32 v114, v98, v88
	s_waitcnt vmcnt(2)
	s_delay_alu instid0(VALU_DEP_1) | instskip(SKIP_4) | instid1(VALU_DEP_1)
	v_fmac_f32_e32 v114, v99, v89
	ds_load_2addr_b32 v[86:87], v2 offset0:75 offset1:76
	ds_load_2addr_b32 v[88:89], v2 offset0:77 offset1:78
	s_waitcnt lgkmcnt(3)
	v_fmac_f32_e32 v114, v100, v3
	v_fmac_f32_e32 v114, v101, v4
	s_waitcnt lgkmcnt(2)
	s_delay_alu instid0(VALU_DEP_1) | instskip(SKIP_1) | instid1(VALU_DEP_1)
	v_fmac_f32_e32 v114, v102, v84
	s_waitcnt vmcnt(1)
	v_fmac_f32_e32 v114, v103, v85
	s_waitcnt lgkmcnt(1)
	s_delay_alu instid0(VALU_DEP_1) | instskip(NEXT) | instid1(VALU_DEP_1)
	v_fmac_f32_e32 v114, v104, v86
	v_fmac_f32_e32 v114, v105, v87
	s_waitcnt lgkmcnt(0)
	s_delay_alu instid0(VALU_DEP_1) | instskip(SKIP_1) | instid1(VALU_DEP_1)
	v_fmac_f32_e32 v114, v106, v88
	s_waitcnt vmcnt(0)
	v_fmac_f32_e32 v114, v113, v89
	s_delay_alu instid0(VALU_DEP_1)
	v_sub_f32_e32 v2, v83, v114
	scratch_store_b32 off, v2, off offset:56
	v_cmpx_lt_u32_e32 13, v0
	s_cbranch_execz .LBB38_215
; %bb.214:
	scratch_load_b32 v2, off, off offset:52
	v_mov_b32_e32 v3, 0
	scratch_store_b32 off, v3, off offset:52
	s_waitcnt vmcnt(0)
	ds_store_b32 v1, v2
.LBB38_215:
	s_or_b32 exec_lo, exec_lo, s0
	s_waitcnt lgkmcnt(0)
	s_waitcnt_vscnt null, 0x0
	s_barrier
	buffer_gl0_inv
	s_clause 0x6
	scratch_load_b128 v[83:86], off, off offset:52
	scratch_load_b128 v[87:90], off, off offset:68
	;; [unrolled: 1-line block ×6, first 2 shown]
	scratch_load_b64 v[3:4], off, off offset:148
	v_mov_b32_e32 v2, 0
	ds_load_2addr_b64 v[107:110], v2 offset0:27 offset1:28
	ds_load_2addr_b64 v[111:114], v2 offset0:29 offset1:30
	s_mov_b32 s0, exec_lo
	s_waitcnt vmcnt(6) lgkmcnt(1)
	v_fma_f32 v107, v84, v107, 0
	s_delay_alu instid0(VALU_DEP_1) | instskip(NEXT) | instid1(VALU_DEP_1)
	v_fmac_f32_e32 v107, v85, v108
	v_fmac_f32_e32 v107, v86, v109
	s_waitcnt vmcnt(5)
	s_delay_alu instid0(VALU_DEP_1) | instskip(SKIP_3) | instid1(VALU_DEP_1)
	v_fmac_f32_e32 v107, v87, v110
	ds_load_2addr_b64 v[84:87], v2 offset0:31 offset1:32
	s_waitcnt lgkmcnt(1)
	v_fmac_f32_e32 v107, v88, v111
	v_fmac_f32_e32 v107, v89, v112
	s_delay_alu instid0(VALU_DEP_1) | instskip(SKIP_1) | instid1(VALU_DEP_1)
	v_fmac_f32_e32 v107, v90, v113
	s_waitcnt vmcnt(4)
	v_fmac_f32_e32 v107, v91, v114
	ds_load_2addr_b64 v[88:91], v2 offset0:33 offset1:34
	s_waitcnt lgkmcnt(1)
	v_fmac_f32_e32 v107, v92, v84
	s_delay_alu instid0(VALU_DEP_1) | instskip(NEXT) | instid1(VALU_DEP_1)
	v_fmac_f32_e32 v107, v93, v85
	v_fmac_f32_e32 v107, v94, v86
	s_waitcnt vmcnt(3)
	s_delay_alu instid0(VALU_DEP_1) | instskip(SKIP_3) | instid1(VALU_DEP_1)
	v_fmac_f32_e32 v107, v95, v87
	ds_load_2addr_b64 v[84:87], v2 offset0:35 offset1:36
	s_waitcnt lgkmcnt(1)
	v_fmac_f32_e32 v107, v96, v88
	v_fmac_f32_e32 v107, v97, v89
	s_delay_alu instid0(VALU_DEP_1) | instskip(SKIP_1) | instid1(VALU_DEP_1)
	v_fmac_f32_e32 v107, v98, v90
	s_waitcnt vmcnt(2)
	v_fmac_f32_e32 v107, v99, v91
	ds_load_2addr_b64 v[88:91], v2 offset0:37 offset1:38
	s_waitcnt lgkmcnt(1)
	v_fmac_f32_e32 v107, v100, v84
	ds_load_b32 v84, v2 offset:312
	v_fmac_f32_e32 v107, v101, v85
	s_delay_alu instid0(VALU_DEP_1) | instskip(SKIP_1) | instid1(VALU_DEP_1)
	v_fmac_f32_e32 v107, v102, v86
	s_waitcnt vmcnt(1)
	v_fmac_f32_e32 v107, v103, v87
	s_waitcnt lgkmcnt(1)
	s_delay_alu instid0(VALU_DEP_1) | instskip(NEXT) | instid1(VALU_DEP_1)
	v_fmac_f32_e32 v107, v104, v88
	v_fmac_f32_e32 v107, v105, v89
	s_delay_alu instid0(VALU_DEP_1) | instskip(SKIP_1) | instid1(VALU_DEP_1)
	v_fmac_f32_e32 v107, v106, v90
	s_waitcnt vmcnt(0)
	v_fmac_f32_e32 v107, v3, v91
	s_waitcnt lgkmcnt(0)
	s_delay_alu instid0(VALU_DEP_1) | instskip(NEXT) | instid1(VALU_DEP_1)
	v_fmac_f32_e32 v107, v4, v84
	v_sub_f32_e32 v3, v83, v107
	scratch_store_b32 off, v3, off offset:52
	v_cmpx_lt_u32_e32 12, v0
	s_cbranch_execz .LBB38_217
; %bb.216:
	scratch_load_b32 v3, off, off offset:48
	scratch_store_b32 off, v2, off offset:48
	s_waitcnt vmcnt(0)
	ds_store_b32 v1, v3
.LBB38_217:
	s_or_b32 exec_lo, exec_lo, s0
	s_waitcnt lgkmcnt(0)
	s_waitcnt_vscnt null, 0x0
	s_barrier
	buffer_gl0_inv
	s_clause 0x6
	scratch_load_b128 v[83:86], off, off offset:48
	scratch_load_b128 v[87:90], off, off offset:64
	;; [unrolled: 1-line block ×6, first 2 shown]
	scratch_load_b96 v[107:109], off, off offset:144
	ds_load_2addr_b32 v[3:4], v2 offset0:53 offset1:54
	ds_load_2addr_b32 v[110:111], v2 offset0:55 offset1:56
	;; [unrolled: 1-line block ×4, first 2 shown]
	s_mov_b32 s0, exec_lo
	s_waitcnt vmcnt(6) lgkmcnt(3)
	v_fma_f32 v116, v84, v3, 0
	s_delay_alu instid0(VALU_DEP_1)
	v_fmac_f32_e32 v116, v85, v4
	ds_load_2addr_b32 v[3:4], v2 offset0:61 offset1:62
	ds_load_2addr_b32 v[84:85], v2 offset0:63 offset1:64
	s_waitcnt lgkmcnt(4)
	v_fmac_f32_e32 v116, v86, v110
	s_waitcnt vmcnt(5)
	s_delay_alu instid0(VALU_DEP_1) | instskip(SKIP_1) | instid1(VALU_DEP_1)
	v_fmac_f32_e32 v116, v87, v111
	s_waitcnt lgkmcnt(3)
	v_fmac_f32_e32 v116, v88, v112
	s_delay_alu instid0(VALU_DEP_1)
	v_fmac_f32_e32 v116, v89, v113
	ds_load_2addr_b32 v[86:87], v2 offset0:65 offset1:66
	ds_load_2addr_b32 v[88:89], v2 offset0:67 offset1:68
	s_waitcnt lgkmcnt(4)
	v_fmac_f32_e32 v116, v90, v114
	s_waitcnt vmcnt(4)
	s_delay_alu instid0(VALU_DEP_1) | instskip(SKIP_1) | instid1(VALU_DEP_1)
	v_fmac_f32_e32 v116, v91, v115
	s_waitcnt lgkmcnt(3)
	v_fmac_f32_e32 v116, v92, v3
	s_delay_alu instid0(VALU_DEP_1) | instskip(SKIP_4) | instid1(VALU_DEP_1)
	v_fmac_f32_e32 v116, v93, v4
	ds_load_2addr_b32 v[3:4], v2 offset0:69 offset1:70
	s_waitcnt lgkmcnt(3)
	v_fmac_f32_e32 v116, v94, v84
	s_waitcnt vmcnt(3)
	v_fmac_f32_e32 v116, v95, v85
	ds_load_2addr_b32 v[84:85], v2 offset0:71 offset1:72
	s_waitcnt lgkmcnt(3)
	v_fmac_f32_e32 v116, v96, v86
	s_delay_alu instid0(VALU_DEP_1) | instskip(SKIP_1) | instid1(VALU_DEP_1)
	v_fmac_f32_e32 v116, v97, v87
	s_waitcnt lgkmcnt(2)
	v_fmac_f32_e32 v116, v98, v88
	s_waitcnt vmcnt(2)
	s_delay_alu instid0(VALU_DEP_1)
	v_fmac_f32_e32 v116, v99, v89
	ds_load_2addr_b32 v[86:87], v2 offset0:73 offset1:74
	ds_load_2addr_b32 v[88:89], v2 offset0:75 offset1:76
	s_waitcnt lgkmcnt(3)
	v_fmac_f32_e32 v116, v100, v3
	ds_load_2addr_b32 v[2:3], v2 offset0:77 offset1:78
	v_fmac_f32_e32 v116, v101, v4
	s_waitcnt lgkmcnt(3)
	s_delay_alu instid0(VALU_DEP_1) | instskip(SKIP_1) | instid1(VALU_DEP_1)
	v_fmac_f32_e32 v116, v102, v84
	s_waitcnt vmcnt(1)
	v_fmac_f32_e32 v116, v103, v85
	s_waitcnt lgkmcnt(2)
	s_delay_alu instid0(VALU_DEP_1) | instskip(NEXT) | instid1(VALU_DEP_1)
	v_fmac_f32_e32 v116, v104, v86
	v_fmac_f32_e32 v116, v105, v87
	s_waitcnt lgkmcnt(1)
	s_delay_alu instid0(VALU_DEP_1) | instskip(SKIP_1) | instid1(VALU_DEP_1)
	v_fmac_f32_e32 v116, v106, v88
	s_waitcnt vmcnt(0)
	v_fmac_f32_e32 v116, v107, v89
	s_waitcnt lgkmcnt(0)
	s_delay_alu instid0(VALU_DEP_1) | instskip(NEXT) | instid1(VALU_DEP_1)
	v_fmac_f32_e32 v116, v108, v2
	v_fmac_f32_e32 v116, v109, v3
	s_delay_alu instid0(VALU_DEP_1)
	v_sub_f32_e32 v2, v83, v116
	scratch_store_b32 off, v2, off offset:48
	v_cmpx_lt_u32_e32 11, v0
	s_cbranch_execz .LBB38_219
; %bb.218:
	scratch_load_b32 v2, off, off offset:44
	v_mov_b32_e32 v3, 0
	scratch_store_b32 off, v3, off offset:44
	s_waitcnt vmcnt(0)
	ds_store_b32 v1, v2
.LBB38_219:
	s_or_b32 exec_lo, exec_lo, s0
	s_waitcnt lgkmcnt(0)
	s_waitcnt_vscnt null, 0x0
	s_barrier
	buffer_gl0_inv
	s_clause 0x6
	scratch_load_b128 v[83:86], off, off offset:44
	scratch_load_b128 v[87:90], off, off offset:60
	;; [unrolled: 1-line block ×7, first 2 shown]
	v_mov_b32_e32 v2, 0
	ds_load_b128 v[111:114], v2 offset:208
	ds_load_b128 v[115:118], v2 offset:224
	s_mov_b32 s0, exec_lo
	s_waitcnt vmcnt(6) lgkmcnt(1)
	v_fma_f32 v3, v84, v111, 0
	s_delay_alu instid0(VALU_DEP_1) | instskip(NEXT) | instid1(VALU_DEP_1)
	v_fmac_f32_e32 v3, v85, v112
	v_fmac_f32_e32 v3, v86, v113
	s_waitcnt vmcnt(5)
	s_delay_alu instid0(VALU_DEP_1) | instskip(SKIP_3) | instid1(VALU_DEP_1)
	v_fmac_f32_e32 v3, v87, v114
	ds_load_b128 v[84:87], v2 offset:240
	s_waitcnt lgkmcnt(1)
	v_fmac_f32_e32 v3, v88, v115
	v_fmac_f32_e32 v3, v89, v116
	s_delay_alu instid0(VALU_DEP_1) | instskip(SKIP_1) | instid1(VALU_DEP_1)
	v_fmac_f32_e32 v3, v90, v117
	s_waitcnt vmcnt(4)
	v_fmac_f32_e32 v3, v91, v118
	ds_load_b128 v[88:91], v2 offset:256
	s_waitcnt lgkmcnt(1)
	v_fmac_f32_e32 v3, v92, v84
	s_delay_alu instid0(VALU_DEP_1) | instskip(NEXT) | instid1(VALU_DEP_1)
	v_fmac_f32_e32 v3, v93, v85
	v_fmac_f32_e32 v3, v94, v86
	s_waitcnt vmcnt(3)
	s_delay_alu instid0(VALU_DEP_1) | instskip(SKIP_3) | instid1(VALU_DEP_1)
	v_fmac_f32_e32 v3, v95, v87
	ds_load_b128 v[84:87], v2 offset:272
	s_waitcnt lgkmcnt(1)
	v_fmac_f32_e32 v3, v96, v88
	v_fmac_f32_e32 v3, v97, v89
	s_delay_alu instid0(VALU_DEP_1) | instskip(SKIP_1) | instid1(VALU_DEP_1)
	v_fmac_f32_e32 v3, v98, v90
	s_waitcnt vmcnt(2)
	v_fmac_f32_e32 v3, v99, v91
	ds_load_b128 v[88:91], v2 offset:288
	s_waitcnt lgkmcnt(1)
	v_fmac_f32_e32 v3, v100, v84
	s_delay_alu instid0(VALU_DEP_1) | instskip(NEXT) | instid1(VALU_DEP_1)
	v_fmac_f32_e32 v3, v101, v85
	v_fmac_f32_e32 v3, v102, v86
	ds_load_b96 v[84:86], v2 offset:304
	s_waitcnt vmcnt(1)
	v_fmac_f32_e32 v3, v103, v87
	s_waitcnt lgkmcnt(1)
	s_delay_alu instid0(VALU_DEP_1) | instskip(NEXT) | instid1(VALU_DEP_1)
	v_fmac_f32_e32 v3, v104, v88
	v_fmac_f32_e32 v3, v105, v89
	s_delay_alu instid0(VALU_DEP_1) | instskip(SKIP_1) | instid1(VALU_DEP_1)
	v_fmac_f32_e32 v3, v106, v90
	s_waitcnt vmcnt(0)
	v_fmac_f32_e32 v3, v107, v91
	s_waitcnt lgkmcnt(0)
	s_delay_alu instid0(VALU_DEP_1) | instskip(NEXT) | instid1(VALU_DEP_1)
	v_fmac_f32_e32 v3, v108, v84
	v_fmac_f32_e32 v3, v109, v85
	s_delay_alu instid0(VALU_DEP_1) | instskip(NEXT) | instid1(VALU_DEP_1)
	v_fmac_f32_e32 v3, v110, v86
	v_sub_f32_e32 v3, v83, v3
	scratch_store_b32 off, v3, off offset:44
	v_cmpx_lt_u32_e32 10, v0
	s_cbranch_execz .LBB38_221
; %bb.220:
	scratch_load_b32 v3, off, off offset:40
	scratch_store_b32 off, v2, off offset:40
	s_waitcnt vmcnt(0)
	ds_store_b32 v1, v3
.LBB38_221:
	s_or_b32 exec_lo, exec_lo, s0
	s_waitcnt lgkmcnt(0)
	s_waitcnt_vscnt null, 0x0
	s_barrier
	buffer_gl0_inv
	s_clause 0x7
	scratch_load_b128 v[83:86], off, off offset:40
	scratch_load_b128 v[87:90], off, off offset:56
	;; [unrolled: 1-line block ×7, first 2 shown]
	scratch_load_b32 v117, off, off offset:152
	ds_load_2addr_b32 v[3:4], v2 offset0:51 offset1:52
	ds_load_2addr_b32 v[111:112], v2 offset0:53 offset1:54
	;; [unrolled: 1-line block ×4, first 2 shown]
	s_mov_b32 s0, exec_lo
	s_waitcnt vmcnt(7) lgkmcnt(3)
	v_fma_f32 v118, v84, v3, 0
	s_delay_alu instid0(VALU_DEP_1)
	v_fmac_f32_e32 v118, v85, v4
	ds_load_2addr_b32 v[3:4], v2 offset0:59 offset1:60
	ds_load_2addr_b32 v[84:85], v2 offset0:61 offset1:62
	s_waitcnt lgkmcnt(4)
	v_fmac_f32_e32 v118, v86, v111
	s_waitcnt vmcnt(6)
	s_delay_alu instid0(VALU_DEP_1) | instskip(SKIP_1) | instid1(VALU_DEP_1)
	v_fmac_f32_e32 v118, v87, v112
	s_waitcnt lgkmcnt(3)
	v_fmac_f32_e32 v118, v88, v113
	s_delay_alu instid0(VALU_DEP_1)
	v_fmac_f32_e32 v118, v89, v114
	ds_load_2addr_b32 v[86:87], v2 offset0:63 offset1:64
	ds_load_2addr_b32 v[88:89], v2 offset0:65 offset1:66
	s_waitcnt lgkmcnt(4)
	v_fmac_f32_e32 v118, v90, v115
	s_waitcnt vmcnt(5)
	s_delay_alu instid0(VALU_DEP_1) | instskip(SKIP_1) | instid1(VALU_DEP_1)
	v_fmac_f32_e32 v118, v91, v116
	s_waitcnt lgkmcnt(3)
	v_fmac_f32_e32 v118, v92, v3
	s_delay_alu instid0(VALU_DEP_1) | instskip(SKIP_4) | instid1(VALU_DEP_1)
	v_fmac_f32_e32 v118, v93, v4
	ds_load_2addr_b32 v[3:4], v2 offset0:67 offset1:68
	s_waitcnt lgkmcnt(3)
	v_fmac_f32_e32 v118, v94, v84
	s_waitcnt vmcnt(4)
	v_fmac_f32_e32 v118, v95, v85
	ds_load_2addr_b32 v[84:85], v2 offset0:69 offset1:70
	s_waitcnt lgkmcnt(3)
	v_fmac_f32_e32 v118, v96, v86
	s_delay_alu instid0(VALU_DEP_1) | instskip(SKIP_1) | instid1(VALU_DEP_1)
	v_fmac_f32_e32 v118, v97, v87
	s_waitcnt lgkmcnt(2)
	v_fmac_f32_e32 v118, v98, v88
	s_waitcnt vmcnt(3)
	s_delay_alu instid0(VALU_DEP_1) | instskip(SKIP_4) | instid1(VALU_DEP_1)
	v_fmac_f32_e32 v118, v99, v89
	ds_load_2addr_b32 v[86:87], v2 offset0:71 offset1:72
	ds_load_2addr_b32 v[88:89], v2 offset0:73 offset1:74
	s_waitcnt lgkmcnt(3)
	v_fmac_f32_e32 v118, v100, v3
	v_fmac_f32_e32 v118, v101, v4
	ds_load_2addr_b32 v[3:4], v2 offset0:75 offset1:76
	s_waitcnt lgkmcnt(3)
	v_fmac_f32_e32 v118, v102, v84
	s_waitcnt vmcnt(2)
	s_delay_alu instid0(VALU_DEP_1) | instskip(SKIP_3) | instid1(VALU_DEP_1)
	v_fmac_f32_e32 v118, v103, v85
	ds_load_2addr_b32 v[84:85], v2 offset0:77 offset1:78
	s_waitcnt lgkmcnt(3)
	v_fmac_f32_e32 v118, v104, v86
	v_fmac_f32_e32 v118, v105, v87
	s_waitcnt lgkmcnt(2)
	s_delay_alu instid0(VALU_DEP_1) | instskip(SKIP_1) | instid1(VALU_DEP_1)
	v_fmac_f32_e32 v118, v106, v88
	s_waitcnt vmcnt(1)
	v_fmac_f32_e32 v118, v107, v89
	s_waitcnt lgkmcnt(1)
	s_delay_alu instid0(VALU_DEP_1) | instskip(NEXT) | instid1(VALU_DEP_1)
	v_fmac_f32_e32 v118, v108, v3
	v_fmac_f32_e32 v118, v109, v4
	s_waitcnt lgkmcnt(0)
	s_delay_alu instid0(VALU_DEP_1) | instskip(SKIP_1) | instid1(VALU_DEP_1)
	v_fmac_f32_e32 v118, v110, v84
	s_waitcnt vmcnt(0)
	v_fmac_f32_e32 v118, v117, v85
	s_delay_alu instid0(VALU_DEP_1)
	v_sub_f32_e32 v2, v83, v118
	scratch_store_b32 off, v2, off offset:40
	v_cmpx_lt_u32_e32 9, v0
	s_cbranch_execz .LBB38_223
; %bb.222:
	scratch_load_b32 v2, off, off offset:36
	v_mov_b32_e32 v3, 0
	scratch_store_b32 off, v3, off offset:36
	s_waitcnt vmcnt(0)
	ds_store_b32 v1, v2
.LBB38_223:
	s_or_b32 exec_lo, exec_lo, s0
	s_waitcnt lgkmcnt(0)
	s_waitcnt_vscnt null, 0x0
	s_barrier
	buffer_gl0_inv
	s_clause 0x7
	scratch_load_b128 v[83:86], off, off offset:36
	scratch_load_b128 v[87:90], off, off offset:52
	;; [unrolled: 1-line block ×7, first 2 shown]
	scratch_load_b64 v[3:4], off, off offset:148
	v_mov_b32_e32 v2, 0
	ds_load_2addr_b64 v[111:114], v2 offset0:25 offset1:26
	ds_load_2addr_b64 v[115:118], v2 offset0:27 offset1:28
	s_mov_b32 s0, exec_lo
	s_waitcnt vmcnt(7) lgkmcnt(1)
	v_fma_f32 v111, v84, v111, 0
	s_delay_alu instid0(VALU_DEP_1) | instskip(NEXT) | instid1(VALU_DEP_1)
	v_fmac_f32_e32 v111, v85, v112
	v_fmac_f32_e32 v111, v86, v113
	s_waitcnt vmcnt(6)
	s_delay_alu instid0(VALU_DEP_1) | instskip(SKIP_3) | instid1(VALU_DEP_1)
	v_fmac_f32_e32 v111, v87, v114
	ds_load_2addr_b64 v[84:87], v2 offset0:29 offset1:30
	s_waitcnt lgkmcnt(1)
	v_fmac_f32_e32 v111, v88, v115
	v_fmac_f32_e32 v111, v89, v116
	s_delay_alu instid0(VALU_DEP_1) | instskip(SKIP_1) | instid1(VALU_DEP_1)
	v_fmac_f32_e32 v111, v90, v117
	s_waitcnt vmcnt(5)
	v_fmac_f32_e32 v111, v91, v118
	ds_load_2addr_b64 v[88:91], v2 offset0:31 offset1:32
	s_waitcnt lgkmcnt(1)
	v_fmac_f32_e32 v111, v92, v84
	s_delay_alu instid0(VALU_DEP_1) | instskip(NEXT) | instid1(VALU_DEP_1)
	v_fmac_f32_e32 v111, v93, v85
	v_fmac_f32_e32 v111, v94, v86
	s_waitcnt vmcnt(4)
	s_delay_alu instid0(VALU_DEP_1) | instskip(SKIP_3) | instid1(VALU_DEP_1)
	v_fmac_f32_e32 v111, v95, v87
	ds_load_2addr_b64 v[84:87], v2 offset0:33 offset1:34
	s_waitcnt lgkmcnt(1)
	v_fmac_f32_e32 v111, v96, v88
	v_fmac_f32_e32 v111, v97, v89
	s_delay_alu instid0(VALU_DEP_1) | instskip(SKIP_1) | instid1(VALU_DEP_1)
	v_fmac_f32_e32 v111, v98, v90
	s_waitcnt vmcnt(3)
	v_fmac_f32_e32 v111, v99, v91
	ds_load_2addr_b64 v[88:91], v2 offset0:35 offset1:36
	s_waitcnt lgkmcnt(1)
	v_fmac_f32_e32 v111, v100, v84
	s_delay_alu instid0(VALU_DEP_1) | instskip(NEXT) | instid1(VALU_DEP_1)
	v_fmac_f32_e32 v111, v101, v85
	v_fmac_f32_e32 v111, v102, v86
	s_waitcnt vmcnt(2)
	s_delay_alu instid0(VALU_DEP_1)
	v_fmac_f32_e32 v111, v103, v87
	ds_load_2addr_b64 v[84:87], v2 offset0:37 offset1:38
	s_waitcnt lgkmcnt(1)
	v_fmac_f32_e32 v111, v104, v88
	ds_load_b32 v88, v2 offset:312
	v_fmac_f32_e32 v111, v105, v89
	s_delay_alu instid0(VALU_DEP_1) | instskip(SKIP_1) | instid1(VALU_DEP_1)
	v_fmac_f32_e32 v111, v106, v90
	s_waitcnt vmcnt(1)
	v_fmac_f32_e32 v111, v107, v91
	s_waitcnt lgkmcnt(1)
	s_delay_alu instid0(VALU_DEP_1) | instskip(NEXT) | instid1(VALU_DEP_1)
	v_fmac_f32_e32 v111, v108, v84
	v_fmac_f32_e32 v111, v109, v85
	s_delay_alu instid0(VALU_DEP_1) | instskip(SKIP_1) | instid1(VALU_DEP_1)
	v_fmac_f32_e32 v111, v110, v86
	s_waitcnt vmcnt(0)
	v_fmac_f32_e32 v111, v3, v87
	s_waitcnt lgkmcnt(0)
	s_delay_alu instid0(VALU_DEP_1) | instskip(NEXT) | instid1(VALU_DEP_1)
	v_fmac_f32_e32 v111, v4, v88
	v_sub_f32_e32 v3, v83, v111
	scratch_store_b32 off, v3, off offset:36
	v_cmpx_lt_u32_e32 8, v0
	s_cbranch_execz .LBB38_225
; %bb.224:
	scratch_load_b32 v3, off, off offset:32
	scratch_store_b32 off, v2, off offset:32
	s_waitcnt vmcnt(0)
	ds_store_b32 v1, v3
.LBB38_225:
	s_or_b32 exec_lo, exec_lo, s0
	s_waitcnt lgkmcnt(0)
	s_waitcnt_vscnt null, 0x0
	s_barrier
	buffer_gl0_inv
	s_clause 0x7
	scratch_load_b128 v[83:86], off, off offset:32
	scratch_load_b128 v[87:90], off, off offset:48
	;; [unrolled: 1-line block ×7, first 2 shown]
	scratch_load_b96 v[111:113], off, off offset:144
	ds_load_2addr_b32 v[3:4], v2 offset0:49 offset1:50
	ds_load_2addr_b32 v[114:115], v2 offset0:51 offset1:52
	;; [unrolled: 1-line block ×3, first 2 shown]
	s_mov_b32 s0, exec_lo
	s_waitcnt vmcnt(7) lgkmcnt(2)
	v_fma_f32 v118, v84, v3, 0
	s_delay_alu instid0(VALU_DEP_1)
	v_fmac_f32_e32 v118, v85, v4
	ds_load_2addr_b32 v[3:4], v2 offset0:55 offset1:56
	ds_load_2addr_b32 v[84:85], v2 offset0:57 offset1:58
	s_waitcnt lgkmcnt(3)
	v_fmac_f32_e32 v118, v86, v114
	s_waitcnt vmcnt(6)
	s_delay_alu instid0(VALU_DEP_1) | instskip(SKIP_3) | instid1(VALU_DEP_1)
	v_fmac_f32_e32 v118, v87, v115
	ds_load_2addr_b32 v[86:87], v2 offset0:59 offset1:60
	s_waitcnt lgkmcnt(3)
	v_fmac_f32_e32 v118, v88, v116
	v_fmac_f32_e32 v118, v89, v117
	s_waitcnt lgkmcnt(2)
	s_delay_alu instid0(VALU_DEP_1) | instskip(SKIP_1) | instid1(VALU_DEP_1)
	v_fmac_f32_e32 v118, v90, v3
	s_waitcnt vmcnt(5)
	v_fmac_f32_e32 v118, v91, v4
	ds_load_2addr_b32 v[3:4], v2 offset0:61 offset1:62
	s_waitcnt lgkmcnt(2)
	v_fmac_f32_e32 v118, v92, v84
	s_delay_alu instid0(VALU_DEP_1) | instskip(SKIP_4) | instid1(VALU_DEP_1)
	v_fmac_f32_e32 v118, v93, v85
	ds_load_2addr_b32 v[84:85], v2 offset0:63 offset1:64
	s_waitcnt lgkmcnt(2)
	v_fmac_f32_e32 v118, v94, v86
	s_waitcnt vmcnt(4)
	v_fmac_f32_e32 v118, v95, v87
	ds_load_2addr_b32 v[86:87], v2 offset0:65 offset1:66
	s_waitcnt lgkmcnt(2)
	v_fmac_f32_e32 v118, v96, v3
	s_delay_alu instid0(VALU_DEP_1) | instskip(SKIP_4) | instid1(VALU_DEP_1)
	v_fmac_f32_e32 v118, v97, v4
	ds_load_2addr_b32 v[3:4], v2 offset0:67 offset1:68
	s_waitcnt lgkmcnt(2)
	;; [unrolled: 10-line block ×4, first 2 shown]
	v_fmac_f32_e32 v118, v106, v86
	s_waitcnt vmcnt(1)
	v_fmac_f32_e32 v118, v107, v87
	ds_load_2addr_b32 v[86:87], v2 offset0:77 offset1:78
	s_waitcnt lgkmcnt(2)
	v_fmac_f32_e32 v118, v108, v3
	s_delay_alu instid0(VALU_DEP_1) | instskip(SKIP_1) | instid1(VALU_DEP_1)
	v_fmac_f32_e32 v118, v109, v4
	s_waitcnt lgkmcnt(1)
	v_fmac_f32_e32 v118, v110, v84
	s_waitcnt vmcnt(0)
	s_delay_alu instid0(VALU_DEP_1) | instskip(SKIP_1) | instid1(VALU_DEP_1)
	v_fmac_f32_e32 v118, v111, v85
	s_waitcnt lgkmcnt(0)
	v_fmac_f32_e32 v118, v112, v86
	s_delay_alu instid0(VALU_DEP_1) | instskip(NEXT) | instid1(VALU_DEP_1)
	v_fmac_f32_e32 v118, v113, v87
	v_sub_f32_e32 v2, v83, v118
	scratch_store_b32 off, v2, off offset:32
	v_cmpx_lt_u32_e32 7, v0
	s_cbranch_execz .LBB38_227
; %bb.226:
	scratch_load_b32 v2, off, off offset:28
	v_mov_b32_e32 v3, 0
	scratch_store_b32 off, v3, off offset:28
	s_waitcnt vmcnt(0)
	ds_store_b32 v1, v2
.LBB38_227:
	s_or_b32 exec_lo, exec_lo, s0
	s_waitcnt lgkmcnt(0)
	s_waitcnt_vscnt null, 0x0
	s_barrier
	buffer_gl0_inv
	s_clause 0x7
	scratch_load_b128 v[83:86], off, off offset:28
	scratch_load_b128 v[87:90], off, off offset:44
	;; [unrolled: 1-line block ×8, first 2 shown]
	v_mov_b32_e32 v2, 0
	ds_load_b128 v[115:118], v2 offset:192
	ds_load_b128 v[119:122], v2 offset:208
	s_mov_b32 s0, exec_lo
	s_waitcnt vmcnt(7) lgkmcnt(1)
	v_fma_f32 v3, v84, v115, 0
	s_delay_alu instid0(VALU_DEP_1) | instskip(NEXT) | instid1(VALU_DEP_1)
	v_fmac_f32_e32 v3, v85, v116
	v_fmac_f32_e32 v3, v86, v117
	s_waitcnt vmcnt(6)
	s_delay_alu instid0(VALU_DEP_1) | instskip(SKIP_3) | instid1(VALU_DEP_1)
	v_fmac_f32_e32 v3, v87, v118
	ds_load_b128 v[84:87], v2 offset:224
	s_waitcnt lgkmcnt(1)
	v_fmac_f32_e32 v3, v88, v119
	v_fmac_f32_e32 v3, v89, v120
	s_delay_alu instid0(VALU_DEP_1) | instskip(SKIP_1) | instid1(VALU_DEP_1)
	v_fmac_f32_e32 v3, v90, v121
	s_waitcnt vmcnt(5)
	v_fmac_f32_e32 v3, v91, v122
	ds_load_b128 v[88:91], v2 offset:240
	s_waitcnt lgkmcnt(1)
	v_fmac_f32_e32 v3, v92, v84
	s_delay_alu instid0(VALU_DEP_1) | instskip(NEXT) | instid1(VALU_DEP_1)
	v_fmac_f32_e32 v3, v93, v85
	v_fmac_f32_e32 v3, v94, v86
	s_waitcnt vmcnt(4)
	s_delay_alu instid0(VALU_DEP_1) | instskip(SKIP_3) | instid1(VALU_DEP_1)
	v_fmac_f32_e32 v3, v95, v87
	ds_load_b128 v[84:87], v2 offset:256
	s_waitcnt lgkmcnt(1)
	v_fmac_f32_e32 v3, v96, v88
	v_fmac_f32_e32 v3, v97, v89
	s_delay_alu instid0(VALU_DEP_1) | instskip(SKIP_1) | instid1(VALU_DEP_1)
	v_fmac_f32_e32 v3, v98, v90
	s_waitcnt vmcnt(3)
	v_fmac_f32_e32 v3, v99, v91
	ds_load_b128 v[88:91], v2 offset:272
	s_waitcnt lgkmcnt(1)
	v_fmac_f32_e32 v3, v100, v84
	s_delay_alu instid0(VALU_DEP_1) | instskip(NEXT) | instid1(VALU_DEP_1)
	v_fmac_f32_e32 v3, v101, v85
	v_fmac_f32_e32 v3, v102, v86
	s_waitcnt vmcnt(2)
	s_delay_alu instid0(VALU_DEP_1) | instskip(SKIP_3) | instid1(VALU_DEP_1)
	v_fmac_f32_e32 v3, v103, v87
	ds_load_b128 v[84:87], v2 offset:288
	s_waitcnt lgkmcnt(1)
	v_fmac_f32_e32 v3, v104, v88
	v_fmac_f32_e32 v3, v105, v89
	s_delay_alu instid0(VALU_DEP_1) | instskip(SKIP_4) | instid1(VALU_DEP_1)
	v_fmac_f32_e32 v3, v106, v90
	ds_load_b96 v[88:90], v2 offset:304
	s_waitcnt vmcnt(1)
	v_fmac_f32_e32 v3, v107, v91
	s_waitcnt lgkmcnt(1)
	v_fmac_f32_e32 v3, v108, v84
	s_delay_alu instid0(VALU_DEP_1) | instskip(NEXT) | instid1(VALU_DEP_1)
	v_fmac_f32_e32 v3, v109, v85
	v_fmac_f32_e32 v3, v110, v86
	s_waitcnt vmcnt(0)
	s_delay_alu instid0(VALU_DEP_1) | instskip(SKIP_1) | instid1(VALU_DEP_1)
	v_fmac_f32_e32 v3, v111, v87
	s_waitcnt lgkmcnt(0)
	v_fmac_f32_e32 v3, v112, v88
	s_delay_alu instid0(VALU_DEP_1) | instskip(NEXT) | instid1(VALU_DEP_1)
	v_fmac_f32_e32 v3, v113, v89
	v_fmac_f32_e32 v3, v114, v90
	s_delay_alu instid0(VALU_DEP_1)
	v_sub_f32_e32 v3, v83, v3
	scratch_store_b32 off, v3, off offset:28
	v_cmpx_lt_u32_e32 6, v0
	s_cbranch_execz .LBB38_229
; %bb.228:
	scratch_load_b32 v3, off, off offset:24
	scratch_store_b32 off, v2, off offset:24
	s_waitcnt vmcnt(0)
	ds_store_b32 v1, v3
.LBB38_229:
	s_or_b32 exec_lo, exec_lo, s0
	s_waitcnt lgkmcnt(0)
	s_waitcnt_vscnt null, 0x0
	s_barrier
	buffer_gl0_inv
	s_clause 0x8
	scratch_load_b128 v[83:86], off, off offset:24
	scratch_load_b128 v[87:90], off, off offset:40
	;; [unrolled: 1-line block ×8, first 2 shown]
	scratch_load_b32 v121, off, off offset:152
	ds_load_2addr_b32 v[3:4], v2 offset0:47 offset1:48
	ds_load_2addr_b32 v[115:116], v2 offset0:49 offset1:50
	;; [unrolled: 1-line block ×4, first 2 shown]
	s_mov_b32 s0, exec_lo
	s_waitcnt vmcnt(8) lgkmcnt(3)
	v_fma_f32 v122, v84, v3, 0
	s_delay_alu instid0(VALU_DEP_1)
	v_fmac_f32_e32 v122, v85, v4
	ds_load_2addr_b32 v[3:4], v2 offset0:55 offset1:56
	ds_load_2addr_b32 v[84:85], v2 offset0:57 offset1:58
	s_waitcnt lgkmcnt(4)
	v_fmac_f32_e32 v122, v86, v115
	s_waitcnt vmcnt(7)
	s_delay_alu instid0(VALU_DEP_1) | instskip(SKIP_1) | instid1(VALU_DEP_1)
	v_fmac_f32_e32 v122, v87, v116
	s_waitcnt lgkmcnt(3)
	v_fmac_f32_e32 v122, v88, v117
	s_delay_alu instid0(VALU_DEP_1)
	v_fmac_f32_e32 v122, v89, v118
	ds_load_2addr_b32 v[86:87], v2 offset0:59 offset1:60
	ds_load_2addr_b32 v[88:89], v2 offset0:61 offset1:62
	s_waitcnt lgkmcnt(4)
	v_fmac_f32_e32 v122, v90, v119
	s_waitcnt vmcnt(6)
	s_delay_alu instid0(VALU_DEP_1) | instskip(SKIP_1) | instid1(VALU_DEP_1)
	v_fmac_f32_e32 v122, v91, v120
	s_waitcnt lgkmcnt(3)
	v_fmac_f32_e32 v122, v92, v3
	s_delay_alu instid0(VALU_DEP_1) | instskip(SKIP_4) | instid1(VALU_DEP_1)
	v_fmac_f32_e32 v122, v93, v4
	ds_load_2addr_b32 v[3:4], v2 offset0:63 offset1:64
	s_waitcnt lgkmcnt(3)
	v_fmac_f32_e32 v122, v94, v84
	s_waitcnt vmcnt(5)
	v_fmac_f32_e32 v122, v95, v85
	ds_load_2addr_b32 v[84:85], v2 offset0:65 offset1:66
	s_waitcnt lgkmcnt(3)
	v_fmac_f32_e32 v122, v96, v86
	s_delay_alu instid0(VALU_DEP_1) | instskip(SKIP_1) | instid1(VALU_DEP_1)
	v_fmac_f32_e32 v122, v97, v87
	s_waitcnt lgkmcnt(2)
	v_fmac_f32_e32 v122, v98, v88
	s_waitcnt vmcnt(4)
	s_delay_alu instid0(VALU_DEP_1) | instskip(SKIP_4) | instid1(VALU_DEP_1)
	v_fmac_f32_e32 v122, v99, v89
	ds_load_2addr_b32 v[86:87], v2 offset0:67 offset1:68
	ds_load_2addr_b32 v[88:89], v2 offset0:69 offset1:70
	s_waitcnt lgkmcnt(3)
	v_fmac_f32_e32 v122, v100, v3
	v_fmac_f32_e32 v122, v101, v4
	ds_load_2addr_b32 v[3:4], v2 offset0:71 offset1:72
	s_waitcnt lgkmcnt(3)
	v_fmac_f32_e32 v122, v102, v84
	s_waitcnt vmcnt(3)
	s_delay_alu instid0(VALU_DEP_1) | instskip(SKIP_3) | instid1(VALU_DEP_1)
	v_fmac_f32_e32 v122, v103, v85
	ds_load_2addr_b32 v[84:85], v2 offset0:73 offset1:74
	s_waitcnt lgkmcnt(3)
	v_fmac_f32_e32 v122, v104, v86
	v_fmac_f32_e32 v122, v105, v87
	s_waitcnt lgkmcnt(2)
	s_delay_alu instid0(VALU_DEP_1) | instskip(SKIP_1) | instid1(VALU_DEP_1)
	v_fmac_f32_e32 v122, v106, v88
	s_waitcnt vmcnt(2)
	v_fmac_f32_e32 v122, v107, v89
	ds_load_2addr_b32 v[86:87], v2 offset0:75 offset1:76
	ds_load_2addr_b32 v[88:89], v2 offset0:77 offset1:78
	s_waitcnt lgkmcnt(3)
	v_fmac_f32_e32 v122, v108, v3
	s_delay_alu instid0(VALU_DEP_1) | instskip(SKIP_1) | instid1(VALU_DEP_1)
	v_fmac_f32_e32 v122, v109, v4
	s_waitcnt lgkmcnt(2)
	v_fmac_f32_e32 v122, v110, v84
	s_waitcnt vmcnt(1)
	s_delay_alu instid0(VALU_DEP_1) | instskip(SKIP_1) | instid1(VALU_DEP_1)
	v_fmac_f32_e32 v122, v111, v85
	s_waitcnt lgkmcnt(1)
	v_fmac_f32_e32 v122, v112, v86
	s_delay_alu instid0(VALU_DEP_1) | instskip(SKIP_1) | instid1(VALU_DEP_1)
	v_fmac_f32_e32 v122, v113, v87
	s_waitcnt lgkmcnt(0)
	v_fmac_f32_e32 v122, v114, v88
	s_waitcnt vmcnt(0)
	s_delay_alu instid0(VALU_DEP_1) | instskip(NEXT) | instid1(VALU_DEP_1)
	v_fmac_f32_e32 v122, v121, v89
	v_sub_f32_e32 v2, v83, v122
	scratch_store_b32 off, v2, off offset:24
	v_cmpx_lt_u32_e32 5, v0
	s_cbranch_execz .LBB38_231
; %bb.230:
	scratch_load_b32 v2, off, off offset:20
	v_mov_b32_e32 v3, 0
	scratch_store_b32 off, v3, off offset:20
	s_waitcnt vmcnt(0)
	ds_store_b32 v1, v2
.LBB38_231:
	s_or_b32 exec_lo, exec_lo, s0
	s_waitcnt lgkmcnt(0)
	s_waitcnt_vscnt null, 0x0
	s_barrier
	buffer_gl0_inv
	s_clause 0x8
	scratch_load_b128 v[83:86], off, off offset:20
	scratch_load_b128 v[87:90], off, off offset:36
	;; [unrolled: 1-line block ×8, first 2 shown]
	scratch_load_b64 v[3:4], off, off offset:148
	v_mov_b32_e32 v2, 0
	ds_load_2addr_b64 v[115:118], v2 offset0:23 offset1:24
	ds_load_2addr_b64 v[119:122], v2 offset0:25 offset1:26
	s_mov_b32 s0, exec_lo
	s_waitcnt vmcnt(8) lgkmcnt(1)
	v_fma_f32 v115, v84, v115, 0
	s_delay_alu instid0(VALU_DEP_1) | instskip(NEXT) | instid1(VALU_DEP_1)
	v_fmac_f32_e32 v115, v85, v116
	v_fmac_f32_e32 v115, v86, v117
	s_waitcnt vmcnt(7)
	s_delay_alu instid0(VALU_DEP_1) | instskip(SKIP_3) | instid1(VALU_DEP_1)
	v_fmac_f32_e32 v115, v87, v118
	ds_load_2addr_b64 v[84:87], v2 offset0:27 offset1:28
	s_waitcnt lgkmcnt(1)
	v_fmac_f32_e32 v115, v88, v119
	v_fmac_f32_e32 v115, v89, v120
	s_delay_alu instid0(VALU_DEP_1) | instskip(SKIP_1) | instid1(VALU_DEP_1)
	v_fmac_f32_e32 v115, v90, v121
	s_waitcnt vmcnt(6)
	v_fmac_f32_e32 v115, v91, v122
	ds_load_2addr_b64 v[88:91], v2 offset0:29 offset1:30
	s_waitcnt lgkmcnt(1)
	v_fmac_f32_e32 v115, v92, v84
	s_delay_alu instid0(VALU_DEP_1) | instskip(NEXT) | instid1(VALU_DEP_1)
	v_fmac_f32_e32 v115, v93, v85
	v_fmac_f32_e32 v115, v94, v86
	s_waitcnt vmcnt(5)
	s_delay_alu instid0(VALU_DEP_1) | instskip(SKIP_3) | instid1(VALU_DEP_1)
	v_fmac_f32_e32 v115, v95, v87
	ds_load_2addr_b64 v[84:87], v2 offset0:31 offset1:32
	s_waitcnt lgkmcnt(1)
	v_fmac_f32_e32 v115, v96, v88
	v_fmac_f32_e32 v115, v97, v89
	s_delay_alu instid0(VALU_DEP_1) | instskip(SKIP_1) | instid1(VALU_DEP_1)
	v_fmac_f32_e32 v115, v98, v90
	s_waitcnt vmcnt(4)
	v_fmac_f32_e32 v115, v99, v91
	ds_load_2addr_b64 v[88:91], v2 offset0:33 offset1:34
	s_waitcnt lgkmcnt(1)
	v_fmac_f32_e32 v115, v100, v84
	;; [unrolled: 17-line block ×3, first 2 shown]
	ds_load_b32 v84, v2 offset:312
	v_fmac_f32_e32 v115, v109, v85
	s_delay_alu instid0(VALU_DEP_1) | instskip(SKIP_1) | instid1(VALU_DEP_1)
	v_fmac_f32_e32 v115, v110, v86
	s_waitcnt vmcnt(1)
	v_fmac_f32_e32 v115, v111, v87
	s_waitcnt lgkmcnt(1)
	s_delay_alu instid0(VALU_DEP_1) | instskip(NEXT) | instid1(VALU_DEP_1)
	v_fmac_f32_e32 v115, v112, v88
	v_fmac_f32_e32 v115, v113, v89
	s_delay_alu instid0(VALU_DEP_1) | instskip(SKIP_1) | instid1(VALU_DEP_1)
	v_fmac_f32_e32 v115, v114, v90
	s_waitcnt vmcnt(0)
	v_fmac_f32_e32 v115, v3, v91
	s_waitcnt lgkmcnt(0)
	s_delay_alu instid0(VALU_DEP_1) | instskip(NEXT) | instid1(VALU_DEP_1)
	v_fmac_f32_e32 v115, v4, v84
	v_sub_f32_e32 v3, v83, v115
	scratch_store_b32 off, v3, off offset:20
	v_cmpx_lt_u32_e32 4, v0
	s_cbranch_execz .LBB38_233
; %bb.232:
	scratch_load_b32 v3, off, off offset:16
	scratch_store_b32 off, v2, off offset:16
	s_waitcnt vmcnt(0)
	ds_store_b32 v1, v3
.LBB38_233:
	s_or_b32 exec_lo, exec_lo, s0
	s_waitcnt lgkmcnt(0)
	s_waitcnt_vscnt null, 0x0
	s_barrier
	buffer_gl0_inv
	s_clause 0x8
	scratch_load_b128 v[83:86], off, off offset:16
	scratch_load_b128 v[87:90], off, off offset:32
	;; [unrolled: 1-line block ×8, first 2 shown]
	scratch_load_b96 v[115:117], off, off offset:144
	ds_load_2addr_b32 v[3:4], v2 offset0:45 offset1:46
	ds_load_2addr_b32 v[118:119], v2 offset0:47 offset1:48
	;; [unrolled: 1-line block ×4, first 2 shown]
	s_mov_b32 s0, exec_lo
	s_waitcnt vmcnt(8) lgkmcnt(3)
	v_fma_f32 v124, v84, v3, 0
	s_delay_alu instid0(VALU_DEP_1)
	v_fmac_f32_e32 v124, v85, v4
	ds_load_2addr_b32 v[3:4], v2 offset0:53 offset1:54
	ds_load_2addr_b32 v[84:85], v2 offset0:55 offset1:56
	s_waitcnt lgkmcnt(4)
	v_fmac_f32_e32 v124, v86, v118
	s_waitcnt vmcnt(7)
	s_delay_alu instid0(VALU_DEP_1) | instskip(SKIP_1) | instid1(VALU_DEP_1)
	v_fmac_f32_e32 v124, v87, v119
	s_waitcnt lgkmcnt(3)
	v_fmac_f32_e32 v124, v88, v120
	s_delay_alu instid0(VALU_DEP_1)
	v_fmac_f32_e32 v124, v89, v121
	ds_load_2addr_b32 v[86:87], v2 offset0:57 offset1:58
	ds_load_2addr_b32 v[88:89], v2 offset0:59 offset1:60
	s_waitcnt lgkmcnt(4)
	v_fmac_f32_e32 v124, v90, v122
	s_waitcnt vmcnt(6)
	s_delay_alu instid0(VALU_DEP_1) | instskip(SKIP_1) | instid1(VALU_DEP_1)
	v_fmac_f32_e32 v124, v91, v123
	s_waitcnt lgkmcnt(3)
	v_fmac_f32_e32 v124, v92, v3
	s_delay_alu instid0(VALU_DEP_1) | instskip(SKIP_4) | instid1(VALU_DEP_1)
	v_fmac_f32_e32 v124, v93, v4
	ds_load_2addr_b32 v[3:4], v2 offset0:61 offset1:62
	s_waitcnt lgkmcnt(3)
	v_fmac_f32_e32 v124, v94, v84
	s_waitcnt vmcnt(5)
	v_fmac_f32_e32 v124, v95, v85
	ds_load_2addr_b32 v[84:85], v2 offset0:63 offset1:64
	s_waitcnt lgkmcnt(3)
	v_fmac_f32_e32 v124, v96, v86
	s_delay_alu instid0(VALU_DEP_1) | instskip(SKIP_1) | instid1(VALU_DEP_1)
	v_fmac_f32_e32 v124, v97, v87
	s_waitcnt lgkmcnt(2)
	v_fmac_f32_e32 v124, v98, v88
	s_waitcnt vmcnt(4)
	s_delay_alu instid0(VALU_DEP_1) | instskip(SKIP_4) | instid1(VALU_DEP_1)
	v_fmac_f32_e32 v124, v99, v89
	ds_load_2addr_b32 v[86:87], v2 offset0:65 offset1:66
	ds_load_2addr_b32 v[88:89], v2 offset0:67 offset1:68
	s_waitcnt lgkmcnt(3)
	v_fmac_f32_e32 v124, v100, v3
	v_fmac_f32_e32 v124, v101, v4
	ds_load_2addr_b32 v[3:4], v2 offset0:69 offset1:70
	s_waitcnt lgkmcnt(3)
	v_fmac_f32_e32 v124, v102, v84
	s_waitcnt vmcnt(3)
	s_delay_alu instid0(VALU_DEP_1) | instskip(SKIP_3) | instid1(VALU_DEP_1)
	v_fmac_f32_e32 v124, v103, v85
	ds_load_2addr_b32 v[84:85], v2 offset0:71 offset1:72
	s_waitcnt lgkmcnt(3)
	v_fmac_f32_e32 v124, v104, v86
	v_fmac_f32_e32 v124, v105, v87
	s_waitcnt lgkmcnt(2)
	s_delay_alu instid0(VALU_DEP_1) | instskip(SKIP_1) | instid1(VALU_DEP_1)
	v_fmac_f32_e32 v124, v106, v88
	s_waitcnt vmcnt(2)
	v_fmac_f32_e32 v124, v107, v89
	ds_load_2addr_b32 v[86:87], v2 offset0:73 offset1:74
	ds_load_2addr_b32 v[88:89], v2 offset0:75 offset1:76
	s_waitcnt lgkmcnt(3)
	v_fmac_f32_e32 v124, v108, v3
	ds_load_2addr_b32 v[2:3], v2 offset0:77 offset1:78
	v_fmac_f32_e32 v124, v109, v4
	s_waitcnt lgkmcnt(3)
	s_delay_alu instid0(VALU_DEP_1) | instskip(SKIP_1) | instid1(VALU_DEP_1)
	v_fmac_f32_e32 v124, v110, v84
	s_waitcnt vmcnt(1)
	v_fmac_f32_e32 v124, v111, v85
	s_waitcnt lgkmcnt(2)
	s_delay_alu instid0(VALU_DEP_1) | instskip(NEXT) | instid1(VALU_DEP_1)
	v_fmac_f32_e32 v124, v112, v86
	v_fmac_f32_e32 v124, v113, v87
	s_waitcnt lgkmcnt(1)
	s_delay_alu instid0(VALU_DEP_1) | instskip(SKIP_1) | instid1(VALU_DEP_1)
	v_fmac_f32_e32 v124, v114, v88
	s_waitcnt vmcnt(0)
	v_fmac_f32_e32 v124, v115, v89
	s_waitcnt lgkmcnt(0)
	s_delay_alu instid0(VALU_DEP_1) | instskip(NEXT) | instid1(VALU_DEP_1)
	v_fmac_f32_e32 v124, v116, v2
	v_fmac_f32_e32 v124, v117, v3
	s_delay_alu instid0(VALU_DEP_1)
	v_sub_f32_e32 v2, v83, v124
	scratch_store_b32 off, v2, off offset:16
	v_cmpx_lt_u32_e32 3, v0
	s_cbranch_execz .LBB38_235
; %bb.234:
	scratch_load_b32 v2, off, off offset:12
	v_mov_b32_e32 v3, 0
	scratch_store_b32 off, v3, off offset:12
	s_waitcnt vmcnt(0)
	ds_store_b32 v1, v2
.LBB38_235:
	s_or_b32 exec_lo, exec_lo, s0
	s_waitcnt lgkmcnt(0)
	s_waitcnt_vscnt null, 0x0
	s_barrier
	buffer_gl0_inv
	s_clause 0x8
	scratch_load_b128 v[83:86], off, off offset:12
	scratch_load_b128 v[87:90], off, off offset:28
	;; [unrolled: 1-line block ×9, first 2 shown]
	v_mov_b32_e32 v2, 0
	ds_load_b128 v[119:122], v2 offset:176
	ds_load_b128 v[123:126], v2 offset:192
	s_mov_b32 s0, exec_lo
	s_waitcnt vmcnt(8) lgkmcnt(1)
	v_fma_f32 v3, v84, v119, 0
	s_delay_alu instid0(VALU_DEP_1) | instskip(NEXT) | instid1(VALU_DEP_1)
	v_fmac_f32_e32 v3, v85, v120
	v_fmac_f32_e32 v3, v86, v121
	s_waitcnt vmcnt(7)
	s_delay_alu instid0(VALU_DEP_1) | instskip(SKIP_3) | instid1(VALU_DEP_1)
	v_fmac_f32_e32 v3, v87, v122
	ds_load_b128 v[84:87], v2 offset:208
	s_waitcnt lgkmcnt(1)
	v_fmac_f32_e32 v3, v88, v123
	v_fmac_f32_e32 v3, v89, v124
	s_delay_alu instid0(VALU_DEP_1) | instskip(SKIP_1) | instid1(VALU_DEP_1)
	v_fmac_f32_e32 v3, v90, v125
	s_waitcnt vmcnt(6)
	v_fmac_f32_e32 v3, v91, v126
	ds_load_b128 v[88:91], v2 offset:224
	s_waitcnt lgkmcnt(1)
	v_fmac_f32_e32 v3, v92, v84
	s_delay_alu instid0(VALU_DEP_1) | instskip(NEXT) | instid1(VALU_DEP_1)
	v_fmac_f32_e32 v3, v93, v85
	v_fmac_f32_e32 v3, v94, v86
	s_waitcnt vmcnt(5)
	s_delay_alu instid0(VALU_DEP_1) | instskip(SKIP_3) | instid1(VALU_DEP_1)
	v_fmac_f32_e32 v3, v95, v87
	ds_load_b128 v[84:87], v2 offset:240
	s_waitcnt lgkmcnt(1)
	v_fmac_f32_e32 v3, v96, v88
	v_fmac_f32_e32 v3, v97, v89
	s_delay_alu instid0(VALU_DEP_1) | instskip(SKIP_1) | instid1(VALU_DEP_1)
	v_fmac_f32_e32 v3, v98, v90
	s_waitcnt vmcnt(4)
	v_fmac_f32_e32 v3, v99, v91
	ds_load_b128 v[88:91], v2 offset:256
	s_waitcnt lgkmcnt(1)
	v_fmac_f32_e32 v3, v100, v84
	;; [unrolled: 17-line block ×3, first 2 shown]
	s_delay_alu instid0(VALU_DEP_1) | instskip(NEXT) | instid1(VALU_DEP_1)
	v_fmac_f32_e32 v3, v109, v85
	v_fmac_f32_e32 v3, v110, v86
	ds_load_b96 v[84:86], v2 offset:304
	s_waitcnt vmcnt(1)
	v_fmac_f32_e32 v3, v111, v87
	s_waitcnt lgkmcnt(1)
	s_delay_alu instid0(VALU_DEP_1) | instskip(NEXT) | instid1(VALU_DEP_1)
	v_fmac_f32_e32 v3, v112, v88
	v_fmac_f32_e32 v3, v113, v89
	s_delay_alu instid0(VALU_DEP_1) | instskip(SKIP_1) | instid1(VALU_DEP_1)
	v_fmac_f32_e32 v3, v114, v90
	s_waitcnt vmcnt(0)
	v_fmac_f32_e32 v3, v115, v91
	s_waitcnt lgkmcnt(0)
	s_delay_alu instid0(VALU_DEP_1) | instskip(NEXT) | instid1(VALU_DEP_1)
	v_fmac_f32_e32 v3, v116, v84
	v_fmac_f32_e32 v3, v117, v85
	s_delay_alu instid0(VALU_DEP_1) | instskip(NEXT) | instid1(VALU_DEP_1)
	v_fmac_f32_e32 v3, v118, v86
	v_sub_f32_e32 v3, v83, v3
	scratch_store_b32 off, v3, off offset:12
	v_cmpx_lt_u32_e32 2, v0
	s_cbranch_execz .LBB38_237
; %bb.236:
	scratch_load_b32 v3, off, off offset:8
	scratch_store_b32 off, v2, off offset:8
	s_waitcnt vmcnt(0)
	ds_store_b32 v1, v3
.LBB38_237:
	s_or_b32 exec_lo, exec_lo, s0
	s_waitcnt lgkmcnt(0)
	s_waitcnt_vscnt null, 0x0
	s_barrier
	buffer_gl0_inv
	s_clause 0x9
	scratch_load_b128 v[83:86], off, off offset:8
	scratch_load_b128 v[87:90], off, off offset:24
	;; [unrolled: 1-line block ×9, first 2 shown]
	scratch_load_b32 v125, off, off offset:152
	ds_load_2addr_b32 v[3:4], v2 offset0:43 offset1:44
	ds_load_2addr_b32 v[119:120], v2 offset0:45 offset1:46
	;; [unrolled: 1-line block ×4, first 2 shown]
	s_mov_b32 s0, exec_lo
	s_waitcnt vmcnt(9) lgkmcnt(3)
	v_fma_f32 v126, v84, v3, 0
	s_delay_alu instid0(VALU_DEP_1)
	v_fmac_f32_e32 v126, v85, v4
	ds_load_2addr_b32 v[3:4], v2 offset0:51 offset1:52
	ds_load_2addr_b32 v[84:85], v2 offset0:53 offset1:54
	s_waitcnt lgkmcnt(4)
	v_fmac_f32_e32 v126, v86, v119
	s_waitcnt vmcnt(8)
	s_delay_alu instid0(VALU_DEP_1) | instskip(SKIP_1) | instid1(VALU_DEP_1)
	v_fmac_f32_e32 v126, v87, v120
	s_waitcnt lgkmcnt(3)
	v_fmac_f32_e32 v126, v88, v121
	s_delay_alu instid0(VALU_DEP_1)
	v_fmac_f32_e32 v126, v89, v122
	ds_load_2addr_b32 v[86:87], v2 offset0:55 offset1:56
	ds_load_2addr_b32 v[88:89], v2 offset0:57 offset1:58
	s_waitcnt lgkmcnt(4)
	v_fmac_f32_e32 v126, v90, v123
	s_waitcnt vmcnt(7)
	s_delay_alu instid0(VALU_DEP_1) | instskip(SKIP_1) | instid1(VALU_DEP_1)
	v_fmac_f32_e32 v126, v91, v124
	s_waitcnt lgkmcnt(3)
	v_fmac_f32_e32 v126, v92, v3
	s_delay_alu instid0(VALU_DEP_1) | instskip(SKIP_4) | instid1(VALU_DEP_1)
	v_fmac_f32_e32 v126, v93, v4
	ds_load_2addr_b32 v[3:4], v2 offset0:59 offset1:60
	s_waitcnt lgkmcnt(3)
	v_fmac_f32_e32 v126, v94, v84
	s_waitcnt vmcnt(6)
	v_fmac_f32_e32 v126, v95, v85
	ds_load_2addr_b32 v[84:85], v2 offset0:61 offset1:62
	s_waitcnt lgkmcnt(3)
	v_fmac_f32_e32 v126, v96, v86
	s_delay_alu instid0(VALU_DEP_1) | instskip(SKIP_1) | instid1(VALU_DEP_1)
	v_fmac_f32_e32 v126, v97, v87
	s_waitcnt lgkmcnt(2)
	v_fmac_f32_e32 v126, v98, v88
	s_waitcnt vmcnt(5)
	s_delay_alu instid0(VALU_DEP_1) | instskip(SKIP_4) | instid1(VALU_DEP_1)
	v_fmac_f32_e32 v126, v99, v89
	ds_load_2addr_b32 v[86:87], v2 offset0:63 offset1:64
	ds_load_2addr_b32 v[88:89], v2 offset0:65 offset1:66
	s_waitcnt lgkmcnt(3)
	v_fmac_f32_e32 v126, v100, v3
	v_fmac_f32_e32 v126, v101, v4
	ds_load_2addr_b32 v[3:4], v2 offset0:67 offset1:68
	s_waitcnt lgkmcnt(3)
	v_fmac_f32_e32 v126, v102, v84
	s_waitcnt vmcnt(4)
	s_delay_alu instid0(VALU_DEP_1) | instskip(SKIP_3) | instid1(VALU_DEP_1)
	v_fmac_f32_e32 v126, v103, v85
	ds_load_2addr_b32 v[84:85], v2 offset0:69 offset1:70
	s_waitcnt lgkmcnt(3)
	v_fmac_f32_e32 v126, v104, v86
	v_fmac_f32_e32 v126, v105, v87
	s_waitcnt lgkmcnt(2)
	s_delay_alu instid0(VALU_DEP_1) | instskip(SKIP_1) | instid1(VALU_DEP_1)
	v_fmac_f32_e32 v126, v106, v88
	s_waitcnt vmcnt(3)
	v_fmac_f32_e32 v126, v107, v89
	ds_load_2addr_b32 v[86:87], v2 offset0:71 offset1:72
	ds_load_2addr_b32 v[88:89], v2 offset0:73 offset1:74
	s_waitcnt lgkmcnt(3)
	v_fmac_f32_e32 v126, v108, v3
	s_delay_alu instid0(VALU_DEP_1) | instskip(SKIP_4) | instid1(VALU_DEP_1)
	v_fmac_f32_e32 v126, v109, v4
	ds_load_2addr_b32 v[3:4], v2 offset0:75 offset1:76
	s_waitcnt lgkmcnt(3)
	v_fmac_f32_e32 v126, v110, v84
	s_waitcnt vmcnt(2)
	v_fmac_f32_e32 v126, v111, v85
	ds_load_2addr_b32 v[84:85], v2 offset0:77 offset1:78
	s_waitcnt lgkmcnt(3)
	v_fmac_f32_e32 v126, v112, v86
	s_delay_alu instid0(VALU_DEP_1) | instskip(SKIP_1) | instid1(VALU_DEP_1)
	v_fmac_f32_e32 v126, v113, v87
	s_waitcnt lgkmcnt(2)
	v_fmac_f32_e32 v126, v114, v88
	s_waitcnt vmcnt(1)
	s_delay_alu instid0(VALU_DEP_1) | instskip(SKIP_1) | instid1(VALU_DEP_1)
	v_fmac_f32_e32 v126, v115, v89
	s_waitcnt lgkmcnt(1)
	v_fmac_f32_e32 v126, v116, v3
	s_delay_alu instid0(VALU_DEP_1) | instskip(SKIP_1) | instid1(VALU_DEP_1)
	v_fmac_f32_e32 v126, v117, v4
	s_waitcnt lgkmcnt(0)
	v_fmac_f32_e32 v126, v118, v84
	s_waitcnt vmcnt(0)
	s_delay_alu instid0(VALU_DEP_1) | instskip(NEXT) | instid1(VALU_DEP_1)
	v_fmac_f32_e32 v126, v125, v85
	v_sub_f32_e32 v2, v83, v126
	scratch_store_b32 off, v2, off offset:8
	v_cmpx_lt_u32_e32 1, v0
	s_cbranch_execz .LBB38_239
; %bb.238:
	scratch_load_b32 v2, off, off offset:4
	v_mov_b32_e32 v3, 0
	scratch_store_b32 off, v3, off offset:4
	s_waitcnt vmcnt(0)
	ds_store_b32 v1, v2
.LBB38_239:
	s_or_b32 exec_lo, exec_lo, s0
	s_waitcnt lgkmcnt(0)
	s_waitcnt_vscnt null, 0x0
	s_barrier
	buffer_gl0_inv
	s_clause 0x9
	scratch_load_b128 v[83:86], off, off offset:4
	scratch_load_b128 v[87:90], off, off offset:20
	;; [unrolled: 1-line block ×9, first 2 shown]
	scratch_load_b64 v[127:128], off, off offset:148
	v_mov_b32_e32 v3, 0
	ds_load_2addr_b64 v[119:122], v3 offset0:21 offset1:22
	ds_load_2addr_b64 v[123:126], v3 offset0:23 offset1:24
	s_mov_b32 s0, exec_lo
	s_waitcnt vmcnt(9) lgkmcnt(1)
	v_fma_f32 v2, v84, v119, 0
	s_delay_alu instid0(VALU_DEP_1) | instskip(SKIP_3) | instid1(VALU_DEP_1)
	v_fmac_f32_e32 v2, v85, v120
	ds_load_b32 v4, v3 offset:312
	v_fmac_f32_e32 v2, v86, v121
	s_waitcnt vmcnt(8)
	v_fmac_f32_e32 v2, v87, v122
	ds_load_2addr_b64 v[84:87], v3 offset0:25 offset1:26
	s_waitcnt lgkmcnt(2)
	v_fmac_f32_e32 v2, v88, v123
	s_delay_alu instid0(VALU_DEP_1) | instskip(NEXT) | instid1(VALU_DEP_1)
	v_fmac_f32_e32 v2, v89, v124
	v_fmac_f32_e32 v2, v90, v125
	s_waitcnt vmcnt(7)
	s_delay_alu instid0(VALU_DEP_1) | instskip(SKIP_3) | instid1(VALU_DEP_1)
	v_fmac_f32_e32 v2, v91, v126
	ds_load_2addr_b64 v[88:91], v3 offset0:27 offset1:28
	s_waitcnt lgkmcnt(1)
	v_fmac_f32_e32 v2, v92, v84
	v_fmac_f32_e32 v2, v93, v85
	s_delay_alu instid0(VALU_DEP_1) | instskip(SKIP_1) | instid1(VALU_DEP_1)
	v_fmac_f32_e32 v2, v94, v86
	s_waitcnt vmcnt(6)
	v_fmac_f32_e32 v2, v95, v87
	ds_load_2addr_b64 v[84:87], v3 offset0:29 offset1:30
	s_waitcnt lgkmcnt(1)
	v_fmac_f32_e32 v2, v96, v88
	s_delay_alu instid0(VALU_DEP_1) | instskip(NEXT) | instid1(VALU_DEP_1)
	v_fmac_f32_e32 v2, v97, v89
	v_fmac_f32_e32 v2, v98, v90
	s_waitcnt vmcnt(5)
	s_delay_alu instid0(VALU_DEP_1) | instskip(SKIP_3) | instid1(VALU_DEP_1)
	v_fmac_f32_e32 v2, v99, v91
	ds_load_2addr_b64 v[88:91], v3 offset0:31 offset1:32
	s_waitcnt lgkmcnt(1)
	v_fmac_f32_e32 v2, v100, v84
	v_fmac_f32_e32 v2, v101, v85
	s_delay_alu instid0(VALU_DEP_1) | instskip(SKIP_1) | instid1(VALU_DEP_1)
	;; [unrolled: 17-line block ×3, first 2 shown]
	v_fmac_f32_e32 v2, v110, v86
	s_waitcnt vmcnt(2)
	v_fmac_f32_e32 v2, v111, v87
	ds_load_2addr_b64 v[84:87], v3 offset0:37 offset1:38
	s_waitcnt lgkmcnt(1)
	v_fmac_f32_e32 v2, v112, v88
	s_delay_alu instid0(VALU_DEP_1) | instskip(NEXT) | instid1(VALU_DEP_1)
	v_fmac_f32_e32 v2, v113, v89
	v_fmac_f32_e32 v2, v114, v90
	s_waitcnt vmcnt(1)
	s_delay_alu instid0(VALU_DEP_1) | instskip(SKIP_1) | instid1(VALU_DEP_1)
	v_fmac_f32_e32 v2, v115, v91
	s_waitcnt lgkmcnt(0)
	v_fmac_f32_e32 v2, v116, v84
	s_delay_alu instid0(VALU_DEP_1) | instskip(NEXT) | instid1(VALU_DEP_1)
	v_fmac_f32_e32 v2, v117, v85
	v_fmac_f32_e32 v2, v118, v86
	s_waitcnt vmcnt(0)
	s_delay_alu instid0(VALU_DEP_1) | instskip(NEXT) | instid1(VALU_DEP_1)
	v_fmac_f32_e32 v2, v127, v87
	v_fmac_f32_e32 v2, v128, v4
	s_delay_alu instid0(VALU_DEP_1)
	v_sub_f32_e32 v2, v83, v2
	scratch_store_b32 off, v2, off offset:4
	v_cmpx_ne_u32_e32 0, v0
	s_cbranch_execz .LBB38_241
; %bb.240:
	scratch_load_b32 v0, off, off
	scratch_store_b32 off, v3, off
	s_waitcnt vmcnt(0)
	ds_store_b32 v1, v0
.LBB38_241:
	s_or_b32 exec_lo, exec_lo, s0
	s_waitcnt lgkmcnt(0)
	s_waitcnt_vscnt null, 0x0
	s_barrier
	buffer_gl0_inv
	s_clause 0x9
	scratch_load_b128 v[83:86], off, off
	scratch_load_b128 v[87:90], off, off offset:16
	scratch_load_b128 v[91:94], off, off offset:32
	;; [unrolled: 1-line block ×8, first 2 shown]
	scratch_load_b96 v[0:2], off, off offset:144
	ds_load_2addr_b32 v[119:120], v3 offset0:41 offset1:42
	ds_load_2addr_b32 v[121:122], v3 offset0:43 offset1:44
	;; [unrolled: 1-line block ×4, first 2 shown]
	s_and_b32 vcc_lo, exec_lo, s16
	s_waitcnt vmcnt(9) lgkmcnt(3)
	v_fma_f32 v119, v84, v119, 0
	s_delay_alu instid0(VALU_DEP_1) | instskip(SKIP_4) | instid1(VALU_DEP_1)
	v_fmac_f32_e32 v119, v85, v120
	ds_load_2addr_b32 v[84:85], v3 offset0:49 offset1:50
	s_waitcnt lgkmcnt(3)
	v_fmac_f32_e32 v119, v86, v121
	s_waitcnt vmcnt(8)
	v_fmac_f32_e32 v119, v87, v122
	ds_load_2addr_b32 v[86:87], v3 offset0:51 offset1:52
	s_waitcnt lgkmcnt(3)
	v_fmac_f32_e32 v119, v88, v123
	s_delay_alu instid0(VALU_DEP_1) | instskip(SKIP_1) | instid1(VALU_DEP_1)
	v_fmac_f32_e32 v119, v89, v124
	s_waitcnt lgkmcnt(2)
	v_fmac_f32_e32 v119, v90, v125
	s_waitcnt vmcnt(7)
	s_delay_alu instid0(VALU_DEP_1) | instskip(SKIP_4) | instid1(VALU_DEP_1)
	v_fmac_f32_e32 v119, v91, v126
	ds_load_2addr_b32 v[88:89], v3 offset0:53 offset1:54
	ds_load_2addr_b32 v[90:91], v3 offset0:55 offset1:56
	s_waitcnt lgkmcnt(3)
	v_fmac_f32_e32 v119, v92, v84
	v_fmac_f32_e32 v119, v93, v85
	ds_load_2addr_b32 v[84:85], v3 offset0:57 offset1:58
	s_waitcnt lgkmcnt(3)
	v_fmac_f32_e32 v119, v94, v86
	s_waitcnt vmcnt(6)
	s_delay_alu instid0(VALU_DEP_1) | instskip(SKIP_3) | instid1(VALU_DEP_1)
	v_fmac_f32_e32 v119, v95, v87
	ds_load_2addr_b32 v[86:87], v3 offset0:59 offset1:60
	s_waitcnt lgkmcnt(3)
	v_fmac_f32_e32 v119, v96, v88
	v_fmac_f32_e32 v119, v97, v89
	s_waitcnt lgkmcnt(2)
	s_delay_alu instid0(VALU_DEP_1) | instskip(SKIP_1) | instid1(VALU_DEP_1)
	v_fmac_f32_e32 v119, v98, v90
	s_waitcnt vmcnt(5)
	v_fmac_f32_e32 v119, v99, v91
	ds_load_2addr_b32 v[88:89], v3 offset0:61 offset1:62
	ds_load_2addr_b32 v[90:91], v3 offset0:63 offset1:64
	s_waitcnt lgkmcnt(3)
	v_fmac_f32_e32 v119, v100, v84
	s_delay_alu instid0(VALU_DEP_1) | instskip(SKIP_4) | instid1(VALU_DEP_1)
	v_fmac_f32_e32 v119, v101, v85
	ds_load_2addr_b32 v[84:85], v3 offset0:65 offset1:66
	s_waitcnt lgkmcnt(3)
	v_fmac_f32_e32 v119, v102, v86
	s_waitcnt vmcnt(4)
	v_fmac_f32_e32 v119, v103, v87
	ds_load_2addr_b32 v[86:87], v3 offset0:67 offset1:68
	s_waitcnt lgkmcnt(3)
	v_fmac_f32_e32 v119, v104, v88
	s_delay_alu instid0(VALU_DEP_1) | instskip(SKIP_1) | instid1(VALU_DEP_1)
	v_fmac_f32_e32 v119, v105, v89
	s_waitcnt lgkmcnt(2)
	v_fmac_f32_e32 v119, v106, v90
	s_waitcnt vmcnt(3)
	s_delay_alu instid0(VALU_DEP_1) | instskip(SKIP_4) | instid1(VALU_DEP_1)
	v_fmac_f32_e32 v119, v107, v91
	ds_load_2addr_b32 v[88:89], v3 offset0:69 offset1:70
	ds_load_2addr_b32 v[90:91], v3 offset0:71 offset1:72
	s_waitcnt lgkmcnt(3)
	v_fmac_f32_e32 v119, v108, v84
	v_fmac_f32_e32 v119, v109, v85
	ds_load_2addr_b32 v[84:85], v3 offset0:73 offset1:74
	s_waitcnt lgkmcnt(3)
	v_fmac_f32_e32 v119, v110, v86
	s_waitcnt vmcnt(2)
	s_delay_alu instid0(VALU_DEP_1) | instskip(SKIP_4) | instid1(VALU_DEP_1)
	v_fmac_f32_e32 v119, v111, v87
	ds_load_2addr_b32 v[86:87], v3 offset0:75 offset1:76
	ds_load_2addr_b32 v[3:4], v3 offset0:77 offset1:78
	s_waitcnt lgkmcnt(4)
	v_fmac_f32_e32 v119, v112, v88
	v_fmac_f32_e32 v119, v113, v89
	s_waitcnt lgkmcnt(3)
	s_delay_alu instid0(VALU_DEP_1) | instskip(SKIP_1) | instid1(VALU_DEP_1)
	v_fmac_f32_e32 v119, v114, v90
	s_waitcnt vmcnt(1)
	v_fmac_f32_e32 v119, v115, v91
	s_waitcnt lgkmcnt(2)
	s_delay_alu instid0(VALU_DEP_1) | instskip(NEXT) | instid1(VALU_DEP_1)
	v_fmac_f32_e32 v119, v116, v84
	v_fmac_f32_e32 v119, v117, v85
	s_waitcnt lgkmcnt(1)
	s_delay_alu instid0(VALU_DEP_1) | instskip(SKIP_1) | instid1(VALU_DEP_1)
	v_fmac_f32_e32 v119, v118, v86
	s_waitcnt vmcnt(0)
	v_fmac_f32_e32 v119, v0, v87
	s_waitcnt lgkmcnt(0)
	s_delay_alu instid0(VALU_DEP_1) | instskip(NEXT) | instid1(VALU_DEP_1)
	v_fmac_f32_e32 v119, v1, v3
	v_fmac_f32_e32 v119, v2, v4
	s_delay_alu instid0(VALU_DEP_1)
	v_sub_f32_e32 v0, v83, v119
	scratch_store_b32 off, v0, off
	s_cbranch_vccz .LBB38_319
; %bb.242:
	v_dual_mov_b32 v2, s12 :: v_dual_mov_b32 v3, s13
	s_mov_b32 s0, exec_lo
	flat_load_b32 v0, v[2:3] offset:148
	s_waitcnt vmcnt(0) lgkmcnt(0)
	v_cmpx_ne_u32_e32 38, v0
	s_cbranch_execz .LBB38_244
; %bb.243:
	v_lshl_add_u32 v0, v0, 2, 0
	scratch_load_b32 v2, v0, off offset:-4
	s_waitcnt vmcnt(0)
	scratch_store_b32 off, v2, off offset:148
	scratch_store_b32 v0, v1, off offset:-4
.LBB38_244:
	s_or_b32 exec_lo, exec_lo, s0
	v_dual_mov_b32 v0, s12 :: v_dual_mov_b32 v1, s13
	s_mov_b32 s0, exec_lo
	flat_load_b32 v0, v[0:1] offset:144
	s_waitcnt vmcnt(0) lgkmcnt(0)
	v_cmpx_ne_u32_e32 37, v0
	s_cbranch_execz .LBB38_246
; %bb.245:
	v_lshl_add_u32 v0, v0, 2, 0
	scratch_load_b32 v1, v0, off offset:-4
	scratch_load_b32 v2, off, off offset:144
	s_waitcnt vmcnt(1)
	scratch_store_b32 off, v1, off offset:144
	s_waitcnt vmcnt(0)
	scratch_store_b32 v0, v2, off offset:-4
.LBB38_246:
	s_or_b32 exec_lo, exec_lo, s0
	v_dual_mov_b32 v0, s12 :: v_dual_mov_b32 v1, s13
	s_mov_b32 s0, exec_lo
	flat_load_b32 v0, v[0:1] offset:140
	s_waitcnt vmcnt(0) lgkmcnt(0)
	v_cmpx_ne_u32_e32 36, v0
	s_cbranch_execz .LBB38_248
; %bb.247:
	v_lshl_add_u32 v0, v0, 2, 0
	scratch_load_b32 v1, v0, off offset:-4
	scratch_load_b32 v2, off, off offset:140
	s_waitcnt vmcnt(1)
	scratch_store_b32 off, v1, off offset:140
	s_waitcnt vmcnt(0)
	scratch_store_b32 v0, v2, off offset:-4
.LBB38_248:
	;; [unrolled: 16-line block ×36, first 2 shown]
	s_or_b32 exec_lo, exec_lo, s0
	v_dual_mov_b32 v0, s12 :: v_dual_mov_b32 v1, s13
	s_mov_b32 s0, exec_lo
	flat_load_b32 v1, v[0:1]
	scratch_load_b32 v0, off, off
	s_waitcnt vmcnt(1) lgkmcnt(0)
	v_cmpx_ne_u32_e32 1, v1
	s_cbranch_execz .LBB38_318
; %bb.317:
	v_lshl_add_u32 v1, v1, 2, 0
	scratch_load_b32 v2, v1, off offset:-4
	s_waitcnt vmcnt(0)
	scratch_store_b32 off, v2, off
	scratch_store_b32 v1, v0, off offset:-4
	scratch_load_b32 v0, off, off
.LBB38_318:
	s_or_b32 exec_lo, exec_lo, s0
.LBB38_319:
	s_clause 0x9
	scratch_load_b128 v[1:4], off, off offset:4
	scratch_load_b128 v[83:86], off, off offset:20
	;; [unrolled: 1-line block ×9, first 2 shown]
	scratch_load_b64 v[115:116], off, off offset:148
	s_waitcnt vmcnt(10)
	global_store_b32 v[5:6], v0, off
	s_waitcnt vmcnt(9)
	s_clause 0x3
	global_store_b32 v[7:8], v1, off
	global_store_b32 v[9:10], v2, off
	global_store_b32 v[11:12], v3, off
	global_store_b32 v[13:14], v4, off
	s_waitcnt vmcnt(8)
	s_clause 0x3
	global_store_b32 v[15:16], v83, off
	global_store_b32 v[17:18], v84, off
	global_store_b32 v[19:20], v85, off
	;; [unrolled: 6-line block ×9, first 2 shown]
	global_store_b32 v[79:80], v114, off
	s_waitcnt vmcnt(0)
	s_clause 0x1
	global_store_b32 v[81:82], v115, off
	global_store_b32 v[45:46], v116, off
	s_endpgm
	.section	.rodata,"a",@progbits
	.p2align	6, 0x0
	.amdhsa_kernel _ZN9rocsolver6v33100L18getri_kernel_smallILi39EfPfEEvT1_iilPiilS4_bb
		.amdhsa_group_segment_fixed_size 316
		.amdhsa_private_segment_fixed_size 160
		.amdhsa_kernarg_size 60
		.amdhsa_user_sgpr_count 15
		.amdhsa_user_sgpr_dispatch_ptr 0
		.amdhsa_user_sgpr_queue_ptr 0
		.amdhsa_user_sgpr_kernarg_segment_ptr 1
		.amdhsa_user_sgpr_dispatch_id 0
		.amdhsa_user_sgpr_private_segment_size 0
		.amdhsa_wavefront_size32 1
		.amdhsa_uses_dynamic_stack 0
		.amdhsa_enable_private_segment 1
		.amdhsa_system_sgpr_workgroup_id_x 1
		.amdhsa_system_sgpr_workgroup_id_y 0
		.amdhsa_system_sgpr_workgroup_id_z 0
		.amdhsa_system_sgpr_workgroup_info 0
		.amdhsa_system_vgpr_workitem_id 0
		.amdhsa_next_free_vgpr 129
		.amdhsa_next_free_sgpr 18
		.amdhsa_reserve_vcc 1
		.amdhsa_float_round_mode_32 0
		.amdhsa_float_round_mode_16_64 0
		.amdhsa_float_denorm_mode_32 3
		.amdhsa_float_denorm_mode_16_64 3
		.amdhsa_dx10_clamp 1
		.amdhsa_ieee_mode 1
		.amdhsa_fp16_overflow 0
		.amdhsa_workgroup_processor_mode 1
		.amdhsa_memory_ordered 1
		.amdhsa_forward_progress 0
		.amdhsa_shared_vgpr_count 0
		.amdhsa_exception_fp_ieee_invalid_op 0
		.amdhsa_exception_fp_denorm_src 0
		.amdhsa_exception_fp_ieee_div_zero 0
		.amdhsa_exception_fp_ieee_overflow 0
		.amdhsa_exception_fp_ieee_underflow 0
		.amdhsa_exception_fp_ieee_inexact 0
		.amdhsa_exception_int_div_zero 0
	.end_amdhsa_kernel
	.section	.text._ZN9rocsolver6v33100L18getri_kernel_smallILi39EfPfEEvT1_iilPiilS4_bb,"axG",@progbits,_ZN9rocsolver6v33100L18getri_kernel_smallILi39EfPfEEvT1_iilPiilS4_bb,comdat
.Lfunc_end38:
	.size	_ZN9rocsolver6v33100L18getri_kernel_smallILi39EfPfEEvT1_iilPiilS4_bb, .Lfunc_end38-_ZN9rocsolver6v33100L18getri_kernel_smallILi39EfPfEEvT1_iilPiilS4_bb
                                        ; -- End function
	.section	.AMDGPU.csdata,"",@progbits
; Kernel info:
; codeLenInByte = 26132
; NumSgprs: 20
; NumVgprs: 129
; ScratchSize: 160
; MemoryBound: 0
; FloatMode: 240
; IeeeMode: 1
; LDSByteSize: 316 bytes/workgroup (compile time only)
; SGPRBlocks: 2
; VGPRBlocks: 16
; NumSGPRsForWavesPerEU: 20
; NumVGPRsForWavesPerEU: 129
; Occupancy: 10
; WaveLimiterHint : 1
; COMPUTE_PGM_RSRC2:SCRATCH_EN: 1
; COMPUTE_PGM_RSRC2:USER_SGPR: 15
; COMPUTE_PGM_RSRC2:TRAP_HANDLER: 0
; COMPUTE_PGM_RSRC2:TGID_X_EN: 1
; COMPUTE_PGM_RSRC2:TGID_Y_EN: 0
; COMPUTE_PGM_RSRC2:TGID_Z_EN: 0
; COMPUTE_PGM_RSRC2:TIDIG_COMP_CNT: 0
	.section	.text._ZN9rocsolver6v33100L18getri_kernel_smallILi40EfPfEEvT1_iilPiilS4_bb,"axG",@progbits,_ZN9rocsolver6v33100L18getri_kernel_smallILi40EfPfEEvT1_iilPiilS4_bb,comdat
	.globl	_ZN9rocsolver6v33100L18getri_kernel_smallILi40EfPfEEvT1_iilPiilS4_bb ; -- Begin function _ZN9rocsolver6v33100L18getri_kernel_smallILi40EfPfEEvT1_iilPiilS4_bb
	.p2align	8
	.type	_ZN9rocsolver6v33100L18getri_kernel_smallILi40EfPfEEvT1_iilPiilS4_bb,@function
_ZN9rocsolver6v33100L18getri_kernel_smallILi40EfPfEEvT1_iilPiilS4_bb: ; @_ZN9rocsolver6v33100L18getri_kernel_smallILi40EfPfEEvT1_iilPiilS4_bb
; %bb.0:
	s_mov_b32 s2, exec_lo
	v_cmpx_gt_u32_e32 40, v0
	s_cbranch_execz .LBB39_168
; %bb.1:
	s_clause 0x2
	s_load_b32 s17, s[0:1], 0x38
	s_load_b128 s[8:11], s[0:1], 0x10
	s_load_b128 s[4:7], s[0:1], 0x28
	s_mov_b32 s14, s15
                                        ; implicit-def: $sgpr12_sgpr13
	s_waitcnt lgkmcnt(0)
	s_bitcmp1_b32 s17, 8
	s_cselect_b32 s16, -1, 0
	s_bfe_u32 s2, s17, 0x10008
	s_ashr_i32 s15, s15, 31
	s_cmp_eq_u32 s2, 0
	s_cbranch_scc1 .LBB39_3
; %bb.2:
	s_load_b32 s2, s[0:1], 0x20
	s_mul_i32 s3, s14, s5
	s_mul_hi_u32 s5, s14, s4
	s_mul_i32 s12, s15, s4
	s_add_i32 s3, s5, s3
	s_mul_i32 s4, s14, s4
	s_add_i32 s5, s3, s12
	s_delay_alu instid0(SALU_CYCLE_1)
	s_lshl_b64 s[4:5], s[4:5], 2
	s_waitcnt lgkmcnt(0)
	s_ashr_i32 s3, s2, 31
	s_add_u32 s4, s10, s4
	s_addc_u32 s5, s11, s5
	s_lshl_b64 s[2:3], s[2:3], 2
	s_delay_alu instid0(SALU_CYCLE_1)
	s_add_u32 s12, s4, s2
	s_addc_u32 s13, s5, s3
.LBB39_3:
	s_load_b128 s[0:3], s[0:1], 0x0
	s_mul_i32 s4, s14, s9
	s_mul_hi_u32 s5, s14, s8
	s_mul_i32 s9, s15, s8
	s_add_i32 s5, s5, s4
	s_mul_i32 s4, s14, s8
	s_add_i32 s5, s5, s9
	v_lshlrev_b32_e32 v85, 2, v0
	s_lshl_b64 s[4:5], s[4:5], 2
	s_waitcnt lgkmcnt(0)
	v_add3_u32 v2, s3, s3, v0
	s_ashr_i32 s9, s2, 31
	s_mov_b32 s8, s2
	s_add_u32 s2, s0, s4
	s_addc_u32 s4, s1, s5
	v_add_nc_u32_e32 v9, s3, v2
	s_lshl_b64 s[0:1], s[8:9], 2
	v_ashrrev_i32_e32 v3, 31, v2
	s_add_u32 s0, s2, s0
	s_addc_u32 s1, s4, s1
	v_add_nc_u32_e32 v11, s3, v9
	v_add_co_u32 v5, s2, s0, v85
	v_ashrrev_i32_e32 v10, 31, v9
	s_mov_b32 s10, s3
	s_delay_alu instid0(VALU_DEP_3) | instskip(SKIP_3) | instid1(VALU_DEP_3)
	v_add_nc_u32_e32 v13, s3, v11
	s_ashr_i32 s11, s3, 31
	v_add_co_ci_u32_e64 v6, null, s1, 0, s2
	v_lshlrev_b64 v[2:3], 2, v[2:3]
	v_add_nc_u32_e32 v15, s3, v13
	s_lshl_b64 s[4:5], s[10:11], 2
	v_lshlrev_b64 v[38:39], 2, v[9:10]
	v_add_co_u32 v7, vcc_lo, v5, s4
	s_delay_alu instid0(VALU_DEP_3) | instskip(SKIP_3) | instid1(VALU_DEP_4)
	v_add_nc_u32_e32 v17, s3, v15
	v_ashrrev_i32_e32 v12, 31, v11
	v_add_co_ci_u32_e32 v8, vcc_lo, s5, v6, vcc_lo
	v_add_co_u32 v9, vcc_lo, s0, v2
	v_add_nc_u32_e32 v19, s3, v17
	v_ashrrev_i32_e32 v14, 31, v13
	v_add_co_ci_u32_e32 v10, vcc_lo, s1, v3, vcc_lo
	v_lshlrev_b64 v[2:3], 2, v[11:12]
	s_delay_alu instid0(VALU_DEP_4) | instskip(SKIP_2) | instid1(VALU_DEP_3)
	v_add_nc_u32_e32 v21, s3, v19
	v_add_co_u32 v11, vcc_lo, s0, v38
	v_add_co_ci_u32_e32 v12, vcc_lo, s1, v39, vcc_lo
	v_add_nc_u32_e32 v23, s3, v21
	v_lshlrev_b64 v[38:39], 2, v[13:14]
	v_ashrrev_i32_e32 v16, 31, v15
	v_add_co_u32 v13, vcc_lo, s0, v2
	s_delay_alu instid0(VALU_DEP_4) | instskip(SKIP_3) | instid1(VALU_DEP_4)
	v_add_nc_u32_e32 v25, s3, v23
	v_ashrrev_i32_e32 v18, 31, v17
	v_add_co_ci_u32_e32 v14, vcc_lo, s1, v3, vcc_lo
	v_lshlrev_b64 v[2:3], 2, v[15:16]
	v_add_nc_u32_e32 v27, s3, v25
	v_add_co_u32 v15, vcc_lo, s0, v38
	v_add_co_ci_u32_e32 v16, vcc_lo, s1, v39, vcc_lo
	s_delay_alu instid0(VALU_DEP_3) | instskip(SKIP_3) | instid1(VALU_DEP_4)
	v_add_nc_u32_e32 v29, s3, v27
	v_lshlrev_b64 v[38:39], 2, v[17:18]
	v_ashrrev_i32_e32 v20, 31, v19
	v_add_co_u32 v17, vcc_lo, s0, v2
	v_add_nc_u32_e32 v31, s3, v29
	v_ashrrev_i32_e32 v22, 31, v21
	v_add_co_ci_u32_e32 v18, vcc_lo, s1, v3, vcc_lo
	v_lshlrev_b64 v[2:3], 2, v[19:20]
	s_delay_alu instid0(VALU_DEP_4) | instskip(SKIP_3) | instid1(VALU_DEP_4)
	v_add_nc_u32_e32 v33, s3, v31
	v_add_co_u32 v19, vcc_lo, s0, v38
	v_ashrrev_i32_e32 v24, 31, v23
	v_add_co_ci_u32_e32 v20, vcc_lo, s1, v39, vcc_lo
	v_add_nc_u32_e32 v35, s3, v33
	v_lshlrev_b64 v[38:39], 2, v[21:22]
	v_add_co_u32 v21, vcc_lo, s0, v2
	v_lshlrev_b64 v[47:48], 2, v[23:24]
	s_delay_alu instid0(VALU_DEP_4) | instskip(SKIP_3) | instid1(VALU_DEP_4)
	v_add_nc_u32_e32 v37, s3, v35
	v_ashrrev_i32_e32 v26, 31, v25
	v_add_co_ci_u32_e32 v22, vcc_lo, s1, v3, vcc_lo
	v_add_co_u32 v23, vcc_lo, s0, v38
	v_add_nc_u32_e32 v40, s3, v37
	v_ashrrev_i32_e32 v28, 31, v27
	v_add_co_ci_u32_e32 v24, vcc_lo, s1, v39, vcc_lo
	v_lshlrev_b64 v[38:39], 2, v[25:26]
	s_delay_alu instid0(VALU_DEP_4) | instskip(SKIP_2) | instid1(VALU_DEP_3)
	v_add_nc_u32_e32 v42, s3, v40
	v_add_co_u32 v25, vcc_lo, s0, v47
	v_add_co_ci_u32_e32 v26, vcc_lo, s1, v48, vcc_lo
	v_add_nc_u32_e32 v44, s3, v42
	v_lshlrev_b64 v[47:48], 2, v[27:28]
	v_ashrrev_i32_e32 v30, 31, v29
	v_add_co_u32 v27, vcc_lo, s0, v38
	s_delay_alu instid0(VALU_DEP_4) | instskip(SKIP_3) | instid1(VALU_DEP_4)
	v_add_nc_u32_e32 v46, s3, v44
	v_ashrrev_i32_e32 v32, 31, v31
	v_add_co_ci_u32_e32 v28, vcc_lo, s1, v39, vcc_lo
	v_lshlrev_b64 v[38:39], 2, v[29:30]
	v_add_nc_u32_e32 v49, s3, v46
	v_add_co_u32 v29, vcc_lo, s0, v47
	v_ashrrev_i32_e32 v34, 31, v33
	v_add_co_ci_u32_e32 v30, vcc_lo, s1, v48, vcc_lo
	s_delay_alu instid0(VALU_DEP_4) | instskip(SKIP_3) | instid1(VALU_DEP_4)
	v_add_nc_u32_e32 v51, s3, v49
	v_lshlrev_b64 v[47:48], 2, v[31:32]
	v_add_co_u32 v31, vcc_lo, s0, v38
	v_lshlrev_b64 v[54:55], 2, v[33:34]
	v_add_nc_u32_e32 v53, s3, v51
	v_ashrrev_i32_e32 v36, 31, v35
	v_add_co_ci_u32_e32 v32, vcc_lo, s1, v39, vcc_lo
	v_add_co_u32 v33, vcc_lo, s0, v47
	s_delay_alu instid0(VALU_DEP_4) | instskip(SKIP_3) | instid1(VALU_DEP_4)
	v_add_nc_u32_e32 v57, s3, v53
	v_ashrrev_i32_e32 v38, 31, v37
	v_add_co_ci_u32_e32 v34, vcc_lo, s1, v48, vcc_lo
	v_lshlrev_b64 v[47:48], 2, v[35:36]
	v_add_nc_u32_e32 v59, s3, v57
	v_add_co_u32 v35, vcc_lo, s0, v54
	v_add_co_ci_u32_e32 v36, vcc_lo, s1, v55, vcc_lo
	s_delay_alu instid0(VALU_DEP_3) | instskip(SKIP_3) | instid1(VALU_DEP_4)
	v_add_nc_u32_e32 v61, s3, v59
	v_ashrrev_i32_e32 v41, 31, v40
	v_lshlrev_b64 v[54:55], 2, v[37:38]
	v_add_co_u32 v37, vcc_lo, s0, v47
	v_add_nc_u32_e32 v63, s3, v61
	v_ashrrev_i32_e32 v43, 31, v42
	v_add_co_ci_u32_e32 v38, vcc_lo, s1, v48, vcc_lo
	v_lshlrev_b64 v[47:48], 2, v[40:41]
	s_delay_alu instid0(VALU_DEP_4) | instskip(SKIP_3) | instid1(VALU_DEP_4)
	v_add_nc_u32_e32 v65, s3, v63
	v_add_co_u32 v39, vcc_lo, s0, v54
	v_ashrrev_i32_e32 v45, 31, v44
	v_add_co_ci_u32_e32 v40, vcc_lo, s1, v55, vcc_lo
	v_add_nc_u32_e32 v67, s3, v65
	v_lshlrev_b64 v[54:55], 2, v[42:43]
	v_add_co_u32 v41, vcc_lo, s0, v47
	v_lshlrev_b64 v[80:81], 2, v[44:45]
	s_delay_alu instid0(VALU_DEP_4) | instskip(SKIP_3) | instid1(VALU_DEP_4)
	v_add_nc_u32_e32 v69, s3, v67
	v_ashrrev_i32_e32 v47, 31, v46
	v_add_co_ci_u32_e32 v42, vcc_lo, s1, v48, vcc_lo
	v_add_co_u32 v43, vcc_lo, s0, v54
	v_add_nc_u32_e32 v71, s3, v69
	v_add_co_ci_u32_e32 v44, vcc_lo, s1, v55, vcc_lo
	v_lshlrev_b64 v[45:46], 2, v[46:47]
	v_ashrrev_i32_e32 v50, 31, v49
	s_delay_alu instid0(VALU_DEP_4) | instskip(SKIP_3) | instid1(VALU_DEP_4)
	v_add_nc_u32_e32 v73, s3, v71
	v_add_co_u32 v47, vcc_lo, s0, v80
	v_ashrrev_i32_e32 v52, 31, v51
	v_add_co_ci_u32_e32 v48, vcc_lo, s1, v81, vcc_lo
	v_add_nc_u32_e32 v75, s3, v73
	v_lshlrev_b64 v[55:56], 2, v[49:50]
	v_add_co_u32 v49, vcc_lo, s0, v45
	v_add_co_ci_u32_e32 v50, vcc_lo, s1, v46, vcc_lo
	s_delay_alu instid0(VALU_DEP_4) | instskip(SKIP_3) | instid1(VALU_DEP_4)
	v_add_nc_u32_e32 v77, s3, v75
	v_lshlrev_b64 v[45:46], 2, v[51:52]
	v_ashrrev_i32_e32 v54, 31, v53
	v_add_co_u32 v51, vcc_lo, s0, v55
	v_add_nc_u32_e32 v79, s3, v77
	v_ashrrev_i32_e32 v58, 31, v57
	v_add_co_ci_u32_e32 v52, vcc_lo, s1, v56, vcc_lo
	v_lshlrev_b64 v[55:56], 2, v[53:54]
	s_delay_alu instid0(VALU_DEP_4) | instskip(SKIP_3) | instid1(VALU_DEP_4)
	v_add_nc_u32_e32 v82, s3, v79
	v_add_co_u32 v53, vcc_lo, s0, v45
	v_ashrrev_i32_e32 v60, 31, v59
	v_add_co_ci_u32_e32 v54, vcc_lo, s1, v46, vcc_lo
	v_add_nc_u32_e32 v115, s3, v82
	v_lshlrev_b64 v[57:58], 2, v[57:58]
	v_ashrrev_i32_e32 v62, 31, v61
	v_lshlrev_b64 v[59:60], 2, v[59:60]
	v_ashrrev_i32_e32 v64, 31, v63
	v_add_nc_u32_e32 v80, s3, v115
	v_ashrrev_i32_e32 v66, 31, v65
	v_lshlrev_b64 v[61:62], 2, v[61:62]
	v_ashrrev_i32_e32 v68, 31, v67
	v_lshlrev_b64 v[63:64], 2, v[63:64]
	;; [unrolled: 2-line block ×7, first 2 shown]
	v_ashrrev_i32_e32 v78, 31, v77
	v_add_co_u32 v45, vcc_lo, s0, v80
	v_add_co_ci_u32_e32 v46, vcc_lo, s1, v81, vcc_lo
	v_add_co_u32 v55, vcc_lo, s0, v55
	v_add_co_ci_u32_e32 v56, vcc_lo, s1, v56, vcc_lo
	;; [unrolled: 2-line block ×8, first 2 shown]
	v_add_co_u32 v69, vcc_lo, s0, v69
	v_lshlrev_b64 v[73:74], 2, v[73:74]
	v_add_co_ci_u32_e32 v70, vcc_lo, s1, v70, vcc_lo
	v_add_co_u32 v71, vcc_lo, s0, v71
	v_lshlrev_b64 v[75:76], 2, v[75:76]
	v_ashrrev_i32_e32 v80, 31, v79
	v_add_co_ci_u32_e32 v72, vcc_lo, s1, v72, vcc_lo
	v_add_co_u32 v73, vcc_lo, s0, v73
	v_lshlrev_b64 v[77:78], 2, v[77:78]
	v_ashrrev_i32_e32 v83, 31, v82
	;; [unrolled: 4-line block ×3, first 2 shown]
	v_add_co_ci_u32_e32 v76, vcc_lo, s1, v76, vcc_lo
	v_add_co_u32 v77, vcc_lo, s0, v77
	v_lshlrev_b64 v[81:82], 2, v[82:83]
	v_add_co_ci_u32_e32 v78, vcc_lo, s1, v78, vcc_lo
	v_add_co_u32 v79, vcc_lo, s0, v79
	v_lshlrev_b64 v[83:84], 2, v[115:116]
	v_add_co_ci_u32_e32 v80, vcc_lo, s1, v80, vcc_lo
	v_add_co_u32 v81, vcc_lo, s0, v81
	v_add_co_ci_u32_e32 v82, vcc_lo, s1, v82, vcc_lo
	s_delay_alu instid0(VALU_DEP_4)
	v_add_co_u32 v83, vcc_lo, s0, v83
	s_clause 0x1f
	global_load_b32 v1, v85, s[0:1]
	global_load_b32 v2, v[7:8], off
	global_load_b32 v3, v[9:10], off
	;; [unrolled: 1-line block ×32, first 2 shown]
	v_add_co_ci_u32_e32 v84, vcc_lo, s1, v84, vcc_lo
	s_clause 0x6
	global_load_b32 v115, v[73:74], off
	global_load_b32 v116, v[75:76], off
	;; [unrolled: 1-line block ×7, first 2 shown]
	s_mov_b32 s1, -1
	s_bitcmp0_b32 s17, 0
	s_waitcnt vmcnt(36)
	scratch_store_b128 off, v[1:4], off
	s_waitcnt vmcnt(32)
	scratch_store_b128 off, v[86:89], off offset:16
	s_waitcnt vmcnt(28)
	scratch_store_b128 off, v[90:93], off offset:32
	;; [unrolled: 2-line block ×9, first 2 shown]
	s_cbranch_scc1 .LBB39_166
; %bb.4:
	v_cmp_eq_u32_e64 s0, 0, v0
	s_delay_alu instid0(VALU_DEP_1)
	s_and_saveexec_b32 s1, s0
	s_cbranch_execz .LBB39_6
; %bb.5:
	v_mov_b32_e32 v1, 0
	ds_store_b32 v1, v1 offset:320
.LBB39_6:
	s_or_b32 exec_lo, exec_lo, s1
	s_waitcnt lgkmcnt(0)
	s_waitcnt_vscnt null, 0x0
	s_barrier
	buffer_gl0_inv
	scratch_load_b32 v1, v85, off
	s_mov_b32 s2, exec_lo
	s_waitcnt vmcnt(0)
	v_cmpx_eq_f32_e32 0, v1
	s_cbranch_execz .LBB39_10
; %bb.7:
	v_mov_b32_e32 v1, 0
	s_mov_b32 s3, 0
	ds_load_b32 v2, v1 offset:320
	s_waitcnt lgkmcnt(0)
	v_readfirstlane_b32 s1, v2
	v_add_nc_u32_e32 v2, 1, v0
	s_delay_alu instid0(VALU_DEP_2) | instskip(NEXT) | instid1(VALU_DEP_1)
	s_cmp_eq_u32 s1, 0
	v_cmp_gt_i32_e32 vcc_lo, s1, v2
	s_cselect_b32 s4, -1, 0
	s_delay_alu instid0(SALU_CYCLE_1) | instskip(NEXT) | instid1(SALU_CYCLE_1)
	s_or_b32 s4, s4, vcc_lo
	s_and_b32 exec_lo, exec_lo, s4
	s_cbranch_execz .LBB39_10
; %bb.8:
	v_mov_b32_e32 v3, s1
.LBB39_9:                               ; =>This Inner Loop Header: Depth=1
	ds_cmpstore_rtn_b32 v3, v1, v2, v3 offset:320
	s_waitcnt lgkmcnt(0)
	v_cmp_ne_u32_e32 vcc_lo, 0, v3
	v_cmp_le_i32_e64 s1, v3, v2
	s_delay_alu instid0(VALU_DEP_1) | instskip(NEXT) | instid1(SALU_CYCLE_1)
	s_and_b32 s1, vcc_lo, s1
	s_and_b32 s1, exec_lo, s1
	s_delay_alu instid0(SALU_CYCLE_1) | instskip(NEXT) | instid1(SALU_CYCLE_1)
	s_or_b32 s3, s1, s3
	s_and_not1_b32 exec_lo, exec_lo, s3
	s_cbranch_execnz .LBB39_9
.LBB39_10:
	s_or_b32 exec_lo, exec_lo, s2
	v_mov_b32_e32 v1, 0
	s_barrier
	buffer_gl0_inv
	ds_load_b32 v2, v1 offset:320
	s_and_saveexec_b32 s1, s0
	s_cbranch_execz .LBB39_12
; %bb.11:
	s_lshl_b64 s[2:3], s[14:15], 2
	s_delay_alu instid0(SALU_CYCLE_1)
	s_add_u32 s2, s6, s2
	s_addc_u32 s3, s7, s3
	s_waitcnt lgkmcnt(0)
	global_store_b32 v1, v2, s[2:3]
.LBB39_12:
	s_or_b32 exec_lo, exec_lo, s1
	s_waitcnt lgkmcnt(0)
	v_cmp_ne_u32_e32 vcc_lo, 0, v2
	s_mov_b32 s1, 0
	s_cbranch_vccnz .LBB39_166
; %bb.13:
	v_add_nc_u32_e32 v1, 0, v85
	scratch_load_b32 v2, v1, off
	s_waitcnt vmcnt(0)
	v_div_scale_f32 v3, null, v2, v2, 1.0
	v_div_scale_f32 v87, vcc_lo, 1.0, v2, 1.0
	s_delay_alu instid0(VALU_DEP_2) | instskip(SKIP_2) | instid1(VALU_DEP_1)
	v_rcp_f32_e32 v4, v3
	s_waitcnt_depctr 0xfff
	v_fma_f32 v86, -v3, v4, 1.0
	v_fmac_f32_e32 v4, v86, v4
	s_delay_alu instid0(VALU_DEP_1) | instskip(NEXT) | instid1(VALU_DEP_1)
	v_mul_f32_e32 v86, v87, v4
	v_fma_f32 v88, -v3, v86, v87
	s_delay_alu instid0(VALU_DEP_1) | instskip(NEXT) | instid1(VALU_DEP_1)
	v_fmac_f32_e32 v86, v88, v4
	v_fma_f32 v3, -v3, v86, v87
	s_delay_alu instid0(VALU_DEP_1) | instskip(NEXT) | instid1(VALU_DEP_1)
	v_div_fmas_f32 v3, v3, v4, v86
	v_div_fixup_f32 v2, v3, v2, 1.0
	scratch_store_b32 v1, v2, off
	scratch_load_b32 v3, off, off offset:4
	v_xor_b32_e32 v4, 0x80000000, v2
	v_add_nc_u32_e32 v2, 0xa0, v85
	s_waitcnt vmcnt(0)
	ds_store_2addr_b32 v85, v4, v3 offset1:40
	s_waitcnt lgkmcnt(0)
	s_waitcnt_vscnt null, 0x0
	s_barrier
	buffer_gl0_inv
	s_and_saveexec_b32 s1, s0
	s_cbranch_execz .LBB39_15
; %bb.14:
	scratch_load_b32 v3, v1, off
	ds_load_b32 v4, v2
	v_mov_b32_e32 v86, 0
	ds_load_b32 v86, v86 offset:4
	s_waitcnt vmcnt(0) lgkmcnt(1)
	v_fma_f32 v3, v3, v4, 0
	s_waitcnt lgkmcnt(0)
	s_delay_alu instid0(VALU_DEP_1)
	v_mul_f32_e32 v3, v3, v86
	scratch_store_b32 off, v3, off offset:4
.LBB39_15:
	s_or_b32 exec_lo, exec_lo, s1
	s_waitcnt_vscnt null, 0x0
	s_barrier
	buffer_gl0_inv
	scratch_load_b32 v3, off, off offset:8
	s_mov_b32 s1, exec_lo
	s_waitcnt vmcnt(0)
	ds_store_b32 v2, v3
	s_waitcnt lgkmcnt(0)
	s_barrier
	buffer_gl0_inv
	v_cmpx_gt_u32_e32 2, v0
	s_cbranch_execz .LBB39_17
; %bb.16:
	scratch_load_b32 v86, v1, off
	scratch_load_b32 v87, off, off offset:4
	ds_load_b32 v88, v2
	v_mov_b32_e32 v3, 0
	ds_load_2addr_b32 v[3:4], v3 offset0:2 offset1:41
	s_waitcnt vmcnt(1) lgkmcnt(1)
	v_fma_f32 v86, v86, v88, 0
	s_waitcnt vmcnt(0) lgkmcnt(0)
	s_delay_alu instid0(VALU_DEP_1) | instskip(NEXT) | instid1(VALU_DEP_1)
	v_fma_f32 v4, v87, v4, v86
	v_cndmask_b32_e64 v4, v86, v4, s0
	s_delay_alu instid0(VALU_DEP_1)
	v_mul_f32_e32 v3, v4, v3
	scratch_store_b32 off, v3, off offset:8
.LBB39_17:
	s_or_b32 exec_lo, exec_lo, s1
	s_waitcnt_vscnt null, 0x0
	s_barrier
	buffer_gl0_inv
	scratch_load_b32 v4, off, off offset:12
	v_add_nc_u32_e32 v3, -1, v0
	s_mov_b32 s0, exec_lo
	s_waitcnt vmcnt(0)
	ds_store_b32 v2, v4
	s_waitcnt lgkmcnt(0)
	s_barrier
	buffer_gl0_inv
	v_cmpx_gt_u32_e32 3, v0
	s_cbranch_execz .LBB39_21
; %bb.18:
	v_add_nc_u32_e32 v86, -1, v0
	v_dual_mov_b32 v4, 0 :: v_dual_add_nc_u32 v87, 0xa0, v85
	v_add_nc_u32_e32 v88, 0, v85
	s_mov_b32 s1, 0
.LBB39_19:                              ; =>This Inner Loop Header: Depth=1
	scratch_load_b32 v89, v88, off
	ds_load_b32 v90, v87
	v_add_nc_u32_e32 v86, 1, v86
	v_add_nc_u32_e32 v87, 4, v87
	v_add_nc_u32_e32 v88, 4, v88
	s_delay_alu instid0(VALU_DEP_3)
	v_cmp_lt_u32_e32 vcc_lo, 1, v86
	s_or_b32 s1, vcc_lo, s1
	s_waitcnt vmcnt(0) lgkmcnt(0)
	v_fmac_f32_e32 v4, v89, v90
	s_and_not1_b32 exec_lo, exec_lo, s1
	s_cbranch_execnz .LBB39_19
; %bb.20:
	s_or_b32 exec_lo, exec_lo, s1
	v_mov_b32_e32 v86, 0
	ds_load_b32 v86, v86 offset:12
	s_waitcnt lgkmcnt(0)
	v_mul_f32_e32 v4, v4, v86
	scratch_store_b32 off, v4, off offset:12
.LBB39_21:
	s_or_b32 exec_lo, exec_lo, s0
	s_waitcnt_vscnt null, 0x0
	s_barrier
	buffer_gl0_inv
	scratch_load_b32 v4, off, off offset:16
	s_mov_b32 s0, exec_lo
	s_waitcnt vmcnt(0)
	ds_store_b32 v2, v4
	s_waitcnt lgkmcnt(0)
	s_barrier
	buffer_gl0_inv
	v_cmpx_gt_u32_e32 4, v0
	s_cbranch_execz .LBB39_25
; %bb.22:
	v_add_nc_u32_e32 v86, -1, v0
	v_dual_mov_b32 v4, 0 :: v_dual_add_nc_u32 v87, 0xa0, v85
	v_add_nc_u32_e32 v88, 0, v85
	s_mov_b32 s1, 0
.LBB39_23:                              ; =>This Inner Loop Header: Depth=1
	scratch_load_b32 v89, v88, off
	ds_load_b32 v90, v87
	v_add_nc_u32_e32 v86, 1, v86
	v_add_nc_u32_e32 v87, 4, v87
	v_add_nc_u32_e32 v88, 4, v88
	s_delay_alu instid0(VALU_DEP_3)
	v_cmp_lt_u32_e32 vcc_lo, 2, v86
	s_or_b32 s1, vcc_lo, s1
	s_waitcnt vmcnt(0) lgkmcnt(0)
	v_fmac_f32_e32 v4, v89, v90
	s_and_not1_b32 exec_lo, exec_lo, s1
	s_cbranch_execnz .LBB39_23
; %bb.24:
	s_or_b32 exec_lo, exec_lo, s1
	v_mov_b32_e32 v86, 0
	ds_load_b32 v86, v86 offset:16
	s_waitcnt lgkmcnt(0)
	v_mul_f32_e32 v4, v4, v86
	scratch_store_b32 off, v4, off offset:16
.LBB39_25:
	s_or_b32 exec_lo, exec_lo, s0
	s_waitcnt_vscnt null, 0x0
	s_barrier
	buffer_gl0_inv
	scratch_load_b32 v4, off, off offset:20
	;; [unrolled: 39-line block ×21, first 2 shown]
	s_mov_b32 s0, exec_lo
	s_waitcnt vmcnt(0)
	ds_store_b32 v2, v4
	s_waitcnt lgkmcnt(0)
	s_barrier
	buffer_gl0_inv
	v_cmpx_gt_u32_e32 24, v0
	s_cbranch_execz .LBB39_105
; %bb.102:
	v_add_nc_u32_e32 v86, -1, v0
	v_dual_mov_b32 v4, 0 :: v_dual_add_nc_u32 v87, 0xa0, v85
	v_add_nc_u32_e32 v88, 0, v85
	s_mov_b32 s1, 0
.LBB39_103:                             ; =>This Inner Loop Header: Depth=1
	scratch_load_b32 v89, v88, off
	ds_load_b32 v90, v87
	v_add_nc_u32_e32 v86, 1, v86
	v_add_nc_u32_e32 v87, 4, v87
	v_add_nc_u32_e32 v88, 4, v88
	s_delay_alu instid0(VALU_DEP_3)
	v_cmp_lt_u32_e32 vcc_lo, 22, v86
	s_or_b32 s1, vcc_lo, s1
	s_waitcnt vmcnt(0) lgkmcnt(0)
	v_fmac_f32_e32 v4, v89, v90
	s_and_not1_b32 exec_lo, exec_lo, s1
	s_cbranch_execnz .LBB39_103
; %bb.104:
	s_or_b32 exec_lo, exec_lo, s1
	v_mov_b32_e32 v86, 0
	ds_load_b32 v86, v86 offset:96
	s_waitcnt lgkmcnt(0)
	v_mul_f32_e32 v4, v4, v86
	scratch_store_b32 off, v4, off offset:96
.LBB39_105:
	s_or_b32 exec_lo, exec_lo, s0
	s_waitcnt_vscnt null, 0x0
	s_barrier
	buffer_gl0_inv
	scratch_load_b32 v4, off, off offset:100
	s_mov_b32 s0, exec_lo
	s_waitcnt vmcnt(0)
	ds_store_b32 v2, v4
	s_waitcnt lgkmcnt(0)
	s_barrier
	buffer_gl0_inv
	v_cmpx_gt_u32_e32 25, v0
	s_cbranch_execz .LBB39_109
; %bb.106:
	v_add_nc_u32_e32 v86, -1, v0
	v_dual_mov_b32 v4, 0 :: v_dual_add_nc_u32 v87, 0xa0, v85
	v_add_nc_u32_e32 v88, 0, v85
	s_mov_b32 s1, 0
.LBB39_107:                             ; =>This Inner Loop Header: Depth=1
	scratch_load_b32 v89, v88, off
	ds_load_b32 v90, v87
	v_add_nc_u32_e32 v86, 1, v86
	v_add_nc_u32_e32 v87, 4, v87
	v_add_nc_u32_e32 v88, 4, v88
	s_delay_alu instid0(VALU_DEP_3)
	v_cmp_lt_u32_e32 vcc_lo, 23, v86
	s_or_b32 s1, vcc_lo, s1
	s_waitcnt vmcnt(0) lgkmcnt(0)
	v_fmac_f32_e32 v4, v89, v90
	s_and_not1_b32 exec_lo, exec_lo, s1
	s_cbranch_execnz .LBB39_107
; %bb.108:
	s_or_b32 exec_lo, exec_lo, s1
	v_mov_b32_e32 v86, 0
	ds_load_b32 v86, v86 offset:100
	s_waitcnt lgkmcnt(0)
	v_mul_f32_e32 v4, v4, v86
	scratch_store_b32 off, v4, off offset:100
.LBB39_109:
	s_or_b32 exec_lo, exec_lo, s0
	s_waitcnt_vscnt null, 0x0
	s_barrier
	buffer_gl0_inv
	scratch_load_b32 v4, off, off offset:104
	;; [unrolled: 39-line block ×15, first 2 shown]
	s_mov_b32 s0, exec_lo
	s_waitcnt vmcnt(0)
	ds_store_b32 v2, v4
	s_waitcnt lgkmcnt(0)
	s_barrier
	buffer_gl0_inv
	v_cmpx_ne_u32_e32 39, v0
	s_cbranch_execz .LBB39_165
; %bb.162:
	v_mov_b32_e32 v4, 0
	s_mov_b32 s1, 0
.LBB39_163:                             ; =>This Inner Loop Header: Depth=1
	scratch_load_b32 v85, v1, off
	ds_load_b32 v86, v2
	v_add_nc_u32_e32 v3, 1, v3
	v_add_nc_u32_e32 v2, 4, v2
	s_waitcnt vmcnt(0) lgkmcnt(0)
	v_dual_fmac_f32 v4, v85, v86 :: v_dual_add_nc_u32 v1, 4, v1
	s_delay_alu instid0(VALU_DEP_3) | instskip(SKIP_1) | instid1(SALU_CYCLE_1)
	v_cmp_lt_u32_e32 vcc_lo, 37, v3
	s_or_b32 s1, vcc_lo, s1
	s_and_not1_b32 exec_lo, exec_lo, s1
	s_cbranch_execnz .LBB39_163
; %bb.164:
	s_or_b32 exec_lo, exec_lo, s1
	v_mov_b32_e32 v1, 0
	ds_load_b32 v1, v1 offset:156
	s_waitcnt lgkmcnt(0)
	v_mul_f32_e32 v1, v4, v1
	scratch_store_b32 off, v1, off offset:156
.LBB39_165:
	s_or_b32 exec_lo, exec_lo, s0
	s_mov_b32 s1, -1
	s_waitcnt_vscnt null, 0x0
	s_barrier
	buffer_gl0_inv
.LBB39_166:
	s_and_b32 vcc_lo, exec_lo, s1
	s_cbranch_vccz .LBB39_168
; %bb.167:
	s_lshl_b64 s[0:1], s[14:15], 2
	v_mov_b32_e32 v1, 0
	s_add_u32 s0, s6, s0
	s_addc_u32 s1, s7, s1
	global_load_b32 v1, v1, s[0:1]
	s_waitcnt vmcnt(0)
	v_cmp_ne_u32_e32 vcc_lo, 0, v1
	s_cbranch_vccz .LBB39_169
.LBB39_168:
	s_endpgm
.LBB39_169:
	v_lshl_add_u32 v1, v0, 2, 0xa0
	s_mov_b32 s0, exec_lo
	v_cmpx_eq_u32_e32 39, v0
	s_cbranch_execz .LBB39_171
; %bb.170:
	scratch_load_b32 v2, off, off offset:152
	v_mov_b32_e32 v3, 0
	scratch_store_b32 off, v3, off offset:152
	s_waitcnt vmcnt(0)
	ds_store_b32 v1, v2
.LBB39_171:
	s_or_b32 exec_lo, exec_lo, s0
	s_waitcnt lgkmcnt(0)
	s_waitcnt_vscnt null, 0x0
	s_barrier
	buffer_gl0_inv
	scratch_load_b64 v[3:4], off, off offset:152
	v_mov_b32_e32 v2, 0
	s_mov_b32 s0, exec_lo
	ds_load_b32 v85, v2 offset:316
	s_waitcnt vmcnt(0) lgkmcnt(0)
	v_fma_f32 v4, v4, v85, 0
	s_delay_alu instid0(VALU_DEP_1)
	v_sub_f32_e32 v3, v3, v4
	scratch_store_b32 off, v3, off offset:152
	v_cmpx_lt_u32_e32 37, v0
	s_cbranch_execz .LBB39_173
; %bb.172:
	scratch_load_b32 v3, off, off offset:148
	scratch_store_b32 off, v2, off offset:148
	s_waitcnt vmcnt(0)
	ds_store_b32 v1, v3
.LBB39_173:
	s_or_b32 exec_lo, exec_lo, s0
	s_waitcnt lgkmcnt(0)
	s_waitcnt_vscnt null, 0x0
	s_barrier
	buffer_gl0_inv
	scratch_load_b96 v[85:87], off, off offset:148
	ds_load_b64 v[2:3], v2 offset:312
	s_mov_b32 s0, exec_lo
	s_waitcnt vmcnt(0) lgkmcnt(0)
	v_fma_f32 v2, v86, v2, 0
	s_delay_alu instid0(VALU_DEP_1) | instskip(NEXT) | instid1(VALU_DEP_1)
	v_fmac_f32_e32 v2, v87, v3
	v_sub_f32_e32 v2, v85, v2
	scratch_store_b32 off, v2, off offset:148
	v_cmpx_lt_u32_e32 36, v0
	s_cbranch_execz .LBB39_175
; %bb.174:
	scratch_load_b32 v2, off, off offset:144
	v_mov_b32_e32 v3, 0
	scratch_store_b32 off, v3, off offset:144
	s_waitcnt vmcnt(0)
	ds_store_b32 v1, v2
.LBB39_175:
	s_or_b32 exec_lo, exec_lo, s0
	s_waitcnt lgkmcnt(0)
	s_waitcnt_vscnt null, 0x0
	s_barrier
	buffer_gl0_inv
	scratch_load_b128 v[85:88], off, off offset:144
	v_mov_b32_e32 v2, 0
	ds_load_2addr_b32 v[3:4], v2 offset0:77 offset1:78
	ds_load_b32 v89, v2 offset:316
	s_mov_b32 s0, exec_lo
	s_waitcnt vmcnt(0) lgkmcnt(1)
	v_fma_f32 v3, v86, v3, 0
	s_delay_alu instid0(VALU_DEP_1) | instskip(SKIP_1) | instid1(VALU_DEP_1)
	v_fmac_f32_e32 v3, v87, v4
	s_waitcnt lgkmcnt(0)
	v_fmac_f32_e32 v3, v88, v89
	s_delay_alu instid0(VALU_DEP_1)
	v_sub_f32_e32 v3, v85, v3
	scratch_store_b32 off, v3, off offset:144
	v_cmpx_lt_u32_e32 35, v0
	s_cbranch_execz .LBB39_177
; %bb.176:
	scratch_load_b32 v3, off, off offset:140
	scratch_store_b32 off, v2, off offset:140
	s_waitcnt vmcnt(0)
	ds_store_b32 v1, v3
.LBB39_177:
	s_or_b32 exec_lo, exec_lo, s0
	s_waitcnt lgkmcnt(0)
	s_waitcnt_vscnt null, 0x0
	s_barrier
	buffer_gl0_inv
	s_clause 0x1
	scratch_load_b128 v[85:88], off, off offset:140
	scratch_load_b32 v3, off, off offset:156
	ds_load_b128 v[89:92], v2 offset:304
	s_mov_b32 s0, exec_lo
	s_waitcnt vmcnt(1) lgkmcnt(0)
	v_fma_f32 v2, v86, v89, 0
	s_delay_alu instid0(VALU_DEP_1) | instskip(NEXT) | instid1(VALU_DEP_1)
	v_fmac_f32_e32 v2, v87, v90
	v_fmac_f32_e32 v2, v88, v91
	s_waitcnt vmcnt(0)
	s_delay_alu instid0(VALU_DEP_1) | instskip(NEXT) | instid1(VALU_DEP_1)
	v_fmac_f32_e32 v2, v3, v92
	v_sub_f32_e32 v2, v85, v2
	scratch_store_b32 off, v2, off offset:140
	v_cmpx_lt_u32_e32 34, v0
	s_cbranch_execz .LBB39_179
; %bb.178:
	scratch_load_b32 v2, off, off offset:136
	v_mov_b32_e32 v3, 0
	scratch_store_b32 off, v3, off offset:136
	s_waitcnt vmcnt(0)
	ds_store_b32 v1, v2
.LBB39_179:
	s_or_b32 exec_lo, exec_lo, s0
	s_waitcnt lgkmcnt(0)
	s_waitcnt_vscnt null, 0x0
	s_barrier
	buffer_gl0_inv
	s_clause 0x1
	scratch_load_b128 v[85:88], off, off offset:136
	scratch_load_b64 v[3:4], off, off offset:152
	v_mov_b32_e32 v2, 0
	ds_load_2addr_b32 v[89:90], v2 offset0:75 offset1:76
	ds_load_2addr_b32 v[91:92], v2 offset0:77 offset1:78
	ds_load_b32 v93, v2 offset:316
	s_mov_b32 s0, exec_lo
	s_waitcnt vmcnt(1) lgkmcnt(2)
	v_fma_f32 v86, v86, v89, 0
	s_delay_alu instid0(VALU_DEP_1) | instskip(SKIP_1) | instid1(VALU_DEP_1)
	v_fmac_f32_e32 v86, v87, v90
	s_waitcnt lgkmcnt(1)
	v_fmac_f32_e32 v86, v88, v91
	s_waitcnt vmcnt(0)
	s_delay_alu instid0(VALU_DEP_1) | instskip(SKIP_1) | instid1(VALU_DEP_1)
	v_fmac_f32_e32 v86, v3, v92
	s_waitcnt lgkmcnt(0)
	v_fmac_f32_e32 v86, v4, v93
	s_delay_alu instid0(VALU_DEP_1)
	v_sub_f32_e32 v3, v85, v86
	scratch_store_b32 off, v3, off offset:136
	v_cmpx_lt_u32_e32 33, v0
	s_cbranch_execz .LBB39_181
; %bb.180:
	scratch_load_b32 v3, off, off offset:132
	scratch_store_b32 off, v2, off offset:132
	s_waitcnt vmcnt(0)
	ds_store_b32 v1, v3
.LBB39_181:
	s_or_b32 exec_lo, exec_lo, s0
	s_waitcnt lgkmcnt(0)
	s_waitcnt_vscnt null, 0x0
	s_barrier
	buffer_gl0_inv
	s_clause 0x1
	scratch_load_b128 v[85:88], off, off offset:132
	scratch_load_b96 v[93:95], off, off offset:148
	ds_load_2addr_b64 v[89:92], v2 offset0:37 offset1:38
	ds_load_b64 v[2:3], v2 offset:312
	s_mov_b32 s0, exec_lo
	s_waitcnt vmcnt(1) lgkmcnt(1)
	v_fma_f32 v4, v86, v89, 0
	s_delay_alu instid0(VALU_DEP_1) | instskip(NEXT) | instid1(VALU_DEP_1)
	v_fmac_f32_e32 v4, v87, v90
	v_fmac_f32_e32 v4, v88, v91
	s_waitcnt vmcnt(0)
	s_delay_alu instid0(VALU_DEP_1) | instskip(SKIP_1) | instid1(VALU_DEP_1)
	v_fmac_f32_e32 v4, v93, v92
	s_waitcnt lgkmcnt(0)
	v_fmac_f32_e32 v4, v94, v2
	s_delay_alu instid0(VALU_DEP_1) | instskip(NEXT) | instid1(VALU_DEP_1)
	v_fmac_f32_e32 v4, v95, v3
	v_sub_f32_e32 v2, v85, v4
	scratch_store_b32 off, v2, off offset:132
	v_cmpx_lt_u32_e32 32, v0
	s_cbranch_execz .LBB39_183
; %bb.182:
	scratch_load_b32 v2, off, off offset:128
	v_mov_b32_e32 v3, 0
	scratch_store_b32 off, v3, off offset:128
	s_waitcnt vmcnt(0)
	ds_store_b32 v1, v2
.LBB39_183:
	s_or_b32 exec_lo, exec_lo, s0
	s_waitcnt lgkmcnt(0)
	s_waitcnt_vscnt null, 0x0
	s_barrier
	buffer_gl0_inv
	s_clause 0x1
	scratch_load_b128 v[85:88], off, off offset:128
	scratch_load_b128 v[89:92], off, off offset:144
	v_mov_b32_e32 v2, 0
	ds_load_2addr_b32 v[3:4], v2 offset0:73 offset1:74
	ds_load_2addr_b32 v[93:94], v2 offset0:75 offset1:76
	;; [unrolled: 1-line block ×3, first 2 shown]
	ds_load_b32 v97, v2 offset:316
	s_mov_b32 s0, exec_lo
	s_waitcnt vmcnt(1) lgkmcnt(3)
	v_fma_f32 v3, v86, v3, 0
	s_delay_alu instid0(VALU_DEP_1) | instskip(SKIP_1) | instid1(VALU_DEP_1)
	v_fmac_f32_e32 v3, v87, v4
	s_waitcnt lgkmcnt(2)
	v_fmac_f32_e32 v3, v88, v93
	s_waitcnt vmcnt(0)
	s_delay_alu instid0(VALU_DEP_1) | instskip(SKIP_1) | instid1(VALU_DEP_1)
	v_fmac_f32_e32 v3, v89, v94
	s_waitcnt lgkmcnt(1)
	v_fmac_f32_e32 v3, v90, v95
	s_delay_alu instid0(VALU_DEP_1) | instskip(SKIP_1) | instid1(VALU_DEP_1)
	v_fmac_f32_e32 v3, v91, v96
	s_waitcnt lgkmcnt(0)
	v_fmac_f32_e32 v3, v92, v97
	s_delay_alu instid0(VALU_DEP_1)
	v_sub_f32_e32 v3, v85, v3
	scratch_store_b32 off, v3, off offset:128
	v_cmpx_lt_u32_e32 31, v0
	s_cbranch_execz .LBB39_185
; %bb.184:
	scratch_load_b32 v3, off, off offset:124
	scratch_store_b32 off, v2, off offset:124
	s_waitcnt vmcnt(0)
	ds_store_b32 v1, v3
.LBB39_185:
	s_or_b32 exec_lo, exec_lo, s0
	s_waitcnt lgkmcnt(0)
	s_waitcnt_vscnt null, 0x0
	s_barrier
	buffer_gl0_inv
	s_clause 0x2
	scratch_load_b128 v[85:88], off, off offset:124
	scratch_load_b128 v[89:92], off, off offset:140
	scratch_load_b32 v3, off, off offset:156
	ds_load_b128 v[93:96], v2 offset:288
	ds_load_b128 v[97:100], v2 offset:304
	s_mov_b32 s0, exec_lo
	s_waitcnt vmcnt(2) lgkmcnt(1)
	v_fma_f32 v2, v86, v93, 0
	s_delay_alu instid0(VALU_DEP_1) | instskip(NEXT) | instid1(VALU_DEP_1)
	v_fmac_f32_e32 v2, v87, v94
	v_fmac_f32_e32 v2, v88, v95
	s_waitcnt vmcnt(1)
	s_delay_alu instid0(VALU_DEP_1) | instskip(SKIP_1) | instid1(VALU_DEP_1)
	v_fmac_f32_e32 v2, v89, v96
	s_waitcnt lgkmcnt(0)
	v_fmac_f32_e32 v2, v90, v97
	s_delay_alu instid0(VALU_DEP_1) | instskip(NEXT) | instid1(VALU_DEP_1)
	v_fmac_f32_e32 v2, v91, v98
	v_fmac_f32_e32 v2, v92, v99
	s_waitcnt vmcnt(0)
	s_delay_alu instid0(VALU_DEP_1) | instskip(NEXT) | instid1(VALU_DEP_1)
	v_fmac_f32_e32 v2, v3, v100
	v_sub_f32_e32 v2, v85, v2
	scratch_store_b32 off, v2, off offset:124
	v_cmpx_lt_u32_e32 30, v0
	s_cbranch_execz .LBB39_187
; %bb.186:
	scratch_load_b32 v2, off, off offset:120
	v_mov_b32_e32 v3, 0
	scratch_store_b32 off, v3, off offset:120
	s_waitcnt vmcnt(0)
	ds_store_b32 v1, v2
.LBB39_187:
	s_or_b32 exec_lo, exec_lo, s0
	s_waitcnt lgkmcnt(0)
	s_waitcnt_vscnt null, 0x0
	s_barrier
	buffer_gl0_inv
	s_clause 0x2
	scratch_load_b128 v[85:88], off, off offset:120
	scratch_load_b128 v[89:92], off, off offset:136
	scratch_load_b64 v[3:4], off, off offset:152
	v_mov_b32_e32 v2, 0
	ds_load_2addr_b32 v[93:94], v2 offset0:71 offset1:72
	ds_load_2addr_b32 v[95:96], v2 offset0:73 offset1:74
	;; [unrolled: 1-line block ×4, first 2 shown]
	s_mov_b32 s0, exec_lo
	s_waitcnt vmcnt(2) lgkmcnt(3)
	v_fma_f32 v86, v86, v93, 0
	s_delay_alu instid0(VALU_DEP_1) | instskip(SKIP_4) | instid1(VALU_DEP_1)
	v_fmac_f32_e32 v86, v87, v94
	ds_load_b32 v87, v2 offset:316
	s_waitcnt lgkmcnt(3)
	v_fmac_f32_e32 v86, v88, v95
	s_waitcnt vmcnt(1)
	v_fmac_f32_e32 v86, v89, v96
	s_waitcnt lgkmcnt(2)
	s_delay_alu instid0(VALU_DEP_1) | instskip(NEXT) | instid1(VALU_DEP_1)
	v_fmac_f32_e32 v86, v90, v97
	v_fmac_f32_e32 v86, v91, v98
	s_waitcnt lgkmcnt(1)
	s_delay_alu instid0(VALU_DEP_1) | instskip(SKIP_1) | instid1(VALU_DEP_1)
	v_fmac_f32_e32 v86, v92, v99
	s_waitcnt vmcnt(0)
	v_fmac_f32_e32 v86, v3, v100
	s_waitcnt lgkmcnt(0)
	s_delay_alu instid0(VALU_DEP_1) | instskip(NEXT) | instid1(VALU_DEP_1)
	v_fmac_f32_e32 v86, v4, v87
	v_sub_f32_e32 v3, v85, v86
	scratch_store_b32 off, v3, off offset:120
	v_cmpx_lt_u32_e32 29, v0
	s_cbranch_execz .LBB39_189
; %bb.188:
	scratch_load_b32 v3, off, off offset:116
	scratch_store_b32 off, v2, off offset:116
	s_waitcnt vmcnt(0)
	ds_store_b32 v1, v3
.LBB39_189:
	s_or_b32 exec_lo, exec_lo, s0
	s_waitcnt lgkmcnt(0)
	s_waitcnt_vscnt null, 0x0
	s_barrier
	buffer_gl0_inv
	s_clause 0x2
	scratch_load_b128 v[85:88], off, off offset:116
	scratch_load_b128 v[89:92], off, off offset:132
	scratch_load_b96 v[101:103], off, off offset:148
	ds_load_2addr_b64 v[93:96], v2 offset0:35 offset1:36
	ds_load_2addr_b64 v[97:100], v2 offset0:37 offset1:38
	ds_load_b64 v[2:3], v2 offset:312
	s_mov_b32 s0, exec_lo
	s_waitcnt vmcnt(2) lgkmcnt(2)
	v_fma_f32 v4, v86, v93, 0
	s_delay_alu instid0(VALU_DEP_1) | instskip(NEXT) | instid1(VALU_DEP_1)
	v_fmac_f32_e32 v4, v87, v94
	v_fmac_f32_e32 v4, v88, v95
	s_waitcnt vmcnt(1)
	s_delay_alu instid0(VALU_DEP_1) | instskip(SKIP_1) | instid1(VALU_DEP_1)
	v_fmac_f32_e32 v4, v89, v96
	s_waitcnt lgkmcnt(1)
	v_fmac_f32_e32 v4, v90, v97
	s_delay_alu instid0(VALU_DEP_1) | instskip(NEXT) | instid1(VALU_DEP_1)
	v_fmac_f32_e32 v4, v91, v98
	v_fmac_f32_e32 v4, v92, v99
	s_waitcnt vmcnt(0)
	s_delay_alu instid0(VALU_DEP_1) | instskip(SKIP_1) | instid1(VALU_DEP_1)
	v_fmac_f32_e32 v4, v101, v100
	s_waitcnt lgkmcnt(0)
	v_fmac_f32_e32 v4, v102, v2
	s_delay_alu instid0(VALU_DEP_1) | instskip(NEXT) | instid1(VALU_DEP_1)
	v_fmac_f32_e32 v4, v103, v3
	v_sub_f32_e32 v2, v85, v4
	scratch_store_b32 off, v2, off offset:116
	v_cmpx_lt_u32_e32 28, v0
	s_cbranch_execz .LBB39_191
; %bb.190:
	scratch_load_b32 v2, off, off offset:112
	v_mov_b32_e32 v3, 0
	scratch_store_b32 off, v3, off offset:112
	s_waitcnt vmcnt(0)
	ds_store_b32 v1, v2
.LBB39_191:
	s_or_b32 exec_lo, exec_lo, s0
	s_waitcnt lgkmcnt(0)
	s_waitcnt_vscnt null, 0x0
	s_barrier
	buffer_gl0_inv
	s_clause 0x2
	scratch_load_b128 v[85:88], off, off offset:112
	scratch_load_b128 v[89:92], off, off offset:128
	;; [unrolled: 1-line block ×3, first 2 shown]
	v_mov_b32_e32 v2, 0
	ds_load_2addr_b32 v[3:4], v2 offset0:69 offset1:70
	ds_load_2addr_b32 v[97:98], v2 offset0:71 offset1:72
	;; [unrolled: 1-line block ×4, first 2 shown]
	s_mov_b32 s0, exec_lo
	s_waitcnt vmcnt(2) lgkmcnt(3)
	v_fma_f32 v86, v86, v3, 0
	s_delay_alu instid0(VALU_DEP_1)
	v_fmac_f32_e32 v86, v87, v4
	ds_load_2addr_b32 v[3:4], v2 offset0:77 offset1:78
	ds_load_b32 v87, v2 offset:316
	s_waitcnt lgkmcnt(4)
	v_fmac_f32_e32 v86, v88, v97
	s_waitcnt vmcnt(1)
	s_delay_alu instid0(VALU_DEP_1) | instskip(SKIP_1) | instid1(VALU_DEP_1)
	v_fmac_f32_e32 v86, v89, v98
	s_waitcnt lgkmcnt(3)
	v_fmac_f32_e32 v86, v90, v99
	s_delay_alu instid0(VALU_DEP_1) | instskip(SKIP_1) | instid1(VALU_DEP_1)
	v_fmac_f32_e32 v86, v91, v100
	s_waitcnt lgkmcnt(2)
	v_fmac_f32_e32 v86, v92, v101
	s_waitcnt vmcnt(0)
	s_delay_alu instid0(VALU_DEP_1) | instskip(SKIP_1) | instid1(VALU_DEP_1)
	v_fmac_f32_e32 v86, v93, v102
	s_waitcnt lgkmcnt(1)
	v_fmac_f32_e32 v86, v94, v3
	s_delay_alu instid0(VALU_DEP_1) | instskip(SKIP_1) | instid1(VALU_DEP_1)
	v_fmac_f32_e32 v86, v95, v4
	s_waitcnt lgkmcnt(0)
	v_fmac_f32_e32 v86, v96, v87
	s_delay_alu instid0(VALU_DEP_1)
	v_sub_f32_e32 v3, v85, v86
	scratch_store_b32 off, v3, off offset:112
	v_cmpx_lt_u32_e32 27, v0
	s_cbranch_execz .LBB39_193
; %bb.192:
	scratch_load_b32 v3, off, off offset:108
	scratch_store_b32 off, v2, off offset:108
	s_waitcnt vmcnt(0)
	ds_store_b32 v1, v3
.LBB39_193:
	s_or_b32 exec_lo, exec_lo, s0
	s_waitcnt lgkmcnt(0)
	s_waitcnt_vscnt null, 0x0
	s_barrier
	buffer_gl0_inv
	s_clause 0x3
	scratch_load_b128 v[85:88], off, off offset:108
	scratch_load_b128 v[89:92], off, off offset:124
	;; [unrolled: 1-line block ×3, first 2 shown]
	scratch_load_b32 v3, off, off offset:156
	ds_load_b128 v[97:100], v2 offset:272
	ds_load_b128 v[101:104], v2 offset:288
	s_mov_b32 s0, exec_lo
	s_waitcnt vmcnt(3) lgkmcnt(1)
	v_fma_f32 v4, v86, v97, 0
	s_delay_alu instid0(VALU_DEP_1) | instskip(NEXT) | instid1(VALU_DEP_1)
	v_fmac_f32_e32 v4, v87, v98
	v_fmac_f32_e32 v4, v88, v99
	s_waitcnt vmcnt(2)
	s_delay_alu instid0(VALU_DEP_1) | instskip(SKIP_3) | instid1(VALU_DEP_1)
	v_fmac_f32_e32 v4, v89, v100
	ds_load_b128 v[86:89], v2 offset:304
	s_waitcnt lgkmcnt(1)
	v_fmac_f32_e32 v4, v90, v101
	v_fmac_f32_e32 v4, v91, v102
	s_delay_alu instid0(VALU_DEP_1) | instskip(SKIP_1) | instid1(VALU_DEP_1)
	v_fmac_f32_e32 v4, v92, v103
	s_waitcnt vmcnt(1)
	v_fmac_f32_e32 v4, v93, v104
	s_waitcnt lgkmcnt(0)
	s_delay_alu instid0(VALU_DEP_1) | instskip(NEXT) | instid1(VALU_DEP_1)
	v_fmac_f32_e32 v4, v94, v86
	v_fmac_f32_e32 v4, v95, v87
	s_delay_alu instid0(VALU_DEP_1) | instskip(SKIP_1) | instid1(VALU_DEP_1)
	v_fmac_f32_e32 v4, v96, v88
	s_waitcnt vmcnt(0)
	v_fmac_f32_e32 v4, v3, v89
	s_delay_alu instid0(VALU_DEP_1)
	v_sub_f32_e32 v2, v85, v4
	scratch_store_b32 off, v2, off offset:108
	v_cmpx_lt_u32_e32 26, v0
	s_cbranch_execz .LBB39_195
; %bb.194:
	scratch_load_b32 v2, off, off offset:104
	v_mov_b32_e32 v3, 0
	scratch_store_b32 off, v3, off offset:104
	s_waitcnt vmcnt(0)
	ds_store_b32 v1, v2
.LBB39_195:
	s_or_b32 exec_lo, exec_lo, s0
	s_waitcnt lgkmcnt(0)
	s_waitcnt_vscnt null, 0x0
	s_barrier
	buffer_gl0_inv
	s_clause 0x3
	scratch_load_b128 v[85:88], off, off offset:104
	scratch_load_b128 v[89:92], off, off offset:120
	;; [unrolled: 1-line block ×3, first 2 shown]
	scratch_load_b64 v[3:4], off, off offset:152
	v_mov_b32_e32 v2, 0
	ds_load_2addr_b32 v[97:98], v2 offset0:67 offset1:68
	ds_load_2addr_b32 v[99:100], v2 offset0:69 offset1:70
	;; [unrolled: 1-line block ×4, first 2 shown]
	s_mov_b32 s0, exec_lo
	s_waitcnt vmcnt(3) lgkmcnt(3)
	v_fma_f32 v97, v86, v97, 0
	s_delay_alu instid0(VALU_DEP_1) | instskip(SKIP_4) | instid1(VALU_DEP_1)
	v_fmac_f32_e32 v97, v87, v98
	ds_load_2addr_b32 v[86:87], v2 offset0:75 offset1:76
	s_waitcnt lgkmcnt(3)
	v_fmac_f32_e32 v97, v88, v99
	s_waitcnt vmcnt(2)
	v_fmac_f32_e32 v97, v89, v100
	ds_load_2addr_b32 v[88:89], v2 offset0:77 offset1:78
	s_waitcnt lgkmcnt(3)
	v_fmac_f32_e32 v97, v90, v101
	ds_load_b32 v90, v2 offset:316
	v_fmac_f32_e32 v97, v91, v102
	s_waitcnt lgkmcnt(3)
	s_delay_alu instid0(VALU_DEP_1) | instskip(SKIP_1) | instid1(VALU_DEP_1)
	v_fmac_f32_e32 v97, v92, v103
	s_waitcnt vmcnt(1)
	v_fmac_f32_e32 v97, v93, v104
	s_waitcnt lgkmcnt(2)
	s_delay_alu instid0(VALU_DEP_1) | instskip(NEXT) | instid1(VALU_DEP_1)
	v_fmac_f32_e32 v97, v94, v86
	v_fmac_f32_e32 v97, v95, v87
	s_waitcnt lgkmcnt(1)
	s_delay_alu instid0(VALU_DEP_1) | instskip(SKIP_1) | instid1(VALU_DEP_1)
	v_fmac_f32_e32 v97, v96, v88
	s_waitcnt vmcnt(0)
	v_fmac_f32_e32 v97, v3, v89
	s_waitcnt lgkmcnt(0)
	s_delay_alu instid0(VALU_DEP_1) | instskip(NEXT) | instid1(VALU_DEP_1)
	v_fmac_f32_e32 v97, v4, v90
	v_sub_f32_e32 v3, v85, v97
	scratch_store_b32 off, v3, off offset:104
	v_cmpx_lt_u32_e32 25, v0
	s_cbranch_execz .LBB39_197
; %bb.196:
	scratch_load_b32 v3, off, off offset:100
	scratch_store_b32 off, v2, off offset:100
	s_waitcnt vmcnt(0)
	ds_store_b32 v1, v3
.LBB39_197:
	s_or_b32 exec_lo, exec_lo, s0
	s_waitcnt lgkmcnt(0)
	s_waitcnt_vscnt null, 0x0
	s_barrier
	buffer_gl0_inv
	s_clause 0x3
	scratch_load_b128 v[85:88], off, off offset:100
	scratch_load_b128 v[89:92], off, off offset:116
	;; [unrolled: 1-line block ×3, first 2 shown]
	scratch_load_b96 v[105:107], off, off offset:148
	ds_load_2addr_b64 v[97:100], v2 offset0:33 offset1:34
	ds_load_2addr_b64 v[101:104], v2 offset0:35 offset1:36
	s_mov_b32 s0, exec_lo
	s_waitcnt vmcnt(3) lgkmcnt(1)
	v_fma_f32 v4, v86, v97, 0
	s_delay_alu instid0(VALU_DEP_1) | instskip(NEXT) | instid1(VALU_DEP_1)
	v_fmac_f32_e32 v4, v87, v98
	v_fmac_f32_e32 v4, v88, v99
	s_waitcnt vmcnt(2)
	s_delay_alu instid0(VALU_DEP_1) | instskip(SKIP_4) | instid1(VALU_DEP_1)
	v_fmac_f32_e32 v4, v89, v100
	ds_load_2addr_b64 v[86:89], v2 offset0:37 offset1:38
	ds_load_b64 v[2:3], v2 offset:312
	s_waitcnt lgkmcnt(2)
	v_fmac_f32_e32 v4, v90, v101
	v_fmac_f32_e32 v4, v91, v102
	s_delay_alu instid0(VALU_DEP_1) | instskip(SKIP_1) | instid1(VALU_DEP_1)
	v_fmac_f32_e32 v4, v92, v103
	s_waitcnt vmcnt(1)
	v_fmac_f32_e32 v4, v93, v104
	s_waitcnt lgkmcnt(1)
	s_delay_alu instid0(VALU_DEP_1) | instskip(NEXT) | instid1(VALU_DEP_1)
	v_fmac_f32_e32 v4, v94, v86
	v_fmac_f32_e32 v4, v95, v87
	s_delay_alu instid0(VALU_DEP_1) | instskip(SKIP_1) | instid1(VALU_DEP_1)
	v_fmac_f32_e32 v4, v96, v88
	s_waitcnt vmcnt(0)
	v_fmac_f32_e32 v4, v105, v89
	s_waitcnt lgkmcnt(0)
	s_delay_alu instid0(VALU_DEP_1) | instskip(NEXT) | instid1(VALU_DEP_1)
	v_fmac_f32_e32 v4, v106, v2
	v_fmac_f32_e32 v4, v107, v3
	s_delay_alu instid0(VALU_DEP_1)
	v_sub_f32_e32 v2, v85, v4
	scratch_store_b32 off, v2, off offset:100
	v_cmpx_lt_u32_e32 24, v0
	s_cbranch_execz .LBB39_199
; %bb.198:
	scratch_load_b32 v2, off, off offset:96
	v_mov_b32_e32 v3, 0
	scratch_store_b32 off, v3, off offset:96
	s_waitcnt vmcnt(0)
	ds_store_b32 v1, v2
.LBB39_199:
	s_or_b32 exec_lo, exec_lo, s0
	s_waitcnt lgkmcnt(0)
	s_waitcnt_vscnt null, 0x0
	s_barrier
	buffer_gl0_inv
	s_clause 0x3
	scratch_load_b128 v[85:88], off, off offset:96
	scratch_load_b128 v[89:92], off, off offset:112
	;; [unrolled: 1-line block ×4, first 2 shown]
	v_mov_b32_e32 v2, 0
	ds_load_2addr_b32 v[3:4], v2 offset0:65 offset1:66
	ds_load_2addr_b32 v[101:102], v2 offset0:67 offset1:68
	;; [unrolled: 1-line block ×4, first 2 shown]
	s_mov_b32 s0, exec_lo
	s_waitcnt vmcnt(3) lgkmcnt(3)
	v_fma_f32 v107, v86, v3, 0
	s_delay_alu instid0(VALU_DEP_1)
	v_fmac_f32_e32 v107, v87, v4
	ds_load_2addr_b32 v[3:4], v2 offset0:73 offset1:74
	ds_load_2addr_b32 v[86:87], v2 offset0:75 offset1:76
	s_waitcnt lgkmcnt(4)
	v_fmac_f32_e32 v107, v88, v101
	s_waitcnt vmcnt(2)
	s_delay_alu instid0(VALU_DEP_1) | instskip(SKIP_1) | instid1(VALU_DEP_1)
	v_fmac_f32_e32 v107, v89, v102
	s_waitcnt lgkmcnt(3)
	v_fmac_f32_e32 v107, v90, v103
	ds_load_2addr_b32 v[88:89], v2 offset0:77 offset1:78
	ds_load_b32 v90, v2 offset:316
	v_fmac_f32_e32 v107, v91, v104
	s_waitcnt lgkmcnt(4)
	s_delay_alu instid0(VALU_DEP_1) | instskip(SKIP_1) | instid1(VALU_DEP_1)
	v_fmac_f32_e32 v107, v92, v105
	s_waitcnt vmcnt(1)
	v_fmac_f32_e32 v107, v93, v106
	s_waitcnt lgkmcnt(3)
	s_delay_alu instid0(VALU_DEP_1) | instskip(NEXT) | instid1(VALU_DEP_1)
	v_fmac_f32_e32 v107, v94, v3
	v_fmac_f32_e32 v107, v95, v4
	s_waitcnt lgkmcnt(2)
	s_delay_alu instid0(VALU_DEP_1) | instskip(SKIP_1) | instid1(VALU_DEP_1)
	v_fmac_f32_e32 v107, v96, v86
	s_waitcnt vmcnt(0)
	v_fmac_f32_e32 v107, v97, v87
	s_waitcnt lgkmcnt(1)
	s_delay_alu instid0(VALU_DEP_1) | instskip(NEXT) | instid1(VALU_DEP_1)
	v_fmac_f32_e32 v107, v98, v88
	v_fmac_f32_e32 v107, v99, v89
	s_waitcnt lgkmcnt(0)
	s_delay_alu instid0(VALU_DEP_1) | instskip(NEXT) | instid1(VALU_DEP_1)
	v_fmac_f32_e32 v107, v100, v90
	v_sub_f32_e32 v3, v85, v107
	scratch_store_b32 off, v3, off offset:96
	v_cmpx_lt_u32_e32 23, v0
	s_cbranch_execz .LBB39_201
; %bb.200:
	scratch_load_b32 v3, off, off offset:92
	scratch_store_b32 off, v2, off offset:92
	s_waitcnt vmcnt(0)
	ds_store_b32 v1, v3
.LBB39_201:
	s_or_b32 exec_lo, exec_lo, s0
	s_waitcnt lgkmcnt(0)
	s_waitcnt_vscnt null, 0x0
	s_barrier
	buffer_gl0_inv
	s_clause 0x4
	scratch_load_b128 v[85:88], off, off offset:92
	scratch_load_b128 v[89:92], off, off offset:108
	;; [unrolled: 1-line block ×4, first 2 shown]
	scratch_load_b32 v3, off, off offset:156
	ds_load_b128 v[101:104], v2 offset:256
	ds_load_b128 v[105:108], v2 offset:272
	s_mov_b32 s0, exec_lo
	s_waitcnt vmcnt(4) lgkmcnt(1)
	v_fma_f32 v4, v86, v101, 0
	s_delay_alu instid0(VALU_DEP_1) | instskip(NEXT) | instid1(VALU_DEP_1)
	v_fmac_f32_e32 v4, v87, v102
	v_fmac_f32_e32 v4, v88, v103
	s_waitcnt vmcnt(3)
	s_delay_alu instid0(VALU_DEP_1) | instskip(SKIP_3) | instid1(VALU_DEP_1)
	v_fmac_f32_e32 v4, v89, v104
	ds_load_b128 v[86:89], v2 offset:288
	s_waitcnt lgkmcnt(1)
	v_fmac_f32_e32 v4, v90, v105
	v_fmac_f32_e32 v4, v91, v106
	s_delay_alu instid0(VALU_DEP_1) | instskip(SKIP_1) | instid1(VALU_DEP_1)
	v_fmac_f32_e32 v4, v92, v107
	s_waitcnt vmcnt(2)
	v_fmac_f32_e32 v4, v93, v108
	ds_load_b128 v[90:93], v2 offset:304
	s_waitcnt lgkmcnt(1)
	v_fmac_f32_e32 v4, v94, v86
	s_delay_alu instid0(VALU_DEP_1) | instskip(NEXT) | instid1(VALU_DEP_1)
	v_fmac_f32_e32 v4, v95, v87
	v_fmac_f32_e32 v4, v96, v88
	s_waitcnt vmcnt(1)
	s_delay_alu instid0(VALU_DEP_1) | instskip(SKIP_1) | instid1(VALU_DEP_1)
	v_fmac_f32_e32 v4, v97, v89
	s_waitcnt lgkmcnt(0)
	v_fmac_f32_e32 v4, v98, v90
	s_delay_alu instid0(VALU_DEP_1) | instskip(NEXT) | instid1(VALU_DEP_1)
	v_fmac_f32_e32 v4, v99, v91
	v_fmac_f32_e32 v4, v100, v92
	s_waitcnt vmcnt(0)
	s_delay_alu instid0(VALU_DEP_1) | instskip(NEXT) | instid1(VALU_DEP_1)
	v_fmac_f32_e32 v4, v3, v93
	v_sub_f32_e32 v2, v85, v4
	scratch_store_b32 off, v2, off offset:92
	v_cmpx_lt_u32_e32 22, v0
	s_cbranch_execz .LBB39_203
; %bb.202:
	scratch_load_b32 v2, off, off offset:88
	v_mov_b32_e32 v3, 0
	scratch_store_b32 off, v3, off offset:88
	s_waitcnt vmcnt(0)
	ds_store_b32 v1, v2
.LBB39_203:
	s_or_b32 exec_lo, exec_lo, s0
	s_waitcnt lgkmcnt(0)
	s_waitcnt_vscnt null, 0x0
	s_barrier
	buffer_gl0_inv
	s_clause 0x4
	scratch_load_b128 v[85:88], off, off offset:88
	scratch_load_b128 v[89:92], off, off offset:104
	;; [unrolled: 1-line block ×4, first 2 shown]
	scratch_load_b64 v[3:4], off, off offset:152
	v_mov_b32_e32 v2, 0
	ds_load_2addr_b32 v[101:102], v2 offset0:63 offset1:64
	ds_load_2addr_b32 v[103:104], v2 offset0:65 offset1:66
	;; [unrolled: 1-line block ×4, first 2 shown]
	s_mov_b32 s0, exec_lo
	s_waitcnt vmcnt(4) lgkmcnt(3)
	v_fma_f32 v101, v86, v101, 0
	s_delay_alu instid0(VALU_DEP_1) | instskip(SKIP_4) | instid1(VALU_DEP_1)
	v_fmac_f32_e32 v101, v87, v102
	ds_load_2addr_b32 v[86:87], v2 offset0:71 offset1:72
	s_waitcnt lgkmcnt(3)
	v_fmac_f32_e32 v101, v88, v103
	s_waitcnt vmcnt(3)
	v_fmac_f32_e32 v101, v89, v104
	ds_load_2addr_b32 v[88:89], v2 offset0:73 offset1:74
	s_waitcnt lgkmcnt(3)
	v_fmac_f32_e32 v101, v90, v105
	s_delay_alu instid0(VALU_DEP_1) | instskip(SKIP_1) | instid1(VALU_DEP_1)
	v_fmac_f32_e32 v101, v91, v106
	s_waitcnt lgkmcnt(2)
	v_fmac_f32_e32 v101, v92, v107
	s_waitcnt vmcnt(2)
	s_delay_alu instid0(VALU_DEP_1)
	v_fmac_f32_e32 v101, v93, v108
	ds_load_2addr_b32 v[90:91], v2 offset0:75 offset1:76
	ds_load_2addr_b32 v[92:93], v2 offset0:77 offset1:78
	s_waitcnt lgkmcnt(3)
	v_fmac_f32_e32 v101, v94, v86
	ds_load_b32 v86, v2 offset:316
	v_fmac_f32_e32 v101, v95, v87
	s_waitcnt lgkmcnt(3)
	s_delay_alu instid0(VALU_DEP_1) | instskip(SKIP_1) | instid1(VALU_DEP_1)
	v_fmac_f32_e32 v101, v96, v88
	s_waitcnt vmcnt(1)
	v_fmac_f32_e32 v101, v97, v89
	s_waitcnt lgkmcnt(2)
	s_delay_alu instid0(VALU_DEP_1) | instskip(NEXT) | instid1(VALU_DEP_1)
	v_fmac_f32_e32 v101, v98, v90
	v_fmac_f32_e32 v101, v99, v91
	s_waitcnt lgkmcnt(1)
	s_delay_alu instid0(VALU_DEP_1) | instskip(SKIP_1) | instid1(VALU_DEP_1)
	v_fmac_f32_e32 v101, v100, v92
	s_waitcnt vmcnt(0)
	v_fmac_f32_e32 v101, v3, v93
	s_waitcnt lgkmcnt(0)
	s_delay_alu instid0(VALU_DEP_1) | instskip(NEXT) | instid1(VALU_DEP_1)
	v_fmac_f32_e32 v101, v4, v86
	v_sub_f32_e32 v3, v85, v101
	scratch_store_b32 off, v3, off offset:88
	v_cmpx_lt_u32_e32 21, v0
	s_cbranch_execz .LBB39_205
; %bb.204:
	scratch_load_b32 v3, off, off offset:84
	scratch_store_b32 off, v2, off offset:84
	s_waitcnt vmcnt(0)
	ds_store_b32 v1, v3
.LBB39_205:
	s_or_b32 exec_lo, exec_lo, s0
	s_waitcnt lgkmcnt(0)
	s_waitcnt_vscnt null, 0x0
	s_barrier
	buffer_gl0_inv
	s_clause 0x4
	scratch_load_b128 v[85:88], off, off offset:84
	scratch_load_b128 v[89:92], off, off offset:100
	;; [unrolled: 1-line block ×4, first 2 shown]
	scratch_load_b96 v[109:111], off, off offset:148
	ds_load_2addr_b64 v[101:104], v2 offset0:31 offset1:32
	ds_load_2addr_b64 v[105:108], v2 offset0:33 offset1:34
	s_mov_b32 s0, exec_lo
	s_waitcnt vmcnt(4) lgkmcnt(1)
	v_fma_f32 v4, v86, v101, 0
	s_delay_alu instid0(VALU_DEP_1) | instskip(NEXT) | instid1(VALU_DEP_1)
	v_fmac_f32_e32 v4, v87, v102
	v_fmac_f32_e32 v4, v88, v103
	s_waitcnt vmcnt(3)
	s_delay_alu instid0(VALU_DEP_1) | instskip(SKIP_3) | instid1(VALU_DEP_1)
	v_fmac_f32_e32 v4, v89, v104
	ds_load_2addr_b64 v[86:89], v2 offset0:35 offset1:36
	s_waitcnt lgkmcnt(1)
	v_fmac_f32_e32 v4, v90, v105
	v_fmac_f32_e32 v4, v91, v106
	s_delay_alu instid0(VALU_DEP_1) | instskip(SKIP_1) | instid1(VALU_DEP_1)
	v_fmac_f32_e32 v4, v92, v107
	s_waitcnt vmcnt(2)
	v_fmac_f32_e32 v4, v93, v108
	ds_load_2addr_b64 v[90:93], v2 offset0:37 offset1:38
	ds_load_b64 v[2:3], v2 offset:312
	s_waitcnt lgkmcnt(2)
	v_fmac_f32_e32 v4, v94, v86
	s_delay_alu instid0(VALU_DEP_1) | instskip(NEXT) | instid1(VALU_DEP_1)
	v_fmac_f32_e32 v4, v95, v87
	v_fmac_f32_e32 v4, v96, v88
	s_waitcnt vmcnt(1)
	s_delay_alu instid0(VALU_DEP_1) | instskip(SKIP_1) | instid1(VALU_DEP_1)
	v_fmac_f32_e32 v4, v97, v89
	s_waitcnt lgkmcnt(1)
	v_fmac_f32_e32 v4, v98, v90
	s_delay_alu instid0(VALU_DEP_1) | instskip(NEXT) | instid1(VALU_DEP_1)
	v_fmac_f32_e32 v4, v99, v91
	v_fmac_f32_e32 v4, v100, v92
	s_waitcnt vmcnt(0)
	s_delay_alu instid0(VALU_DEP_1) | instskip(SKIP_1) | instid1(VALU_DEP_1)
	v_fmac_f32_e32 v4, v109, v93
	s_waitcnt lgkmcnt(0)
	v_fmac_f32_e32 v4, v110, v2
	s_delay_alu instid0(VALU_DEP_1) | instskip(NEXT) | instid1(VALU_DEP_1)
	v_fmac_f32_e32 v4, v111, v3
	v_sub_f32_e32 v2, v85, v4
	scratch_store_b32 off, v2, off offset:84
	v_cmpx_lt_u32_e32 20, v0
	s_cbranch_execz .LBB39_207
; %bb.206:
	scratch_load_b32 v2, off, off offset:80
	v_mov_b32_e32 v3, 0
	scratch_store_b32 off, v3, off offset:80
	s_waitcnt vmcnt(0)
	ds_store_b32 v1, v2
.LBB39_207:
	s_or_b32 exec_lo, exec_lo, s0
	s_waitcnt lgkmcnt(0)
	s_waitcnt_vscnt null, 0x0
	s_barrier
	buffer_gl0_inv
	s_clause 0x4
	scratch_load_b128 v[85:88], off, off offset:80
	scratch_load_b128 v[89:92], off, off offset:96
	;; [unrolled: 1-line block ×5, first 2 shown]
	v_mov_b32_e32 v2, 0
	ds_load_2addr_b32 v[3:4], v2 offset0:61 offset1:62
	ds_load_2addr_b32 v[105:106], v2 offset0:63 offset1:64
	;; [unrolled: 1-line block ×4, first 2 shown]
	s_mov_b32 s0, exec_lo
	s_waitcnt vmcnt(4) lgkmcnt(3)
	v_fma_f32 v111, v86, v3, 0
	s_delay_alu instid0(VALU_DEP_1)
	v_fmac_f32_e32 v111, v87, v4
	ds_load_2addr_b32 v[3:4], v2 offset0:69 offset1:70
	ds_load_2addr_b32 v[86:87], v2 offset0:71 offset1:72
	s_waitcnt lgkmcnt(4)
	v_fmac_f32_e32 v111, v88, v105
	s_waitcnt vmcnt(3)
	s_delay_alu instid0(VALU_DEP_1) | instskip(SKIP_1) | instid1(VALU_DEP_1)
	v_fmac_f32_e32 v111, v89, v106
	s_waitcnt lgkmcnt(3)
	v_fmac_f32_e32 v111, v90, v107
	s_delay_alu instid0(VALU_DEP_1)
	v_fmac_f32_e32 v111, v91, v108
	ds_load_2addr_b32 v[88:89], v2 offset0:73 offset1:74
	ds_load_2addr_b32 v[90:91], v2 offset0:75 offset1:76
	s_waitcnt lgkmcnt(4)
	v_fmac_f32_e32 v111, v92, v109
	s_waitcnt vmcnt(2)
	s_delay_alu instid0(VALU_DEP_1) | instskip(SKIP_1) | instid1(VALU_DEP_1)
	v_fmac_f32_e32 v111, v93, v110
	s_waitcnt lgkmcnt(3)
	v_fmac_f32_e32 v111, v94, v3
	s_delay_alu instid0(VALU_DEP_1)
	v_fmac_f32_e32 v111, v95, v4
	ds_load_2addr_b32 v[3:4], v2 offset0:77 offset1:78
	s_waitcnt lgkmcnt(3)
	v_fmac_f32_e32 v111, v96, v86
	ds_load_b32 v86, v2 offset:316
	s_waitcnt vmcnt(1)
	v_fmac_f32_e32 v111, v97, v87
	s_waitcnt lgkmcnt(3)
	s_delay_alu instid0(VALU_DEP_1) | instskip(NEXT) | instid1(VALU_DEP_1)
	v_fmac_f32_e32 v111, v98, v88
	v_fmac_f32_e32 v111, v99, v89
	s_waitcnt lgkmcnt(2)
	s_delay_alu instid0(VALU_DEP_1) | instskip(SKIP_1) | instid1(VALU_DEP_1)
	v_fmac_f32_e32 v111, v100, v90
	s_waitcnt vmcnt(0)
	v_fmac_f32_e32 v111, v101, v91
	s_waitcnt lgkmcnt(1)
	s_delay_alu instid0(VALU_DEP_1) | instskip(NEXT) | instid1(VALU_DEP_1)
	v_fmac_f32_e32 v111, v102, v3
	v_fmac_f32_e32 v111, v103, v4
	s_waitcnt lgkmcnt(0)
	s_delay_alu instid0(VALU_DEP_1) | instskip(NEXT) | instid1(VALU_DEP_1)
	v_fmac_f32_e32 v111, v104, v86
	v_sub_f32_e32 v3, v85, v111
	scratch_store_b32 off, v3, off offset:80
	v_cmpx_lt_u32_e32 19, v0
	s_cbranch_execz .LBB39_209
; %bb.208:
	scratch_load_b32 v3, off, off offset:76
	scratch_store_b32 off, v2, off offset:76
	s_waitcnt vmcnt(0)
	ds_store_b32 v1, v3
.LBB39_209:
	s_or_b32 exec_lo, exec_lo, s0
	s_waitcnt lgkmcnt(0)
	s_waitcnt_vscnt null, 0x0
	s_barrier
	buffer_gl0_inv
	s_clause 0x5
	scratch_load_b128 v[85:88], off, off offset:76
	scratch_load_b128 v[89:92], off, off offset:92
	;; [unrolled: 1-line block ×5, first 2 shown]
	scratch_load_b32 v3, off, off offset:156
	ds_load_b128 v[105:108], v2 offset:240
	ds_load_b128 v[109:112], v2 offset:256
	s_mov_b32 s0, exec_lo
	s_waitcnt vmcnt(5) lgkmcnt(1)
	v_fma_f32 v4, v86, v105, 0
	s_delay_alu instid0(VALU_DEP_1) | instskip(NEXT) | instid1(VALU_DEP_1)
	v_fmac_f32_e32 v4, v87, v106
	v_fmac_f32_e32 v4, v88, v107
	s_waitcnt vmcnt(4)
	s_delay_alu instid0(VALU_DEP_1) | instskip(SKIP_3) | instid1(VALU_DEP_1)
	v_fmac_f32_e32 v4, v89, v108
	ds_load_b128 v[86:89], v2 offset:272
	s_waitcnt lgkmcnt(1)
	v_fmac_f32_e32 v4, v90, v109
	v_fmac_f32_e32 v4, v91, v110
	s_delay_alu instid0(VALU_DEP_1) | instskip(SKIP_1) | instid1(VALU_DEP_1)
	v_fmac_f32_e32 v4, v92, v111
	s_waitcnt vmcnt(3)
	v_fmac_f32_e32 v4, v93, v112
	ds_load_b128 v[90:93], v2 offset:288
	s_waitcnt lgkmcnt(1)
	v_fmac_f32_e32 v4, v94, v86
	s_delay_alu instid0(VALU_DEP_1) | instskip(NEXT) | instid1(VALU_DEP_1)
	v_fmac_f32_e32 v4, v95, v87
	v_fmac_f32_e32 v4, v96, v88
	s_waitcnt vmcnt(2)
	s_delay_alu instid0(VALU_DEP_1) | instskip(SKIP_3) | instid1(VALU_DEP_1)
	v_fmac_f32_e32 v4, v97, v89
	ds_load_b128 v[86:89], v2 offset:304
	s_waitcnt lgkmcnt(1)
	v_fmac_f32_e32 v4, v98, v90
	v_fmac_f32_e32 v4, v99, v91
	s_delay_alu instid0(VALU_DEP_1) | instskip(SKIP_1) | instid1(VALU_DEP_1)
	v_fmac_f32_e32 v4, v100, v92
	s_waitcnt vmcnt(1)
	v_fmac_f32_e32 v4, v101, v93
	s_waitcnt lgkmcnt(0)
	s_delay_alu instid0(VALU_DEP_1) | instskip(NEXT) | instid1(VALU_DEP_1)
	v_fmac_f32_e32 v4, v102, v86
	v_fmac_f32_e32 v4, v103, v87
	s_delay_alu instid0(VALU_DEP_1) | instskip(SKIP_1) | instid1(VALU_DEP_1)
	v_fmac_f32_e32 v4, v104, v88
	s_waitcnt vmcnt(0)
	v_fmac_f32_e32 v4, v3, v89
	s_delay_alu instid0(VALU_DEP_1)
	v_sub_f32_e32 v2, v85, v4
	scratch_store_b32 off, v2, off offset:76
	v_cmpx_lt_u32_e32 18, v0
	s_cbranch_execz .LBB39_211
; %bb.210:
	scratch_load_b32 v2, off, off offset:72
	v_mov_b32_e32 v3, 0
	scratch_store_b32 off, v3, off offset:72
	s_waitcnt vmcnt(0)
	ds_store_b32 v1, v2
.LBB39_211:
	s_or_b32 exec_lo, exec_lo, s0
	s_waitcnt lgkmcnt(0)
	s_waitcnt_vscnt null, 0x0
	s_barrier
	buffer_gl0_inv
	s_clause 0x5
	scratch_load_b128 v[85:88], off, off offset:72
	scratch_load_b128 v[89:92], off, off offset:88
	;; [unrolled: 1-line block ×5, first 2 shown]
	scratch_load_b64 v[3:4], off, off offset:152
	v_mov_b32_e32 v2, 0
	ds_load_2addr_b32 v[105:106], v2 offset0:59 offset1:60
	ds_load_2addr_b32 v[107:108], v2 offset0:61 offset1:62
	ds_load_2addr_b32 v[109:110], v2 offset0:63 offset1:64
	ds_load_2addr_b32 v[111:112], v2 offset0:65 offset1:66
	s_mov_b32 s0, exec_lo
	s_waitcnt vmcnt(5) lgkmcnt(3)
	v_fma_f32 v105, v86, v105, 0
	s_delay_alu instid0(VALU_DEP_1) | instskip(SKIP_4) | instid1(VALU_DEP_1)
	v_fmac_f32_e32 v105, v87, v106
	ds_load_2addr_b32 v[86:87], v2 offset0:67 offset1:68
	s_waitcnt lgkmcnt(3)
	v_fmac_f32_e32 v105, v88, v107
	s_waitcnt vmcnt(4)
	v_fmac_f32_e32 v105, v89, v108
	ds_load_2addr_b32 v[88:89], v2 offset0:69 offset1:70
	s_waitcnt lgkmcnt(3)
	v_fmac_f32_e32 v105, v90, v109
	s_delay_alu instid0(VALU_DEP_1) | instskip(SKIP_1) | instid1(VALU_DEP_1)
	v_fmac_f32_e32 v105, v91, v110
	s_waitcnt lgkmcnt(2)
	v_fmac_f32_e32 v105, v92, v111
	s_waitcnt vmcnt(3)
	s_delay_alu instid0(VALU_DEP_1) | instskip(SKIP_4) | instid1(VALU_DEP_1)
	v_fmac_f32_e32 v105, v93, v112
	ds_load_2addr_b32 v[90:91], v2 offset0:71 offset1:72
	ds_load_2addr_b32 v[92:93], v2 offset0:73 offset1:74
	s_waitcnt lgkmcnt(3)
	v_fmac_f32_e32 v105, v94, v86
	v_fmac_f32_e32 v105, v95, v87
	ds_load_2addr_b32 v[86:87], v2 offset0:75 offset1:76
	s_waitcnt lgkmcnt(3)
	v_fmac_f32_e32 v105, v96, v88
	s_waitcnt vmcnt(2)
	s_delay_alu instid0(VALU_DEP_1)
	v_fmac_f32_e32 v105, v97, v89
	ds_load_2addr_b32 v[88:89], v2 offset0:77 offset1:78
	s_waitcnt lgkmcnt(3)
	v_fmac_f32_e32 v105, v98, v90
	ds_load_b32 v90, v2 offset:316
	v_fmac_f32_e32 v105, v99, v91
	s_waitcnt lgkmcnt(3)
	s_delay_alu instid0(VALU_DEP_1) | instskip(SKIP_1) | instid1(VALU_DEP_1)
	v_fmac_f32_e32 v105, v100, v92
	s_waitcnt vmcnt(1)
	v_fmac_f32_e32 v105, v101, v93
	s_waitcnt lgkmcnt(2)
	s_delay_alu instid0(VALU_DEP_1) | instskip(NEXT) | instid1(VALU_DEP_1)
	v_fmac_f32_e32 v105, v102, v86
	v_fmac_f32_e32 v105, v103, v87
	s_waitcnt lgkmcnt(1)
	s_delay_alu instid0(VALU_DEP_1) | instskip(SKIP_1) | instid1(VALU_DEP_1)
	v_fmac_f32_e32 v105, v104, v88
	s_waitcnt vmcnt(0)
	v_fmac_f32_e32 v105, v3, v89
	s_waitcnt lgkmcnt(0)
	s_delay_alu instid0(VALU_DEP_1) | instskip(NEXT) | instid1(VALU_DEP_1)
	v_fmac_f32_e32 v105, v4, v90
	v_sub_f32_e32 v3, v85, v105
	scratch_store_b32 off, v3, off offset:72
	v_cmpx_lt_u32_e32 17, v0
	s_cbranch_execz .LBB39_213
; %bb.212:
	scratch_load_b32 v3, off, off offset:68
	scratch_store_b32 off, v2, off offset:68
	s_waitcnt vmcnt(0)
	ds_store_b32 v1, v3
.LBB39_213:
	s_or_b32 exec_lo, exec_lo, s0
	s_waitcnt lgkmcnt(0)
	s_waitcnt_vscnt null, 0x0
	s_barrier
	buffer_gl0_inv
	s_clause 0x5
	scratch_load_b128 v[85:88], off, off offset:68
	scratch_load_b128 v[89:92], off, off offset:84
	;; [unrolled: 1-line block ×5, first 2 shown]
	scratch_load_b96 v[113:115], off, off offset:148
	ds_load_2addr_b64 v[105:108], v2 offset0:29 offset1:30
	ds_load_2addr_b64 v[109:112], v2 offset0:31 offset1:32
	s_mov_b32 s0, exec_lo
	s_waitcnt vmcnt(5) lgkmcnt(1)
	v_fma_f32 v4, v86, v105, 0
	s_delay_alu instid0(VALU_DEP_1) | instskip(NEXT) | instid1(VALU_DEP_1)
	v_fmac_f32_e32 v4, v87, v106
	v_fmac_f32_e32 v4, v88, v107
	s_waitcnt vmcnt(4)
	s_delay_alu instid0(VALU_DEP_1) | instskip(SKIP_3) | instid1(VALU_DEP_1)
	v_fmac_f32_e32 v4, v89, v108
	ds_load_2addr_b64 v[86:89], v2 offset0:33 offset1:34
	s_waitcnt lgkmcnt(1)
	v_fmac_f32_e32 v4, v90, v109
	v_fmac_f32_e32 v4, v91, v110
	s_delay_alu instid0(VALU_DEP_1) | instskip(SKIP_1) | instid1(VALU_DEP_1)
	v_fmac_f32_e32 v4, v92, v111
	s_waitcnt vmcnt(3)
	v_fmac_f32_e32 v4, v93, v112
	ds_load_2addr_b64 v[90:93], v2 offset0:35 offset1:36
	s_waitcnt lgkmcnt(1)
	v_fmac_f32_e32 v4, v94, v86
	s_delay_alu instid0(VALU_DEP_1) | instskip(NEXT) | instid1(VALU_DEP_1)
	v_fmac_f32_e32 v4, v95, v87
	v_fmac_f32_e32 v4, v96, v88
	s_waitcnt vmcnt(2)
	s_delay_alu instid0(VALU_DEP_1) | instskip(SKIP_4) | instid1(VALU_DEP_1)
	v_fmac_f32_e32 v4, v97, v89
	ds_load_2addr_b64 v[86:89], v2 offset0:37 offset1:38
	ds_load_b64 v[2:3], v2 offset:312
	s_waitcnt lgkmcnt(2)
	v_fmac_f32_e32 v4, v98, v90
	v_fmac_f32_e32 v4, v99, v91
	s_delay_alu instid0(VALU_DEP_1) | instskip(SKIP_1) | instid1(VALU_DEP_1)
	v_fmac_f32_e32 v4, v100, v92
	s_waitcnt vmcnt(1)
	v_fmac_f32_e32 v4, v101, v93
	s_waitcnt lgkmcnt(1)
	s_delay_alu instid0(VALU_DEP_1) | instskip(NEXT) | instid1(VALU_DEP_1)
	v_fmac_f32_e32 v4, v102, v86
	v_fmac_f32_e32 v4, v103, v87
	s_delay_alu instid0(VALU_DEP_1) | instskip(SKIP_1) | instid1(VALU_DEP_1)
	v_fmac_f32_e32 v4, v104, v88
	s_waitcnt vmcnt(0)
	v_fmac_f32_e32 v4, v113, v89
	s_waitcnt lgkmcnt(0)
	s_delay_alu instid0(VALU_DEP_1) | instskip(NEXT) | instid1(VALU_DEP_1)
	v_fmac_f32_e32 v4, v114, v2
	v_fmac_f32_e32 v4, v115, v3
	s_delay_alu instid0(VALU_DEP_1)
	v_sub_f32_e32 v2, v85, v4
	scratch_store_b32 off, v2, off offset:68
	v_cmpx_lt_u32_e32 16, v0
	s_cbranch_execz .LBB39_215
; %bb.214:
	scratch_load_b32 v2, off, off offset:64
	v_mov_b32_e32 v3, 0
	scratch_store_b32 off, v3, off offset:64
	s_waitcnt vmcnt(0)
	ds_store_b32 v1, v2
.LBB39_215:
	s_or_b32 exec_lo, exec_lo, s0
	s_waitcnt lgkmcnt(0)
	s_waitcnt_vscnt null, 0x0
	s_barrier
	buffer_gl0_inv
	s_clause 0x5
	scratch_load_b128 v[85:88], off, off offset:64
	scratch_load_b128 v[89:92], off, off offset:80
	;; [unrolled: 1-line block ×6, first 2 shown]
	v_mov_b32_e32 v2, 0
	ds_load_2addr_b32 v[3:4], v2 offset0:57 offset1:58
	ds_load_2addr_b32 v[109:110], v2 offset0:59 offset1:60
	;; [unrolled: 1-line block ×4, first 2 shown]
	s_mov_b32 s0, exec_lo
	s_waitcnt vmcnt(5) lgkmcnt(3)
	v_fma_f32 v115, v86, v3, 0
	s_delay_alu instid0(VALU_DEP_1)
	v_fmac_f32_e32 v115, v87, v4
	ds_load_2addr_b32 v[3:4], v2 offset0:65 offset1:66
	ds_load_2addr_b32 v[86:87], v2 offset0:67 offset1:68
	s_waitcnt lgkmcnt(4)
	v_fmac_f32_e32 v115, v88, v109
	s_waitcnt vmcnt(4)
	s_delay_alu instid0(VALU_DEP_1) | instskip(SKIP_1) | instid1(VALU_DEP_1)
	v_fmac_f32_e32 v115, v89, v110
	s_waitcnt lgkmcnt(3)
	v_fmac_f32_e32 v115, v90, v111
	s_delay_alu instid0(VALU_DEP_1)
	v_fmac_f32_e32 v115, v91, v112
	ds_load_2addr_b32 v[88:89], v2 offset0:69 offset1:70
	ds_load_2addr_b32 v[90:91], v2 offset0:71 offset1:72
	s_waitcnt lgkmcnt(4)
	v_fmac_f32_e32 v115, v92, v113
	s_waitcnt vmcnt(3)
	s_delay_alu instid0(VALU_DEP_1) | instskip(SKIP_1) | instid1(VALU_DEP_1)
	v_fmac_f32_e32 v115, v93, v114
	s_waitcnt lgkmcnt(3)
	v_fmac_f32_e32 v115, v94, v3
	s_delay_alu instid0(VALU_DEP_1) | instskip(SKIP_4) | instid1(VALU_DEP_1)
	v_fmac_f32_e32 v115, v95, v4
	ds_load_2addr_b32 v[3:4], v2 offset0:73 offset1:74
	s_waitcnt lgkmcnt(3)
	v_fmac_f32_e32 v115, v96, v86
	s_waitcnt vmcnt(2)
	v_fmac_f32_e32 v115, v97, v87
	ds_load_2addr_b32 v[86:87], v2 offset0:75 offset1:76
	s_waitcnt lgkmcnt(3)
	v_fmac_f32_e32 v115, v98, v88
	s_delay_alu instid0(VALU_DEP_1) | instskip(SKIP_1) | instid1(VALU_DEP_1)
	v_fmac_f32_e32 v115, v99, v89
	s_waitcnt lgkmcnt(2)
	v_fmac_f32_e32 v115, v100, v90
	ds_load_2addr_b32 v[88:89], v2 offset0:77 offset1:78
	ds_load_b32 v90, v2 offset:316
	s_waitcnt vmcnt(1)
	v_fmac_f32_e32 v115, v101, v91
	s_waitcnt lgkmcnt(3)
	s_delay_alu instid0(VALU_DEP_1) | instskip(NEXT) | instid1(VALU_DEP_1)
	v_fmac_f32_e32 v115, v102, v3
	v_fmac_f32_e32 v115, v103, v4
	s_waitcnt lgkmcnt(2)
	s_delay_alu instid0(VALU_DEP_1) | instskip(SKIP_1) | instid1(VALU_DEP_1)
	v_fmac_f32_e32 v115, v104, v86
	s_waitcnt vmcnt(0)
	v_fmac_f32_e32 v115, v105, v87
	s_waitcnt lgkmcnt(1)
	s_delay_alu instid0(VALU_DEP_1) | instskip(NEXT) | instid1(VALU_DEP_1)
	v_fmac_f32_e32 v115, v106, v88
	v_fmac_f32_e32 v115, v107, v89
	s_waitcnt lgkmcnt(0)
	s_delay_alu instid0(VALU_DEP_1) | instskip(NEXT) | instid1(VALU_DEP_1)
	v_fmac_f32_e32 v115, v108, v90
	v_sub_f32_e32 v3, v85, v115
	scratch_store_b32 off, v3, off offset:64
	v_cmpx_lt_u32_e32 15, v0
	s_cbranch_execz .LBB39_217
; %bb.216:
	scratch_load_b32 v3, off, off offset:60
	scratch_store_b32 off, v2, off offset:60
	s_waitcnt vmcnt(0)
	ds_store_b32 v1, v3
.LBB39_217:
	s_or_b32 exec_lo, exec_lo, s0
	s_waitcnt lgkmcnt(0)
	s_waitcnt_vscnt null, 0x0
	s_barrier
	buffer_gl0_inv
	s_clause 0x6
	scratch_load_b128 v[85:88], off, off offset:60
	scratch_load_b128 v[89:92], off, off offset:76
	;; [unrolled: 1-line block ×6, first 2 shown]
	scratch_load_b32 v3, off, off offset:156
	ds_load_b128 v[109:112], v2 offset:224
	ds_load_b128 v[113:116], v2 offset:240
	s_mov_b32 s0, exec_lo
	s_waitcnt vmcnt(6) lgkmcnt(1)
	v_fma_f32 v4, v86, v109, 0
	s_delay_alu instid0(VALU_DEP_1) | instskip(NEXT) | instid1(VALU_DEP_1)
	v_fmac_f32_e32 v4, v87, v110
	v_fmac_f32_e32 v4, v88, v111
	s_waitcnt vmcnt(5)
	s_delay_alu instid0(VALU_DEP_1) | instskip(SKIP_3) | instid1(VALU_DEP_1)
	v_fmac_f32_e32 v4, v89, v112
	ds_load_b128 v[86:89], v2 offset:256
	s_waitcnt lgkmcnt(1)
	v_fmac_f32_e32 v4, v90, v113
	v_fmac_f32_e32 v4, v91, v114
	s_delay_alu instid0(VALU_DEP_1) | instskip(SKIP_1) | instid1(VALU_DEP_1)
	v_fmac_f32_e32 v4, v92, v115
	s_waitcnt vmcnt(4)
	v_fmac_f32_e32 v4, v93, v116
	ds_load_b128 v[90:93], v2 offset:272
	s_waitcnt lgkmcnt(1)
	v_fmac_f32_e32 v4, v94, v86
	s_delay_alu instid0(VALU_DEP_1) | instskip(NEXT) | instid1(VALU_DEP_1)
	v_fmac_f32_e32 v4, v95, v87
	v_fmac_f32_e32 v4, v96, v88
	s_waitcnt vmcnt(3)
	s_delay_alu instid0(VALU_DEP_1) | instskip(SKIP_3) | instid1(VALU_DEP_1)
	v_fmac_f32_e32 v4, v97, v89
	ds_load_b128 v[86:89], v2 offset:288
	s_waitcnt lgkmcnt(1)
	v_fmac_f32_e32 v4, v98, v90
	v_fmac_f32_e32 v4, v99, v91
	s_delay_alu instid0(VALU_DEP_1) | instskip(SKIP_1) | instid1(VALU_DEP_1)
	v_fmac_f32_e32 v4, v100, v92
	s_waitcnt vmcnt(2)
	v_fmac_f32_e32 v4, v101, v93
	ds_load_b128 v[90:93], v2 offset:304
	s_waitcnt lgkmcnt(1)
	v_fmac_f32_e32 v4, v102, v86
	s_delay_alu instid0(VALU_DEP_1) | instskip(NEXT) | instid1(VALU_DEP_1)
	v_fmac_f32_e32 v4, v103, v87
	v_fmac_f32_e32 v4, v104, v88
	s_waitcnt vmcnt(1)
	s_delay_alu instid0(VALU_DEP_1) | instskip(SKIP_1) | instid1(VALU_DEP_1)
	v_fmac_f32_e32 v4, v105, v89
	s_waitcnt lgkmcnt(0)
	v_fmac_f32_e32 v4, v106, v90
	s_delay_alu instid0(VALU_DEP_1) | instskip(NEXT) | instid1(VALU_DEP_1)
	v_fmac_f32_e32 v4, v107, v91
	v_fmac_f32_e32 v4, v108, v92
	s_waitcnt vmcnt(0)
	s_delay_alu instid0(VALU_DEP_1) | instskip(NEXT) | instid1(VALU_DEP_1)
	v_fmac_f32_e32 v4, v3, v93
	v_sub_f32_e32 v2, v85, v4
	scratch_store_b32 off, v2, off offset:60
	v_cmpx_lt_u32_e32 14, v0
	s_cbranch_execz .LBB39_219
; %bb.218:
	scratch_load_b32 v2, off, off offset:56
	v_mov_b32_e32 v3, 0
	scratch_store_b32 off, v3, off offset:56
	s_waitcnt vmcnt(0)
	ds_store_b32 v1, v2
.LBB39_219:
	s_or_b32 exec_lo, exec_lo, s0
	s_waitcnt lgkmcnt(0)
	s_waitcnt_vscnt null, 0x0
	s_barrier
	buffer_gl0_inv
	s_clause 0x6
	scratch_load_b128 v[85:88], off, off offset:56
	scratch_load_b128 v[89:92], off, off offset:72
	scratch_load_b128 v[93:96], off, off offset:88
	scratch_load_b128 v[97:100], off, off offset:104
	scratch_load_b128 v[101:104], off, off offset:120
	scratch_load_b128 v[105:108], off, off offset:136
	scratch_load_b64 v[3:4], off, off offset:152
	v_mov_b32_e32 v2, 0
	ds_load_2addr_b32 v[109:110], v2 offset0:55 offset1:56
	ds_load_2addr_b32 v[111:112], v2 offset0:57 offset1:58
	;; [unrolled: 1-line block ×4, first 2 shown]
	s_mov_b32 s0, exec_lo
	s_waitcnt vmcnt(6) lgkmcnt(3)
	v_fma_f32 v109, v86, v109, 0
	s_delay_alu instid0(VALU_DEP_1) | instskip(SKIP_4) | instid1(VALU_DEP_1)
	v_fmac_f32_e32 v109, v87, v110
	ds_load_2addr_b32 v[86:87], v2 offset0:63 offset1:64
	s_waitcnt lgkmcnt(3)
	v_fmac_f32_e32 v109, v88, v111
	s_waitcnt vmcnt(5)
	v_fmac_f32_e32 v109, v89, v112
	ds_load_2addr_b32 v[88:89], v2 offset0:65 offset1:66
	s_waitcnt lgkmcnt(3)
	v_fmac_f32_e32 v109, v90, v113
	s_delay_alu instid0(VALU_DEP_1) | instskip(SKIP_1) | instid1(VALU_DEP_1)
	v_fmac_f32_e32 v109, v91, v114
	s_waitcnt lgkmcnt(2)
	v_fmac_f32_e32 v109, v92, v115
	s_waitcnt vmcnt(4)
	s_delay_alu instid0(VALU_DEP_1) | instskip(SKIP_4) | instid1(VALU_DEP_1)
	v_fmac_f32_e32 v109, v93, v116
	ds_load_2addr_b32 v[90:91], v2 offset0:67 offset1:68
	ds_load_2addr_b32 v[92:93], v2 offset0:69 offset1:70
	s_waitcnt lgkmcnt(3)
	v_fmac_f32_e32 v109, v94, v86
	v_fmac_f32_e32 v109, v95, v87
	ds_load_2addr_b32 v[86:87], v2 offset0:71 offset1:72
	s_waitcnt lgkmcnt(3)
	v_fmac_f32_e32 v109, v96, v88
	s_waitcnt vmcnt(3)
	s_delay_alu instid0(VALU_DEP_1) | instskip(SKIP_3) | instid1(VALU_DEP_1)
	v_fmac_f32_e32 v109, v97, v89
	ds_load_2addr_b32 v[88:89], v2 offset0:73 offset1:74
	s_waitcnt lgkmcnt(3)
	v_fmac_f32_e32 v109, v98, v90
	v_fmac_f32_e32 v109, v99, v91
	s_waitcnt lgkmcnt(2)
	s_delay_alu instid0(VALU_DEP_1) | instskip(SKIP_1) | instid1(VALU_DEP_1)
	v_fmac_f32_e32 v109, v100, v92
	s_waitcnt vmcnt(2)
	v_fmac_f32_e32 v109, v101, v93
	ds_load_2addr_b32 v[90:91], v2 offset0:75 offset1:76
	ds_load_2addr_b32 v[92:93], v2 offset0:77 offset1:78
	s_waitcnt lgkmcnt(3)
	v_fmac_f32_e32 v109, v102, v86
	ds_load_b32 v86, v2 offset:316
	v_fmac_f32_e32 v109, v103, v87
	s_waitcnt lgkmcnt(3)
	s_delay_alu instid0(VALU_DEP_1) | instskip(SKIP_1) | instid1(VALU_DEP_1)
	v_fmac_f32_e32 v109, v104, v88
	s_waitcnt vmcnt(1)
	v_fmac_f32_e32 v109, v105, v89
	s_waitcnt lgkmcnt(2)
	s_delay_alu instid0(VALU_DEP_1) | instskip(NEXT) | instid1(VALU_DEP_1)
	v_fmac_f32_e32 v109, v106, v90
	v_fmac_f32_e32 v109, v107, v91
	s_waitcnt lgkmcnt(1)
	s_delay_alu instid0(VALU_DEP_1) | instskip(SKIP_1) | instid1(VALU_DEP_1)
	v_fmac_f32_e32 v109, v108, v92
	s_waitcnt vmcnt(0)
	v_fmac_f32_e32 v109, v3, v93
	s_waitcnt lgkmcnt(0)
	s_delay_alu instid0(VALU_DEP_1) | instskip(NEXT) | instid1(VALU_DEP_1)
	v_fmac_f32_e32 v109, v4, v86
	v_sub_f32_e32 v3, v85, v109
	scratch_store_b32 off, v3, off offset:56
	v_cmpx_lt_u32_e32 13, v0
	s_cbranch_execz .LBB39_221
; %bb.220:
	scratch_load_b32 v3, off, off offset:52
	scratch_store_b32 off, v2, off offset:52
	s_waitcnt vmcnt(0)
	ds_store_b32 v1, v3
.LBB39_221:
	s_or_b32 exec_lo, exec_lo, s0
	s_waitcnt lgkmcnt(0)
	s_waitcnt_vscnt null, 0x0
	s_barrier
	buffer_gl0_inv
	s_clause 0x6
	scratch_load_b128 v[85:88], off, off offset:52
	scratch_load_b128 v[89:92], off, off offset:68
	;; [unrolled: 1-line block ×6, first 2 shown]
	scratch_load_b96 v[117:119], off, off offset:148
	ds_load_2addr_b64 v[109:112], v2 offset0:27 offset1:28
	ds_load_2addr_b64 v[113:116], v2 offset0:29 offset1:30
	s_mov_b32 s0, exec_lo
	s_waitcnt vmcnt(6) lgkmcnt(1)
	v_fma_f32 v4, v86, v109, 0
	s_delay_alu instid0(VALU_DEP_1) | instskip(NEXT) | instid1(VALU_DEP_1)
	v_fmac_f32_e32 v4, v87, v110
	v_fmac_f32_e32 v4, v88, v111
	s_waitcnt vmcnt(5)
	s_delay_alu instid0(VALU_DEP_1) | instskip(SKIP_3) | instid1(VALU_DEP_1)
	v_fmac_f32_e32 v4, v89, v112
	ds_load_2addr_b64 v[86:89], v2 offset0:31 offset1:32
	s_waitcnt lgkmcnt(1)
	v_fmac_f32_e32 v4, v90, v113
	v_fmac_f32_e32 v4, v91, v114
	s_delay_alu instid0(VALU_DEP_1) | instskip(SKIP_1) | instid1(VALU_DEP_1)
	v_fmac_f32_e32 v4, v92, v115
	s_waitcnt vmcnt(4)
	v_fmac_f32_e32 v4, v93, v116
	ds_load_2addr_b64 v[90:93], v2 offset0:33 offset1:34
	s_waitcnt lgkmcnt(1)
	v_fmac_f32_e32 v4, v94, v86
	s_delay_alu instid0(VALU_DEP_1) | instskip(NEXT) | instid1(VALU_DEP_1)
	v_fmac_f32_e32 v4, v95, v87
	v_fmac_f32_e32 v4, v96, v88
	s_waitcnt vmcnt(3)
	s_delay_alu instid0(VALU_DEP_1) | instskip(SKIP_3) | instid1(VALU_DEP_1)
	v_fmac_f32_e32 v4, v97, v89
	ds_load_2addr_b64 v[86:89], v2 offset0:35 offset1:36
	s_waitcnt lgkmcnt(1)
	v_fmac_f32_e32 v4, v98, v90
	v_fmac_f32_e32 v4, v99, v91
	s_delay_alu instid0(VALU_DEP_1) | instskip(SKIP_1) | instid1(VALU_DEP_1)
	v_fmac_f32_e32 v4, v100, v92
	s_waitcnt vmcnt(2)
	v_fmac_f32_e32 v4, v101, v93
	ds_load_2addr_b64 v[90:93], v2 offset0:37 offset1:38
	ds_load_b64 v[2:3], v2 offset:312
	s_waitcnt lgkmcnt(2)
	v_fmac_f32_e32 v4, v102, v86
	s_delay_alu instid0(VALU_DEP_1) | instskip(NEXT) | instid1(VALU_DEP_1)
	v_fmac_f32_e32 v4, v103, v87
	v_fmac_f32_e32 v4, v104, v88
	s_waitcnt vmcnt(1)
	s_delay_alu instid0(VALU_DEP_1) | instskip(SKIP_1) | instid1(VALU_DEP_1)
	v_fmac_f32_e32 v4, v105, v89
	s_waitcnt lgkmcnt(1)
	v_fmac_f32_e32 v4, v106, v90
	s_delay_alu instid0(VALU_DEP_1) | instskip(NEXT) | instid1(VALU_DEP_1)
	v_fmac_f32_e32 v4, v107, v91
	v_fmac_f32_e32 v4, v108, v92
	s_waitcnt vmcnt(0)
	s_delay_alu instid0(VALU_DEP_1) | instskip(SKIP_1) | instid1(VALU_DEP_1)
	v_fmac_f32_e32 v4, v117, v93
	s_waitcnt lgkmcnt(0)
	v_fmac_f32_e32 v4, v118, v2
	s_delay_alu instid0(VALU_DEP_1) | instskip(NEXT) | instid1(VALU_DEP_1)
	v_fmac_f32_e32 v4, v119, v3
	v_sub_f32_e32 v2, v85, v4
	scratch_store_b32 off, v2, off offset:52
	v_cmpx_lt_u32_e32 12, v0
	s_cbranch_execz .LBB39_223
; %bb.222:
	scratch_load_b32 v2, off, off offset:48
	v_mov_b32_e32 v3, 0
	scratch_store_b32 off, v3, off offset:48
	s_waitcnt vmcnt(0)
	ds_store_b32 v1, v2
.LBB39_223:
	s_or_b32 exec_lo, exec_lo, s0
	s_waitcnt lgkmcnt(0)
	s_waitcnt_vscnt null, 0x0
	s_barrier
	buffer_gl0_inv
	s_clause 0x6
	scratch_load_b128 v[85:88], off, off offset:48
	scratch_load_b128 v[89:92], off, off offset:64
	;; [unrolled: 1-line block ×7, first 2 shown]
	v_mov_b32_e32 v2, 0
	ds_load_2addr_b32 v[3:4], v2 offset0:53 offset1:54
	ds_load_2addr_b32 v[113:114], v2 offset0:55 offset1:56
	;; [unrolled: 1-line block ×4, first 2 shown]
	s_mov_b32 s0, exec_lo
	s_waitcnt vmcnt(6) lgkmcnt(3)
	v_fma_f32 v119, v86, v3, 0
	s_delay_alu instid0(VALU_DEP_1)
	v_fmac_f32_e32 v119, v87, v4
	ds_load_2addr_b32 v[3:4], v2 offset0:61 offset1:62
	ds_load_2addr_b32 v[86:87], v2 offset0:63 offset1:64
	s_waitcnt lgkmcnt(4)
	v_fmac_f32_e32 v119, v88, v113
	s_waitcnt vmcnt(5)
	s_delay_alu instid0(VALU_DEP_1) | instskip(SKIP_1) | instid1(VALU_DEP_1)
	v_fmac_f32_e32 v119, v89, v114
	s_waitcnt lgkmcnt(3)
	v_fmac_f32_e32 v119, v90, v115
	s_delay_alu instid0(VALU_DEP_1)
	v_fmac_f32_e32 v119, v91, v116
	ds_load_2addr_b32 v[88:89], v2 offset0:65 offset1:66
	ds_load_2addr_b32 v[90:91], v2 offset0:67 offset1:68
	s_waitcnt lgkmcnt(4)
	v_fmac_f32_e32 v119, v92, v117
	s_waitcnt vmcnt(4)
	s_delay_alu instid0(VALU_DEP_1) | instskip(SKIP_1) | instid1(VALU_DEP_1)
	v_fmac_f32_e32 v119, v93, v118
	s_waitcnt lgkmcnt(3)
	v_fmac_f32_e32 v119, v94, v3
	s_delay_alu instid0(VALU_DEP_1) | instskip(SKIP_4) | instid1(VALU_DEP_1)
	v_fmac_f32_e32 v119, v95, v4
	ds_load_2addr_b32 v[3:4], v2 offset0:69 offset1:70
	s_waitcnt lgkmcnt(3)
	v_fmac_f32_e32 v119, v96, v86
	s_waitcnt vmcnt(3)
	v_fmac_f32_e32 v119, v97, v87
	ds_load_2addr_b32 v[86:87], v2 offset0:71 offset1:72
	s_waitcnt lgkmcnt(3)
	v_fmac_f32_e32 v119, v98, v88
	s_delay_alu instid0(VALU_DEP_1) | instskip(SKIP_1) | instid1(VALU_DEP_1)
	v_fmac_f32_e32 v119, v99, v89
	s_waitcnt lgkmcnt(2)
	v_fmac_f32_e32 v119, v100, v90
	s_waitcnt vmcnt(2)
	s_delay_alu instid0(VALU_DEP_1) | instskip(SKIP_4) | instid1(VALU_DEP_1)
	v_fmac_f32_e32 v119, v101, v91
	ds_load_2addr_b32 v[88:89], v2 offset0:73 offset1:74
	ds_load_2addr_b32 v[90:91], v2 offset0:75 offset1:76
	s_waitcnt lgkmcnt(3)
	v_fmac_f32_e32 v119, v102, v3
	v_fmac_f32_e32 v119, v103, v4
	ds_load_2addr_b32 v[3:4], v2 offset0:77 offset1:78
	s_waitcnt lgkmcnt(3)
	v_fmac_f32_e32 v119, v104, v86
	ds_load_b32 v86, v2 offset:316
	s_waitcnt vmcnt(1)
	v_fmac_f32_e32 v119, v105, v87
	s_waitcnt lgkmcnt(3)
	s_delay_alu instid0(VALU_DEP_1) | instskip(NEXT) | instid1(VALU_DEP_1)
	v_fmac_f32_e32 v119, v106, v88
	v_fmac_f32_e32 v119, v107, v89
	s_waitcnt lgkmcnt(2)
	s_delay_alu instid0(VALU_DEP_1) | instskip(SKIP_1) | instid1(VALU_DEP_1)
	v_fmac_f32_e32 v119, v108, v90
	s_waitcnt vmcnt(0)
	v_fmac_f32_e32 v119, v109, v91
	s_waitcnt lgkmcnt(1)
	s_delay_alu instid0(VALU_DEP_1) | instskip(NEXT) | instid1(VALU_DEP_1)
	v_fmac_f32_e32 v119, v110, v3
	v_fmac_f32_e32 v119, v111, v4
	s_waitcnt lgkmcnt(0)
	s_delay_alu instid0(VALU_DEP_1) | instskip(NEXT) | instid1(VALU_DEP_1)
	v_fmac_f32_e32 v119, v112, v86
	v_sub_f32_e32 v3, v85, v119
	scratch_store_b32 off, v3, off offset:48
	v_cmpx_lt_u32_e32 11, v0
	s_cbranch_execz .LBB39_225
; %bb.224:
	scratch_load_b32 v3, off, off offset:44
	scratch_store_b32 off, v2, off offset:44
	s_waitcnt vmcnt(0)
	ds_store_b32 v1, v3
.LBB39_225:
	s_or_b32 exec_lo, exec_lo, s0
	s_waitcnt lgkmcnt(0)
	s_waitcnt_vscnt null, 0x0
	s_barrier
	buffer_gl0_inv
	s_clause 0x7
	scratch_load_b128 v[85:88], off, off offset:44
	scratch_load_b128 v[89:92], off, off offset:60
	;; [unrolled: 1-line block ×7, first 2 shown]
	scratch_load_b32 v3, off, off offset:156
	ds_load_b128 v[113:116], v2 offset:208
	ds_load_b128 v[117:120], v2 offset:224
	s_mov_b32 s0, exec_lo
	s_waitcnt vmcnt(7) lgkmcnt(1)
	v_fma_f32 v4, v86, v113, 0
	s_delay_alu instid0(VALU_DEP_1) | instskip(NEXT) | instid1(VALU_DEP_1)
	v_fmac_f32_e32 v4, v87, v114
	v_fmac_f32_e32 v4, v88, v115
	s_waitcnt vmcnt(6)
	s_delay_alu instid0(VALU_DEP_1) | instskip(SKIP_3) | instid1(VALU_DEP_1)
	v_fmac_f32_e32 v4, v89, v116
	ds_load_b128 v[86:89], v2 offset:240
	s_waitcnt lgkmcnt(1)
	v_fmac_f32_e32 v4, v90, v117
	v_fmac_f32_e32 v4, v91, v118
	s_delay_alu instid0(VALU_DEP_1) | instskip(SKIP_1) | instid1(VALU_DEP_1)
	v_fmac_f32_e32 v4, v92, v119
	s_waitcnt vmcnt(5)
	v_fmac_f32_e32 v4, v93, v120
	ds_load_b128 v[90:93], v2 offset:256
	s_waitcnt lgkmcnt(1)
	v_fmac_f32_e32 v4, v94, v86
	s_delay_alu instid0(VALU_DEP_1) | instskip(NEXT) | instid1(VALU_DEP_1)
	v_fmac_f32_e32 v4, v95, v87
	v_fmac_f32_e32 v4, v96, v88
	s_waitcnt vmcnt(4)
	s_delay_alu instid0(VALU_DEP_1) | instskip(SKIP_3) | instid1(VALU_DEP_1)
	v_fmac_f32_e32 v4, v97, v89
	ds_load_b128 v[86:89], v2 offset:272
	s_waitcnt lgkmcnt(1)
	v_fmac_f32_e32 v4, v98, v90
	v_fmac_f32_e32 v4, v99, v91
	s_delay_alu instid0(VALU_DEP_1) | instskip(SKIP_1) | instid1(VALU_DEP_1)
	v_fmac_f32_e32 v4, v100, v92
	s_waitcnt vmcnt(3)
	v_fmac_f32_e32 v4, v101, v93
	ds_load_b128 v[90:93], v2 offset:288
	s_waitcnt lgkmcnt(1)
	v_fmac_f32_e32 v4, v102, v86
	s_delay_alu instid0(VALU_DEP_1) | instskip(NEXT) | instid1(VALU_DEP_1)
	v_fmac_f32_e32 v4, v103, v87
	v_fmac_f32_e32 v4, v104, v88
	s_waitcnt vmcnt(2)
	s_delay_alu instid0(VALU_DEP_1) | instskip(SKIP_3) | instid1(VALU_DEP_1)
	v_fmac_f32_e32 v4, v105, v89
	ds_load_b128 v[86:89], v2 offset:304
	s_waitcnt lgkmcnt(1)
	v_fmac_f32_e32 v4, v106, v90
	v_fmac_f32_e32 v4, v107, v91
	s_delay_alu instid0(VALU_DEP_1) | instskip(SKIP_1) | instid1(VALU_DEP_1)
	v_fmac_f32_e32 v4, v108, v92
	s_waitcnt vmcnt(1)
	v_fmac_f32_e32 v4, v109, v93
	s_waitcnt lgkmcnt(0)
	s_delay_alu instid0(VALU_DEP_1) | instskip(NEXT) | instid1(VALU_DEP_1)
	v_fmac_f32_e32 v4, v110, v86
	v_fmac_f32_e32 v4, v111, v87
	s_delay_alu instid0(VALU_DEP_1) | instskip(SKIP_1) | instid1(VALU_DEP_1)
	v_fmac_f32_e32 v4, v112, v88
	s_waitcnt vmcnt(0)
	v_fmac_f32_e32 v4, v3, v89
	s_delay_alu instid0(VALU_DEP_1)
	v_sub_f32_e32 v2, v85, v4
	scratch_store_b32 off, v2, off offset:44
	v_cmpx_lt_u32_e32 10, v0
	s_cbranch_execz .LBB39_227
; %bb.226:
	scratch_load_b32 v2, off, off offset:40
	v_mov_b32_e32 v3, 0
	scratch_store_b32 off, v3, off offset:40
	s_waitcnt vmcnt(0)
	ds_store_b32 v1, v2
.LBB39_227:
	s_or_b32 exec_lo, exec_lo, s0
	s_waitcnt lgkmcnt(0)
	s_waitcnt_vscnt null, 0x0
	s_barrier
	buffer_gl0_inv
	s_clause 0x7
	scratch_load_b128 v[85:88], off, off offset:40
	scratch_load_b128 v[89:92], off, off offset:56
	;; [unrolled: 1-line block ×7, first 2 shown]
	scratch_load_b64 v[3:4], off, off offset:152
	v_mov_b32_e32 v2, 0
	ds_load_2addr_b32 v[113:114], v2 offset0:51 offset1:52
	ds_load_2addr_b32 v[115:116], v2 offset0:53 offset1:54
	;; [unrolled: 1-line block ×4, first 2 shown]
	s_mov_b32 s0, exec_lo
	s_waitcnt vmcnt(7) lgkmcnt(3)
	v_fma_f32 v113, v86, v113, 0
	s_delay_alu instid0(VALU_DEP_1) | instskip(SKIP_4) | instid1(VALU_DEP_1)
	v_fmac_f32_e32 v113, v87, v114
	ds_load_2addr_b32 v[86:87], v2 offset0:59 offset1:60
	s_waitcnt lgkmcnt(3)
	v_fmac_f32_e32 v113, v88, v115
	s_waitcnt vmcnt(6)
	v_fmac_f32_e32 v113, v89, v116
	ds_load_2addr_b32 v[88:89], v2 offset0:61 offset1:62
	s_waitcnt lgkmcnt(3)
	v_fmac_f32_e32 v113, v90, v117
	s_delay_alu instid0(VALU_DEP_1) | instskip(SKIP_1) | instid1(VALU_DEP_1)
	v_fmac_f32_e32 v113, v91, v118
	s_waitcnt lgkmcnt(2)
	v_fmac_f32_e32 v113, v92, v119
	s_waitcnt vmcnt(5)
	s_delay_alu instid0(VALU_DEP_1) | instskip(SKIP_4) | instid1(VALU_DEP_1)
	v_fmac_f32_e32 v113, v93, v120
	ds_load_2addr_b32 v[90:91], v2 offset0:63 offset1:64
	ds_load_2addr_b32 v[92:93], v2 offset0:65 offset1:66
	s_waitcnt lgkmcnt(3)
	v_fmac_f32_e32 v113, v94, v86
	v_fmac_f32_e32 v113, v95, v87
	ds_load_2addr_b32 v[86:87], v2 offset0:67 offset1:68
	s_waitcnt lgkmcnt(3)
	v_fmac_f32_e32 v113, v96, v88
	s_waitcnt vmcnt(4)
	s_delay_alu instid0(VALU_DEP_1) | instskip(SKIP_3) | instid1(VALU_DEP_1)
	v_fmac_f32_e32 v113, v97, v89
	ds_load_2addr_b32 v[88:89], v2 offset0:69 offset1:70
	s_waitcnt lgkmcnt(3)
	v_fmac_f32_e32 v113, v98, v90
	v_fmac_f32_e32 v113, v99, v91
	s_waitcnt lgkmcnt(2)
	s_delay_alu instid0(VALU_DEP_1) | instskip(SKIP_1) | instid1(VALU_DEP_1)
	v_fmac_f32_e32 v113, v100, v92
	s_waitcnt vmcnt(3)
	v_fmac_f32_e32 v113, v101, v93
	ds_load_2addr_b32 v[90:91], v2 offset0:71 offset1:72
	ds_load_2addr_b32 v[92:93], v2 offset0:73 offset1:74
	s_waitcnt lgkmcnt(3)
	v_fmac_f32_e32 v113, v102, v86
	s_delay_alu instid0(VALU_DEP_1) | instskip(SKIP_4) | instid1(VALU_DEP_1)
	v_fmac_f32_e32 v113, v103, v87
	ds_load_2addr_b32 v[86:87], v2 offset0:75 offset1:76
	s_waitcnt lgkmcnt(3)
	v_fmac_f32_e32 v113, v104, v88
	s_waitcnt vmcnt(2)
	v_fmac_f32_e32 v113, v105, v89
	ds_load_2addr_b32 v[88:89], v2 offset0:77 offset1:78
	s_waitcnt lgkmcnt(3)
	v_fmac_f32_e32 v113, v106, v90
	ds_load_b32 v90, v2 offset:316
	v_fmac_f32_e32 v113, v107, v91
	s_waitcnt lgkmcnt(3)
	s_delay_alu instid0(VALU_DEP_1) | instskip(SKIP_1) | instid1(VALU_DEP_1)
	v_fmac_f32_e32 v113, v108, v92
	s_waitcnt vmcnt(1)
	v_fmac_f32_e32 v113, v109, v93
	s_waitcnt lgkmcnt(2)
	s_delay_alu instid0(VALU_DEP_1) | instskip(NEXT) | instid1(VALU_DEP_1)
	v_fmac_f32_e32 v113, v110, v86
	v_fmac_f32_e32 v113, v111, v87
	s_waitcnt lgkmcnt(1)
	s_delay_alu instid0(VALU_DEP_1) | instskip(SKIP_1) | instid1(VALU_DEP_1)
	v_fmac_f32_e32 v113, v112, v88
	s_waitcnt vmcnt(0)
	v_fmac_f32_e32 v113, v3, v89
	s_waitcnt lgkmcnt(0)
	s_delay_alu instid0(VALU_DEP_1) | instskip(NEXT) | instid1(VALU_DEP_1)
	v_fmac_f32_e32 v113, v4, v90
	v_sub_f32_e32 v3, v85, v113
	scratch_store_b32 off, v3, off offset:40
	v_cmpx_lt_u32_e32 9, v0
	s_cbranch_execz .LBB39_229
; %bb.228:
	scratch_load_b32 v3, off, off offset:36
	scratch_store_b32 off, v2, off offset:36
	s_waitcnt vmcnt(0)
	ds_store_b32 v1, v3
.LBB39_229:
	s_or_b32 exec_lo, exec_lo, s0
	s_waitcnt lgkmcnt(0)
	s_waitcnt_vscnt null, 0x0
	s_barrier
	buffer_gl0_inv
	s_clause 0x7
	scratch_load_b128 v[85:88], off, off offset:36
	scratch_load_b128 v[89:92], off, off offset:52
	;; [unrolled: 1-line block ×7, first 2 shown]
	scratch_load_b96 v[121:123], off, off offset:148
	ds_load_2addr_b64 v[113:116], v2 offset0:25 offset1:26
	ds_load_2addr_b64 v[117:120], v2 offset0:27 offset1:28
	s_mov_b32 s0, exec_lo
	s_waitcnt vmcnt(7) lgkmcnt(1)
	v_fma_f32 v4, v86, v113, 0
	s_delay_alu instid0(VALU_DEP_1) | instskip(NEXT) | instid1(VALU_DEP_1)
	v_fmac_f32_e32 v4, v87, v114
	v_fmac_f32_e32 v4, v88, v115
	s_waitcnt vmcnt(6)
	s_delay_alu instid0(VALU_DEP_1) | instskip(SKIP_3) | instid1(VALU_DEP_1)
	v_fmac_f32_e32 v4, v89, v116
	ds_load_2addr_b64 v[86:89], v2 offset0:29 offset1:30
	s_waitcnt lgkmcnt(1)
	v_fmac_f32_e32 v4, v90, v117
	v_fmac_f32_e32 v4, v91, v118
	s_delay_alu instid0(VALU_DEP_1) | instskip(SKIP_1) | instid1(VALU_DEP_1)
	v_fmac_f32_e32 v4, v92, v119
	s_waitcnt vmcnt(5)
	v_fmac_f32_e32 v4, v93, v120
	ds_load_2addr_b64 v[90:93], v2 offset0:31 offset1:32
	s_waitcnt lgkmcnt(1)
	v_fmac_f32_e32 v4, v94, v86
	s_delay_alu instid0(VALU_DEP_1) | instskip(NEXT) | instid1(VALU_DEP_1)
	v_fmac_f32_e32 v4, v95, v87
	v_fmac_f32_e32 v4, v96, v88
	s_waitcnt vmcnt(4)
	s_delay_alu instid0(VALU_DEP_1) | instskip(SKIP_3) | instid1(VALU_DEP_1)
	v_fmac_f32_e32 v4, v97, v89
	ds_load_2addr_b64 v[86:89], v2 offset0:33 offset1:34
	s_waitcnt lgkmcnt(1)
	v_fmac_f32_e32 v4, v98, v90
	v_fmac_f32_e32 v4, v99, v91
	s_delay_alu instid0(VALU_DEP_1) | instskip(SKIP_1) | instid1(VALU_DEP_1)
	v_fmac_f32_e32 v4, v100, v92
	s_waitcnt vmcnt(3)
	v_fmac_f32_e32 v4, v101, v93
	ds_load_2addr_b64 v[90:93], v2 offset0:35 offset1:36
	s_waitcnt lgkmcnt(1)
	v_fmac_f32_e32 v4, v102, v86
	s_delay_alu instid0(VALU_DEP_1) | instskip(NEXT) | instid1(VALU_DEP_1)
	v_fmac_f32_e32 v4, v103, v87
	v_fmac_f32_e32 v4, v104, v88
	s_waitcnt vmcnt(2)
	s_delay_alu instid0(VALU_DEP_1) | instskip(SKIP_4) | instid1(VALU_DEP_1)
	v_fmac_f32_e32 v4, v105, v89
	ds_load_2addr_b64 v[86:89], v2 offset0:37 offset1:38
	ds_load_b64 v[2:3], v2 offset:312
	s_waitcnt lgkmcnt(2)
	v_fmac_f32_e32 v4, v106, v90
	v_fmac_f32_e32 v4, v107, v91
	s_delay_alu instid0(VALU_DEP_1) | instskip(SKIP_1) | instid1(VALU_DEP_1)
	v_fmac_f32_e32 v4, v108, v92
	s_waitcnt vmcnt(1)
	v_fmac_f32_e32 v4, v109, v93
	s_waitcnt lgkmcnt(1)
	s_delay_alu instid0(VALU_DEP_1) | instskip(NEXT) | instid1(VALU_DEP_1)
	v_fmac_f32_e32 v4, v110, v86
	v_fmac_f32_e32 v4, v111, v87
	s_delay_alu instid0(VALU_DEP_1) | instskip(SKIP_1) | instid1(VALU_DEP_1)
	v_fmac_f32_e32 v4, v112, v88
	s_waitcnt vmcnt(0)
	v_fmac_f32_e32 v4, v121, v89
	s_waitcnt lgkmcnt(0)
	s_delay_alu instid0(VALU_DEP_1) | instskip(NEXT) | instid1(VALU_DEP_1)
	v_fmac_f32_e32 v4, v122, v2
	v_fmac_f32_e32 v4, v123, v3
	s_delay_alu instid0(VALU_DEP_1)
	v_sub_f32_e32 v2, v85, v4
	scratch_store_b32 off, v2, off offset:36
	v_cmpx_lt_u32_e32 8, v0
	s_cbranch_execz .LBB39_231
; %bb.230:
	scratch_load_b32 v2, off, off offset:32
	v_mov_b32_e32 v3, 0
	scratch_store_b32 off, v3, off offset:32
	s_waitcnt vmcnt(0)
	ds_store_b32 v1, v2
.LBB39_231:
	s_or_b32 exec_lo, exec_lo, s0
	s_waitcnt lgkmcnt(0)
	s_waitcnt_vscnt null, 0x0
	s_barrier
	buffer_gl0_inv
	s_clause 0x7
	scratch_load_b128 v[85:88], off, off offset:32
	scratch_load_b128 v[89:92], off, off offset:48
	scratch_load_b128 v[93:96], off, off offset:64
	scratch_load_b128 v[97:100], off, off offset:80
	scratch_load_b128 v[101:104], off, off offset:96
	scratch_load_b128 v[105:108], off, off offset:112
	scratch_load_b128 v[109:112], off, off offset:128
	scratch_load_b128 v[113:116], off, off offset:144
	v_mov_b32_e32 v2, 0
	ds_load_2addr_b32 v[3:4], v2 offset0:49 offset1:50
	ds_load_2addr_b32 v[117:118], v2 offset0:51 offset1:52
	;; [unrolled: 1-line block ×4, first 2 shown]
	s_mov_b32 s0, exec_lo
	s_waitcnt vmcnt(7) lgkmcnt(3)
	v_fma_f32 v123, v86, v3, 0
	s_delay_alu instid0(VALU_DEP_1)
	v_fmac_f32_e32 v123, v87, v4
	ds_load_2addr_b32 v[3:4], v2 offset0:57 offset1:58
	ds_load_2addr_b32 v[86:87], v2 offset0:59 offset1:60
	s_waitcnt lgkmcnt(4)
	v_fmac_f32_e32 v123, v88, v117
	s_waitcnt vmcnt(6)
	s_delay_alu instid0(VALU_DEP_1) | instskip(SKIP_1) | instid1(VALU_DEP_1)
	v_fmac_f32_e32 v123, v89, v118
	s_waitcnt lgkmcnt(3)
	v_fmac_f32_e32 v123, v90, v119
	s_delay_alu instid0(VALU_DEP_1)
	v_fmac_f32_e32 v123, v91, v120
	ds_load_2addr_b32 v[88:89], v2 offset0:61 offset1:62
	ds_load_2addr_b32 v[90:91], v2 offset0:63 offset1:64
	s_waitcnt lgkmcnt(4)
	v_fmac_f32_e32 v123, v92, v121
	s_waitcnt vmcnt(5)
	s_delay_alu instid0(VALU_DEP_1) | instskip(SKIP_1) | instid1(VALU_DEP_1)
	v_fmac_f32_e32 v123, v93, v122
	s_waitcnt lgkmcnt(3)
	v_fmac_f32_e32 v123, v94, v3
	s_delay_alu instid0(VALU_DEP_1) | instskip(SKIP_4) | instid1(VALU_DEP_1)
	v_fmac_f32_e32 v123, v95, v4
	ds_load_2addr_b32 v[3:4], v2 offset0:65 offset1:66
	s_waitcnt lgkmcnt(3)
	v_fmac_f32_e32 v123, v96, v86
	s_waitcnt vmcnt(4)
	v_fmac_f32_e32 v123, v97, v87
	ds_load_2addr_b32 v[86:87], v2 offset0:67 offset1:68
	s_waitcnt lgkmcnt(3)
	v_fmac_f32_e32 v123, v98, v88
	s_delay_alu instid0(VALU_DEP_1) | instskip(SKIP_1) | instid1(VALU_DEP_1)
	v_fmac_f32_e32 v123, v99, v89
	s_waitcnt lgkmcnt(2)
	v_fmac_f32_e32 v123, v100, v90
	s_waitcnt vmcnt(3)
	s_delay_alu instid0(VALU_DEP_1) | instskip(SKIP_4) | instid1(VALU_DEP_1)
	v_fmac_f32_e32 v123, v101, v91
	ds_load_2addr_b32 v[88:89], v2 offset0:69 offset1:70
	ds_load_2addr_b32 v[90:91], v2 offset0:71 offset1:72
	s_waitcnt lgkmcnt(3)
	v_fmac_f32_e32 v123, v102, v3
	v_fmac_f32_e32 v123, v103, v4
	ds_load_2addr_b32 v[3:4], v2 offset0:73 offset1:74
	s_waitcnt lgkmcnt(3)
	v_fmac_f32_e32 v123, v104, v86
	s_waitcnt vmcnt(2)
	s_delay_alu instid0(VALU_DEP_1) | instskip(SKIP_3) | instid1(VALU_DEP_1)
	v_fmac_f32_e32 v123, v105, v87
	ds_load_2addr_b32 v[86:87], v2 offset0:75 offset1:76
	s_waitcnt lgkmcnt(3)
	v_fmac_f32_e32 v123, v106, v88
	v_fmac_f32_e32 v123, v107, v89
	s_waitcnt lgkmcnt(2)
	s_delay_alu instid0(VALU_DEP_1)
	v_fmac_f32_e32 v123, v108, v90
	ds_load_2addr_b32 v[88:89], v2 offset0:77 offset1:78
	ds_load_b32 v90, v2 offset:316
	s_waitcnt vmcnt(1)
	v_fmac_f32_e32 v123, v109, v91
	s_waitcnt lgkmcnt(3)
	s_delay_alu instid0(VALU_DEP_1) | instskip(NEXT) | instid1(VALU_DEP_1)
	v_fmac_f32_e32 v123, v110, v3
	v_fmac_f32_e32 v123, v111, v4
	s_waitcnt lgkmcnt(2)
	s_delay_alu instid0(VALU_DEP_1) | instskip(SKIP_1) | instid1(VALU_DEP_1)
	v_fmac_f32_e32 v123, v112, v86
	s_waitcnt vmcnt(0)
	v_fmac_f32_e32 v123, v113, v87
	s_waitcnt lgkmcnt(1)
	s_delay_alu instid0(VALU_DEP_1) | instskip(NEXT) | instid1(VALU_DEP_1)
	v_fmac_f32_e32 v123, v114, v88
	v_fmac_f32_e32 v123, v115, v89
	s_waitcnt lgkmcnt(0)
	s_delay_alu instid0(VALU_DEP_1) | instskip(NEXT) | instid1(VALU_DEP_1)
	v_fmac_f32_e32 v123, v116, v90
	v_sub_f32_e32 v3, v85, v123
	scratch_store_b32 off, v3, off offset:32
	v_cmpx_lt_u32_e32 7, v0
	s_cbranch_execz .LBB39_233
; %bb.232:
	scratch_load_b32 v3, off, off offset:28
	scratch_store_b32 off, v2, off offset:28
	s_waitcnt vmcnt(0)
	ds_store_b32 v1, v3
.LBB39_233:
	s_or_b32 exec_lo, exec_lo, s0
	s_waitcnt lgkmcnt(0)
	s_waitcnt_vscnt null, 0x0
	s_barrier
	buffer_gl0_inv
	s_clause 0x8
	scratch_load_b128 v[85:88], off, off offset:28
	scratch_load_b128 v[89:92], off, off offset:44
	;; [unrolled: 1-line block ×8, first 2 shown]
	scratch_load_b32 v3, off, off offset:156
	ds_load_b128 v[117:120], v2 offset:192
	ds_load_b128 v[121:124], v2 offset:208
	s_mov_b32 s0, exec_lo
	s_waitcnt vmcnt(8) lgkmcnt(1)
	v_fma_f32 v4, v86, v117, 0
	s_delay_alu instid0(VALU_DEP_1) | instskip(NEXT) | instid1(VALU_DEP_1)
	v_fmac_f32_e32 v4, v87, v118
	v_fmac_f32_e32 v4, v88, v119
	s_waitcnt vmcnt(7)
	s_delay_alu instid0(VALU_DEP_1) | instskip(SKIP_3) | instid1(VALU_DEP_1)
	v_fmac_f32_e32 v4, v89, v120
	ds_load_b128 v[86:89], v2 offset:224
	s_waitcnt lgkmcnt(1)
	v_fmac_f32_e32 v4, v90, v121
	v_fmac_f32_e32 v4, v91, v122
	s_delay_alu instid0(VALU_DEP_1) | instskip(SKIP_1) | instid1(VALU_DEP_1)
	v_fmac_f32_e32 v4, v92, v123
	s_waitcnt vmcnt(6)
	v_fmac_f32_e32 v4, v93, v124
	ds_load_b128 v[90:93], v2 offset:240
	s_waitcnt lgkmcnt(1)
	v_fmac_f32_e32 v4, v94, v86
	s_delay_alu instid0(VALU_DEP_1) | instskip(NEXT) | instid1(VALU_DEP_1)
	v_fmac_f32_e32 v4, v95, v87
	v_fmac_f32_e32 v4, v96, v88
	s_waitcnt vmcnt(5)
	s_delay_alu instid0(VALU_DEP_1) | instskip(SKIP_3) | instid1(VALU_DEP_1)
	v_fmac_f32_e32 v4, v97, v89
	ds_load_b128 v[86:89], v2 offset:256
	s_waitcnt lgkmcnt(1)
	v_fmac_f32_e32 v4, v98, v90
	v_fmac_f32_e32 v4, v99, v91
	s_delay_alu instid0(VALU_DEP_1) | instskip(SKIP_1) | instid1(VALU_DEP_1)
	v_fmac_f32_e32 v4, v100, v92
	s_waitcnt vmcnt(4)
	v_fmac_f32_e32 v4, v101, v93
	ds_load_b128 v[90:93], v2 offset:272
	s_waitcnt lgkmcnt(1)
	v_fmac_f32_e32 v4, v102, v86
	;; [unrolled: 17-line block ×3, first 2 shown]
	s_delay_alu instid0(VALU_DEP_1) | instskip(NEXT) | instid1(VALU_DEP_1)
	v_fmac_f32_e32 v4, v111, v87
	v_fmac_f32_e32 v4, v112, v88
	s_waitcnt vmcnt(1)
	s_delay_alu instid0(VALU_DEP_1) | instskip(SKIP_1) | instid1(VALU_DEP_1)
	v_fmac_f32_e32 v4, v113, v89
	s_waitcnt lgkmcnt(0)
	v_fmac_f32_e32 v4, v114, v90
	s_delay_alu instid0(VALU_DEP_1) | instskip(NEXT) | instid1(VALU_DEP_1)
	v_fmac_f32_e32 v4, v115, v91
	v_fmac_f32_e32 v4, v116, v92
	s_waitcnt vmcnt(0)
	s_delay_alu instid0(VALU_DEP_1) | instskip(NEXT) | instid1(VALU_DEP_1)
	v_fmac_f32_e32 v4, v3, v93
	v_sub_f32_e32 v2, v85, v4
	scratch_store_b32 off, v2, off offset:28
	v_cmpx_lt_u32_e32 6, v0
	s_cbranch_execz .LBB39_235
; %bb.234:
	scratch_load_b32 v2, off, off offset:24
	v_mov_b32_e32 v3, 0
	scratch_store_b32 off, v3, off offset:24
	s_waitcnt vmcnt(0)
	ds_store_b32 v1, v2
.LBB39_235:
	s_or_b32 exec_lo, exec_lo, s0
	s_waitcnt lgkmcnt(0)
	s_waitcnt_vscnt null, 0x0
	s_barrier
	buffer_gl0_inv
	s_clause 0x8
	scratch_load_b128 v[85:88], off, off offset:24
	scratch_load_b128 v[89:92], off, off offset:40
	;; [unrolled: 1-line block ×8, first 2 shown]
	scratch_load_b64 v[3:4], off, off offset:152
	v_mov_b32_e32 v2, 0
	ds_load_2addr_b32 v[117:118], v2 offset0:47 offset1:48
	ds_load_2addr_b32 v[119:120], v2 offset0:49 offset1:50
	;; [unrolled: 1-line block ×4, first 2 shown]
	s_mov_b32 s0, exec_lo
	s_waitcnt vmcnt(8) lgkmcnt(3)
	v_fma_f32 v117, v86, v117, 0
	s_delay_alu instid0(VALU_DEP_1) | instskip(SKIP_4) | instid1(VALU_DEP_1)
	v_fmac_f32_e32 v117, v87, v118
	ds_load_2addr_b32 v[86:87], v2 offset0:55 offset1:56
	s_waitcnt lgkmcnt(3)
	v_fmac_f32_e32 v117, v88, v119
	s_waitcnt vmcnt(7)
	v_fmac_f32_e32 v117, v89, v120
	ds_load_2addr_b32 v[88:89], v2 offset0:57 offset1:58
	s_waitcnt lgkmcnt(3)
	v_fmac_f32_e32 v117, v90, v121
	s_delay_alu instid0(VALU_DEP_1) | instskip(SKIP_1) | instid1(VALU_DEP_1)
	v_fmac_f32_e32 v117, v91, v122
	s_waitcnt lgkmcnt(2)
	v_fmac_f32_e32 v117, v92, v123
	s_waitcnt vmcnt(6)
	s_delay_alu instid0(VALU_DEP_1) | instskip(SKIP_4) | instid1(VALU_DEP_1)
	v_fmac_f32_e32 v117, v93, v124
	ds_load_2addr_b32 v[90:91], v2 offset0:59 offset1:60
	ds_load_2addr_b32 v[92:93], v2 offset0:61 offset1:62
	s_waitcnt lgkmcnt(3)
	v_fmac_f32_e32 v117, v94, v86
	v_fmac_f32_e32 v117, v95, v87
	ds_load_2addr_b32 v[86:87], v2 offset0:63 offset1:64
	s_waitcnt lgkmcnt(3)
	v_fmac_f32_e32 v117, v96, v88
	s_waitcnt vmcnt(5)
	s_delay_alu instid0(VALU_DEP_1) | instskip(SKIP_3) | instid1(VALU_DEP_1)
	v_fmac_f32_e32 v117, v97, v89
	ds_load_2addr_b32 v[88:89], v2 offset0:65 offset1:66
	s_waitcnt lgkmcnt(3)
	v_fmac_f32_e32 v117, v98, v90
	v_fmac_f32_e32 v117, v99, v91
	s_waitcnt lgkmcnt(2)
	s_delay_alu instid0(VALU_DEP_1) | instskip(SKIP_1) | instid1(VALU_DEP_1)
	v_fmac_f32_e32 v117, v100, v92
	s_waitcnt vmcnt(4)
	v_fmac_f32_e32 v117, v101, v93
	ds_load_2addr_b32 v[90:91], v2 offset0:67 offset1:68
	ds_load_2addr_b32 v[92:93], v2 offset0:69 offset1:70
	s_waitcnt lgkmcnt(3)
	v_fmac_f32_e32 v117, v102, v86
	s_delay_alu instid0(VALU_DEP_1) | instskip(SKIP_4) | instid1(VALU_DEP_1)
	v_fmac_f32_e32 v117, v103, v87
	ds_load_2addr_b32 v[86:87], v2 offset0:71 offset1:72
	s_waitcnt lgkmcnt(3)
	v_fmac_f32_e32 v117, v104, v88
	s_waitcnt vmcnt(3)
	v_fmac_f32_e32 v117, v105, v89
	ds_load_2addr_b32 v[88:89], v2 offset0:73 offset1:74
	s_waitcnt lgkmcnt(3)
	v_fmac_f32_e32 v117, v106, v90
	s_delay_alu instid0(VALU_DEP_1) | instskip(SKIP_1) | instid1(VALU_DEP_1)
	v_fmac_f32_e32 v117, v107, v91
	s_waitcnt lgkmcnt(2)
	v_fmac_f32_e32 v117, v108, v92
	s_waitcnt vmcnt(2)
	s_delay_alu instid0(VALU_DEP_1)
	v_fmac_f32_e32 v117, v109, v93
	ds_load_2addr_b32 v[90:91], v2 offset0:75 offset1:76
	ds_load_2addr_b32 v[92:93], v2 offset0:77 offset1:78
	s_waitcnt lgkmcnt(3)
	v_fmac_f32_e32 v117, v110, v86
	ds_load_b32 v86, v2 offset:316
	v_fmac_f32_e32 v117, v111, v87
	s_waitcnt lgkmcnt(3)
	s_delay_alu instid0(VALU_DEP_1) | instskip(SKIP_1) | instid1(VALU_DEP_1)
	v_fmac_f32_e32 v117, v112, v88
	s_waitcnt vmcnt(1)
	v_fmac_f32_e32 v117, v113, v89
	s_waitcnt lgkmcnt(2)
	s_delay_alu instid0(VALU_DEP_1) | instskip(NEXT) | instid1(VALU_DEP_1)
	v_fmac_f32_e32 v117, v114, v90
	v_fmac_f32_e32 v117, v115, v91
	s_waitcnt lgkmcnt(1)
	s_delay_alu instid0(VALU_DEP_1) | instskip(SKIP_1) | instid1(VALU_DEP_1)
	v_fmac_f32_e32 v117, v116, v92
	s_waitcnt vmcnt(0)
	v_fmac_f32_e32 v117, v3, v93
	s_waitcnt lgkmcnt(0)
	s_delay_alu instid0(VALU_DEP_1) | instskip(NEXT) | instid1(VALU_DEP_1)
	v_fmac_f32_e32 v117, v4, v86
	v_sub_f32_e32 v3, v85, v117
	scratch_store_b32 off, v3, off offset:24
	v_cmpx_lt_u32_e32 5, v0
	s_cbranch_execz .LBB39_237
; %bb.236:
	scratch_load_b32 v3, off, off offset:20
	scratch_store_b32 off, v2, off offset:20
	s_waitcnt vmcnt(0)
	ds_store_b32 v1, v3
.LBB39_237:
	s_or_b32 exec_lo, exec_lo, s0
	s_waitcnt lgkmcnt(0)
	s_waitcnt_vscnt null, 0x0
	s_barrier
	buffer_gl0_inv
	s_clause 0x8
	scratch_load_b128 v[85:88], off, off offset:20
	scratch_load_b128 v[89:92], off, off offset:36
	;; [unrolled: 1-line block ×8, first 2 shown]
	scratch_load_b96 v[125:127], off, off offset:148
	ds_load_2addr_b64 v[117:120], v2 offset0:23 offset1:24
	ds_load_2addr_b64 v[121:124], v2 offset0:25 offset1:26
	s_mov_b32 s0, exec_lo
	s_waitcnt vmcnt(8) lgkmcnt(1)
	v_fma_f32 v4, v86, v117, 0
	s_delay_alu instid0(VALU_DEP_1) | instskip(NEXT) | instid1(VALU_DEP_1)
	v_fmac_f32_e32 v4, v87, v118
	v_fmac_f32_e32 v4, v88, v119
	s_waitcnt vmcnt(7)
	s_delay_alu instid0(VALU_DEP_1) | instskip(SKIP_3) | instid1(VALU_DEP_1)
	v_fmac_f32_e32 v4, v89, v120
	ds_load_2addr_b64 v[86:89], v2 offset0:27 offset1:28
	s_waitcnt lgkmcnt(1)
	v_fmac_f32_e32 v4, v90, v121
	v_fmac_f32_e32 v4, v91, v122
	s_delay_alu instid0(VALU_DEP_1) | instskip(SKIP_1) | instid1(VALU_DEP_1)
	v_fmac_f32_e32 v4, v92, v123
	s_waitcnt vmcnt(6)
	v_fmac_f32_e32 v4, v93, v124
	ds_load_2addr_b64 v[90:93], v2 offset0:29 offset1:30
	s_waitcnt lgkmcnt(1)
	v_fmac_f32_e32 v4, v94, v86
	s_delay_alu instid0(VALU_DEP_1) | instskip(NEXT) | instid1(VALU_DEP_1)
	v_fmac_f32_e32 v4, v95, v87
	v_fmac_f32_e32 v4, v96, v88
	s_waitcnt vmcnt(5)
	s_delay_alu instid0(VALU_DEP_1) | instskip(SKIP_3) | instid1(VALU_DEP_1)
	v_fmac_f32_e32 v4, v97, v89
	ds_load_2addr_b64 v[86:89], v2 offset0:31 offset1:32
	s_waitcnt lgkmcnt(1)
	v_fmac_f32_e32 v4, v98, v90
	v_fmac_f32_e32 v4, v99, v91
	s_delay_alu instid0(VALU_DEP_1) | instskip(SKIP_1) | instid1(VALU_DEP_1)
	v_fmac_f32_e32 v4, v100, v92
	s_waitcnt vmcnt(4)
	v_fmac_f32_e32 v4, v101, v93
	ds_load_2addr_b64 v[90:93], v2 offset0:33 offset1:34
	s_waitcnt lgkmcnt(1)
	v_fmac_f32_e32 v4, v102, v86
	s_delay_alu instid0(VALU_DEP_1) | instskip(NEXT) | instid1(VALU_DEP_1)
	v_fmac_f32_e32 v4, v103, v87
	v_fmac_f32_e32 v4, v104, v88
	s_waitcnt vmcnt(3)
	s_delay_alu instid0(VALU_DEP_1) | instskip(SKIP_3) | instid1(VALU_DEP_1)
	v_fmac_f32_e32 v4, v105, v89
	ds_load_2addr_b64 v[86:89], v2 offset0:35 offset1:36
	s_waitcnt lgkmcnt(1)
	v_fmac_f32_e32 v4, v106, v90
	v_fmac_f32_e32 v4, v107, v91
	s_delay_alu instid0(VALU_DEP_1) | instskip(SKIP_1) | instid1(VALU_DEP_1)
	v_fmac_f32_e32 v4, v108, v92
	s_waitcnt vmcnt(2)
	v_fmac_f32_e32 v4, v109, v93
	ds_load_2addr_b64 v[90:93], v2 offset0:37 offset1:38
	ds_load_b64 v[2:3], v2 offset:312
	s_waitcnt lgkmcnt(2)
	v_fmac_f32_e32 v4, v110, v86
	s_delay_alu instid0(VALU_DEP_1) | instskip(NEXT) | instid1(VALU_DEP_1)
	v_fmac_f32_e32 v4, v111, v87
	v_fmac_f32_e32 v4, v112, v88
	s_waitcnt vmcnt(1)
	s_delay_alu instid0(VALU_DEP_1) | instskip(SKIP_1) | instid1(VALU_DEP_1)
	v_fmac_f32_e32 v4, v113, v89
	s_waitcnt lgkmcnt(1)
	v_fmac_f32_e32 v4, v114, v90
	s_delay_alu instid0(VALU_DEP_1) | instskip(NEXT) | instid1(VALU_DEP_1)
	v_fmac_f32_e32 v4, v115, v91
	v_fmac_f32_e32 v4, v116, v92
	s_waitcnt vmcnt(0)
	s_delay_alu instid0(VALU_DEP_1) | instskip(SKIP_1) | instid1(VALU_DEP_1)
	v_fmac_f32_e32 v4, v125, v93
	s_waitcnt lgkmcnt(0)
	v_fmac_f32_e32 v4, v126, v2
	s_delay_alu instid0(VALU_DEP_1) | instskip(NEXT) | instid1(VALU_DEP_1)
	v_fmac_f32_e32 v4, v127, v3
	v_sub_f32_e32 v2, v85, v4
	scratch_store_b32 off, v2, off offset:20
	v_cmpx_lt_u32_e32 4, v0
	s_cbranch_execz .LBB39_239
; %bb.238:
	scratch_load_b32 v2, off, off offset:16
	v_mov_b32_e32 v3, 0
	scratch_store_b32 off, v3, off offset:16
	s_waitcnt vmcnt(0)
	ds_store_b32 v1, v2
.LBB39_239:
	s_or_b32 exec_lo, exec_lo, s0
	s_waitcnt lgkmcnt(0)
	s_waitcnt_vscnt null, 0x0
	s_barrier
	buffer_gl0_inv
	s_clause 0x8
	scratch_load_b128 v[85:88], off, off offset:16
	scratch_load_b128 v[89:92], off, off offset:32
	;; [unrolled: 1-line block ×9, first 2 shown]
	v_mov_b32_e32 v2, 0
	ds_load_2addr_b32 v[3:4], v2 offset0:45 offset1:46
	ds_load_2addr_b32 v[121:122], v2 offset0:47 offset1:48
	;; [unrolled: 1-line block ×4, first 2 shown]
	s_mov_b32 s0, exec_lo
	s_waitcnt vmcnt(8) lgkmcnt(3)
	v_fma_f32 v127, v86, v3, 0
	s_delay_alu instid0(VALU_DEP_1)
	v_fmac_f32_e32 v127, v87, v4
	ds_load_2addr_b32 v[3:4], v2 offset0:53 offset1:54
	ds_load_2addr_b32 v[86:87], v2 offset0:55 offset1:56
	s_waitcnt lgkmcnt(4)
	v_fmac_f32_e32 v127, v88, v121
	s_waitcnt vmcnt(7)
	s_delay_alu instid0(VALU_DEP_1) | instskip(SKIP_1) | instid1(VALU_DEP_1)
	v_fmac_f32_e32 v127, v89, v122
	s_waitcnt lgkmcnt(3)
	v_fmac_f32_e32 v127, v90, v123
	s_delay_alu instid0(VALU_DEP_1)
	v_fmac_f32_e32 v127, v91, v124
	ds_load_2addr_b32 v[88:89], v2 offset0:57 offset1:58
	ds_load_2addr_b32 v[90:91], v2 offset0:59 offset1:60
	s_waitcnt lgkmcnt(4)
	v_fmac_f32_e32 v127, v92, v125
	s_waitcnt vmcnt(6)
	s_delay_alu instid0(VALU_DEP_1) | instskip(SKIP_1) | instid1(VALU_DEP_1)
	v_fmac_f32_e32 v127, v93, v126
	s_waitcnt lgkmcnt(3)
	v_fmac_f32_e32 v127, v94, v3
	s_delay_alu instid0(VALU_DEP_1) | instskip(SKIP_4) | instid1(VALU_DEP_1)
	v_fmac_f32_e32 v127, v95, v4
	ds_load_2addr_b32 v[3:4], v2 offset0:61 offset1:62
	s_waitcnt lgkmcnt(3)
	v_fmac_f32_e32 v127, v96, v86
	s_waitcnt vmcnt(5)
	v_fmac_f32_e32 v127, v97, v87
	ds_load_2addr_b32 v[86:87], v2 offset0:63 offset1:64
	s_waitcnt lgkmcnt(3)
	v_fmac_f32_e32 v127, v98, v88
	s_delay_alu instid0(VALU_DEP_1) | instskip(SKIP_1) | instid1(VALU_DEP_1)
	v_fmac_f32_e32 v127, v99, v89
	s_waitcnt lgkmcnt(2)
	v_fmac_f32_e32 v127, v100, v90
	s_waitcnt vmcnt(4)
	s_delay_alu instid0(VALU_DEP_1) | instskip(SKIP_4) | instid1(VALU_DEP_1)
	v_fmac_f32_e32 v127, v101, v91
	ds_load_2addr_b32 v[88:89], v2 offset0:65 offset1:66
	ds_load_2addr_b32 v[90:91], v2 offset0:67 offset1:68
	s_waitcnt lgkmcnt(3)
	v_fmac_f32_e32 v127, v102, v3
	v_fmac_f32_e32 v127, v103, v4
	ds_load_2addr_b32 v[3:4], v2 offset0:69 offset1:70
	s_waitcnt lgkmcnt(3)
	v_fmac_f32_e32 v127, v104, v86
	s_waitcnt vmcnt(3)
	s_delay_alu instid0(VALU_DEP_1) | instskip(SKIP_3) | instid1(VALU_DEP_1)
	v_fmac_f32_e32 v127, v105, v87
	ds_load_2addr_b32 v[86:87], v2 offset0:71 offset1:72
	s_waitcnt lgkmcnt(3)
	v_fmac_f32_e32 v127, v106, v88
	v_fmac_f32_e32 v127, v107, v89
	s_waitcnt lgkmcnt(2)
	s_delay_alu instid0(VALU_DEP_1) | instskip(SKIP_1) | instid1(VALU_DEP_1)
	v_fmac_f32_e32 v127, v108, v90
	s_waitcnt vmcnt(2)
	v_fmac_f32_e32 v127, v109, v91
	ds_load_2addr_b32 v[88:89], v2 offset0:73 offset1:74
	ds_load_2addr_b32 v[90:91], v2 offset0:75 offset1:76
	s_waitcnt lgkmcnt(3)
	v_fmac_f32_e32 v127, v110, v3
	s_delay_alu instid0(VALU_DEP_1)
	v_fmac_f32_e32 v127, v111, v4
	ds_load_2addr_b32 v[3:4], v2 offset0:77 offset1:78
	s_waitcnt lgkmcnt(3)
	v_fmac_f32_e32 v127, v112, v86
	ds_load_b32 v86, v2 offset:316
	s_waitcnt vmcnt(1)
	v_fmac_f32_e32 v127, v113, v87
	s_waitcnt lgkmcnt(3)
	s_delay_alu instid0(VALU_DEP_1) | instskip(NEXT) | instid1(VALU_DEP_1)
	v_fmac_f32_e32 v127, v114, v88
	v_fmac_f32_e32 v127, v115, v89
	s_waitcnt lgkmcnt(2)
	s_delay_alu instid0(VALU_DEP_1) | instskip(SKIP_1) | instid1(VALU_DEP_1)
	v_fmac_f32_e32 v127, v116, v90
	s_waitcnt vmcnt(0)
	v_fmac_f32_e32 v127, v117, v91
	s_waitcnt lgkmcnt(1)
	s_delay_alu instid0(VALU_DEP_1) | instskip(NEXT) | instid1(VALU_DEP_1)
	v_fmac_f32_e32 v127, v118, v3
	v_fmac_f32_e32 v127, v119, v4
	s_waitcnt lgkmcnt(0)
	s_delay_alu instid0(VALU_DEP_1) | instskip(NEXT) | instid1(VALU_DEP_1)
	v_fmac_f32_e32 v127, v120, v86
	v_sub_f32_e32 v3, v85, v127
	scratch_store_b32 off, v3, off offset:16
	v_cmpx_lt_u32_e32 3, v0
	s_cbranch_execz .LBB39_241
; %bb.240:
	scratch_load_b32 v3, off, off offset:12
	scratch_store_b32 off, v2, off offset:12
	s_waitcnt vmcnt(0)
	ds_store_b32 v1, v3
.LBB39_241:
	s_or_b32 exec_lo, exec_lo, s0
	s_waitcnt lgkmcnt(0)
	s_waitcnt_vscnt null, 0x0
	s_barrier
	buffer_gl0_inv
	s_clause 0x9
	scratch_load_b128 v[85:88], off, off offset:12
	scratch_load_b128 v[89:92], off, off offset:28
	;; [unrolled: 1-line block ×9, first 2 shown]
	scratch_load_b32 v3, off, off offset:156
	ds_load_b128 v[121:124], v2 offset:176
	ds_load_b128 v[125:128], v2 offset:192
	s_mov_b32 s0, exec_lo
	s_waitcnt vmcnt(9) lgkmcnt(1)
	v_fma_f32 v4, v86, v121, 0
	s_delay_alu instid0(VALU_DEP_1) | instskip(NEXT) | instid1(VALU_DEP_1)
	v_fmac_f32_e32 v4, v87, v122
	v_fmac_f32_e32 v4, v88, v123
	s_waitcnt vmcnt(8)
	s_delay_alu instid0(VALU_DEP_1) | instskip(SKIP_3) | instid1(VALU_DEP_1)
	v_fmac_f32_e32 v4, v89, v124
	ds_load_b128 v[86:89], v2 offset:208
	s_waitcnt lgkmcnt(1)
	v_fmac_f32_e32 v4, v90, v125
	v_fmac_f32_e32 v4, v91, v126
	s_delay_alu instid0(VALU_DEP_1) | instskip(SKIP_1) | instid1(VALU_DEP_1)
	v_fmac_f32_e32 v4, v92, v127
	s_waitcnt vmcnt(7)
	v_fmac_f32_e32 v4, v93, v128
	ds_load_b128 v[90:93], v2 offset:224
	s_waitcnt lgkmcnt(1)
	v_fmac_f32_e32 v4, v94, v86
	s_delay_alu instid0(VALU_DEP_1) | instskip(NEXT) | instid1(VALU_DEP_1)
	v_fmac_f32_e32 v4, v95, v87
	v_fmac_f32_e32 v4, v96, v88
	s_waitcnt vmcnt(6)
	s_delay_alu instid0(VALU_DEP_1) | instskip(SKIP_3) | instid1(VALU_DEP_1)
	v_fmac_f32_e32 v4, v97, v89
	ds_load_b128 v[86:89], v2 offset:240
	s_waitcnt lgkmcnt(1)
	v_fmac_f32_e32 v4, v98, v90
	v_fmac_f32_e32 v4, v99, v91
	s_delay_alu instid0(VALU_DEP_1) | instskip(SKIP_1) | instid1(VALU_DEP_1)
	v_fmac_f32_e32 v4, v100, v92
	s_waitcnt vmcnt(5)
	v_fmac_f32_e32 v4, v101, v93
	ds_load_b128 v[90:93], v2 offset:256
	s_waitcnt lgkmcnt(1)
	v_fmac_f32_e32 v4, v102, v86
	;; [unrolled: 17-line block ×3, first 2 shown]
	s_delay_alu instid0(VALU_DEP_1) | instskip(NEXT) | instid1(VALU_DEP_1)
	v_fmac_f32_e32 v4, v111, v87
	v_fmac_f32_e32 v4, v112, v88
	s_waitcnt vmcnt(2)
	s_delay_alu instid0(VALU_DEP_1) | instskip(SKIP_3) | instid1(VALU_DEP_1)
	v_fmac_f32_e32 v4, v113, v89
	ds_load_b128 v[86:89], v2 offset:304
	s_waitcnt lgkmcnt(1)
	v_fmac_f32_e32 v4, v114, v90
	v_fmac_f32_e32 v4, v115, v91
	s_delay_alu instid0(VALU_DEP_1) | instskip(SKIP_1) | instid1(VALU_DEP_1)
	v_fmac_f32_e32 v4, v116, v92
	s_waitcnt vmcnt(1)
	v_fmac_f32_e32 v4, v117, v93
	s_waitcnt lgkmcnt(0)
	s_delay_alu instid0(VALU_DEP_1) | instskip(NEXT) | instid1(VALU_DEP_1)
	v_fmac_f32_e32 v4, v118, v86
	v_fmac_f32_e32 v4, v119, v87
	s_delay_alu instid0(VALU_DEP_1) | instskip(SKIP_1) | instid1(VALU_DEP_1)
	v_fmac_f32_e32 v4, v120, v88
	s_waitcnt vmcnt(0)
	v_fmac_f32_e32 v4, v3, v89
	s_delay_alu instid0(VALU_DEP_1)
	v_sub_f32_e32 v2, v85, v4
	scratch_store_b32 off, v2, off offset:12
	v_cmpx_lt_u32_e32 2, v0
	s_cbranch_execz .LBB39_243
; %bb.242:
	scratch_load_b32 v2, off, off offset:8
	v_mov_b32_e32 v3, 0
	scratch_store_b32 off, v3, off offset:8
	s_waitcnt vmcnt(0)
	ds_store_b32 v1, v2
.LBB39_243:
	s_or_b32 exec_lo, exec_lo, s0
	s_waitcnt lgkmcnt(0)
	s_waitcnt_vscnt null, 0x0
	s_barrier
	buffer_gl0_inv
	s_clause 0x9
	scratch_load_b128 v[85:88], off, off offset:8
	scratch_load_b128 v[89:92], off, off offset:24
	;; [unrolled: 1-line block ×9, first 2 shown]
	scratch_load_b64 v[3:4], off, off offset:152
	v_mov_b32_e32 v2, 0
	ds_load_2addr_b32 v[121:122], v2 offset0:43 offset1:44
	ds_load_2addr_b32 v[123:124], v2 offset0:45 offset1:46
	;; [unrolled: 1-line block ×4, first 2 shown]
	s_mov_b32 s0, exec_lo
	s_waitcnt vmcnt(9) lgkmcnt(3)
	v_fma_f32 v121, v86, v121, 0
	s_delay_alu instid0(VALU_DEP_1) | instskip(SKIP_4) | instid1(VALU_DEP_1)
	v_fmac_f32_e32 v121, v87, v122
	ds_load_2addr_b32 v[86:87], v2 offset0:51 offset1:52
	s_waitcnt lgkmcnt(3)
	v_fmac_f32_e32 v121, v88, v123
	s_waitcnt vmcnt(8)
	v_fmac_f32_e32 v121, v89, v124
	ds_load_2addr_b32 v[88:89], v2 offset0:53 offset1:54
	s_waitcnt lgkmcnt(3)
	v_fmac_f32_e32 v121, v90, v125
	s_delay_alu instid0(VALU_DEP_1) | instskip(SKIP_1) | instid1(VALU_DEP_1)
	v_fmac_f32_e32 v121, v91, v126
	s_waitcnt lgkmcnt(2)
	v_fmac_f32_e32 v121, v92, v127
	s_waitcnt vmcnt(7)
	s_delay_alu instid0(VALU_DEP_1) | instskip(SKIP_4) | instid1(VALU_DEP_1)
	v_fmac_f32_e32 v121, v93, v128
	ds_load_2addr_b32 v[90:91], v2 offset0:55 offset1:56
	ds_load_2addr_b32 v[92:93], v2 offset0:57 offset1:58
	s_waitcnt lgkmcnt(3)
	v_fmac_f32_e32 v121, v94, v86
	v_fmac_f32_e32 v121, v95, v87
	ds_load_2addr_b32 v[86:87], v2 offset0:59 offset1:60
	s_waitcnt lgkmcnt(3)
	v_fmac_f32_e32 v121, v96, v88
	s_waitcnt vmcnt(6)
	s_delay_alu instid0(VALU_DEP_1) | instskip(SKIP_3) | instid1(VALU_DEP_1)
	v_fmac_f32_e32 v121, v97, v89
	ds_load_2addr_b32 v[88:89], v2 offset0:61 offset1:62
	s_waitcnt lgkmcnt(3)
	v_fmac_f32_e32 v121, v98, v90
	v_fmac_f32_e32 v121, v99, v91
	s_waitcnt lgkmcnt(2)
	s_delay_alu instid0(VALU_DEP_1) | instskip(SKIP_1) | instid1(VALU_DEP_1)
	v_fmac_f32_e32 v121, v100, v92
	s_waitcnt vmcnt(5)
	v_fmac_f32_e32 v121, v101, v93
	ds_load_2addr_b32 v[90:91], v2 offset0:63 offset1:64
	ds_load_2addr_b32 v[92:93], v2 offset0:65 offset1:66
	s_waitcnt lgkmcnt(3)
	v_fmac_f32_e32 v121, v102, v86
	s_delay_alu instid0(VALU_DEP_1) | instskip(SKIP_4) | instid1(VALU_DEP_1)
	v_fmac_f32_e32 v121, v103, v87
	ds_load_2addr_b32 v[86:87], v2 offset0:67 offset1:68
	s_waitcnt lgkmcnt(3)
	v_fmac_f32_e32 v121, v104, v88
	s_waitcnt vmcnt(4)
	v_fmac_f32_e32 v121, v105, v89
	ds_load_2addr_b32 v[88:89], v2 offset0:69 offset1:70
	s_waitcnt lgkmcnt(3)
	v_fmac_f32_e32 v121, v106, v90
	s_delay_alu instid0(VALU_DEP_1) | instskip(SKIP_1) | instid1(VALU_DEP_1)
	v_fmac_f32_e32 v121, v107, v91
	s_waitcnt lgkmcnt(2)
	v_fmac_f32_e32 v121, v108, v92
	s_waitcnt vmcnt(3)
	s_delay_alu instid0(VALU_DEP_1) | instskip(SKIP_4) | instid1(VALU_DEP_1)
	v_fmac_f32_e32 v121, v109, v93
	ds_load_2addr_b32 v[90:91], v2 offset0:71 offset1:72
	ds_load_2addr_b32 v[92:93], v2 offset0:73 offset1:74
	s_waitcnt lgkmcnt(3)
	v_fmac_f32_e32 v121, v110, v86
	v_fmac_f32_e32 v121, v111, v87
	ds_load_2addr_b32 v[86:87], v2 offset0:75 offset1:76
	s_waitcnt lgkmcnt(3)
	v_fmac_f32_e32 v121, v112, v88
	s_waitcnt vmcnt(2)
	s_delay_alu instid0(VALU_DEP_1)
	v_fmac_f32_e32 v121, v113, v89
	ds_load_2addr_b32 v[88:89], v2 offset0:77 offset1:78
	s_waitcnt lgkmcnt(3)
	v_fmac_f32_e32 v121, v114, v90
	ds_load_b32 v90, v2 offset:316
	v_fmac_f32_e32 v121, v115, v91
	s_waitcnt lgkmcnt(3)
	s_delay_alu instid0(VALU_DEP_1) | instskip(SKIP_1) | instid1(VALU_DEP_1)
	v_fmac_f32_e32 v121, v116, v92
	s_waitcnt vmcnt(1)
	v_fmac_f32_e32 v121, v117, v93
	s_waitcnt lgkmcnt(2)
	s_delay_alu instid0(VALU_DEP_1) | instskip(NEXT) | instid1(VALU_DEP_1)
	v_fmac_f32_e32 v121, v118, v86
	v_fmac_f32_e32 v121, v119, v87
	s_waitcnt lgkmcnt(1)
	s_delay_alu instid0(VALU_DEP_1) | instskip(SKIP_1) | instid1(VALU_DEP_1)
	v_fmac_f32_e32 v121, v120, v88
	s_waitcnt vmcnt(0)
	v_fmac_f32_e32 v121, v3, v89
	s_waitcnt lgkmcnt(0)
	s_delay_alu instid0(VALU_DEP_1) | instskip(NEXT) | instid1(VALU_DEP_1)
	v_fmac_f32_e32 v121, v4, v90
	v_sub_f32_e32 v3, v85, v121
	scratch_store_b32 off, v3, off offset:8
	v_cmpx_lt_u32_e32 1, v0
	s_cbranch_execz .LBB39_245
; %bb.244:
	scratch_load_b32 v3, off, off offset:4
	scratch_store_b32 off, v2, off offset:4
	s_waitcnt vmcnt(0)
	ds_store_b32 v1, v3
.LBB39_245:
	s_or_b32 exec_lo, exec_lo, s0
	s_waitcnt lgkmcnt(0)
	s_waitcnt_vscnt null, 0x0
	s_barrier
	buffer_gl0_inv
	s_clause 0x9
	scratch_load_b128 v[85:88], off, off offset:4
	scratch_load_b128 v[89:92], off, off offset:20
	;; [unrolled: 1-line block ×9, first 2 shown]
	scratch_load_b96 v[129:131], off, off offset:148
	ds_load_2addr_b64 v[121:124], v2 offset0:21 offset1:22
	ds_load_2addr_b64 v[125:128], v2 offset0:23 offset1:24
	s_mov_b32 s0, exec_lo
	s_waitcnt vmcnt(9) lgkmcnt(1)
	v_fma_f32 v4, v86, v121, 0
	s_delay_alu instid0(VALU_DEP_1) | instskip(NEXT) | instid1(VALU_DEP_1)
	v_fmac_f32_e32 v4, v87, v122
	v_fmac_f32_e32 v4, v88, v123
	s_waitcnt vmcnt(8)
	s_delay_alu instid0(VALU_DEP_1) | instskip(SKIP_3) | instid1(VALU_DEP_1)
	v_fmac_f32_e32 v4, v89, v124
	ds_load_2addr_b64 v[86:89], v2 offset0:25 offset1:26
	s_waitcnt lgkmcnt(1)
	v_fmac_f32_e32 v4, v90, v125
	v_fmac_f32_e32 v4, v91, v126
	s_delay_alu instid0(VALU_DEP_1) | instskip(SKIP_1) | instid1(VALU_DEP_1)
	v_fmac_f32_e32 v4, v92, v127
	s_waitcnt vmcnt(7)
	v_fmac_f32_e32 v4, v93, v128
	ds_load_2addr_b64 v[90:93], v2 offset0:27 offset1:28
	s_waitcnt lgkmcnt(1)
	v_fmac_f32_e32 v4, v94, v86
	s_delay_alu instid0(VALU_DEP_1) | instskip(NEXT) | instid1(VALU_DEP_1)
	v_fmac_f32_e32 v4, v95, v87
	v_fmac_f32_e32 v4, v96, v88
	s_waitcnt vmcnt(6)
	s_delay_alu instid0(VALU_DEP_1) | instskip(SKIP_3) | instid1(VALU_DEP_1)
	v_fmac_f32_e32 v4, v97, v89
	ds_load_2addr_b64 v[86:89], v2 offset0:29 offset1:30
	s_waitcnt lgkmcnt(1)
	v_fmac_f32_e32 v4, v98, v90
	v_fmac_f32_e32 v4, v99, v91
	s_delay_alu instid0(VALU_DEP_1) | instskip(SKIP_1) | instid1(VALU_DEP_1)
	v_fmac_f32_e32 v4, v100, v92
	s_waitcnt vmcnt(5)
	v_fmac_f32_e32 v4, v101, v93
	ds_load_2addr_b64 v[90:93], v2 offset0:31 offset1:32
	s_waitcnt lgkmcnt(1)
	v_fmac_f32_e32 v4, v102, v86
	;; [unrolled: 17-line block ×3, first 2 shown]
	s_delay_alu instid0(VALU_DEP_1) | instskip(NEXT) | instid1(VALU_DEP_1)
	v_fmac_f32_e32 v4, v111, v87
	v_fmac_f32_e32 v4, v112, v88
	s_waitcnt vmcnt(2)
	s_delay_alu instid0(VALU_DEP_1) | instskip(SKIP_4) | instid1(VALU_DEP_1)
	v_fmac_f32_e32 v4, v113, v89
	ds_load_2addr_b64 v[86:89], v2 offset0:37 offset1:38
	ds_load_b64 v[2:3], v2 offset:312
	s_waitcnt lgkmcnt(2)
	v_fmac_f32_e32 v4, v114, v90
	v_fmac_f32_e32 v4, v115, v91
	s_delay_alu instid0(VALU_DEP_1) | instskip(SKIP_1) | instid1(VALU_DEP_1)
	v_fmac_f32_e32 v4, v116, v92
	s_waitcnt vmcnt(1)
	v_fmac_f32_e32 v4, v117, v93
	s_waitcnt lgkmcnt(1)
	s_delay_alu instid0(VALU_DEP_1) | instskip(NEXT) | instid1(VALU_DEP_1)
	v_fmac_f32_e32 v4, v118, v86
	v_fmac_f32_e32 v4, v119, v87
	s_delay_alu instid0(VALU_DEP_1) | instskip(SKIP_1) | instid1(VALU_DEP_1)
	v_fmac_f32_e32 v4, v120, v88
	s_waitcnt vmcnt(0)
	v_fmac_f32_e32 v4, v129, v89
	s_waitcnt lgkmcnt(0)
	s_delay_alu instid0(VALU_DEP_1) | instskip(NEXT) | instid1(VALU_DEP_1)
	v_fmac_f32_e32 v4, v130, v2
	v_fmac_f32_e32 v4, v131, v3
	s_delay_alu instid0(VALU_DEP_1)
	v_sub_f32_e32 v2, v85, v4
	scratch_store_b32 off, v2, off offset:4
	v_cmpx_ne_u32_e32 0, v0
	s_cbranch_execz .LBB39_247
; %bb.246:
	scratch_load_b32 v0, off, off
	v_mov_b32_e32 v2, 0
	scratch_store_b32 off, v2, off
	s_waitcnt vmcnt(0)
	ds_store_b32 v1, v0
.LBB39_247:
	s_or_b32 exec_lo, exec_lo, s0
	s_waitcnt lgkmcnt(0)
	s_waitcnt_vscnt null, 0x0
	s_barrier
	buffer_gl0_inv
	s_clause 0x9
	scratch_load_b128 v[85:88], off, off
	scratch_load_b128 v[89:92], off, off offset:16
	scratch_load_b128 v[93:96], off, off offset:32
	scratch_load_b128 v[97:100], off, off offset:48
	scratch_load_b128 v[101:104], off, off offset:64
	scratch_load_b128 v[105:108], off, off offset:80
	scratch_load_b128 v[109:112], off, off offset:96
	scratch_load_b128 v[113:116], off, off offset:112
	scratch_load_b128 v[117:120], off, off offset:128
	scratch_load_b128 v[0:3], off, off offset:144
	v_mov_b32_e32 v4, 0
	ds_load_2addr_b32 v[121:122], v4 offset0:41 offset1:42
	ds_load_2addr_b32 v[123:124], v4 offset0:43 offset1:44
	;; [unrolled: 1-line block ×4, first 2 shown]
	s_and_b32 vcc_lo, exec_lo, s16
	s_waitcnt vmcnt(9) lgkmcnt(3)
	v_fma_f32 v121, v86, v121, 0
	s_delay_alu instid0(VALU_DEP_1) | instskip(SKIP_4) | instid1(VALU_DEP_1)
	v_fmac_f32_e32 v121, v87, v122
	ds_load_2addr_b32 v[86:87], v4 offset0:49 offset1:50
	s_waitcnt lgkmcnt(3)
	v_fmac_f32_e32 v121, v88, v123
	s_waitcnt vmcnt(8)
	v_fmac_f32_e32 v121, v89, v124
	ds_load_2addr_b32 v[88:89], v4 offset0:51 offset1:52
	s_waitcnt lgkmcnt(3)
	v_fmac_f32_e32 v121, v90, v125
	s_delay_alu instid0(VALU_DEP_1) | instskip(SKIP_1) | instid1(VALU_DEP_1)
	v_fmac_f32_e32 v121, v91, v126
	s_waitcnt lgkmcnt(2)
	v_fmac_f32_e32 v121, v92, v127
	s_waitcnt vmcnt(7)
	s_delay_alu instid0(VALU_DEP_1) | instskip(SKIP_4) | instid1(VALU_DEP_1)
	v_fmac_f32_e32 v121, v93, v128
	ds_load_2addr_b32 v[90:91], v4 offset0:53 offset1:54
	ds_load_2addr_b32 v[92:93], v4 offset0:55 offset1:56
	s_waitcnt lgkmcnt(3)
	v_fmac_f32_e32 v121, v94, v86
	v_fmac_f32_e32 v121, v95, v87
	ds_load_2addr_b32 v[86:87], v4 offset0:57 offset1:58
	s_waitcnt lgkmcnt(3)
	v_fmac_f32_e32 v121, v96, v88
	s_waitcnt vmcnt(6)
	s_delay_alu instid0(VALU_DEP_1) | instskip(SKIP_3) | instid1(VALU_DEP_1)
	v_fmac_f32_e32 v121, v97, v89
	ds_load_2addr_b32 v[88:89], v4 offset0:59 offset1:60
	s_waitcnt lgkmcnt(3)
	v_fmac_f32_e32 v121, v98, v90
	v_fmac_f32_e32 v121, v99, v91
	s_waitcnt lgkmcnt(2)
	s_delay_alu instid0(VALU_DEP_1) | instskip(SKIP_1) | instid1(VALU_DEP_1)
	v_fmac_f32_e32 v121, v100, v92
	s_waitcnt vmcnt(5)
	v_fmac_f32_e32 v121, v101, v93
	ds_load_2addr_b32 v[90:91], v4 offset0:61 offset1:62
	ds_load_2addr_b32 v[92:93], v4 offset0:63 offset1:64
	s_waitcnt lgkmcnt(3)
	v_fmac_f32_e32 v121, v102, v86
	s_delay_alu instid0(VALU_DEP_1) | instskip(SKIP_4) | instid1(VALU_DEP_1)
	v_fmac_f32_e32 v121, v103, v87
	ds_load_2addr_b32 v[86:87], v4 offset0:65 offset1:66
	s_waitcnt lgkmcnt(3)
	v_fmac_f32_e32 v121, v104, v88
	s_waitcnt vmcnt(4)
	v_fmac_f32_e32 v121, v105, v89
	ds_load_2addr_b32 v[88:89], v4 offset0:67 offset1:68
	s_waitcnt lgkmcnt(3)
	v_fmac_f32_e32 v121, v106, v90
	s_delay_alu instid0(VALU_DEP_1) | instskip(SKIP_1) | instid1(VALU_DEP_1)
	v_fmac_f32_e32 v121, v107, v91
	s_waitcnt lgkmcnt(2)
	v_fmac_f32_e32 v121, v108, v92
	s_waitcnt vmcnt(3)
	s_delay_alu instid0(VALU_DEP_1) | instskip(SKIP_4) | instid1(VALU_DEP_1)
	v_fmac_f32_e32 v121, v109, v93
	ds_load_2addr_b32 v[90:91], v4 offset0:69 offset1:70
	ds_load_2addr_b32 v[92:93], v4 offset0:71 offset1:72
	s_waitcnt lgkmcnt(3)
	v_fmac_f32_e32 v121, v110, v86
	v_fmac_f32_e32 v121, v111, v87
	ds_load_2addr_b32 v[86:87], v4 offset0:73 offset1:74
	s_waitcnt lgkmcnt(3)
	v_fmac_f32_e32 v121, v112, v88
	s_waitcnt vmcnt(2)
	s_delay_alu instid0(VALU_DEP_1) | instskip(SKIP_3) | instid1(VALU_DEP_1)
	v_fmac_f32_e32 v121, v113, v89
	ds_load_2addr_b32 v[88:89], v4 offset0:75 offset1:76
	s_waitcnt lgkmcnt(3)
	v_fmac_f32_e32 v121, v114, v90
	v_fmac_f32_e32 v121, v115, v91
	ds_load_2addr_b32 v[90:91], v4 offset0:77 offset1:78
	ds_load_b32 v4, v4 offset:316
	s_waitcnt lgkmcnt(4)
	v_fmac_f32_e32 v121, v116, v92
	s_waitcnt vmcnt(1)
	s_delay_alu instid0(VALU_DEP_1) | instskip(SKIP_1) | instid1(VALU_DEP_1)
	v_fmac_f32_e32 v121, v117, v93
	s_waitcnt lgkmcnt(3)
	v_fmac_f32_e32 v121, v118, v86
	s_delay_alu instid0(VALU_DEP_1) | instskip(SKIP_1) | instid1(VALU_DEP_1)
	v_fmac_f32_e32 v121, v119, v87
	s_waitcnt lgkmcnt(2)
	v_fmac_f32_e32 v121, v120, v88
	s_waitcnt vmcnt(0)
	s_delay_alu instid0(VALU_DEP_1) | instskip(SKIP_1) | instid1(VALU_DEP_1)
	v_fmac_f32_e32 v121, v0, v89
	s_waitcnt lgkmcnt(1)
	v_fmac_f32_e32 v121, v1, v90
	s_delay_alu instid0(VALU_DEP_1) | instskip(SKIP_1) | instid1(VALU_DEP_1)
	v_fmac_f32_e32 v121, v2, v91
	s_waitcnt lgkmcnt(0)
	v_fmac_f32_e32 v121, v3, v4
	s_delay_alu instid0(VALU_DEP_1)
	v_sub_f32_e32 v0, v85, v121
	scratch_store_b32 off, v0, off
	s_cbranch_vccz .LBB39_327
; %bb.248:
	v_dual_mov_b32 v0, s12 :: v_dual_mov_b32 v1, s13
	s_mov_b32 s0, exec_lo
	flat_load_b32 v0, v[0:1] offset:152
	s_waitcnt vmcnt(0) lgkmcnt(0)
	v_cmpx_ne_u32_e32 39, v0
	s_cbranch_execz .LBB39_250
; %bb.249:
	v_lshl_add_u32 v0, v0, 2, 0
	scratch_load_b32 v1, v0, off offset:-4
	s_waitcnt vmcnt(0)
	scratch_store_b32 off, v1, off offset:152
	scratch_store_b32 v0, v2, off offset:-4
.LBB39_250:
	s_or_b32 exec_lo, exec_lo, s0
	v_dual_mov_b32 v0, s12 :: v_dual_mov_b32 v1, s13
	s_mov_b32 s0, exec_lo
	flat_load_b32 v0, v[0:1] offset:148
	s_waitcnt vmcnt(0) lgkmcnt(0)
	v_cmpx_ne_u32_e32 38, v0
	s_cbranch_execz .LBB39_252
; %bb.251:
	v_lshl_add_u32 v0, v0, 2, 0
	scratch_load_b32 v1, v0, off offset:-4
	scratch_load_b32 v2, off, off offset:148
	s_waitcnt vmcnt(1)
	scratch_store_b32 off, v1, off offset:148
	s_waitcnt vmcnt(0)
	scratch_store_b32 v0, v2, off offset:-4
.LBB39_252:
	s_or_b32 exec_lo, exec_lo, s0
	v_dual_mov_b32 v0, s12 :: v_dual_mov_b32 v1, s13
	s_mov_b32 s0, exec_lo
	flat_load_b32 v0, v[0:1] offset:144
	s_waitcnt vmcnt(0) lgkmcnt(0)
	v_cmpx_ne_u32_e32 37, v0
	s_cbranch_execz .LBB39_254
; %bb.253:
	v_lshl_add_u32 v0, v0, 2, 0
	scratch_load_b32 v1, v0, off offset:-4
	scratch_load_b32 v2, off, off offset:144
	s_waitcnt vmcnt(1)
	scratch_store_b32 off, v1, off offset:144
	s_waitcnt vmcnt(0)
	scratch_store_b32 v0, v2, off offset:-4
.LBB39_254:
	s_or_b32 exec_lo, exec_lo, s0
	v_dual_mov_b32 v0, s12 :: v_dual_mov_b32 v1, s13
	s_mov_b32 s0, exec_lo
	flat_load_b32 v0, v[0:1] offset:140
	s_waitcnt vmcnt(0) lgkmcnt(0)
	v_cmpx_ne_u32_e32 36, v0
	s_cbranch_execz .LBB39_256
; %bb.255:
	v_lshl_add_u32 v0, v0, 2, 0
	scratch_load_b32 v1, v0, off offset:-4
	scratch_load_b32 v2, off, off offset:140
	s_waitcnt vmcnt(1)
	scratch_store_b32 off, v1, off offset:140
	s_waitcnt vmcnt(0)
	scratch_store_b32 v0, v2, off offset:-4
.LBB39_256:
	s_or_b32 exec_lo, exec_lo, s0
	v_dual_mov_b32 v0, s12 :: v_dual_mov_b32 v1, s13
	s_mov_b32 s0, exec_lo
	flat_load_b32 v0, v[0:1] offset:136
	s_waitcnt vmcnt(0) lgkmcnt(0)
	v_cmpx_ne_u32_e32 35, v0
	s_cbranch_execz .LBB39_258
; %bb.257:
	v_lshl_add_u32 v0, v0, 2, 0
	scratch_load_b32 v1, v0, off offset:-4
	scratch_load_b32 v2, off, off offset:136
	s_waitcnt vmcnt(1)
	scratch_store_b32 off, v1, off offset:136
	s_waitcnt vmcnt(0)
	scratch_store_b32 v0, v2, off offset:-4
.LBB39_258:
	s_or_b32 exec_lo, exec_lo, s0
	v_dual_mov_b32 v0, s12 :: v_dual_mov_b32 v1, s13
	s_mov_b32 s0, exec_lo
	flat_load_b32 v0, v[0:1] offset:132
	s_waitcnt vmcnt(0) lgkmcnt(0)
	v_cmpx_ne_u32_e32 34, v0
	s_cbranch_execz .LBB39_260
; %bb.259:
	v_lshl_add_u32 v0, v0, 2, 0
	scratch_load_b32 v1, v0, off offset:-4
	scratch_load_b32 v2, off, off offset:132
	s_waitcnt vmcnt(1)
	scratch_store_b32 off, v1, off offset:132
	s_waitcnt vmcnt(0)
	scratch_store_b32 v0, v2, off offset:-4
.LBB39_260:
	s_or_b32 exec_lo, exec_lo, s0
	v_dual_mov_b32 v0, s12 :: v_dual_mov_b32 v1, s13
	s_mov_b32 s0, exec_lo
	flat_load_b32 v0, v[0:1] offset:128
	s_waitcnt vmcnt(0) lgkmcnt(0)
	v_cmpx_ne_u32_e32 33, v0
	s_cbranch_execz .LBB39_262
; %bb.261:
	v_lshl_add_u32 v0, v0, 2, 0
	scratch_load_b32 v1, v0, off offset:-4
	scratch_load_b32 v2, off, off offset:128
	s_waitcnt vmcnt(1)
	scratch_store_b32 off, v1, off offset:128
	s_waitcnt vmcnt(0)
	scratch_store_b32 v0, v2, off offset:-4
.LBB39_262:
	s_or_b32 exec_lo, exec_lo, s0
	v_dual_mov_b32 v0, s12 :: v_dual_mov_b32 v1, s13
	s_mov_b32 s0, exec_lo
	flat_load_b32 v0, v[0:1] offset:124
	s_waitcnt vmcnt(0) lgkmcnt(0)
	v_cmpx_ne_u32_e32 32, v0
	s_cbranch_execz .LBB39_264
; %bb.263:
	v_lshl_add_u32 v0, v0, 2, 0
	scratch_load_b32 v1, v0, off offset:-4
	scratch_load_b32 v2, off, off offset:124
	s_waitcnt vmcnt(1)
	scratch_store_b32 off, v1, off offset:124
	s_waitcnt vmcnt(0)
	scratch_store_b32 v0, v2, off offset:-4
.LBB39_264:
	s_or_b32 exec_lo, exec_lo, s0
	v_dual_mov_b32 v0, s12 :: v_dual_mov_b32 v1, s13
	s_mov_b32 s0, exec_lo
	flat_load_b32 v0, v[0:1] offset:120
	s_waitcnt vmcnt(0) lgkmcnt(0)
	v_cmpx_ne_u32_e32 31, v0
	s_cbranch_execz .LBB39_266
; %bb.265:
	v_lshl_add_u32 v0, v0, 2, 0
	scratch_load_b32 v1, v0, off offset:-4
	scratch_load_b32 v2, off, off offset:120
	s_waitcnt vmcnt(1)
	scratch_store_b32 off, v1, off offset:120
	s_waitcnt vmcnt(0)
	scratch_store_b32 v0, v2, off offset:-4
.LBB39_266:
	s_or_b32 exec_lo, exec_lo, s0
	v_dual_mov_b32 v0, s12 :: v_dual_mov_b32 v1, s13
	s_mov_b32 s0, exec_lo
	flat_load_b32 v0, v[0:1] offset:116
	s_waitcnt vmcnt(0) lgkmcnt(0)
	v_cmpx_ne_u32_e32 30, v0
	s_cbranch_execz .LBB39_268
; %bb.267:
	v_lshl_add_u32 v0, v0, 2, 0
	scratch_load_b32 v1, v0, off offset:-4
	scratch_load_b32 v2, off, off offset:116
	s_waitcnt vmcnt(1)
	scratch_store_b32 off, v1, off offset:116
	s_waitcnt vmcnt(0)
	scratch_store_b32 v0, v2, off offset:-4
.LBB39_268:
	s_or_b32 exec_lo, exec_lo, s0
	v_dual_mov_b32 v0, s12 :: v_dual_mov_b32 v1, s13
	s_mov_b32 s0, exec_lo
	flat_load_b32 v0, v[0:1] offset:112
	s_waitcnt vmcnt(0) lgkmcnt(0)
	v_cmpx_ne_u32_e32 29, v0
	s_cbranch_execz .LBB39_270
; %bb.269:
	v_lshl_add_u32 v0, v0, 2, 0
	scratch_load_b32 v1, v0, off offset:-4
	scratch_load_b32 v2, off, off offset:112
	s_waitcnt vmcnt(1)
	scratch_store_b32 off, v1, off offset:112
	s_waitcnt vmcnt(0)
	scratch_store_b32 v0, v2, off offset:-4
.LBB39_270:
	s_or_b32 exec_lo, exec_lo, s0
	v_dual_mov_b32 v0, s12 :: v_dual_mov_b32 v1, s13
	s_mov_b32 s0, exec_lo
	flat_load_b32 v0, v[0:1] offset:108
	s_waitcnt vmcnt(0) lgkmcnt(0)
	v_cmpx_ne_u32_e32 28, v0
	s_cbranch_execz .LBB39_272
; %bb.271:
	v_lshl_add_u32 v0, v0, 2, 0
	scratch_load_b32 v1, v0, off offset:-4
	scratch_load_b32 v2, off, off offset:108
	s_waitcnt vmcnt(1)
	scratch_store_b32 off, v1, off offset:108
	s_waitcnt vmcnt(0)
	scratch_store_b32 v0, v2, off offset:-4
.LBB39_272:
	s_or_b32 exec_lo, exec_lo, s0
	v_dual_mov_b32 v0, s12 :: v_dual_mov_b32 v1, s13
	s_mov_b32 s0, exec_lo
	flat_load_b32 v0, v[0:1] offset:104
	s_waitcnt vmcnt(0) lgkmcnt(0)
	v_cmpx_ne_u32_e32 27, v0
	s_cbranch_execz .LBB39_274
; %bb.273:
	v_lshl_add_u32 v0, v0, 2, 0
	scratch_load_b32 v1, v0, off offset:-4
	scratch_load_b32 v2, off, off offset:104
	s_waitcnt vmcnt(1)
	scratch_store_b32 off, v1, off offset:104
	s_waitcnt vmcnt(0)
	scratch_store_b32 v0, v2, off offset:-4
.LBB39_274:
	s_or_b32 exec_lo, exec_lo, s0
	v_dual_mov_b32 v0, s12 :: v_dual_mov_b32 v1, s13
	s_mov_b32 s0, exec_lo
	flat_load_b32 v0, v[0:1] offset:100
	s_waitcnt vmcnt(0) lgkmcnt(0)
	v_cmpx_ne_u32_e32 26, v0
	s_cbranch_execz .LBB39_276
; %bb.275:
	v_lshl_add_u32 v0, v0, 2, 0
	scratch_load_b32 v1, v0, off offset:-4
	scratch_load_b32 v2, off, off offset:100
	s_waitcnt vmcnt(1)
	scratch_store_b32 off, v1, off offset:100
	s_waitcnt vmcnt(0)
	scratch_store_b32 v0, v2, off offset:-4
.LBB39_276:
	s_or_b32 exec_lo, exec_lo, s0
	v_dual_mov_b32 v0, s12 :: v_dual_mov_b32 v1, s13
	s_mov_b32 s0, exec_lo
	flat_load_b32 v0, v[0:1] offset:96
	s_waitcnt vmcnt(0) lgkmcnt(0)
	v_cmpx_ne_u32_e32 25, v0
	s_cbranch_execz .LBB39_278
; %bb.277:
	v_lshl_add_u32 v0, v0, 2, 0
	scratch_load_b32 v1, v0, off offset:-4
	scratch_load_b32 v2, off, off offset:96
	s_waitcnt vmcnt(1)
	scratch_store_b32 off, v1, off offset:96
	s_waitcnt vmcnt(0)
	scratch_store_b32 v0, v2, off offset:-4
.LBB39_278:
	s_or_b32 exec_lo, exec_lo, s0
	v_dual_mov_b32 v0, s12 :: v_dual_mov_b32 v1, s13
	s_mov_b32 s0, exec_lo
	flat_load_b32 v0, v[0:1] offset:92
	s_waitcnt vmcnt(0) lgkmcnt(0)
	v_cmpx_ne_u32_e32 24, v0
	s_cbranch_execz .LBB39_280
; %bb.279:
	v_lshl_add_u32 v0, v0, 2, 0
	scratch_load_b32 v1, v0, off offset:-4
	scratch_load_b32 v2, off, off offset:92
	s_waitcnt vmcnt(1)
	scratch_store_b32 off, v1, off offset:92
	s_waitcnt vmcnt(0)
	scratch_store_b32 v0, v2, off offset:-4
.LBB39_280:
	s_or_b32 exec_lo, exec_lo, s0
	v_dual_mov_b32 v0, s12 :: v_dual_mov_b32 v1, s13
	s_mov_b32 s0, exec_lo
	flat_load_b32 v0, v[0:1] offset:88
	s_waitcnt vmcnt(0) lgkmcnt(0)
	v_cmpx_ne_u32_e32 23, v0
	s_cbranch_execz .LBB39_282
; %bb.281:
	v_lshl_add_u32 v0, v0, 2, 0
	scratch_load_b32 v1, v0, off offset:-4
	scratch_load_b32 v2, off, off offset:88
	s_waitcnt vmcnt(1)
	scratch_store_b32 off, v1, off offset:88
	s_waitcnt vmcnt(0)
	scratch_store_b32 v0, v2, off offset:-4
.LBB39_282:
	s_or_b32 exec_lo, exec_lo, s0
	v_dual_mov_b32 v0, s12 :: v_dual_mov_b32 v1, s13
	s_mov_b32 s0, exec_lo
	flat_load_b32 v0, v[0:1] offset:84
	s_waitcnt vmcnt(0) lgkmcnt(0)
	v_cmpx_ne_u32_e32 22, v0
	s_cbranch_execz .LBB39_284
; %bb.283:
	v_lshl_add_u32 v0, v0, 2, 0
	scratch_load_b32 v1, v0, off offset:-4
	scratch_load_b32 v2, off, off offset:84
	s_waitcnt vmcnt(1)
	scratch_store_b32 off, v1, off offset:84
	s_waitcnt vmcnt(0)
	scratch_store_b32 v0, v2, off offset:-4
.LBB39_284:
	s_or_b32 exec_lo, exec_lo, s0
	v_dual_mov_b32 v0, s12 :: v_dual_mov_b32 v1, s13
	s_mov_b32 s0, exec_lo
	flat_load_b32 v0, v[0:1] offset:80
	s_waitcnt vmcnt(0) lgkmcnt(0)
	v_cmpx_ne_u32_e32 21, v0
	s_cbranch_execz .LBB39_286
; %bb.285:
	v_lshl_add_u32 v0, v0, 2, 0
	scratch_load_b32 v1, v0, off offset:-4
	scratch_load_b32 v2, off, off offset:80
	s_waitcnt vmcnt(1)
	scratch_store_b32 off, v1, off offset:80
	s_waitcnt vmcnt(0)
	scratch_store_b32 v0, v2, off offset:-4
.LBB39_286:
	s_or_b32 exec_lo, exec_lo, s0
	v_dual_mov_b32 v0, s12 :: v_dual_mov_b32 v1, s13
	s_mov_b32 s0, exec_lo
	flat_load_b32 v0, v[0:1] offset:76
	s_waitcnt vmcnt(0) lgkmcnt(0)
	v_cmpx_ne_u32_e32 20, v0
	s_cbranch_execz .LBB39_288
; %bb.287:
	v_lshl_add_u32 v0, v0, 2, 0
	scratch_load_b32 v1, v0, off offset:-4
	scratch_load_b32 v2, off, off offset:76
	s_waitcnt vmcnt(1)
	scratch_store_b32 off, v1, off offset:76
	s_waitcnt vmcnt(0)
	scratch_store_b32 v0, v2, off offset:-4
.LBB39_288:
	s_or_b32 exec_lo, exec_lo, s0
	v_dual_mov_b32 v0, s12 :: v_dual_mov_b32 v1, s13
	s_mov_b32 s0, exec_lo
	flat_load_b32 v0, v[0:1] offset:72
	s_waitcnt vmcnt(0) lgkmcnt(0)
	v_cmpx_ne_u32_e32 19, v0
	s_cbranch_execz .LBB39_290
; %bb.289:
	v_lshl_add_u32 v0, v0, 2, 0
	scratch_load_b32 v1, v0, off offset:-4
	scratch_load_b32 v2, off, off offset:72
	s_waitcnt vmcnt(1)
	scratch_store_b32 off, v1, off offset:72
	s_waitcnt vmcnt(0)
	scratch_store_b32 v0, v2, off offset:-4
.LBB39_290:
	s_or_b32 exec_lo, exec_lo, s0
	v_dual_mov_b32 v0, s12 :: v_dual_mov_b32 v1, s13
	s_mov_b32 s0, exec_lo
	flat_load_b32 v0, v[0:1] offset:68
	s_waitcnt vmcnt(0) lgkmcnt(0)
	v_cmpx_ne_u32_e32 18, v0
	s_cbranch_execz .LBB39_292
; %bb.291:
	v_lshl_add_u32 v0, v0, 2, 0
	scratch_load_b32 v1, v0, off offset:-4
	scratch_load_b32 v2, off, off offset:68
	s_waitcnt vmcnt(1)
	scratch_store_b32 off, v1, off offset:68
	s_waitcnt vmcnt(0)
	scratch_store_b32 v0, v2, off offset:-4
.LBB39_292:
	s_or_b32 exec_lo, exec_lo, s0
	v_dual_mov_b32 v0, s12 :: v_dual_mov_b32 v1, s13
	s_mov_b32 s0, exec_lo
	flat_load_b32 v0, v[0:1] offset:64
	s_waitcnt vmcnt(0) lgkmcnt(0)
	v_cmpx_ne_u32_e32 17, v0
	s_cbranch_execz .LBB39_294
; %bb.293:
	v_lshl_add_u32 v0, v0, 2, 0
	scratch_load_b32 v1, v0, off offset:-4
	scratch_load_b32 v2, off, off offset:64
	s_waitcnt vmcnt(1)
	scratch_store_b32 off, v1, off offset:64
	s_waitcnt vmcnt(0)
	scratch_store_b32 v0, v2, off offset:-4
.LBB39_294:
	s_or_b32 exec_lo, exec_lo, s0
	v_dual_mov_b32 v0, s12 :: v_dual_mov_b32 v1, s13
	s_mov_b32 s0, exec_lo
	flat_load_b32 v0, v[0:1] offset:60
	s_waitcnt vmcnt(0) lgkmcnt(0)
	v_cmpx_ne_u32_e32 16, v0
	s_cbranch_execz .LBB39_296
; %bb.295:
	v_lshl_add_u32 v0, v0, 2, 0
	scratch_load_b32 v1, v0, off offset:-4
	scratch_load_b32 v2, off, off offset:60
	s_waitcnt vmcnt(1)
	scratch_store_b32 off, v1, off offset:60
	s_waitcnt vmcnt(0)
	scratch_store_b32 v0, v2, off offset:-4
.LBB39_296:
	s_or_b32 exec_lo, exec_lo, s0
	v_dual_mov_b32 v0, s12 :: v_dual_mov_b32 v1, s13
	s_mov_b32 s0, exec_lo
	flat_load_b32 v0, v[0:1] offset:56
	s_waitcnt vmcnt(0) lgkmcnt(0)
	v_cmpx_ne_u32_e32 15, v0
	s_cbranch_execz .LBB39_298
; %bb.297:
	v_lshl_add_u32 v0, v0, 2, 0
	scratch_load_b32 v1, v0, off offset:-4
	scratch_load_b32 v2, off, off offset:56
	s_waitcnt vmcnt(1)
	scratch_store_b32 off, v1, off offset:56
	s_waitcnt vmcnt(0)
	scratch_store_b32 v0, v2, off offset:-4
.LBB39_298:
	s_or_b32 exec_lo, exec_lo, s0
	v_dual_mov_b32 v0, s12 :: v_dual_mov_b32 v1, s13
	s_mov_b32 s0, exec_lo
	flat_load_b32 v0, v[0:1] offset:52
	s_waitcnt vmcnt(0) lgkmcnt(0)
	v_cmpx_ne_u32_e32 14, v0
	s_cbranch_execz .LBB39_300
; %bb.299:
	v_lshl_add_u32 v0, v0, 2, 0
	scratch_load_b32 v1, v0, off offset:-4
	scratch_load_b32 v2, off, off offset:52
	s_waitcnt vmcnt(1)
	scratch_store_b32 off, v1, off offset:52
	s_waitcnt vmcnt(0)
	scratch_store_b32 v0, v2, off offset:-4
.LBB39_300:
	s_or_b32 exec_lo, exec_lo, s0
	v_dual_mov_b32 v0, s12 :: v_dual_mov_b32 v1, s13
	s_mov_b32 s0, exec_lo
	flat_load_b32 v0, v[0:1] offset:48
	s_waitcnt vmcnt(0) lgkmcnt(0)
	v_cmpx_ne_u32_e32 13, v0
	s_cbranch_execz .LBB39_302
; %bb.301:
	v_lshl_add_u32 v0, v0, 2, 0
	scratch_load_b32 v1, v0, off offset:-4
	scratch_load_b32 v2, off, off offset:48
	s_waitcnt vmcnt(1)
	scratch_store_b32 off, v1, off offset:48
	s_waitcnt vmcnt(0)
	scratch_store_b32 v0, v2, off offset:-4
.LBB39_302:
	s_or_b32 exec_lo, exec_lo, s0
	v_dual_mov_b32 v0, s12 :: v_dual_mov_b32 v1, s13
	s_mov_b32 s0, exec_lo
	flat_load_b32 v0, v[0:1] offset:44
	s_waitcnt vmcnt(0) lgkmcnt(0)
	v_cmpx_ne_u32_e32 12, v0
	s_cbranch_execz .LBB39_304
; %bb.303:
	v_lshl_add_u32 v0, v0, 2, 0
	scratch_load_b32 v1, v0, off offset:-4
	scratch_load_b32 v2, off, off offset:44
	s_waitcnt vmcnt(1)
	scratch_store_b32 off, v1, off offset:44
	s_waitcnt vmcnt(0)
	scratch_store_b32 v0, v2, off offset:-4
.LBB39_304:
	s_or_b32 exec_lo, exec_lo, s0
	v_dual_mov_b32 v0, s12 :: v_dual_mov_b32 v1, s13
	s_mov_b32 s0, exec_lo
	flat_load_b32 v0, v[0:1] offset:40
	s_waitcnt vmcnt(0) lgkmcnt(0)
	v_cmpx_ne_u32_e32 11, v0
	s_cbranch_execz .LBB39_306
; %bb.305:
	v_lshl_add_u32 v0, v0, 2, 0
	scratch_load_b32 v1, v0, off offset:-4
	scratch_load_b32 v2, off, off offset:40
	s_waitcnt vmcnt(1)
	scratch_store_b32 off, v1, off offset:40
	s_waitcnt vmcnt(0)
	scratch_store_b32 v0, v2, off offset:-4
.LBB39_306:
	s_or_b32 exec_lo, exec_lo, s0
	v_dual_mov_b32 v0, s12 :: v_dual_mov_b32 v1, s13
	s_mov_b32 s0, exec_lo
	flat_load_b32 v0, v[0:1] offset:36
	s_waitcnt vmcnt(0) lgkmcnt(0)
	v_cmpx_ne_u32_e32 10, v0
	s_cbranch_execz .LBB39_308
; %bb.307:
	v_lshl_add_u32 v0, v0, 2, 0
	scratch_load_b32 v1, v0, off offset:-4
	scratch_load_b32 v2, off, off offset:36
	s_waitcnt vmcnt(1)
	scratch_store_b32 off, v1, off offset:36
	s_waitcnt vmcnt(0)
	scratch_store_b32 v0, v2, off offset:-4
.LBB39_308:
	s_or_b32 exec_lo, exec_lo, s0
	v_dual_mov_b32 v0, s12 :: v_dual_mov_b32 v1, s13
	s_mov_b32 s0, exec_lo
	flat_load_b32 v0, v[0:1] offset:32
	s_waitcnt vmcnt(0) lgkmcnt(0)
	v_cmpx_ne_u32_e32 9, v0
	s_cbranch_execz .LBB39_310
; %bb.309:
	v_lshl_add_u32 v0, v0, 2, 0
	scratch_load_b32 v1, v0, off offset:-4
	scratch_load_b32 v2, off, off offset:32
	s_waitcnt vmcnt(1)
	scratch_store_b32 off, v1, off offset:32
	s_waitcnt vmcnt(0)
	scratch_store_b32 v0, v2, off offset:-4
.LBB39_310:
	s_or_b32 exec_lo, exec_lo, s0
	v_dual_mov_b32 v0, s12 :: v_dual_mov_b32 v1, s13
	s_mov_b32 s0, exec_lo
	flat_load_b32 v0, v[0:1] offset:28
	s_waitcnt vmcnt(0) lgkmcnt(0)
	v_cmpx_ne_u32_e32 8, v0
	s_cbranch_execz .LBB39_312
; %bb.311:
	v_lshl_add_u32 v0, v0, 2, 0
	scratch_load_b32 v1, v0, off offset:-4
	scratch_load_b32 v2, off, off offset:28
	s_waitcnt vmcnt(1)
	scratch_store_b32 off, v1, off offset:28
	s_waitcnt vmcnt(0)
	scratch_store_b32 v0, v2, off offset:-4
.LBB39_312:
	s_or_b32 exec_lo, exec_lo, s0
	v_dual_mov_b32 v0, s12 :: v_dual_mov_b32 v1, s13
	s_mov_b32 s0, exec_lo
	flat_load_b32 v0, v[0:1] offset:24
	s_waitcnt vmcnt(0) lgkmcnt(0)
	v_cmpx_ne_u32_e32 7, v0
	s_cbranch_execz .LBB39_314
; %bb.313:
	v_lshl_add_u32 v0, v0, 2, 0
	scratch_load_b32 v1, v0, off offset:-4
	scratch_load_b32 v2, off, off offset:24
	s_waitcnt vmcnt(1)
	scratch_store_b32 off, v1, off offset:24
	s_waitcnt vmcnt(0)
	scratch_store_b32 v0, v2, off offset:-4
.LBB39_314:
	s_or_b32 exec_lo, exec_lo, s0
	v_dual_mov_b32 v0, s12 :: v_dual_mov_b32 v1, s13
	s_mov_b32 s0, exec_lo
	flat_load_b32 v0, v[0:1] offset:20
	s_waitcnt vmcnt(0) lgkmcnt(0)
	v_cmpx_ne_u32_e32 6, v0
	s_cbranch_execz .LBB39_316
; %bb.315:
	v_lshl_add_u32 v0, v0, 2, 0
	scratch_load_b32 v1, v0, off offset:-4
	scratch_load_b32 v2, off, off offset:20
	s_waitcnt vmcnt(1)
	scratch_store_b32 off, v1, off offset:20
	s_waitcnt vmcnt(0)
	scratch_store_b32 v0, v2, off offset:-4
.LBB39_316:
	s_or_b32 exec_lo, exec_lo, s0
	v_dual_mov_b32 v0, s12 :: v_dual_mov_b32 v1, s13
	s_mov_b32 s0, exec_lo
	flat_load_b32 v0, v[0:1] offset:16
	s_waitcnt vmcnt(0) lgkmcnt(0)
	v_cmpx_ne_u32_e32 5, v0
	s_cbranch_execz .LBB39_318
; %bb.317:
	v_lshl_add_u32 v0, v0, 2, 0
	scratch_load_b32 v1, v0, off offset:-4
	scratch_load_b32 v2, off, off offset:16
	s_waitcnt vmcnt(1)
	scratch_store_b32 off, v1, off offset:16
	s_waitcnt vmcnt(0)
	scratch_store_b32 v0, v2, off offset:-4
.LBB39_318:
	s_or_b32 exec_lo, exec_lo, s0
	v_dual_mov_b32 v0, s12 :: v_dual_mov_b32 v1, s13
	s_mov_b32 s0, exec_lo
	flat_load_b32 v0, v[0:1] offset:12
	s_waitcnt vmcnt(0) lgkmcnt(0)
	v_cmpx_ne_u32_e32 4, v0
	s_cbranch_execz .LBB39_320
; %bb.319:
	v_lshl_add_u32 v0, v0, 2, 0
	scratch_load_b32 v1, v0, off offset:-4
	scratch_load_b32 v2, off, off offset:12
	s_waitcnt vmcnt(1)
	scratch_store_b32 off, v1, off offset:12
	s_waitcnt vmcnt(0)
	scratch_store_b32 v0, v2, off offset:-4
.LBB39_320:
	s_or_b32 exec_lo, exec_lo, s0
	v_dual_mov_b32 v0, s12 :: v_dual_mov_b32 v1, s13
	s_mov_b32 s0, exec_lo
	flat_load_b32 v0, v[0:1] offset:8
	s_waitcnt vmcnt(0) lgkmcnt(0)
	v_cmpx_ne_u32_e32 3, v0
	s_cbranch_execz .LBB39_322
; %bb.321:
	v_lshl_add_u32 v0, v0, 2, 0
	scratch_load_b32 v1, v0, off offset:-4
	scratch_load_b32 v2, off, off offset:8
	s_waitcnt vmcnt(1)
	scratch_store_b32 off, v1, off offset:8
	s_waitcnt vmcnt(0)
	scratch_store_b32 v0, v2, off offset:-4
.LBB39_322:
	s_or_b32 exec_lo, exec_lo, s0
	v_dual_mov_b32 v0, s12 :: v_dual_mov_b32 v1, s13
	s_mov_b32 s0, exec_lo
	flat_load_b32 v0, v[0:1] offset:4
	s_waitcnt vmcnt(0) lgkmcnt(0)
	v_cmpx_ne_u32_e32 2, v0
	s_cbranch_execz .LBB39_324
; %bb.323:
	v_lshl_add_u32 v0, v0, 2, 0
	scratch_load_b32 v1, v0, off offset:-4
	scratch_load_b32 v2, off, off offset:4
	s_waitcnt vmcnt(1)
	scratch_store_b32 off, v1, off offset:4
	s_waitcnt vmcnt(0)
	scratch_store_b32 v0, v2, off offset:-4
.LBB39_324:
	s_or_b32 exec_lo, exec_lo, s0
	v_dual_mov_b32 v0, s12 :: v_dual_mov_b32 v1, s13
	s_mov_b32 s0, exec_lo
	flat_load_b32 v1, v[0:1]
	scratch_load_b32 v0, off, off
	s_waitcnt vmcnt(1) lgkmcnt(0)
	v_cmpx_ne_u32_e32 1, v1
	s_cbranch_execz .LBB39_326
; %bb.325:
	v_lshl_add_u32 v1, v1, 2, 0
	scratch_load_b32 v2, v1, off offset:-4
	s_waitcnt vmcnt(0)
	scratch_store_b32 off, v2, off
	scratch_store_b32 v1, v0, off offset:-4
	scratch_load_b32 v0, off, off
.LBB39_326:
	s_or_b32 exec_lo, exec_lo, s0
.LBB39_327:
	s_clause 0x9
	scratch_load_b128 v[1:4], off, off offset:4
	scratch_load_b128 v[85:88], off, off offset:20
	;; [unrolled: 1-line block ×9, first 2 shown]
	scratch_load_b96 v[117:119], off, off offset:148
	s_waitcnt vmcnt(10)
	global_store_b32 v[5:6], v0, off
	s_waitcnt vmcnt(9)
	s_clause 0x3
	global_store_b32 v[7:8], v1, off
	global_store_b32 v[9:10], v2, off
	global_store_b32 v[11:12], v3, off
	global_store_b32 v[13:14], v4, off
	s_waitcnt vmcnt(8)
	s_clause 0x3
	global_store_b32 v[15:16], v85, off
	global_store_b32 v[17:18], v86, off
	global_store_b32 v[19:20], v87, off
	;; [unrolled: 6-line block ×10, first 2 shown]
	s_endpgm
	.section	.rodata,"a",@progbits
	.p2align	6, 0x0
	.amdhsa_kernel _ZN9rocsolver6v33100L18getri_kernel_smallILi40EfPfEEvT1_iilPiilS4_bb
		.amdhsa_group_segment_fixed_size 324
		.amdhsa_private_segment_fixed_size 176
		.amdhsa_kernarg_size 60
		.amdhsa_user_sgpr_count 15
		.amdhsa_user_sgpr_dispatch_ptr 0
		.amdhsa_user_sgpr_queue_ptr 0
		.amdhsa_user_sgpr_kernarg_segment_ptr 1
		.amdhsa_user_sgpr_dispatch_id 0
		.amdhsa_user_sgpr_private_segment_size 0
		.amdhsa_wavefront_size32 1
		.amdhsa_uses_dynamic_stack 0
		.amdhsa_enable_private_segment 1
		.amdhsa_system_sgpr_workgroup_id_x 1
		.amdhsa_system_sgpr_workgroup_id_y 0
		.amdhsa_system_sgpr_workgroup_id_z 0
		.amdhsa_system_sgpr_workgroup_info 0
		.amdhsa_system_vgpr_workitem_id 0
		.amdhsa_next_free_vgpr 132
		.amdhsa_next_free_sgpr 18
		.amdhsa_reserve_vcc 1
		.amdhsa_float_round_mode_32 0
		.amdhsa_float_round_mode_16_64 0
		.amdhsa_float_denorm_mode_32 3
		.amdhsa_float_denorm_mode_16_64 3
		.amdhsa_dx10_clamp 1
		.amdhsa_ieee_mode 1
		.amdhsa_fp16_overflow 0
		.amdhsa_workgroup_processor_mode 1
		.amdhsa_memory_ordered 1
		.amdhsa_forward_progress 0
		.amdhsa_shared_vgpr_count 0
		.amdhsa_exception_fp_ieee_invalid_op 0
		.amdhsa_exception_fp_denorm_src 0
		.amdhsa_exception_fp_ieee_div_zero 0
		.amdhsa_exception_fp_ieee_overflow 0
		.amdhsa_exception_fp_ieee_underflow 0
		.amdhsa_exception_fp_ieee_inexact 0
		.amdhsa_exception_int_div_zero 0
	.end_amdhsa_kernel
	.section	.text._ZN9rocsolver6v33100L18getri_kernel_smallILi40EfPfEEvT1_iilPiilS4_bb,"axG",@progbits,_ZN9rocsolver6v33100L18getri_kernel_smallILi40EfPfEEvT1_iilPiilS4_bb,comdat
.Lfunc_end39:
	.size	_ZN9rocsolver6v33100L18getri_kernel_smallILi40EfPfEEvT1_iilPiilS4_bb, .Lfunc_end39-_ZN9rocsolver6v33100L18getri_kernel_smallILi40EfPfEEvT1_iilPiilS4_bb
                                        ; -- End function
	.section	.AMDGPU.csdata,"",@progbits
; Kernel info:
; codeLenInByte = 27084
; NumSgprs: 20
; NumVgprs: 132
; ScratchSize: 176
; MemoryBound: 0
; FloatMode: 240
; IeeeMode: 1
; LDSByteSize: 324 bytes/workgroup (compile time only)
; SGPRBlocks: 2
; VGPRBlocks: 16
; NumSGPRsForWavesPerEU: 20
; NumVGPRsForWavesPerEU: 132
; Occupancy: 10
; WaveLimiterHint : 1
; COMPUTE_PGM_RSRC2:SCRATCH_EN: 1
; COMPUTE_PGM_RSRC2:USER_SGPR: 15
; COMPUTE_PGM_RSRC2:TRAP_HANDLER: 0
; COMPUTE_PGM_RSRC2:TGID_X_EN: 1
; COMPUTE_PGM_RSRC2:TGID_Y_EN: 0
; COMPUTE_PGM_RSRC2:TGID_Z_EN: 0
; COMPUTE_PGM_RSRC2:TIDIG_COMP_CNT: 0
	.section	.text._ZN9rocsolver6v33100L18getri_kernel_smallILi41EfPfEEvT1_iilPiilS4_bb,"axG",@progbits,_ZN9rocsolver6v33100L18getri_kernel_smallILi41EfPfEEvT1_iilPiilS4_bb,comdat
	.globl	_ZN9rocsolver6v33100L18getri_kernel_smallILi41EfPfEEvT1_iilPiilS4_bb ; -- Begin function _ZN9rocsolver6v33100L18getri_kernel_smallILi41EfPfEEvT1_iilPiilS4_bb
	.p2align	8
	.type	_ZN9rocsolver6v33100L18getri_kernel_smallILi41EfPfEEvT1_iilPiilS4_bb,@function
_ZN9rocsolver6v33100L18getri_kernel_smallILi41EfPfEEvT1_iilPiilS4_bb: ; @_ZN9rocsolver6v33100L18getri_kernel_smallILi41EfPfEEvT1_iilPiilS4_bb
; %bb.0:
	s_mov_b32 s2, exec_lo
	v_cmpx_gt_u32_e32 41, v0
	s_cbranch_execz .LBB40_172
; %bb.1:
	s_clause 0x2
	s_load_b32 s17, s[0:1], 0x38
	s_load_b128 s[8:11], s[0:1], 0x10
	s_load_b128 s[4:7], s[0:1], 0x28
	s_mov_b32 s14, s15
                                        ; implicit-def: $sgpr12_sgpr13
	s_waitcnt lgkmcnt(0)
	s_bitcmp1_b32 s17, 8
	s_cselect_b32 s16, -1, 0
	s_bfe_u32 s2, s17, 0x10008
	s_ashr_i32 s15, s15, 31
	s_cmp_eq_u32 s2, 0
	s_cbranch_scc1 .LBB40_3
; %bb.2:
	s_load_b32 s2, s[0:1], 0x20
	s_mul_i32 s3, s14, s5
	s_mul_hi_u32 s5, s14, s4
	s_mul_i32 s12, s15, s4
	s_add_i32 s3, s5, s3
	s_mul_i32 s4, s14, s4
	s_add_i32 s5, s3, s12
	s_delay_alu instid0(SALU_CYCLE_1)
	s_lshl_b64 s[4:5], s[4:5], 2
	s_waitcnt lgkmcnt(0)
	s_ashr_i32 s3, s2, 31
	s_add_u32 s4, s10, s4
	s_addc_u32 s5, s11, s5
	s_lshl_b64 s[2:3], s[2:3], 2
	s_delay_alu instid0(SALU_CYCLE_1)
	s_add_u32 s12, s4, s2
	s_addc_u32 s13, s5, s3
.LBB40_3:
	s_load_b128 s[0:3], s[0:1], 0x0
	s_mul_i32 s4, s14, s9
	s_mul_hi_u32 s5, s14, s8
	s_mul_i32 s9, s15, s8
	s_add_i32 s5, s5, s4
	s_mul_i32 s4, s14, s8
	s_add_i32 s5, s5, s9
	v_lshlrev_b32_e32 v87, 2, v0
	s_lshl_b64 s[4:5], s[4:5], 2
	s_waitcnt lgkmcnt(0)
	v_add3_u32 v1, s3, s3, v0
	s_ashr_i32 s9, s2, 31
	s_mov_b32 s8, s2
	s_add_u32 s2, s0, s4
	s_addc_u32 s5, s1, s5
	v_add_nc_u32_e32 v3, s3, v1
	s_lshl_b64 s[0:1], s[8:9], 2
	v_ashrrev_i32_e32 v2, 31, v1
	s_add_u32 s0, s2, s0
	s_addc_u32 s1, s5, s1
	v_add_co_u32 v5, s2, s0, v87
	v_add_nc_u32_e32 v13, s3, v3
	s_mov_b32 s4, s3
	s_ashr_i32 s5, s3, 31
	v_add_co_ci_u32_e64 v6, null, s1, 0, s2
	v_lshlrev_b64 v[1:2], 2, v[1:2]
	s_lshl_b64 s[4:5], s[4:5], 2
	v_add_nc_u32_e32 v15, s3, v13
	v_add_co_u32 v7, vcc_lo, v5, s4
	v_add_co_ci_u32_e32 v8, vcc_lo, s5, v6, vcc_lo
	v_ashrrev_i32_e32 v4, 31, v3
	v_add_co_u32 v9, vcc_lo, s0, v1
	v_add_co_ci_u32_e32 v10, vcc_lo, s1, v2, vcc_lo
	v_add_nc_u32_e32 v2, s3, v15
	s_delay_alu instid0(VALU_DEP_4)
	v_lshlrev_b64 v[3:4], 2, v[3:4]
	v_ashrrev_i32_e32 v14, 31, v13
	v_ashrrev_i32_e32 v16, 31, v15
	global_load_b32 v1, v87, s[0:1]
	v_add_nc_u32_e32 v17, s3, v2
	s_bitcmp0_b32 s17, 0
	v_lshlrev_b64 v[13:14], 2, v[13:14]
	v_add_co_u32 v11, vcc_lo, s0, v3
	v_ashrrev_i32_e32 v3, 31, v2
	v_add_nc_u32_e32 v19, s3, v17
	v_lshlrev_b64 v[15:16], 2, v[15:16]
	v_add_co_ci_u32_e32 v12, vcc_lo, s1, v4, vcc_lo
	v_add_co_u32 v13, vcc_lo, s0, v13
	v_lshlrev_b64 v[2:3], 2, v[2:3]
	v_ashrrev_i32_e32 v18, 31, v17
	v_add_nc_u32_e32 v23, s3, v19
	v_add_co_ci_u32_e32 v14, vcc_lo, s1, v14, vcc_lo
	v_add_co_u32 v15, vcc_lo, s0, v15
	v_add_co_ci_u32_e32 v16, vcc_lo, s1, v16, vcc_lo
	v_lshlrev_b64 v[21:22], 2, v[17:18]
	v_add_co_u32 v17, vcc_lo, s0, v2
	v_add_nc_u32_e32 v2, s3, v23
	v_ashrrev_i32_e32 v20, 31, v19
	v_ashrrev_i32_e32 v24, 31, v23
	v_add_co_ci_u32_e32 v18, vcc_lo, s1, v3, vcc_lo
	s_delay_alu instid0(VALU_DEP_4) | instskip(NEXT) | instid1(VALU_DEP_4)
	v_add_nc_u32_e32 v27, s3, v2
	v_lshlrev_b64 v[25:26], 2, v[19:20]
	v_add_co_u32 v19, vcc_lo, s0, v21
	v_ashrrev_i32_e32 v3, 31, v2
	s_delay_alu instid0(VALU_DEP_4) | instskip(SKIP_3) | instid1(VALU_DEP_4)
	v_add_nc_u32_e32 v29, s3, v27
	v_add_co_ci_u32_e32 v20, vcc_lo, s1, v22, vcc_lo
	v_lshlrev_b64 v[23:24], 2, v[23:24]
	v_add_co_u32 v21, vcc_lo, s0, v25
	v_add_nc_u32_e32 v31, s3, v29
	v_ashrrev_i32_e32 v28, 31, v27
	v_add_co_ci_u32_e32 v22, vcc_lo, s1, v26, vcc_lo
	v_lshlrev_b64 v[25:26], 2, v[2:3]
	s_delay_alu instid0(VALU_DEP_4) | instskip(SKIP_3) | instid1(VALU_DEP_4)
	v_add_nc_u32_e32 v33, s3, v31
	v_ashrrev_i32_e32 v30, 31, v29
	v_add_co_u32 v23, vcc_lo, s0, v23
	v_lshlrev_b64 v[27:28], 2, v[27:28]
	v_add_nc_u32_e32 v35, s3, v33
	v_ashrrev_i32_e32 v32, 31, v31
	v_add_co_ci_u32_e32 v24, vcc_lo, s1, v24, vcc_lo
	v_add_co_u32 v25, vcc_lo, s0, v25
	s_delay_alu instid0(VALU_DEP_4) | instskip(SKIP_3) | instid1(VALU_DEP_4)
	v_add_nc_u32_e32 v37, s3, v35
	v_lshlrev_b64 v[29:30], 2, v[29:30]
	v_ashrrev_i32_e32 v34, 31, v33
	v_add_co_ci_u32_e32 v26, vcc_lo, s1, v26, vcc_lo
	v_add_nc_u32_e32 v39, s3, v37
	v_add_co_u32 v27, vcc_lo, s0, v27
	v_lshlrev_b64 v[31:32], 2, v[31:32]
	v_ashrrev_i32_e32 v36, 31, v35
	s_delay_alu instid0(VALU_DEP_4) | instskip(SKIP_2) | instid1(VALU_DEP_3)
	v_add_nc_u32_e32 v41, s3, v39
	v_add_co_ci_u32_e32 v28, vcc_lo, s1, v28, vcc_lo
	v_add_co_u32 v29, vcc_lo, s0, v29
	v_add_nc_u32_e32 v43, s3, v41
	v_lshlrev_b64 v[33:34], 2, v[33:34]
	v_ashrrev_i32_e32 v38, 31, v37
	v_add_co_ci_u32_e32 v30, vcc_lo, s1, v30, vcc_lo
	s_delay_alu instid0(VALU_DEP_4) | instskip(SKIP_3) | instid1(VALU_DEP_4)
	v_add_nc_u32_e32 v45, s3, v43
	v_add_co_u32 v31, vcc_lo, s0, v31
	v_lshlrev_b64 v[35:36], 2, v[35:36]
	v_ashrrev_i32_e32 v40, 31, v39
	v_add_nc_u32_e32 v47, s3, v45
	v_add_co_ci_u32_e32 v32, vcc_lo, s1, v32, vcc_lo
	v_add_co_u32 v33, vcc_lo, s0, v33
	s_delay_alu instid0(VALU_DEP_3) | instskip(SKIP_3) | instid1(VALU_DEP_4)
	v_add_nc_u32_e32 v49, s3, v47
	v_lshlrev_b64 v[37:38], 2, v[37:38]
	v_ashrrev_i32_e32 v42, 31, v41
	v_add_co_ci_u32_e32 v34, vcc_lo, s1, v34, vcc_lo
	v_add_nc_u32_e32 v51, s3, v49
	v_add_co_u32 v35, vcc_lo, s0, v35
	v_lshlrev_b64 v[39:40], 2, v[39:40]
	v_ashrrev_i32_e32 v44, 31, v43
	s_delay_alu instid0(VALU_DEP_4) | instskip(SKIP_2) | instid1(VALU_DEP_3)
	v_add_nc_u32_e32 v53, s3, v51
	v_add_co_ci_u32_e32 v36, vcc_lo, s1, v36, vcc_lo
	v_add_co_u32 v37, vcc_lo, s0, v37
	v_add_nc_u32_e32 v55, s3, v53
	v_lshlrev_b64 v[41:42], 2, v[41:42]
	v_ashrrev_i32_e32 v46, 31, v45
	v_add_co_ci_u32_e32 v38, vcc_lo, s1, v38, vcc_lo
	s_delay_alu instid0(VALU_DEP_4) | instskip(SKIP_3) | instid1(VALU_DEP_4)
	v_add_nc_u32_e32 v57, s3, v55
	v_add_co_u32 v39, vcc_lo, s0, v39
	v_lshlrev_b64 v[43:44], 2, v[43:44]
	v_ashrrev_i32_e32 v48, 31, v47
	v_add_nc_u32_e32 v59, s3, v57
	v_add_co_ci_u32_e32 v40, vcc_lo, s1, v40, vcc_lo
	v_add_co_u32 v41, vcc_lo, s0, v41
	s_delay_alu instid0(VALU_DEP_3) | instskip(SKIP_3) | instid1(VALU_DEP_4)
	v_add_nc_u32_e32 v61, s3, v59
	v_lshlrev_b64 v[45:46], 2, v[45:46]
	v_ashrrev_i32_e32 v50, 31, v49
	v_add_co_ci_u32_e32 v42, vcc_lo, s1, v42, vcc_lo
	v_add_nc_u32_e32 v63, s3, v61
	v_add_co_u32 v43, vcc_lo, s0, v43
	v_lshlrev_b64 v[47:48], 2, v[47:48]
	v_ashrrev_i32_e32 v52, 31, v51
	v_add_co_ci_u32_e32 v44, vcc_lo, s1, v44, vcc_lo
	v_add_nc_u32_e32 v65, s3, v63
	v_add_co_u32 v45, vcc_lo, s0, v45
	v_lshlrev_b64 v[49:50], 2, v[49:50]
	v_ashrrev_i32_e32 v54, 31, v53
	v_add_co_ci_u32_e32 v46, vcc_lo, s1, v46, vcc_lo
	v_add_co_u32 v47, vcc_lo, s0, v47
	v_lshlrev_b64 v[51:52], 2, v[51:52]
	v_ashrrev_i32_e32 v56, 31, v55
	v_add_nc_u32_e32 v67, s3, v65
	v_add_co_ci_u32_e32 v48, vcc_lo, s1, v48, vcc_lo
	v_add_co_u32 v49, vcc_lo, s0, v49
	v_lshlrev_b64 v[53:54], 2, v[53:54]
	v_ashrrev_i32_e32 v58, 31, v57
	v_add_co_ci_u32_e32 v50, vcc_lo, s1, v50, vcc_lo
	v_add_co_u32 v51, vcc_lo, s0, v51
	v_lshlrev_b64 v[55:56], 2, v[55:56]
	v_add_nc_u32_e32 v70, s3, v67
	v_ashrrev_i32_e32 v60, 31, v59
	v_add_co_ci_u32_e32 v52, vcc_lo, s1, v52, vcc_lo
	v_add_co_u32 v53, vcc_lo, s0, v53
	v_lshlrev_b64 v[57:58], 2, v[57:58]
	v_ashrrev_i32_e32 v62, 31, v61
	v_add_co_ci_u32_e32 v54, vcc_lo, s1, v54, vcc_lo
	v_add_nc_u32_e32 v72, s3, v70
	v_add_co_u32 v55, vcc_lo, s0, v55
	v_lshlrev_b64 v[59:60], 2, v[59:60]
	v_ashrrev_i32_e32 v64, 31, v63
	v_add_co_ci_u32_e32 v56, vcc_lo, s1, v56, vcc_lo
	v_add_co_u32 v57, vcc_lo, s0, v57
	v_lshlrev_b64 v[61:62], 2, v[61:62]
	v_ashrrev_i32_e32 v66, 31, v65
	v_add_nc_u32_e32 v74, s3, v72
	v_add_co_ci_u32_e32 v58, vcc_lo, s1, v58, vcc_lo
	v_add_co_u32 v59, vcc_lo, s0, v59
	v_lshlrev_b64 v[63:64], 2, v[63:64]
	v_ashrrev_i32_e32 v68, 31, v67
	v_add_co_ci_u32_e32 v60, vcc_lo, s1, v60, vcc_lo
	v_add_co_u32 v61, vcc_lo, s0, v61
	v_lshlrev_b64 v[65:66], 2, v[65:66]
	v_add_nc_u32_e32 v76, s3, v74
	v_add_co_ci_u32_e32 v62, vcc_lo, s1, v62, vcc_lo
	v_add_co_u32 v63, vcc_lo, s0, v63
	v_lshlrev_b64 v[68:69], 2, v[67:68]
	v_add_co_ci_u32_e32 v64, vcc_lo, s1, v64, vcc_lo
	v_add_nc_u32_e32 v78, s3, v76
	v_add_co_u32 v65, vcc_lo, s0, v65
	v_ashrrev_i32_e32 v71, 31, v70
	v_add_co_ci_u32_e32 v66, vcc_lo, s1, v66, vcc_lo
	v_add_co_u32 v67, vcc_lo, s0, v68
	v_ashrrev_i32_e32 v73, 31, v72
	v_add_nc_u32_e32 v80, s3, v78
	v_add_co_ci_u32_e32 v68, vcc_lo, s1, v69, vcc_lo
	v_lshlrev_b64 v[69:70], 2, v[70:71]
	v_ashrrev_i32_e32 v75, 31, v74
	v_lshlrev_b64 v[71:72], 2, v[72:73]
	v_ashrrev_i32_e32 v77, 31, v76
	v_ashrrev_i32_e32 v79, 31, v78
	;; [unrolled: 1-line block ×3, first 2 shown]
	v_add_nc_u32_e32 v82, s3, v80
	v_add_co_u32 v69, vcc_lo, s0, v69
	v_lshlrev_b64 v[73:74], 2, v[74:75]
	v_add_co_ci_u32_e32 v70, vcc_lo, s1, v70, vcc_lo
	v_add_co_u32 v71, vcc_lo, s0, v71
	v_lshlrev_b64 v[75:76], 2, v[76:77]
	v_lshlrev_b64 v[77:78], 2, v[78:79]
	;; [unrolled: 1-line block ×3, first 2 shown]
	v_add_nc_u32_e32 v81, s3, v82
	v_add_co_ci_u32_e32 v72, vcc_lo, s1, v72, vcc_lo
	v_ashrrev_i32_e32 v83, 31, v82
	v_add_co_u32 v73, vcc_lo, s0, v73
	v_add_co_ci_u32_e32 v74, vcc_lo, s1, v74, vcc_lo
	v_add_nc_u32_e32 v85, s3, v81
	v_add_co_u32 v75, vcc_lo, s0, v75
	v_lshlrev_b64 v[83:84], 2, v[82:83]
	v_ashrrev_i32_e32 v82, 31, v81
	v_add_co_ci_u32_e32 v76, vcc_lo, s1, v76, vcc_lo
	v_add_co_u32 v77, vcc_lo, s0, v77
	v_ashrrev_i32_e32 v86, 31, v85
	v_add_co_ci_u32_e32 v78, vcc_lo, s1, v78, vcc_lo
	v_add_co_u32 v79, vcc_lo, s0, v79
	v_lshlrev_b64 v[117:118], 2, v[81:82]
	v_add_co_ci_u32_e32 v80, vcc_lo, s1, v80, vcc_lo
	v_add_co_u32 v81, vcc_lo, s0, v83
	v_lshlrev_b64 v[85:86], 2, v[85:86]
	v_add_co_ci_u32_e32 v82, vcc_lo, s1, v84, vcc_lo
	v_add_co_u32 v83, vcc_lo, s0, v117
	v_add_co_ci_u32_e32 v84, vcc_lo, s1, v118, vcc_lo
	s_delay_alu instid0(VALU_DEP_4)
	v_add_co_u32 v85, vcc_lo, s0, v85
	s_clause 0x1f
	global_load_b32 v2, v[7:8], off
	global_load_b32 v3, v[9:10], off
	;; [unrolled: 1-line block ×32, first 2 shown]
	v_add_co_ci_u32_e32 v86, vcc_lo, s1, v86, vcc_lo
	s_clause 0x7
	global_load_b32 v117, v[71:72], off
	global_load_b32 v118, v[73:74], off
	;; [unrolled: 1-line block ×8, first 2 shown]
	s_mov_b32 s1, -1
	s_waitcnt vmcnt(37)
	scratch_store_b128 off, v[1:4], off
	s_waitcnt vmcnt(33)
	scratch_store_b128 off, v[88:91], off offset:16
	s_waitcnt vmcnt(29)
	scratch_store_b128 off, v[92:95], off offset:32
	;; [unrolled: 2-line block ×9, first 2 shown]
	s_waitcnt vmcnt(0)
	scratch_store_b32 off, v124, off offset:160
	s_cbranch_scc1 .LBB40_170
; %bb.4:
	v_cmp_eq_u32_e64 s0, 0, v0
	s_delay_alu instid0(VALU_DEP_1)
	s_and_saveexec_b32 s1, s0
	s_cbranch_execz .LBB40_6
; %bb.5:
	v_mov_b32_e32 v1, 0
	ds_store_b32 v1, v1 offset:164
.LBB40_6:
	s_or_b32 exec_lo, exec_lo, s1
	s_waitcnt lgkmcnt(0)
	s_waitcnt_vscnt null, 0x0
	s_barrier
	buffer_gl0_inv
	scratch_load_b32 v1, v87, off
	s_mov_b32 s2, exec_lo
	s_waitcnt vmcnt(0)
	v_cmpx_eq_f32_e32 0, v1
	s_cbranch_execz .LBB40_10
; %bb.7:
	v_mov_b32_e32 v1, 0
	s_mov_b32 s3, 0
	ds_load_b32 v2, v1 offset:164
	s_waitcnt lgkmcnt(0)
	v_readfirstlane_b32 s1, v2
	v_add_nc_u32_e32 v2, 1, v0
	s_delay_alu instid0(VALU_DEP_2) | instskip(NEXT) | instid1(VALU_DEP_1)
	s_cmp_eq_u32 s1, 0
	v_cmp_gt_i32_e32 vcc_lo, s1, v2
	s_cselect_b32 s4, -1, 0
	s_delay_alu instid0(SALU_CYCLE_1) | instskip(NEXT) | instid1(SALU_CYCLE_1)
	s_or_b32 s4, s4, vcc_lo
	s_and_b32 exec_lo, exec_lo, s4
	s_cbranch_execz .LBB40_10
; %bb.8:
	v_mov_b32_e32 v3, s1
.LBB40_9:                               ; =>This Inner Loop Header: Depth=1
	ds_cmpstore_rtn_b32 v3, v1, v2, v3 offset:164
	s_waitcnt lgkmcnt(0)
	v_cmp_ne_u32_e32 vcc_lo, 0, v3
	v_cmp_le_i32_e64 s1, v3, v2
	s_delay_alu instid0(VALU_DEP_1) | instskip(NEXT) | instid1(SALU_CYCLE_1)
	s_and_b32 s1, vcc_lo, s1
	s_and_b32 s1, exec_lo, s1
	s_delay_alu instid0(SALU_CYCLE_1) | instskip(NEXT) | instid1(SALU_CYCLE_1)
	s_or_b32 s3, s1, s3
	s_and_not1_b32 exec_lo, exec_lo, s3
	s_cbranch_execnz .LBB40_9
.LBB40_10:
	s_or_b32 exec_lo, exec_lo, s2
	v_mov_b32_e32 v1, 0
	s_barrier
	buffer_gl0_inv
	ds_load_b32 v2, v1 offset:164
	s_and_saveexec_b32 s1, s0
	s_cbranch_execz .LBB40_12
; %bb.11:
	s_lshl_b64 s[2:3], s[14:15], 2
	s_delay_alu instid0(SALU_CYCLE_1)
	s_add_u32 s2, s6, s2
	s_addc_u32 s3, s7, s3
	s_waitcnt lgkmcnt(0)
	global_store_b32 v1, v2, s[2:3]
.LBB40_12:
	s_or_b32 exec_lo, exec_lo, s1
	s_waitcnt lgkmcnt(0)
	v_cmp_ne_u32_e32 vcc_lo, 0, v2
	s_mov_b32 s1, 0
	s_cbranch_vccnz .LBB40_170
; %bb.13:
	v_add_nc_u32_e32 v1, 0, v87
	scratch_load_b32 v2, v1, off
	s_waitcnt vmcnt(0)
	v_div_scale_f32 v3, null, v2, v2, 1.0
	v_div_scale_f32 v89, vcc_lo, 1.0, v2, 1.0
	s_delay_alu instid0(VALU_DEP_2) | instskip(SKIP_2) | instid1(VALU_DEP_1)
	v_rcp_f32_e32 v4, v3
	s_waitcnt_depctr 0xfff
	v_fma_f32 v88, -v3, v4, 1.0
	v_fmac_f32_e32 v4, v88, v4
	s_delay_alu instid0(VALU_DEP_1) | instskip(NEXT) | instid1(VALU_DEP_1)
	v_mul_f32_e32 v88, v89, v4
	v_fma_f32 v90, -v3, v88, v89
	s_delay_alu instid0(VALU_DEP_1) | instskip(NEXT) | instid1(VALU_DEP_1)
	v_fmac_f32_e32 v88, v90, v4
	v_fma_f32 v3, -v3, v88, v89
	s_delay_alu instid0(VALU_DEP_1) | instskip(NEXT) | instid1(VALU_DEP_1)
	v_div_fmas_f32 v3, v3, v4, v88
	v_div_fixup_f32 v2, v3, v2, 1.0
	scratch_store_b32 v1, v2, off
	scratch_load_b32 v3, off, off offset:4
	v_xor_b32_e32 v4, 0x80000000, v2
	v_add_nc_u32_e32 v2, 0xb0, v87
	s_waitcnt vmcnt(0)
	ds_store_2addr_b32 v87, v4, v3 offset1:44
	s_waitcnt lgkmcnt(0)
	s_waitcnt_vscnt null, 0x0
	s_barrier
	buffer_gl0_inv
	s_and_saveexec_b32 s1, s0
	s_cbranch_execz .LBB40_15
; %bb.14:
	scratch_load_b32 v3, v1, off
	ds_load_b32 v4, v2
	v_mov_b32_e32 v88, 0
	ds_load_b32 v88, v88 offset:4
	s_waitcnt vmcnt(0) lgkmcnt(1)
	v_fma_f32 v3, v3, v4, 0
	s_waitcnt lgkmcnt(0)
	s_delay_alu instid0(VALU_DEP_1)
	v_mul_f32_e32 v3, v3, v88
	scratch_store_b32 off, v3, off offset:4
.LBB40_15:
	s_or_b32 exec_lo, exec_lo, s1
	s_waitcnt_vscnt null, 0x0
	s_barrier
	buffer_gl0_inv
	scratch_load_b32 v3, off, off offset:8
	s_mov_b32 s1, exec_lo
	s_waitcnt vmcnt(0)
	ds_store_b32 v2, v3
	s_waitcnt lgkmcnt(0)
	s_barrier
	buffer_gl0_inv
	v_cmpx_gt_u32_e32 2, v0
	s_cbranch_execz .LBB40_17
; %bb.16:
	scratch_load_b32 v88, v1, off
	scratch_load_b32 v89, off, off offset:4
	ds_load_b32 v90, v2
	v_mov_b32_e32 v3, 0
	ds_load_2addr_b32 v[3:4], v3 offset0:2 offset1:45
	s_waitcnt vmcnt(1) lgkmcnt(1)
	v_fma_f32 v88, v88, v90, 0
	s_waitcnt vmcnt(0) lgkmcnt(0)
	s_delay_alu instid0(VALU_DEP_1) | instskip(NEXT) | instid1(VALU_DEP_1)
	v_fma_f32 v4, v89, v4, v88
	v_cndmask_b32_e64 v4, v88, v4, s0
	s_delay_alu instid0(VALU_DEP_1)
	v_mul_f32_e32 v3, v4, v3
	scratch_store_b32 off, v3, off offset:8
.LBB40_17:
	s_or_b32 exec_lo, exec_lo, s1
	s_waitcnt_vscnt null, 0x0
	s_barrier
	buffer_gl0_inv
	scratch_load_b32 v4, off, off offset:12
	v_add_nc_u32_e32 v3, -1, v0
	s_mov_b32 s0, exec_lo
	s_waitcnt vmcnt(0)
	ds_store_b32 v2, v4
	s_waitcnt lgkmcnt(0)
	s_barrier
	buffer_gl0_inv
	v_cmpx_gt_u32_e32 3, v0
	s_cbranch_execz .LBB40_21
; %bb.18:
	v_add_nc_u32_e32 v88, -1, v0
	v_dual_mov_b32 v4, 0 :: v_dual_add_nc_u32 v89, 0xb0, v87
	v_add_nc_u32_e32 v90, 0, v87
	s_mov_b32 s1, 0
.LBB40_19:                              ; =>This Inner Loop Header: Depth=1
	scratch_load_b32 v91, v90, off
	ds_load_b32 v92, v89
	v_add_nc_u32_e32 v88, 1, v88
	v_add_nc_u32_e32 v89, 4, v89
	v_add_nc_u32_e32 v90, 4, v90
	s_delay_alu instid0(VALU_DEP_3)
	v_cmp_lt_u32_e32 vcc_lo, 1, v88
	s_or_b32 s1, vcc_lo, s1
	s_waitcnt vmcnt(0) lgkmcnt(0)
	v_fmac_f32_e32 v4, v91, v92
	s_and_not1_b32 exec_lo, exec_lo, s1
	s_cbranch_execnz .LBB40_19
; %bb.20:
	s_or_b32 exec_lo, exec_lo, s1
	v_mov_b32_e32 v88, 0
	ds_load_b32 v88, v88 offset:12
	s_waitcnt lgkmcnt(0)
	v_mul_f32_e32 v4, v4, v88
	scratch_store_b32 off, v4, off offset:12
.LBB40_21:
	s_or_b32 exec_lo, exec_lo, s0
	s_waitcnt_vscnt null, 0x0
	s_barrier
	buffer_gl0_inv
	scratch_load_b32 v4, off, off offset:16
	s_mov_b32 s0, exec_lo
	s_waitcnt vmcnt(0)
	ds_store_b32 v2, v4
	s_waitcnt lgkmcnt(0)
	s_barrier
	buffer_gl0_inv
	v_cmpx_gt_u32_e32 4, v0
	s_cbranch_execz .LBB40_25
; %bb.22:
	v_add_nc_u32_e32 v88, -1, v0
	v_dual_mov_b32 v4, 0 :: v_dual_add_nc_u32 v89, 0xb0, v87
	v_add_nc_u32_e32 v90, 0, v87
	s_mov_b32 s1, 0
.LBB40_23:                              ; =>This Inner Loop Header: Depth=1
	scratch_load_b32 v91, v90, off
	ds_load_b32 v92, v89
	v_add_nc_u32_e32 v88, 1, v88
	v_add_nc_u32_e32 v89, 4, v89
	v_add_nc_u32_e32 v90, 4, v90
	s_delay_alu instid0(VALU_DEP_3)
	v_cmp_lt_u32_e32 vcc_lo, 2, v88
	s_or_b32 s1, vcc_lo, s1
	s_waitcnt vmcnt(0) lgkmcnt(0)
	v_fmac_f32_e32 v4, v91, v92
	s_and_not1_b32 exec_lo, exec_lo, s1
	s_cbranch_execnz .LBB40_23
; %bb.24:
	s_or_b32 exec_lo, exec_lo, s1
	v_mov_b32_e32 v88, 0
	ds_load_b32 v88, v88 offset:16
	s_waitcnt lgkmcnt(0)
	v_mul_f32_e32 v4, v4, v88
	scratch_store_b32 off, v4, off offset:16
.LBB40_25:
	s_or_b32 exec_lo, exec_lo, s0
	s_waitcnt_vscnt null, 0x0
	s_barrier
	buffer_gl0_inv
	scratch_load_b32 v4, off, off offset:20
	;; [unrolled: 39-line block ×21, first 2 shown]
	s_mov_b32 s0, exec_lo
	s_waitcnt vmcnt(0)
	ds_store_b32 v2, v4
	s_waitcnt lgkmcnt(0)
	s_barrier
	buffer_gl0_inv
	v_cmpx_gt_u32_e32 24, v0
	s_cbranch_execz .LBB40_105
; %bb.102:
	v_add_nc_u32_e32 v88, -1, v0
	v_dual_mov_b32 v4, 0 :: v_dual_add_nc_u32 v89, 0xb0, v87
	v_add_nc_u32_e32 v90, 0, v87
	s_mov_b32 s1, 0
.LBB40_103:                             ; =>This Inner Loop Header: Depth=1
	scratch_load_b32 v91, v90, off
	ds_load_b32 v92, v89
	v_add_nc_u32_e32 v88, 1, v88
	v_add_nc_u32_e32 v89, 4, v89
	v_add_nc_u32_e32 v90, 4, v90
	s_delay_alu instid0(VALU_DEP_3)
	v_cmp_lt_u32_e32 vcc_lo, 22, v88
	s_or_b32 s1, vcc_lo, s1
	s_waitcnt vmcnt(0) lgkmcnt(0)
	v_fmac_f32_e32 v4, v91, v92
	s_and_not1_b32 exec_lo, exec_lo, s1
	s_cbranch_execnz .LBB40_103
; %bb.104:
	s_or_b32 exec_lo, exec_lo, s1
	v_mov_b32_e32 v88, 0
	ds_load_b32 v88, v88 offset:96
	s_waitcnt lgkmcnt(0)
	v_mul_f32_e32 v4, v4, v88
	scratch_store_b32 off, v4, off offset:96
.LBB40_105:
	s_or_b32 exec_lo, exec_lo, s0
	s_waitcnt_vscnt null, 0x0
	s_barrier
	buffer_gl0_inv
	scratch_load_b32 v4, off, off offset:100
	s_mov_b32 s0, exec_lo
	s_waitcnt vmcnt(0)
	ds_store_b32 v2, v4
	s_waitcnt lgkmcnt(0)
	s_barrier
	buffer_gl0_inv
	v_cmpx_gt_u32_e32 25, v0
	s_cbranch_execz .LBB40_109
; %bb.106:
	v_add_nc_u32_e32 v88, -1, v0
	v_dual_mov_b32 v4, 0 :: v_dual_add_nc_u32 v89, 0xb0, v87
	v_add_nc_u32_e32 v90, 0, v87
	s_mov_b32 s1, 0
.LBB40_107:                             ; =>This Inner Loop Header: Depth=1
	scratch_load_b32 v91, v90, off
	ds_load_b32 v92, v89
	v_add_nc_u32_e32 v88, 1, v88
	v_add_nc_u32_e32 v89, 4, v89
	v_add_nc_u32_e32 v90, 4, v90
	s_delay_alu instid0(VALU_DEP_3)
	v_cmp_lt_u32_e32 vcc_lo, 23, v88
	s_or_b32 s1, vcc_lo, s1
	s_waitcnt vmcnt(0) lgkmcnt(0)
	v_fmac_f32_e32 v4, v91, v92
	s_and_not1_b32 exec_lo, exec_lo, s1
	s_cbranch_execnz .LBB40_107
; %bb.108:
	s_or_b32 exec_lo, exec_lo, s1
	v_mov_b32_e32 v88, 0
	ds_load_b32 v88, v88 offset:100
	s_waitcnt lgkmcnt(0)
	v_mul_f32_e32 v4, v4, v88
	scratch_store_b32 off, v4, off offset:100
.LBB40_109:
	s_or_b32 exec_lo, exec_lo, s0
	s_waitcnt_vscnt null, 0x0
	s_barrier
	buffer_gl0_inv
	scratch_load_b32 v4, off, off offset:104
	;; [unrolled: 39-line block ×16, first 2 shown]
	s_mov_b32 s0, exec_lo
	s_waitcnt vmcnt(0)
	ds_store_b32 v2, v4
	s_waitcnt lgkmcnt(0)
	s_barrier
	buffer_gl0_inv
	v_cmpx_ne_u32_e32 40, v0
	s_cbranch_execz .LBB40_169
; %bb.166:
	v_mov_b32_e32 v4, 0
	s_mov_b32 s1, 0
.LBB40_167:                             ; =>This Inner Loop Header: Depth=1
	scratch_load_b32 v87, v1, off
	ds_load_b32 v88, v2
	v_add_nc_u32_e32 v3, 1, v3
	v_add_nc_u32_e32 v2, 4, v2
	s_waitcnt vmcnt(0) lgkmcnt(0)
	v_dual_fmac_f32 v4, v87, v88 :: v_dual_add_nc_u32 v1, 4, v1
	s_delay_alu instid0(VALU_DEP_3) | instskip(SKIP_1) | instid1(SALU_CYCLE_1)
	v_cmp_lt_u32_e32 vcc_lo, 38, v3
	s_or_b32 s1, vcc_lo, s1
	s_and_not1_b32 exec_lo, exec_lo, s1
	s_cbranch_execnz .LBB40_167
; %bb.168:
	s_or_b32 exec_lo, exec_lo, s1
	v_mov_b32_e32 v1, 0
	ds_load_b32 v1, v1 offset:160
	s_waitcnt lgkmcnt(0)
	v_mul_f32_e32 v1, v4, v1
	scratch_store_b32 off, v1, off offset:160
.LBB40_169:
	s_or_b32 exec_lo, exec_lo, s0
	s_mov_b32 s1, -1
	s_waitcnt_vscnt null, 0x0
	s_barrier
	buffer_gl0_inv
.LBB40_170:
	s_and_b32 vcc_lo, exec_lo, s1
	s_cbranch_vccz .LBB40_172
; %bb.171:
	s_lshl_b64 s[0:1], s[14:15], 2
	v_mov_b32_e32 v1, 0
	s_add_u32 s0, s6, s0
	s_addc_u32 s1, s7, s1
	global_load_b32 v1, v1, s[0:1]
	s_waitcnt vmcnt(0)
	v_cmp_ne_u32_e32 vcc_lo, 0, v1
	s_cbranch_vccz .LBB40_173
.LBB40_172:
	s_endpgm
.LBB40_173:
	v_lshl_add_u32 v1, v0, 2, 0xb0
	s_mov_b32 s0, exec_lo
	v_cmpx_eq_u32_e32 40, v0
	s_cbranch_execz .LBB40_175
; %bb.174:
	scratch_load_b32 v2, off, off offset:156
	v_mov_b32_e32 v3, 0
	scratch_store_b32 off, v3, off offset:156
	s_waitcnt vmcnt(0)
	ds_store_b32 v1, v2
.LBB40_175:
	s_or_b32 exec_lo, exec_lo, s0
	s_waitcnt lgkmcnt(0)
	s_waitcnt_vscnt null, 0x0
	s_barrier
	buffer_gl0_inv
	scratch_load_b64 v[3:4], off, off offset:156
	v_mov_b32_e32 v2, 0
	s_mov_b32 s0, exec_lo
	ds_load_b32 v87, v2 offset:336
	s_waitcnt vmcnt(0) lgkmcnt(0)
	v_fma_f32 v4, v4, v87, 0
	s_delay_alu instid0(VALU_DEP_1)
	v_sub_f32_e32 v3, v3, v4
	scratch_store_b32 off, v3, off offset:156
	v_cmpx_lt_u32_e32 38, v0
	s_cbranch_execz .LBB40_177
; %bb.176:
	scratch_load_b32 v3, off, off offset:152
	scratch_store_b32 off, v2, off offset:152
	s_waitcnt vmcnt(0)
	ds_store_b32 v1, v3
.LBB40_177:
	s_or_b32 exec_lo, exec_lo, s0
	s_waitcnt lgkmcnt(0)
	s_waitcnt_vscnt null, 0x0
	s_barrier
	buffer_gl0_inv
	scratch_load_b96 v[87:89], off, off offset:152
	ds_load_2addr_b32 v[2:3], v2 offset0:83 offset1:84
	s_mov_b32 s0, exec_lo
	s_waitcnt vmcnt(0) lgkmcnt(0)
	v_fma_f32 v2, v88, v2, 0
	s_delay_alu instid0(VALU_DEP_1) | instskip(NEXT) | instid1(VALU_DEP_1)
	v_fmac_f32_e32 v2, v89, v3
	v_sub_f32_e32 v2, v87, v2
	scratch_store_b32 off, v2, off offset:152
	v_cmpx_lt_u32_e32 37, v0
	s_cbranch_execz .LBB40_179
; %bb.178:
	scratch_load_b32 v2, off, off offset:148
	v_mov_b32_e32 v3, 0
	scratch_store_b32 off, v3, off offset:148
	s_waitcnt vmcnt(0)
	ds_store_b32 v1, v2
.LBB40_179:
	s_or_b32 exec_lo, exec_lo, s0
	s_waitcnt lgkmcnt(0)
	s_waitcnt_vscnt null, 0x0
	s_barrier
	buffer_gl0_inv
	scratch_load_b128 v[87:90], off, off offset:148
	v_mov_b32_e32 v2, 0
	ds_load_b64 v[3:4], v2 offset:328
	ds_load_b32 v91, v2 offset:336
	s_mov_b32 s0, exec_lo
	s_waitcnt vmcnt(0) lgkmcnt(1)
	v_fma_f32 v3, v88, v3, 0
	s_delay_alu instid0(VALU_DEP_1) | instskip(SKIP_1) | instid1(VALU_DEP_1)
	v_fmac_f32_e32 v3, v89, v4
	s_waitcnt lgkmcnt(0)
	v_fmac_f32_e32 v3, v90, v91
	s_delay_alu instid0(VALU_DEP_1)
	v_sub_f32_e32 v3, v87, v3
	scratch_store_b32 off, v3, off offset:148
	v_cmpx_lt_u32_e32 36, v0
	s_cbranch_execz .LBB40_181
; %bb.180:
	scratch_load_b32 v3, off, off offset:144
	scratch_store_b32 off, v2, off offset:144
	s_waitcnt vmcnt(0)
	ds_store_b32 v1, v3
.LBB40_181:
	s_or_b32 exec_lo, exec_lo, s0
	s_waitcnt lgkmcnt(0)
	s_waitcnt_vscnt null, 0x0
	s_barrier
	buffer_gl0_inv
	s_clause 0x1
	scratch_load_b128 v[87:90], off, off offset:144
	scratch_load_b32 v93, off, off offset:160
	ds_load_2addr_b32 v[3:4], v2 offset0:81 offset1:82
	ds_load_2addr_b32 v[91:92], v2 offset0:83 offset1:84
	s_mov_b32 s0, exec_lo
	s_waitcnt vmcnt(1) lgkmcnt(1)
	v_fma_f32 v2, v88, v3, 0
	s_delay_alu instid0(VALU_DEP_1) | instskip(SKIP_1) | instid1(VALU_DEP_1)
	v_fmac_f32_e32 v2, v89, v4
	s_waitcnt lgkmcnt(0)
	v_fmac_f32_e32 v2, v90, v91
	s_waitcnt vmcnt(0)
	s_delay_alu instid0(VALU_DEP_1) | instskip(NEXT) | instid1(VALU_DEP_1)
	v_fmac_f32_e32 v2, v93, v92
	v_sub_f32_e32 v2, v87, v2
	scratch_store_b32 off, v2, off offset:144
	v_cmpx_lt_u32_e32 35, v0
	s_cbranch_execz .LBB40_183
; %bb.182:
	scratch_load_b32 v2, off, off offset:140
	v_mov_b32_e32 v3, 0
	scratch_store_b32 off, v3, off offset:140
	s_waitcnt vmcnt(0)
	ds_store_b32 v1, v2
.LBB40_183:
	s_or_b32 exec_lo, exec_lo, s0
	s_waitcnt lgkmcnt(0)
	s_waitcnt_vscnt null, 0x0
	s_barrier
	buffer_gl0_inv
	s_clause 0x1
	scratch_load_b128 v[87:90], off, off offset:140
	scratch_load_b64 v[3:4], off, off offset:156
	v_mov_b32_e32 v2, 0
	ds_load_b128 v[91:94], v2 offset:320
	ds_load_b32 v95, v2 offset:336
	s_mov_b32 s0, exec_lo
	s_waitcnt vmcnt(1) lgkmcnt(1)
	v_fma_f32 v88, v88, v91, 0
	s_delay_alu instid0(VALU_DEP_1) | instskip(NEXT) | instid1(VALU_DEP_1)
	v_fmac_f32_e32 v88, v89, v92
	v_fmac_f32_e32 v88, v90, v93
	s_waitcnt vmcnt(0)
	s_delay_alu instid0(VALU_DEP_1) | instskip(SKIP_1) | instid1(VALU_DEP_1)
	v_fmac_f32_e32 v88, v3, v94
	s_waitcnt lgkmcnt(0)
	v_fmac_f32_e32 v88, v4, v95
	s_delay_alu instid0(VALU_DEP_1)
	v_sub_f32_e32 v3, v87, v88
	scratch_store_b32 off, v3, off offset:140
	v_cmpx_lt_u32_e32 34, v0
	s_cbranch_execz .LBB40_185
; %bb.184:
	scratch_load_b32 v3, off, off offset:136
	scratch_store_b32 off, v2, off offset:136
	s_waitcnt vmcnt(0)
	ds_store_b32 v1, v3
.LBB40_185:
	s_or_b32 exec_lo, exec_lo, s0
	s_waitcnt lgkmcnt(0)
	s_waitcnt_vscnt null, 0x0
	s_barrier
	buffer_gl0_inv
	s_clause 0x1
	scratch_load_b128 v[87:90], off, off offset:136
	scratch_load_b96 v[91:93], off, off offset:152
	ds_load_2addr_b32 v[3:4], v2 offset0:79 offset1:80
	ds_load_2addr_b32 v[94:95], v2 offset0:81 offset1:82
	;; [unrolled: 1-line block ×3, first 2 shown]
	s_mov_b32 s0, exec_lo
	s_waitcnt vmcnt(1) lgkmcnt(2)
	v_fma_f32 v2, v88, v3, 0
	s_delay_alu instid0(VALU_DEP_1) | instskip(SKIP_1) | instid1(VALU_DEP_1)
	v_fmac_f32_e32 v2, v89, v4
	s_waitcnt lgkmcnt(1)
	v_fmac_f32_e32 v2, v90, v94
	s_waitcnt vmcnt(0)
	s_delay_alu instid0(VALU_DEP_1) | instskip(SKIP_1) | instid1(VALU_DEP_1)
	v_fmac_f32_e32 v2, v91, v95
	s_waitcnt lgkmcnt(0)
	v_fmac_f32_e32 v2, v92, v96
	s_delay_alu instid0(VALU_DEP_1) | instskip(NEXT) | instid1(VALU_DEP_1)
	v_fmac_f32_e32 v2, v93, v97
	v_sub_f32_e32 v2, v87, v2
	scratch_store_b32 off, v2, off offset:136
	v_cmpx_lt_u32_e32 33, v0
	s_cbranch_execz .LBB40_187
; %bb.186:
	scratch_load_b32 v2, off, off offset:132
	v_mov_b32_e32 v3, 0
	scratch_store_b32 off, v3, off offset:132
	s_waitcnt vmcnt(0)
	ds_store_b32 v1, v2
.LBB40_187:
	s_or_b32 exec_lo, exec_lo, s0
	s_waitcnt lgkmcnt(0)
	s_waitcnt_vscnt null, 0x0
	s_barrier
	buffer_gl0_inv
	s_clause 0x1
	scratch_load_b128 v[87:90], off, off offset:132
	scratch_load_b128 v[91:94], off, off offset:148
	v_mov_b32_e32 v2, 0
	ds_load_2addr_b64 v[95:98], v2 offset0:39 offset1:40
	ds_load_b64 v[3:4], v2 offset:328
	s_mov_b32 s0, exec_lo
	s_waitcnt vmcnt(1) lgkmcnt(1)
	v_fma_f32 v88, v88, v95, 0
	s_delay_alu instid0(VALU_DEP_1) | instskip(SKIP_3) | instid1(VALU_DEP_1)
	v_fmac_f32_e32 v88, v89, v96
	ds_load_b32 v89, v2 offset:336
	v_fmac_f32_e32 v88, v90, v97
	s_waitcnt vmcnt(0)
	v_fmac_f32_e32 v88, v91, v98
	s_waitcnt lgkmcnt(1)
	s_delay_alu instid0(VALU_DEP_1) | instskip(NEXT) | instid1(VALU_DEP_1)
	v_fmac_f32_e32 v88, v92, v3
	v_fmac_f32_e32 v88, v93, v4
	s_waitcnt lgkmcnt(0)
	s_delay_alu instid0(VALU_DEP_1) | instskip(NEXT) | instid1(VALU_DEP_1)
	v_fmac_f32_e32 v88, v94, v89
	v_sub_f32_e32 v3, v87, v88
	scratch_store_b32 off, v3, off offset:132
	v_cmpx_lt_u32_e32 32, v0
	s_cbranch_execz .LBB40_189
; %bb.188:
	scratch_load_b32 v3, off, off offset:128
	scratch_store_b32 off, v2, off offset:128
	s_waitcnt vmcnt(0)
	ds_store_b32 v1, v3
.LBB40_189:
	s_or_b32 exec_lo, exec_lo, s0
	s_waitcnt lgkmcnt(0)
	s_waitcnt_vscnt null, 0x0
	s_barrier
	buffer_gl0_inv
	s_clause 0x2
	scratch_load_b128 v[87:90], off, off offset:128
	scratch_load_b128 v[91:94], off, off offset:144
	scratch_load_b32 v101, off, off offset:160
	ds_load_2addr_b32 v[3:4], v2 offset0:77 offset1:78
	ds_load_2addr_b32 v[95:96], v2 offset0:79 offset1:80
	;; [unrolled: 1-line block ×4, first 2 shown]
	s_mov_b32 s0, exec_lo
	s_waitcnt vmcnt(2) lgkmcnt(3)
	v_fma_f32 v2, v88, v3, 0
	s_delay_alu instid0(VALU_DEP_1) | instskip(SKIP_1) | instid1(VALU_DEP_1)
	v_fmac_f32_e32 v2, v89, v4
	s_waitcnt lgkmcnt(2)
	v_fmac_f32_e32 v2, v90, v95
	s_waitcnt vmcnt(1)
	s_delay_alu instid0(VALU_DEP_1) | instskip(SKIP_1) | instid1(VALU_DEP_1)
	v_fmac_f32_e32 v2, v91, v96
	s_waitcnt lgkmcnt(1)
	v_fmac_f32_e32 v2, v92, v97
	s_delay_alu instid0(VALU_DEP_1) | instskip(SKIP_1) | instid1(VALU_DEP_1)
	v_fmac_f32_e32 v2, v93, v98
	s_waitcnt lgkmcnt(0)
	v_fmac_f32_e32 v2, v94, v99
	s_waitcnt vmcnt(0)
	s_delay_alu instid0(VALU_DEP_1) | instskip(NEXT) | instid1(VALU_DEP_1)
	v_fmac_f32_e32 v2, v101, v100
	v_sub_f32_e32 v2, v87, v2
	scratch_store_b32 off, v2, off offset:128
	v_cmpx_lt_u32_e32 31, v0
	s_cbranch_execz .LBB40_191
; %bb.190:
	scratch_load_b32 v2, off, off offset:124
	v_mov_b32_e32 v3, 0
	scratch_store_b32 off, v3, off offset:124
	s_waitcnt vmcnt(0)
	ds_store_b32 v1, v2
.LBB40_191:
	s_or_b32 exec_lo, exec_lo, s0
	s_waitcnt lgkmcnt(0)
	s_waitcnt_vscnt null, 0x0
	s_barrier
	buffer_gl0_inv
	s_clause 0x2
	scratch_load_b128 v[87:90], off, off offset:124
	scratch_load_b128 v[91:94], off, off offset:140
	scratch_load_b64 v[3:4], off, off offset:156
	v_mov_b32_e32 v2, 0
	ds_load_b128 v[95:98], v2 offset:304
	ds_load_b128 v[99:102], v2 offset:320
	s_mov_b32 s0, exec_lo
	s_waitcnt vmcnt(2) lgkmcnt(1)
	v_fma_f32 v88, v88, v95, 0
	s_delay_alu instid0(VALU_DEP_1) | instskip(SKIP_3) | instid1(VALU_DEP_1)
	v_fmac_f32_e32 v88, v89, v96
	ds_load_b32 v89, v2 offset:336
	v_fmac_f32_e32 v88, v90, v97
	s_waitcnt vmcnt(1)
	v_fmac_f32_e32 v88, v91, v98
	s_waitcnt lgkmcnt(1)
	s_delay_alu instid0(VALU_DEP_1) | instskip(NEXT) | instid1(VALU_DEP_1)
	v_fmac_f32_e32 v88, v92, v99
	v_fmac_f32_e32 v88, v93, v100
	s_delay_alu instid0(VALU_DEP_1) | instskip(SKIP_1) | instid1(VALU_DEP_1)
	v_fmac_f32_e32 v88, v94, v101
	s_waitcnt vmcnt(0)
	v_fmac_f32_e32 v88, v3, v102
	s_waitcnt lgkmcnt(0)
	s_delay_alu instid0(VALU_DEP_1) | instskip(NEXT) | instid1(VALU_DEP_1)
	v_fmac_f32_e32 v88, v4, v89
	v_sub_f32_e32 v3, v87, v88
	scratch_store_b32 off, v3, off offset:124
	v_cmpx_lt_u32_e32 30, v0
	s_cbranch_execz .LBB40_193
; %bb.192:
	scratch_load_b32 v3, off, off offset:120
	scratch_store_b32 off, v2, off offset:120
	s_waitcnt vmcnt(0)
	ds_store_b32 v1, v3
.LBB40_193:
	s_or_b32 exec_lo, exec_lo, s0
	s_waitcnt lgkmcnt(0)
	s_waitcnt_vscnt null, 0x0
	s_barrier
	buffer_gl0_inv
	s_clause 0x2
	scratch_load_b128 v[87:90], off, off offset:120
	scratch_load_b128 v[91:94], off, off offset:136
	scratch_load_b96 v[95:97], off, off offset:152
	ds_load_2addr_b32 v[3:4], v2 offset0:75 offset1:76
	ds_load_2addr_b32 v[98:99], v2 offset0:77 offset1:78
	;; [unrolled: 1-line block ×4, first 2 shown]
	s_mov_b32 s0, exec_lo
	s_waitcnt vmcnt(2) lgkmcnt(3)
	v_fma_f32 v88, v88, v3, 0
	ds_load_2addr_b32 v[2:3], v2 offset0:83 offset1:84
	v_fmac_f32_e32 v88, v89, v4
	s_waitcnt lgkmcnt(3)
	s_delay_alu instid0(VALU_DEP_1) | instskip(SKIP_1) | instid1(VALU_DEP_1)
	v_fmac_f32_e32 v88, v90, v98
	s_waitcnt vmcnt(1)
	v_fmac_f32_e32 v88, v91, v99
	s_waitcnt lgkmcnt(2)
	s_delay_alu instid0(VALU_DEP_1) | instskip(NEXT) | instid1(VALU_DEP_1)
	v_fmac_f32_e32 v88, v92, v100
	v_fmac_f32_e32 v88, v93, v101
	s_waitcnt lgkmcnt(1)
	s_delay_alu instid0(VALU_DEP_1) | instskip(SKIP_1) | instid1(VALU_DEP_1)
	v_fmac_f32_e32 v88, v94, v102
	s_waitcnt vmcnt(0)
	v_fmac_f32_e32 v88, v95, v103
	s_waitcnt lgkmcnt(0)
	s_delay_alu instid0(VALU_DEP_1) | instskip(NEXT) | instid1(VALU_DEP_1)
	v_fmac_f32_e32 v88, v96, v2
	v_fmac_f32_e32 v88, v97, v3
	s_delay_alu instid0(VALU_DEP_1)
	v_sub_f32_e32 v2, v87, v88
	scratch_store_b32 off, v2, off offset:120
	v_cmpx_lt_u32_e32 29, v0
	s_cbranch_execz .LBB40_195
; %bb.194:
	scratch_load_b32 v2, off, off offset:116
	v_mov_b32_e32 v3, 0
	scratch_store_b32 off, v3, off offset:116
	s_waitcnt vmcnt(0)
	ds_store_b32 v1, v2
.LBB40_195:
	s_or_b32 exec_lo, exec_lo, s0
	s_waitcnt lgkmcnt(0)
	s_waitcnt_vscnt null, 0x0
	s_barrier
	buffer_gl0_inv
	s_clause 0x2
	scratch_load_b128 v[87:90], off, off offset:116
	scratch_load_b128 v[91:94], off, off offset:132
	scratch_load_b128 v[95:98], off, off offset:148
	v_mov_b32_e32 v2, 0
	ds_load_2addr_b64 v[99:102], v2 offset0:37 offset1:38
	ds_load_2addr_b64 v[103:106], v2 offset0:39 offset1:40
	ds_load_b64 v[3:4], v2 offset:328
	s_mov_b32 s0, exec_lo
	s_waitcnt vmcnt(2) lgkmcnt(2)
	v_fma_f32 v88, v88, v99, 0
	s_delay_alu instid0(VALU_DEP_1) | instskip(SKIP_3) | instid1(VALU_DEP_1)
	v_fmac_f32_e32 v88, v89, v100
	ds_load_b32 v89, v2 offset:336
	v_fmac_f32_e32 v88, v90, v101
	s_waitcnt vmcnt(1)
	v_fmac_f32_e32 v88, v91, v102
	s_waitcnt lgkmcnt(2)
	s_delay_alu instid0(VALU_DEP_1) | instskip(NEXT) | instid1(VALU_DEP_1)
	v_fmac_f32_e32 v88, v92, v103
	v_fmac_f32_e32 v88, v93, v104
	s_delay_alu instid0(VALU_DEP_1) | instskip(SKIP_1) | instid1(VALU_DEP_1)
	v_fmac_f32_e32 v88, v94, v105
	s_waitcnt vmcnt(0)
	v_fmac_f32_e32 v88, v95, v106
	s_waitcnt lgkmcnt(1)
	s_delay_alu instid0(VALU_DEP_1) | instskip(NEXT) | instid1(VALU_DEP_1)
	v_fmac_f32_e32 v88, v96, v3
	v_fmac_f32_e32 v88, v97, v4
	s_waitcnt lgkmcnt(0)
	s_delay_alu instid0(VALU_DEP_1) | instskip(NEXT) | instid1(VALU_DEP_1)
	v_fmac_f32_e32 v88, v98, v89
	v_sub_f32_e32 v3, v87, v88
	scratch_store_b32 off, v3, off offset:116
	v_cmpx_lt_u32_e32 28, v0
	s_cbranch_execz .LBB40_197
; %bb.196:
	scratch_load_b32 v3, off, off offset:112
	scratch_store_b32 off, v2, off offset:112
	s_waitcnt vmcnt(0)
	ds_store_b32 v1, v3
.LBB40_197:
	s_or_b32 exec_lo, exec_lo, s0
	s_waitcnt lgkmcnt(0)
	s_waitcnt_vscnt null, 0x0
	s_barrier
	buffer_gl0_inv
	s_clause 0x3
	scratch_load_b128 v[87:90], off, off offset:112
	scratch_load_b128 v[91:94], off, off offset:128
	;; [unrolled: 1-line block ×3, first 2 shown]
	scratch_load_b32 v105, off, off offset:160
	ds_load_2addr_b32 v[3:4], v2 offset0:73 offset1:74
	ds_load_2addr_b32 v[99:100], v2 offset0:75 offset1:76
	;; [unrolled: 1-line block ×4, first 2 shown]
	s_mov_b32 s0, exec_lo
	s_waitcnt vmcnt(3) lgkmcnt(3)
	v_fma_f32 v106, v88, v3, 0
	s_delay_alu instid0(VALU_DEP_1)
	v_fmac_f32_e32 v106, v89, v4
	ds_load_2addr_b32 v[3:4], v2 offset0:81 offset1:82
	ds_load_2addr_b32 v[88:89], v2 offset0:83 offset1:84
	s_waitcnt lgkmcnt(4)
	v_fmac_f32_e32 v106, v90, v99
	s_waitcnt vmcnt(2)
	s_delay_alu instid0(VALU_DEP_1) | instskip(SKIP_1) | instid1(VALU_DEP_1)
	v_fmac_f32_e32 v106, v91, v100
	s_waitcnt lgkmcnt(3)
	v_fmac_f32_e32 v106, v92, v101
	s_delay_alu instid0(VALU_DEP_1) | instskip(SKIP_1) | instid1(VALU_DEP_1)
	v_fmac_f32_e32 v106, v93, v102
	s_waitcnt lgkmcnt(2)
	v_fmac_f32_e32 v106, v94, v103
	s_waitcnt vmcnt(1)
	s_delay_alu instid0(VALU_DEP_1) | instskip(SKIP_1) | instid1(VALU_DEP_1)
	v_fmac_f32_e32 v106, v95, v104
	s_waitcnt lgkmcnt(1)
	v_fmac_f32_e32 v106, v96, v3
	s_delay_alu instid0(VALU_DEP_1) | instskip(SKIP_1) | instid1(VALU_DEP_1)
	v_fmac_f32_e32 v106, v97, v4
	s_waitcnt lgkmcnt(0)
	v_fmac_f32_e32 v106, v98, v88
	s_waitcnt vmcnt(0)
	s_delay_alu instid0(VALU_DEP_1) | instskip(NEXT) | instid1(VALU_DEP_1)
	v_fmac_f32_e32 v106, v105, v89
	v_sub_f32_e32 v2, v87, v106
	scratch_store_b32 off, v2, off offset:112
	v_cmpx_lt_u32_e32 27, v0
	s_cbranch_execz .LBB40_199
; %bb.198:
	scratch_load_b32 v2, off, off offset:108
	v_mov_b32_e32 v3, 0
	scratch_store_b32 off, v3, off offset:108
	s_waitcnt vmcnt(0)
	ds_store_b32 v1, v2
.LBB40_199:
	s_or_b32 exec_lo, exec_lo, s0
	s_waitcnt lgkmcnt(0)
	s_waitcnt_vscnt null, 0x0
	s_barrier
	buffer_gl0_inv
	s_clause 0x3
	scratch_load_b128 v[87:90], off, off offset:108
	scratch_load_b128 v[91:94], off, off offset:124
	;; [unrolled: 1-line block ×3, first 2 shown]
	scratch_load_b64 v[3:4], off, off offset:156
	v_mov_b32_e32 v2, 0
	ds_load_b128 v[99:102], v2 offset:288
	ds_load_b128 v[103:106], v2 offset:304
	s_mov_b32 s0, exec_lo
	s_waitcnt vmcnt(3) lgkmcnt(1)
	v_fma_f32 v99, v88, v99, 0
	s_delay_alu instid0(VALU_DEP_1) | instskip(NEXT) | instid1(VALU_DEP_1)
	v_fmac_f32_e32 v99, v89, v100
	v_fmac_f32_e32 v99, v90, v101
	s_waitcnt vmcnt(2)
	s_delay_alu instid0(VALU_DEP_1)
	v_fmac_f32_e32 v99, v91, v102
	ds_load_b128 v[88:91], v2 offset:320
	s_waitcnt lgkmcnt(1)
	v_fmac_f32_e32 v99, v92, v103
	ds_load_b32 v92, v2 offset:336
	v_fmac_f32_e32 v99, v93, v104
	s_delay_alu instid0(VALU_DEP_1) | instskip(SKIP_1) | instid1(VALU_DEP_1)
	v_fmac_f32_e32 v99, v94, v105
	s_waitcnt vmcnt(1)
	v_fmac_f32_e32 v99, v95, v106
	s_waitcnt lgkmcnt(1)
	s_delay_alu instid0(VALU_DEP_1) | instskip(NEXT) | instid1(VALU_DEP_1)
	v_fmac_f32_e32 v99, v96, v88
	v_fmac_f32_e32 v99, v97, v89
	s_delay_alu instid0(VALU_DEP_1) | instskip(SKIP_1) | instid1(VALU_DEP_1)
	v_fmac_f32_e32 v99, v98, v90
	s_waitcnt vmcnt(0)
	v_fmac_f32_e32 v99, v3, v91
	s_waitcnt lgkmcnt(0)
	s_delay_alu instid0(VALU_DEP_1) | instskip(NEXT) | instid1(VALU_DEP_1)
	v_fmac_f32_e32 v99, v4, v92
	v_sub_f32_e32 v3, v87, v99
	scratch_store_b32 off, v3, off offset:108
	v_cmpx_lt_u32_e32 26, v0
	s_cbranch_execz .LBB40_201
; %bb.200:
	scratch_load_b32 v3, off, off offset:104
	scratch_store_b32 off, v2, off offset:104
	s_waitcnt vmcnt(0)
	ds_store_b32 v1, v3
.LBB40_201:
	s_or_b32 exec_lo, exec_lo, s0
	s_waitcnt lgkmcnt(0)
	s_waitcnt_vscnt null, 0x0
	s_barrier
	buffer_gl0_inv
	s_clause 0x3
	scratch_load_b128 v[87:90], off, off offset:104
	scratch_load_b128 v[91:94], off, off offset:120
	scratch_load_b128 v[95:98], off, off offset:136
	scratch_load_b96 v[99:101], off, off offset:152
	ds_load_2addr_b32 v[3:4], v2 offset0:71 offset1:72
	ds_load_2addr_b32 v[102:103], v2 offset0:73 offset1:74
	;; [unrolled: 1-line block ×4, first 2 shown]
	s_mov_b32 s0, exec_lo
	s_waitcnt vmcnt(3) lgkmcnt(3)
	v_fma_f32 v108, v88, v3, 0
	s_delay_alu instid0(VALU_DEP_1)
	v_fmac_f32_e32 v108, v89, v4
	ds_load_2addr_b32 v[3:4], v2 offset0:79 offset1:80
	ds_load_2addr_b32 v[88:89], v2 offset0:81 offset1:82
	s_waitcnt lgkmcnt(4)
	v_fmac_f32_e32 v108, v90, v102
	s_waitcnt vmcnt(2)
	s_delay_alu instid0(VALU_DEP_1) | instskip(SKIP_3) | instid1(VALU_DEP_1)
	v_fmac_f32_e32 v108, v91, v103
	ds_load_2addr_b32 v[90:91], v2 offset0:83 offset1:84
	s_waitcnt lgkmcnt(4)
	v_fmac_f32_e32 v108, v92, v104
	v_fmac_f32_e32 v108, v93, v105
	s_waitcnt lgkmcnt(3)
	s_delay_alu instid0(VALU_DEP_1) | instskip(SKIP_1) | instid1(VALU_DEP_1)
	v_fmac_f32_e32 v108, v94, v106
	s_waitcnt vmcnt(1)
	v_fmac_f32_e32 v108, v95, v107
	s_waitcnt lgkmcnt(2)
	s_delay_alu instid0(VALU_DEP_1) | instskip(NEXT) | instid1(VALU_DEP_1)
	v_fmac_f32_e32 v108, v96, v3
	v_fmac_f32_e32 v108, v97, v4
	s_waitcnt lgkmcnt(1)
	s_delay_alu instid0(VALU_DEP_1) | instskip(SKIP_1) | instid1(VALU_DEP_1)
	v_fmac_f32_e32 v108, v98, v88
	s_waitcnt vmcnt(0)
	v_fmac_f32_e32 v108, v99, v89
	s_waitcnt lgkmcnt(0)
	s_delay_alu instid0(VALU_DEP_1) | instskip(NEXT) | instid1(VALU_DEP_1)
	v_fmac_f32_e32 v108, v100, v90
	v_fmac_f32_e32 v108, v101, v91
	s_delay_alu instid0(VALU_DEP_1)
	v_sub_f32_e32 v2, v87, v108
	scratch_store_b32 off, v2, off offset:104
	v_cmpx_lt_u32_e32 25, v0
	s_cbranch_execz .LBB40_203
; %bb.202:
	scratch_load_b32 v2, off, off offset:100
	v_mov_b32_e32 v3, 0
	scratch_store_b32 off, v3, off offset:100
	s_waitcnt vmcnt(0)
	ds_store_b32 v1, v2
.LBB40_203:
	s_or_b32 exec_lo, exec_lo, s0
	s_waitcnt lgkmcnt(0)
	s_waitcnt_vscnt null, 0x0
	s_barrier
	buffer_gl0_inv
	s_clause 0x3
	scratch_load_b128 v[87:90], off, off offset:100
	scratch_load_b128 v[91:94], off, off offset:116
	scratch_load_b128 v[95:98], off, off offset:132
	scratch_load_b128 v[99:102], off, off offset:148
	v_mov_b32_e32 v2, 0
	ds_load_2addr_b64 v[103:106], v2 offset0:35 offset1:36
	ds_load_2addr_b64 v[107:110], v2 offset0:37 offset1:38
	s_mov_b32 s0, exec_lo
	s_waitcnt vmcnt(3) lgkmcnt(1)
	v_fma_f32 v103, v88, v103, 0
	s_delay_alu instid0(VALU_DEP_1) | instskip(SKIP_3) | instid1(VALU_DEP_1)
	v_fmac_f32_e32 v103, v89, v104
	ds_load_b64 v[3:4], v2 offset:328
	v_fmac_f32_e32 v103, v90, v105
	s_waitcnt vmcnt(2)
	v_fmac_f32_e32 v103, v91, v106
	ds_load_2addr_b64 v[88:91], v2 offset0:39 offset1:40
	s_waitcnt lgkmcnt(2)
	v_fmac_f32_e32 v103, v92, v107
	s_delay_alu instid0(VALU_DEP_1) | instskip(NEXT) | instid1(VALU_DEP_1)
	v_fmac_f32_e32 v103, v93, v108
	v_fmac_f32_e32 v103, v94, v109
	s_waitcnt vmcnt(1)
	s_delay_alu instid0(VALU_DEP_1) | instskip(SKIP_1) | instid1(VALU_DEP_1)
	v_fmac_f32_e32 v103, v95, v110
	s_waitcnt lgkmcnt(0)
	v_fmac_f32_e32 v103, v96, v88
	ds_load_b32 v88, v2 offset:336
	v_fmac_f32_e32 v103, v97, v89
	s_delay_alu instid0(VALU_DEP_1) | instskip(SKIP_1) | instid1(VALU_DEP_1)
	v_fmac_f32_e32 v103, v98, v90
	s_waitcnt vmcnt(0)
	v_fmac_f32_e32 v103, v99, v91
	s_delay_alu instid0(VALU_DEP_1) | instskip(NEXT) | instid1(VALU_DEP_1)
	v_fmac_f32_e32 v103, v100, v3
	v_fmac_f32_e32 v103, v101, v4
	s_waitcnt lgkmcnt(0)
	s_delay_alu instid0(VALU_DEP_1) | instskip(NEXT) | instid1(VALU_DEP_1)
	v_fmac_f32_e32 v103, v102, v88
	v_sub_f32_e32 v3, v87, v103
	scratch_store_b32 off, v3, off offset:100
	v_cmpx_lt_u32_e32 24, v0
	s_cbranch_execz .LBB40_205
; %bb.204:
	scratch_load_b32 v3, off, off offset:96
	scratch_store_b32 off, v2, off offset:96
	s_waitcnt vmcnt(0)
	ds_store_b32 v1, v3
.LBB40_205:
	s_or_b32 exec_lo, exec_lo, s0
	s_waitcnt lgkmcnt(0)
	s_waitcnt_vscnt null, 0x0
	s_barrier
	buffer_gl0_inv
	s_clause 0x4
	scratch_load_b128 v[87:90], off, off offset:96
	scratch_load_b128 v[91:94], off, off offset:112
	;; [unrolled: 1-line block ×4, first 2 shown]
	scratch_load_b32 v109, off, off offset:160
	ds_load_2addr_b32 v[3:4], v2 offset0:69 offset1:70
	ds_load_2addr_b32 v[103:104], v2 offset0:71 offset1:72
	;; [unrolled: 1-line block ×4, first 2 shown]
	s_mov_b32 s0, exec_lo
	s_waitcnt vmcnt(4) lgkmcnt(3)
	v_fma_f32 v110, v88, v3, 0
	s_delay_alu instid0(VALU_DEP_1)
	v_fmac_f32_e32 v110, v89, v4
	ds_load_2addr_b32 v[3:4], v2 offset0:77 offset1:78
	ds_load_2addr_b32 v[88:89], v2 offset0:79 offset1:80
	s_waitcnt lgkmcnt(4)
	v_fmac_f32_e32 v110, v90, v103
	s_waitcnt vmcnt(3)
	s_delay_alu instid0(VALU_DEP_1) | instskip(SKIP_1) | instid1(VALU_DEP_1)
	v_fmac_f32_e32 v110, v91, v104
	s_waitcnt lgkmcnt(3)
	v_fmac_f32_e32 v110, v92, v105
	s_delay_alu instid0(VALU_DEP_1)
	v_fmac_f32_e32 v110, v93, v106
	ds_load_2addr_b32 v[90:91], v2 offset0:81 offset1:82
	ds_load_2addr_b32 v[92:93], v2 offset0:83 offset1:84
	s_waitcnt lgkmcnt(4)
	v_fmac_f32_e32 v110, v94, v107
	s_waitcnt vmcnt(2)
	s_delay_alu instid0(VALU_DEP_1) | instskip(SKIP_1) | instid1(VALU_DEP_1)
	v_fmac_f32_e32 v110, v95, v108
	s_waitcnt lgkmcnt(3)
	v_fmac_f32_e32 v110, v96, v3
	s_delay_alu instid0(VALU_DEP_1) | instskip(SKIP_1) | instid1(VALU_DEP_1)
	v_fmac_f32_e32 v110, v97, v4
	s_waitcnt lgkmcnt(2)
	v_fmac_f32_e32 v110, v98, v88
	s_waitcnt vmcnt(1)
	s_delay_alu instid0(VALU_DEP_1) | instskip(SKIP_1) | instid1(VALU_DEP_1)
	v_fmac_f32_e32 v110, v99, v89
	s_waitcnt lgkmcnt(1)
	v_fmac_f32_e32 v110, v100, v90
	s_delay_alu instid0(VALU_DEP_1) | instskip(SKIP_1) | instid1(VALU_DEP_1)
	v_fmac_f32_e32 v110, v101, v91
	s_waitcnt lgkmcnt(0)
	v_fmac_f32_e32 v110, v102, v92
	s_waitcnt vmcnt(0)
	s_delay_alu instid0(VALU_DEP_1) | instskip(NEXT) | instid1(VALU_DEP_1)
	v_fmac_f32_e32 v110, v109, v93
	v_sub_f32_e32 v2, v87, v110
	scratch_store_b32 off, v2, off offset:96
	v_cmpx_lt_u32_e32 23, v0
	s_cbranch_execz .LBB40_207
; %bb.206:
	scratch_load_b32 v2, off, off offset:92
	v_mov_b32_e32 v3, 0
	scratch_store_b32 off, v3, off offset:92
	s_waitcnt vmcnt(0)
	ds_store_b32 v1, v2
.LBB40_207:
	s_or_b32 exec_lo, exec_lo, s0
	s_waitcnt lgkmcnt(0)
	s_waitcnt_vscnt null, 0x0
	s_barrier
	buffer_gl0_inv
	s_clause 0x4
	scratch_load_b128 v[87:90], off, off offset:92
	scratch_load_b128 v[91:94], off, off offset:108
	;; [unrolled: 1-line block ×4, first 2 shown]
	scratch_load_b64 v[3:4], off, off offset:156
	v_mov_b32_e32 v2, 0
	ds_load_b128 v[103:106], v2 offset:272
	ds_load_b128 v[107:110], v2 offset:288
	s_mov_b32 s0, exec_lo
	s_waitcnt vmcnt(4) lgkmcnt(1)
	v_fma_f32 v103, v88, v103, 0
	s_delay_alu instid0(VALU_DEP_1) | instskip(NEXT) | instid1(VALU_DEP_1)
	v_fmac_f32_e32 v103, v89, v104
	v_fmac_f32_e32 v103, v90, v105
	s_waitcnt vmcnt(3)
	s_delay_alu instid0(VALU_DEP_1) | instskip(SKIP_3) | instid1(VALU_DEP_1)
	v_fmac_f32_e32 v103, v91, v106
	ds_load_b128 v[88:91], v2 offset:304
	s_waitcnt lgkmcnt(1)
	v_fmac_f32_e32 v103, v92, v107
	v_fmac_f32_e32 v103, v93, v108
	s_delay_alu instid0(VALU_DEP_1) | instskip(SKIP_1) | instid1(VALU_DEP_1)
	v_fmac_f32_e32 v103, v94, v109
	s_waitcnt vmcnt(2)
	v_fmac_f32_e32 v103, v95, v110
	ds_load_b128 v[92:95], v2 offset:320
	s_waitcnt lgkmcnt(1)
	v_fmac_f32_e32 v103, v96, v88
	ds_load_b32 v88, v2 offset:336
	v_fmac_f32_e32 v103, v97, v89
	s_delay_alu instid0(VALU_DEP_1) | instskip(SKIP_1) | instid1(VALU_DEP_1)
	v_fmac_f32_e32 v103, v98, v90
	s_waitcnt vmcnt(1)
	v_fmac_f32_e32 v103, v99, v91
	s_waitcnt lgkmcnt(1)
	s_delay_alu instid0(VALU_DEP_1) | instskip(NEXT) | instid1(VALU_DEP_1)
	v_fmac_f32_e32 v103, v100, v92
	v_fmac_f32_e32 v103, v101, v93
	s_delay_alu instid0(VALU_DEP_1) | instskip(SKIP_1) | instid1(VALU_DEP_1)
	v_fmac_f32_e32 v103, v102, v94
	s_waitcnt vmcnt(0)
	v_fmac_f32_e32 v103, v3, v95
	s_waitcnt lgkmcnt(0)
	s_delay_alu instid0(VALU_DEP_1) | instskip(NEXT) | instid1(VALU_DEP_1)
	v_fmac_f32_e32 v103, v4, v88
	v_sub_f32_e32 v3, v87, v103
	scratch_store_b32 off, v3, off offset:92
	v_cmpx_lt_u32_e32 22, v0
	s_cbranch_execz .LBB40_209
; %bb.208:
	scratch_load_b32 v3, off, off offset:88
	scratch_store_b32 off, v2, off offset:88
	s_waitcnt vmcnt(0)
	ds_store_b32 v1, v3
.LBB40_209:
	s_or_b32 exec_lo, exec_lo, s0
	s_waitcnt lgkmcnt(0)
	s_waitcnt_vscnt null, 0x0
	s_barrier
	buffer_gl0_inv
	s_clause 0x4
	scratch_load_b128 v[87:90], off, off offset:88
	scratch_load_b128 v[91:94], off, off offset:104
	;; [unrolled: 1-line block ×4, first 2 shown]
	scratch_load_b96 v[103:105], off, off offset:152
	ds_load_2addr_b32 v[3:4], v2 offset0:67 offset1:68
	ds_load_2addr_b32 v[106:107], v2 offset0:69 offset1:70
	;; [unrolled: 1-line block ×4, first 2 shown]
	s_mov_b32 s0, exec_lo
	s_waitcnt vmcnt(4) lgkmcnt(3)
	v_fma_f32 v112, v88, v3, 0
	s_delay_alu instid0(VALU_DEP_1)
	v_fmac_f32_e32 v112, v89, v4
	ds_load_2addr_b32 v[3:4], v2 offset0:75 offset1:76
	ds_load_2addr_b32 v[88:89], v2 offset0:77 offset1:78
	s_waitcnt lgkmcnt(4)
	v_fmac_f32_e32 v112, v90, v106
	s_waitcnt vmcnt(3)
	s_delay_alu instid0(VALU_DEP_1) | instskip(SKIP_1) | instid1(VALU_DEP_1)
	v_fmac_f32_e32 v112, v91, v107
	s_waitcnt lgkmcnt(3)
	v_fmac_f32_e32 v112, v92, v108
	s_delay_alu instid0(VALU_DEP_1)
	v_fmac_f32_e32 v112, v93, v109
	ds_load_2addr_b32 v[90:91], v2 offset0:79 offset1:80
	ds_load_2addr_b32 v[92:93], v2 offset0:81 offset1:82
	s_waitcnt lgkmcnt(4)
	v_fmac_f32_e32 v112, v94, v110
	s_waitcnt vmcnt(2)
	s_delay_alu instid0(VALU_DEP_1) | instskip(SKIP_1) | instid1(VALU_DEP_1)
	v_fmac_f32_e32 v112, v95, v111
	s_waitcnt lgkmcnt(3)
	v_fmac_f32_e32 v112, v96, v3
	ds_load_2addr_b32 v[2:3], v2 offset0:83 offset1:84
	v_fmac_f32_e32 v112, v97, v4
	s_waitcnt lgkmcnt(3)
	s_delay_alu instid0(VALU_DEP_1) | instskip(SKIP_1) | instid1(VALU_DEP_1)
	v_fmac_f32_e32 v112, v98, v88
	s_waitcnt vmcnt(1)
	v_fmac_f32_e32 v112, v99, v89
	s_waitcnt lgkmcnt(2)
	s_delay_alu instid0(VALU_DEP_1) | instskip(NEXT) | instid1(VALU_DEP_1)
	v_fmac_f32_e32 v112, v100, v90
	v_fmac_f32_e32 v112, v101, v91
	s_waitcnt lgkmcnt(1)
	s_delay_alu instid0(VALU_DEP_1) | instskip(SKIP_1) | instid1(VALU_DEP_1)
	v_fmac_f32_e32 v112, v102, v92
	s_waitcnt vmcnt(0)
	v_fmac_f32_e32 v112, v103, v93
	s_waitcnt lgkmcnt(0)
	s_delay_alu instid0(VALU_DEP_1) | instskip(NEXT) | instid1(VALU_DEP_1)
	v_fmac_f32_e32 v112, v104, v2
	v_fmac_f32_e32 v112, v105, v3
	s_delay_alu instid0(VALU_DEP_1)
	v_sub_f32_e32 v2, v87, v112
	scratch_store_b32 off, v2, off offset:88
	v_cmpx_lt_u32_e32 21, v0
	s_cbranch_execz .LBB40_211
; %bb.210:
	scratch_load_b32 v2, off, off offset:84
	v_mov_b32_e32 v3, 0
	scratch_store_b32 off, v3, off offset:84
	s_waitcnt vmcnt(0)
	ds_store_b32 v1, v2
.LBB40_211:
	s_or_b32 exec_lo, exec_lo, s0
	s_waitcnt lgkmcnt(0)
	s_waitcnt_vscnt null, 0x0
	s_barrier
	buffer_gl0_inv
	s_clause 0x4
	scratch_load_b128 v[87:90], off, off offset:84
	scratch_load_b128 v[91:94], off, off offset:100
	;; [unrolled: 1-line block ×5, first 2 shown]
	v_mov_b32_e32 v2, 0
	ds_load_2addr_b64 v[107:110], v2 offset0:33 offset1:34
	ds_load_2addr_b64 v[111:114], v2 offset0:35 offset1:36
	s_mov_b32 s0, exec_lo
	s_waitcnt vmcnt(4) lgkmcnt(1)
	v_fma_f32 v107, v88, v107, 0
	s_delay_alu instid0(VALU_DEP_1) | instskip(SKIP_3) | instid1(VALU_DEP_1)
	v_fmac_f32_e32 v107, v89, v108
	ds_load_b64 v[3:4], v2 offset:328
	v_fmac_f32_e32 v107, v90, v109
	s_waitcnt vmcnt(3)
	v_fmac_f32_e32 v107, v91, v110
	ds_load_2addr_b64 v[88:91], v2 offset0:37 offset1:38
	s_waitcnt lgkmcnt(2)
	v_fmac_f32_e32 v107, v92, v111
	s_delay_alu instid0(VALU_DEP_1) | instskip(NEXT) | instid1(VALU_DEP_1)
	v_fmac_f32_e32 v107, v93, v112
	v_fmac_f32_e32 v107, v94, v113
	s_waitcnt vmcnt(2)
	s_delay_alu instid0(VALU_DEP_1)
	v_fmac_f32_e32 v107, v95, v114
	ds_load_2addr_b64 v[92:95], v2 offset0:39 offset1:40
	s_waitcnt lgkmcnt(1)
	v_fmac_f32_e32 v107, v96, v88
	ds_load_b32 v88, v2 offset:336
	v_fmac_f32_e32 v107, v97, v89
	s_delay_alu instid0(VALU_DEP_1) | instskip(SKIP_1) | instid1(VALU_DEP_1)
	v_fmac_f32_e32 v107, v98, v90
	s_waitcnt vmcnt(1)
	v_fmac_f32_e32 v107, v99, v91
	s_waitcnt lgkmcnt(1)
	s_delay_alu instid0(VALU_DEP_1) | instskip(NEXT) | instid1(VALU_DEP_1)
	v_fmac_f32_e32 v107, v100, v92
	v_fmac_f32_e32 v107, v101, v93
	s_delay_alu instid0(VALU_DEP_1) | instskip(SKIP_1) | instid1(VALU_DEP_1)
	v_fmac_f32_e32 v107, v102, v94
	s_waitcnt vmcnt(0)
	v_fmac_f32_e32 v107, v103, v95
	s_delay_alu instid0(VALU_DEP_1) | instskip(NEXT) | instid1(VALU_DEP_1)
	v_fmac_f32_e32 v107, v104, v3
	v_fmac_f32_e32 v107, v105, v4
	s_waitcnt lgkmcnt(0)
	s_delay_alu instid0(VALU_DEP_1) | instskip(NEXT) | instid1(VALU_DEP_1)
	v_fmac_f32_e32 v107, v106, v88
	v_sub_f32_e32 v3, v87, v107
	scratch_store_b32 off, v3, off offset:84
	v_cmpx_lt_u32_e32 20, v0
	s_cbranch_execz .LBB40_213
; %bb.212:
	scratch_load_b32 v3, off, off offset:80
	scratch_store_b32 off, v2, off offset:80
	s_waitcnt vmcnt(0)
	ds_store_b32 v1, v3
.LBB40_213:
	s_or_b32 exec_lo, exec_lo, s0
	s_waitcnt lgkmcnt(0)
	s_waitcnt_vscnt null, 0x0
	s_barrier
	buffer_gl0_inv
	s_clause 0x5
	scratch_load_b128 v[87:90], off, off offset:80
	scratch_load_b128 v[91:94], off, off offset:96
	;; [unrolled: 1-line block ×5, first 2 shown]
	scratch_load_b32 v113, off, off offset:160
	ds_load_2addr_b32 v[3:4], v2 offset0:65 offset1:66
	ds_load_2addr_b32 v[107:108], v2 offset0:67 offset1:68
	;; [unrolled: 1-line block ×4, first 2 shown]
	s_mov_b32 s0, exec_lo
	s_waitcnt vmcnt(5) lgkmcnt(3)
	v_fma_f32 v114, v88, v3, 0
	s_delay_alu instid0(VALU_DEP_1)
	v_fmac_f32_e32 v114, v89, v4
	ds_load_2addr_b32 v[3:4], v2 offset0:73 offset1:74
	ds_load_2addr_b32 v[88:89], v2 offset0:75 offset1:76
	s_waitcnt lgkmcnt(4)
	v_fmac_f32_e32 v114, v90, v107
	s_waitcnt vmcnt(4)
	s_delay_alu instid0(VALU_DEP_1) | instskip(SKIP_1) | instid1(VALU_DEP_1)
	v_fmac_f32_e32 v114, v91, v108
	s_waitcnt lgkmcnt(3)
	v_fmac_f32_e32 v114, v92, v109
	s_delay_alu instid0(VALU_DEP_1)
	v_fmac_f32_e32 v114, v93, v110
	ds_load_2addr_b32 v[90:91], v2 offset0:77 offset1:78
	ds_load_2addr_b32 v[92:93], v2 offset0:79 offset1:80
	s_waitcnt lgkmcnt(4)
	v_fmac_f32_e32 v114, v94, v111
	s_waitcnt vmcnt(3)
	s_delay_alu instid0(VALU_DEP_1) | instskip(SKIP_1) | instid1(VALU_DEP_1)
	v_fmac_f32_e32 v114, v95, v112
	s_waitcnt lgkmcnt(3)
	v_fmac_f32_e32 v114, v96, v3
	s_delay_alu instid0(VALU_DEP_1) | instskip(SKIP_4) | instid1(VALU_DEP_1)
	v_fmac_f32_e32 v114, v97, v4
	ds_load_2addr_b32 v[3:4], v2 offset0:81 offset1:82
	s_waitcnt lgkmcnt(3)
	v_fmac_f32_e32 v114, v98, v88
	s_waitcnt vmcnt(2)
	v_fmac_f32_e32 v114, v99, v89
	ds_load_2addr_b32 v[88:89], v2 offset0:83 offset1:84
	s_waitcnt lgkmcnt(3)
	v_fmac_f32_e32 v114, v100, v90
	s_delay_alu instid0(VALU_DEP_1) | instskip(SKIP_1) | instid1(VALU_DEP_1)
	v_fmac_f32_e32 v114, v101, v91
	s_waitcnt lgkmcnt(2)
	v_fmac_f32_e32 v114, v102, v92
	s_waitcnt vmcnt(1)
	s_delay_alu instid0(VALU_DEP_1) | instskip(SKIP_1) | instid1(VALU_DEP_1)
	v_fmac_f32_e32 v114, v103, v93
	s_waitcnt lgkmcnt(1)
	v_fmac_f32_e32 v114, v104, v3
	s_delay_alu instid0(VALU_DEP_1) | instskip(SKIP_1) | instid1(VALU_DEP_1)
	v_fmac_f32_e32 v114, v105, v4
	s_waitcnt lgkmcnt(0)
	v_fmac_f32_e32 v114, v106, v88
	s_waitcnt vmcnt(0)
	s_delay_alu instid0(VALU_DEP_1) | instskip(NEXT) | instid1(VALU_DEP_1)
	v_fmac_f32_e32 v114, v113, v89
	v_sub_f32_e32 v2, v87, v114
	scratch_store_b32 off, v2, off offset:80
	v_cmpx_lt_u32_e32 19, v0
	s_cbranch_execz .LBB40_215
; %bb.214:
	scratch_load_b32 v2, off, off offset:76
	v_mov_b32_e32 v3, 0
	scratch_store_b32 off, v3, off offset:76
	s_waitcnt vmcnt(0)
	ds_store_b32 v1, v2
.LBB40_215:
	s_or_b32 exec_lo, exec_lo, s0
	s_waitcnt lgkmcnt(0)
	s_waitcnt_vscnt null, 0x0
	s_barrier
	buffer_gl0_inv
	s_clause 0x5
	scratch_load_b128 v[87:90], off, off offset:76
	scratch_load_b128 v[91:94], off, off offset:92
	;; [unrolled: 1-line block ×5, first 2 shown]
	scratch_load_b64 v[3:4], off, off offset:156
	v_mov_b32_e32 v2, 0
	ds_load_b128 v[107:110], v2 offset:256
	ds_load_b128 v[111:114], v2 offset:272
	s_mov_b32 s0, exec_lo
	s_waitcnt vmcnt(5) lgkmcnt(1)
	v_fma_f32 v107, v88, v107, 0
	s_delay_alu instid0(VALU_DEP_1) | instskip(NEXT) | instid1(VALU_DEP_1)
	v_fmac_f32_e32 v107, v89, v108
	v_fmac_f32_e32 v107, v90, v109
	s_waitcnt vmcnt(4)
	s_delay_alu instid0(VALU_DEP_1) | instskip(SKIP_3) | instid1(VALU_DEP_1)
	v_fmac_f32_e32 v107, v91, v110
	ds_load_b128 v[88:91], v2 offset:288
	s_waitcnt lgkmcnt(1)
	v_fmac_f32_e32 v107, v92, v111
	v_fmac_f32_e32 v107, v93, v112
	s_delay_alu instid0(VALU_DEP_1) | instskip(SKIP_1) | instid1(VALU_DEP_1)
	v_fmac_f32_e32 v107, v94, v113
	s_waitcnt vmcnt(3)
	v_fmac_f32_e32 v107, v95, v114
	ds_load_b128 v[92:95], v2 offset:304
	s_waitcnt lgkmcnt(1)
	v_fmac_f32_e32 v107, v96, v88
	s_delay_alu instid0(VALU_DEP_1) | instskip(NEXT) | instid1(VALU_DEP_1)
	v_fmac_f32_e32 v107, v97, v89
	v_fmac_f32_e32 v107, v98, v90
	s_waitcnt vmcnt(2)
	s_delay_alu instid0(VALU_DEP_1)
	v_fmac_f32_e32 v107, v99, v91
	ds_load_b128 v[88:91], v2 offset:320
	s_waitcnt lgkmcnt(1)
	v_fmac_f32_e32 v107, v100, v92
	ds_load_b32 v92, v2 offset:336
	v_fmac_f32_e32 v107, v101, v93
	s_delay_alu instid0(VALU_DEP_1) | instskip(SKIP_1) | instid1(VALU_DEP_1)
	v_fmac_f32_e32 v107, v102, v94
	s_waitcnt vmcnt(1)
	v_fmac_f32_e32 v107, v103, v95
	s_waitcnt lgkmcnt(1)
	s_delay_alu instid0(VALU_DEP_1) | instskip(NEXT) | instid1(VALU_DEP_1)
	v_fmac_f32_e32 v107, v104, v88
	v_fmac_f32_e32 v107, v105, v89
	s_delay_alu instid0(VALU_DEP_1) | instskip(SKIP_1) | instid1(VALU_DEP_1)
	v_fmac_f32_e32 v107, v106, v90
	s_waitcnt vmcnt(0)
	v_fmac_f32_e32 v107, v3, v91
	s_waitcnt lgkmcnt(0)
	s_delay_alu instid0(VALU_DEP_1) | instskip(NEXT) | instid1(VALU_DEP_1)
	v_fmac_f32_e32 v107, v4, v92
	v_sub_f32_e32 v3, v87, v107
	scratch_store_b32 off, v3, off offset:76
	v_cmpx_lt_u32_e32 18, v0
	s_cbranch_execz .LBB40_217
; %bb.216:
	scratch_load_b32 v3, off, off offset:72
	scratch_store_b32 off, v2, off offset:72
	s_waitcnt vmcnt(0)
	ds_store_b32 v1, v3
.LBB40_217:
	s_or_b32 exec_lo, exec_lo, s0
	s_waitcnt lgkmcnt(0)
	s_waitcnt_vscnt null, 0x0
	s_barrier
	buffer_gl0_inv
	s_clause 0x5
	scratch_load_b128 v[87:90], off, off offset:72
	scratch_load_b128 v[91:94], off, off offset:88
	;; [unrolled: 1-line block ×5, first 2 shown]
	scratch_load_b96 v[107:109], off, off offset:152
	ds_load_2addr_b32 v[3:4], v2 offset0:63 offset1:64
	ds_load_2addr_b32 v[110:111], v2 offset0:65 offset1:66
	;; [unrolled: 1-line block ×4, first 2 shown]
	s_mov_b32 s0, exec_lo
	s_waitcnt vmcnt(5) lgkmcnt(3)
	v_fma_f32 v116, v88, v3, 0
	s_delay_alu instid0(VALU_DEP_1)
	v_fmac_f32_e32 v116, v89, v4
	ds_load_2addr_b32 v[3:4], v2 offset0:71 offset1:72
	ds_load_2addr_b32 v[88:89], v2 offset0:73 offset1:74
	s_waitcnt lgkmcnt(4)
	v_fmac_f32_e32 v116, v90, v110
	s_waitcnt vmcnt(4)
	s_delay_alu instid0(VALU_DEP_1) | instskip(SKIP_1) | instid1(VALU_DEP_1)
	v_fmac_f32_e32 v116, v91, v111
	s_waitcnt lgkmcnt(3)
	v_fmac_f32_e32 v116, v92, v112
	s_delay_alu instid0(VALU_DEP_1)
	v_fmac_f32_e32 v116, v93, v113
	ds_load_2addr_b32 v[90:91], v2 offset0:75 offset1:76
	ds_load_2addr_b32 v[92:93], v2 offset0:77 offset1:78
	s_waitcnt lgkmcnt(4)
	v_fmac_f32_e32 v116, v94, v114
	s_waitcnt vmcnt(3)
	s_delay_alu instid0(VALU_DEP_1) | instskip(SKIP_1) | instid1(VALU_DEP_1)
	v_fmac_f32_e32 v116, v95, v115
	s_waitcnt lgkmcnt(3)
	v_fmac_f32_e32 v116, v96, v3
	s_delay_alu instid0(VALU_DEP_1) | instskip(SKIP_4) | instid1(VALU_DEP_1)
	v_fmac_f32_e32 v116, v97, v4
	ds_load_2addr_b32 v[3:4], v2 offset0:79 offset1:80
	s_waitcnt lgkmcnt(3)
	v_fmac_f32_e32 v116, v98, v88
	s_waitcnt vmcnt(2)
	v_fmac_f32_e32 v116, v99, v89
	ds_load_2addr_b32 v[88:89], v2 offset0:81 offset1:82
	s_waitcnt lgkmcnt(3)
	v_fmac_f32_e32 v116, v100, v90
	s_delay_alu instid0(VALU_DEP_1) | instskip(SKIP_4) | instid1(VALU_DEP_1)
	v_fmac_f32_e32 v116, v101, v91
	ds_load_2addr_b32 v[90:91], v2 offset0:83 offset1:84
	s_waitcnt lgkmcnt(3)
	v_fmac_f32_e32 v116, v102, v92
	s_waitcnt vmcnt(1)
	v_fmac_f32_e32 v116, v103, v93
	s_waitcnt lgkmcnt(2)
	s_delay_alu instid0(VALU_DEP_1) | instskip(NEXT) | instid1(VALU_DEP_1)
	v_fmac_f32_e32 v116, v104, v3
	v_fmac_f32_e32 v116, v105, v4
	s_waitcnt lgkmcnt(1)
	s_delay_alu instid0(VALU_DEP_1) | instskip(SKIP_1) | instid1(VALU_DEP_1)
	v_fmac_f32_e32 v116, v106, v88
	s_waitcnt vmcnt(0)
	v_fmac_f32_e32 v116, v107, v89
	s_waitcnt lgkmcnt(0)
	s_delay_alu instid0(VALU_DEP_1) | instskip(NEXT) | instid1(VALU_DEP_1)
	v_fmac_f32_e32 v116, v108, v90
	v_fmac_f32_e32 v116, v109, v91
	s_delay_alu instid0(VALU_DEP_1)
	v_sub_f32_e32 v2, v87, v116
	scratch_store_b32 off, v2, off offset:72
	v_cmpx_lt_u32_e32 17, v0
	s_cbranch_execz .LBB40_219
; %bb.218:
	scratch_load_b32 v2, off, off offset:68
	v_mov_b32_e32 v3, 0
	scratch_store_b32 off, v3, off offset:68
	s_waitcnt vmcnt(0)
	ds_store_b32 v1, v2
.LBB40_219:
	s_or_b32 exec_lo, exec_lo, s0
	s_waitcnt lgkmcnt(0)
	s_waitcnt_vscnt null, 0x0
	s_barrier
	buffer_gl0_inv
	s_clause 0x5
	scratch_load_b128 v[87:90], off, off offset:68
	scratch_load_b128 v[91:94], off, off offset:84
	;; [unrolled: 1-line block ×6, first 2 shown]
	v_mov_b32_e32 v2, 0
	ds_load_2addr_b64 v[111:114], v2 offset0:31 offset1:32
	ds_load_2addr_b64 v[115:118], v2 offset0:33 offset1:34
	s_mov_b32 s0, exec_lo
	s_waitcnt vmcnt(5) lgkmcnt(1)
	v_fma_f32 v111, v88, v111, 0
	s_delay_alu instid0(VALU_DEP_1) | instskip(SKIP_3) | instid1(VALU_DEP_1)
	v_fmac_f32_e32 v111, v89, v112
	ds_load_b64 v[3:4], v2 offset:328
	v_fmac_f32_e32 v111, v90, v113
	s_waitcnt vmcnt(4)
	v_fmac_f32_e32 v111, v91, v114
	ds_load_2addr_b64 v[88:91], v2 offset0:35 offset1:36
	s_waitcnt lgkmcnt(2)
	v_fmac_f32_e32 v111, v92, v115
	s_delay_alu instid0(VALU_DEP_1) | instskip(NEXT) | instid1(VALU_DEP_1)
	v_fmac_f32_e32 v111, v93, v116
	v_fmac_f32_e32 v111, v94, v117
	s_waitcnt vmcnt(3)
	s_delay_alu instid0(VALU_DEP_1) | instskip(SKIP_3) | instid1(VALU_DEP_1)
	v_fmac_f32_e32 v111, v95, v118
	ds_load_2addr_b64 v[92:95], v2 offset0:37 offset1:38
	s_waitcnt lgkmcnt(1)
	v_fmac_f32_e32 v111, v96, v88
	v_fmac_f32_e32 v111, v97, v89
	s_delay_alu instid0(VALU_DEP_1) | instskip(SKIP_1) | instid1(VALU_DEP_1)
	v_fmac_f32_e32 v111, v98, v90
	s_waitcnt vmcnt(2)
	v_fmac_f32_e32 v111, v99, v91
	ds_load_2addr_b64 v[88:91], v2 offset0:39 offset1:40
	s_waitcnt lgkmcnt(1)
	v_fmac_f32_e32 v111, v100, v92
	s_delay_alu instid0(VALU_DEP_1) | instskip(NEXT) | instid1(VALU_DEP_1)
	v_fmac_f32_e32 v111, v101, v93
	v_fmac_f32_e32 v111, v102, v94
	s_waitcnt vmcnt(1)
	s_delay_alu instid0(VALU_DEP_1) | instskip(SKIP_1) | instid1(VALU_DEP_1)
	v_fmac_f32_e32 v111, v103, v95
	s_waitcnt lgkmcnt(0)
	v_fmac_f32_e32 v111, v104, v88
	ds_load_b32 v88, v2 offset:336
	v_fmac_f32_e32 v111, v105, v89
	s_delay_alu instid0(VALU_DEP_1) | instskip(SKIP_1) | instid1(VALU_DEP_1)
	v_fmac_f32_e32 v111, v106, v90
	s_waitcnt vmcnt(0)
	v_fmac_f32_e32 v111, v107, v91
	s_delay_alu instid0(VALU_DEP_1) | instskip(NEXT) | instid1(VALU_DEP_1)
	v_fmac_f32_e32 v111, v108, v3
	v_fmac_f32_e32 v111, v109, v4
	s_waitcnt lgkmcnt(0)
	s_delay_alu instid0(VALU_DEP_1) | instskip(NEXT) | instid1(VALU_DEP_1)
	v_fmac_f32_e32 v111, v110, v88
	v_sub_f32_e32 v3, v87, v111
	scratch_store_b32 off, v3, off offset:68
	v_cmpx_lt_u32_e32 16, v0
	s_cbranch_execz .LBB40_221
; %bb.220:
	scratch_load_b32 v3, off, off offset:64
	scratch_store_b32 off, v2, off offset:64
	s_waitcnt vmcnt(0)
	ds_store_b32 v1, v3
.LBB40_221:
	s_or_b32 exec_lo, exec_lo, s0
	s_waitcnt lgkmcnt(0)
	s_waitcnt_vscnt null, 0x0
	s_barrier
	buffer_gl0_inv
	s_clause 0x6
	scratch_load_b128 v[87:90], off, off offset:64
	scratch_load_b128 v[91:94], off, off offset:80
	;; [unrolled: 1-line block ×6, first 2 shown]
	scratch_load_b32 v117, off, off offset:160
	ds_load_2addr_b32 v[3:4], v2 offset0:61 offset1:62
	ds_load_2addr_b32 v[111:112], v2 offset0:63 offset1:64
	ds_load_2addr_b32 v[113:114], v2 offset0:65 offset1:66
	ds_load_2addr_b32 v[115:116], v2 offset0:67 offset1:68
	s_mov_b32 s0, exec_lo
	s_waitcnt vmcnt(6) lgkmcnt(3)
	v_fma_f32 v118, v88, v3, 0
	s_delay_alu instid0(VALU_DEP_1)
	v_fmac_f32_e32 v118, v89, v4
	ds_load_2addr_b32 v[3:4], v2 offset0:69 offset1:70
	ds_load_2addr_b32 v[88:89], v2 offset0:71 offset1:72
	s_waitcnt lgkmcnt(4)
	v_fmac_f32_e32 v118, v90, v111
	s_waitcnt vmcnt(5)
	s_delay_alu instid0(VALU_DEP_1) | instskip(SKIP_1) | instid1(VALU_DEP_1)
	v_fmac_f32_e32 v118, v91, v112
	s_waitcnt lgkmcnt(3)
	v_fmac_f32_e32 v118, v92, v113
	s_delay_alu instid0(VALU_DEP_1)
	v_fmac_f32_e32 v118, v93, v114
	ds_load_2addr_b32 v[90:91], v2 offset0:73 offset1:74
	ds_load_2addr_b32 v[92:93], v2 offset0:75 offset1:76
	s_waitcnt lgkmcnt(4)
	v_fmac_f32_e32 v118, v94, v115
	s_waitcnt vmcnt(4)
	s_delay_alu instid0(VALU_DEP_1) | instskip(SKIP_1) | instid1(VALU_DEP_1)
	v_fmac_f32_e32 v118, v95, v116
	s_waitcnt lgkmcnt(3)
	v_fmac_f32_e32 v118, v96, v3
	s_delay_alu instid0(VALU_DEP_1) | instskip(SKIP_4) | instid1(VALU_DEP_1)
	v_fmac_f32_e32 v118, v97, v4
	ds_load_2addr_b32 v[3:4], v2 offset0:77 offset1:78
	s_waitcnt lgkmcnt(3)
	v_fmac_f32_e32 v118, v98, v88
	s_waitcnt vmcnt(3)
	v_fmac_f32_e32 v118, v99, v89
	ds_load_2addr_b32 v[88:89], v2 offset0:79 offset1:80
	s_waitcnt lgkmcnt(3)
	v_fmac_f32_e32 v118, v100, v90
	s_delay_alu instid0(VALU_DEP_1) | instskip(SKIP_1) | instid1(VALU_DEP_1)
	v_fmac_f32_e32 v118, v101, v91
	s_waitcnt lgkmcnt(2)
	v_fmac_f32_e32 v118, v102, v92
	s_waitcnt vmcnt(2)
	s_delay_alu instid0(VALU_DEP_1) | instskip(SKIP_4) | instid1(VALU_DEP_1)
	v_fmac_f32_e32 v118, v103, v93
	ds_load_2addr_b32 v[90:91], v2 offset0:81 offset1:82
	ds_load_2addr_b32 v[92:93], v2 offset0:83 offset1:84
	s_waitcnt lgkmcnt(3)
	v_fmac_f32_e32 v118, v104, v3
	v_fmac_f32_e32 v118, v105, v4
	s_waitcnt lgkmcnt(2)
	s_delay_alu instid0(VALU_DEP_1) | instskip(SKIP_1) | instid1(VALU_DEP_1)
	v_fmac_f32_e32 v118, v106, v88
	s_waitcnt vmcnt(1)
	v_fmac_f32_e32 v118, v107, v89
	s_waitcnt lgkmcnt(1)
	s_delay_alu instid0(VALU_DEP_1) | instskip(NEXT) | instid1(VALU_DEP_1)
	v_fmac_f32_e32 v118, v108, v90
	v_fmac_f32_e32 v118, v109, v91
	s_waitcnt lgkmcnt(0)
	s_delay_alu instid0(VALU_DEP_1) | instskip(SKIP_1) | instid1(VALU_DEP_1)
	v_fmac_f32_e32 v118, v110, v92
	s_waitcnt vmcnt(0)
	v_fmac_f32_e32 v118, v117, v93
	s_delay_alu instid0(VALU_DEP_1)
	v_sub_f32_e32 v2, v87, v118
	scratch_store_b32 off, v2, off offset:64
	v_cmpx_lt_u32_e32 15, v0
	s_cbranch_execz .LBB40_223
; %bb.222:
	scratch_load_b32 v2, off, off offset:60
	v_mov_b32_e32 v3, 0
	scratch_store_b32 off, v3, off offset:60
	s_waitcnt vmcnt(0)
	ds_store_b32 v1, v2
.LBB40_223:
	s_or_b32 exec_lo, exec_lo, s0
	s_waitcnt lgkmcnt(0)
	s_waitcnt_vscnt null, 0x0
	s_barrier
	buffer_gl0_inv
	s_clause 0x6
	scratch_load_b128 v[87:90], off, off offset:60
	scratch_load_b128 v[91:94], off, off offset:76
	;; [unrolled: 1-line block ×6, first 2 shown]
	scratch_load_b64 v[3:4], off, off offset:156
	v_mov_b32_e32 v2, 0
	ds_load_b128 v[111:114], v2 offset:240
	ds_load_b128 v[115:118], v2 offset:256
	s_mov_b32 s0, exec_lo
	s_waitcnt vmcnt(6) lgkmcnt(1)
	v_fma_f32 v111, v88, v111, 0
	s_delay_alu instid0(VALU_DEP_1) | instskip(NEXT) | instid1(VALU_DEP_1)
	v_fmac_f32_e32 v111, v89, v112
	v_fmac_f32_e32 v111, v90, v113
	s_waitcnt vmcnt(5)
	s_delay_alu instid0(VALU_DEP_1) | instskip(SKIP_3) | instid1(VALU_DEP_1)
	v_fmac_f32_e32 v111, v91, v114
	ds_load_b128 v[88:91], v2 offset:272
	s_waitcnt lgkmcnt(1)
	v_fmac_f32_e32 v111, v92, v115
	v_fmac_f32_e32 v111, v93, v116
	s_delay_alu instid0(VALU_DEP_1) | instskip(SKIP_1) | instid1(VALU_DEP_1)
	v_fmac_f32_e32 v111, v94, v117
	s_waitcnt vmcnt(4)
	v_fmac_f32_e32 v111, v95, v118
	ds_load_b128 v[92:95], v2 offset:288
	s_waitcnt lgkmcnt(1)
	v_fmac_f32_e32 v111, v96, v88
	s_delay_alu instid0(VALU_DEP_1) | instskip(NEXT) | instid1(VALU_DEP_1)
	v_fmac_f32_e32 v111, v97, v89
	v_fmac_f32_e32 v111, v98, v90
	s_waitcnt vmcnt(3)
	s_delay_alu instid0(VALU_DEP_1) | instskip(SKIP_3) | instid1(VALU_DEP_1)
	v_fmac_f32_e32 v111, v99, v91
	ds_load_b128 v[88:91], v2 offset:304
	s_waitcnt lgkmcnt(1)
	v_fmac_f32_e32 v111, v100, v92
	v_fmac_f32_e32 v111, v101, v93
	s_delay_alu instid0(VALU_DEP_1) | instskip(SKIP_1) | instid1(VALU_DEP_1)
	v_fmac_f32_e32 v111, v102, v94
	s_waitcnt vmcnt(2)
	v_fmac_f32_e32 v111, v103, v95
	ds_load_b128 v[92:95], v2 offset:320
	s_waitcnt lgkmcnt(1)
	v_fmac_f32_e32 v111, v104, v88
	ds_load_b32 v88, v2 offset:336
	v_fmac_f32_e32 v111, v105, v89
	s_delay_alu instid0(VALU_DEP_1) | instskip(SKIP_1) | instid1(VALU_DEP_1)
	v_fmac_f32_e32 v111, v106, v90
	s_waitcnt vmcnt(1)
	v_fmac_f32_e32 v111, v107, v91
	s_waitcnt lgkmcnt(1)
	s_delay_alu instid0(VALU_DEP_1) | instskip(NEXT) | instid1(VALU_DEP_1)
	v_fmac_f32_e32 v111, v108, v92
	v_fmac_f32_e32 v111, v109, v93
	s_delay_alu instid0(VALU_DEP_1) | instskip(SKIP_1) | instid1(VALU_DEP_1)
	v_fmac_f32_e32 v111, v110, v94
	s_waitcnt vmcnt(0)
	v_fmac_f32_e32 v111, v3, v95
	s_waitcnt lgkmcnt(0)
	s_delay_alu instid0(VALU_DEP_1) | instskip(NEXT) | instid1(VALU_DEP_1)
	v_fmac_f32_e32 v111, v4, v88
	v_sub_f32_e32 v3, v87, v111
	scratch_store_b32 off, v3, off offset:60
	v_cmpx_lt_u32_e32 14, v0
	s_cbranch_execz .LBB40_225
; %bb.224:
	scratch_load_b32 v3, off, off offset:56
	scratch_store_b32 off, v2, off offset:56
	s_waitcnt vmcnt(0)
	ds_store_b32 v1, v3
.LBB40_225:
	s_or_b32 exec_lo, exec_lo, s0
	s_waitcnt lgkmcnt(0)
	s_waitcnt_vscnt null, 0x0
	s_barrier
	buffer_gl0_inv
	s_clause 0x6
	scratch_load_b128 v[87:90], off, off offset:56
	scratch_load_b128 v[91:94], off, off offset:72
	;; [unrolled: 1-line block ×6, first 2 shown]
	scratch_load_b96 v[111:113], off, off offset:152
	ds_load_2addr_b32 v[3:4], v2 offset0:59 offset1:60
	ds_load_2addr_b32 v[114:115], v2 offset0:61 offset1:62
	;; [unrolled: 1-line block ×3, first 2 shown]
	s_mov_b32 s0, exec_lo
	s_waitcnt vmcnt(6) lgkmcnt(2)
	v_fma_f32 v118, v88, v3, 0
	s_delay_alu instid0(VALU_DEP_1)
	v_fmac_f32_e32 v118, v89, v4
	ds_load_2addr_b32 v[3:4], v2 offset0:65 offset1:66
	ds_load_2addr_b32 v[88:89], v2 offset0:67 offset1:68
	s_waitcnt lgkmcnt(3)
	v_fmac_f32_e32 v118, v90, v114
	s_waitcnt vmcnt(5)
	s_delay_alu instid0(VALU_DEP_1) | instskip(SKIP_3) | instid1(VALU_DEP_1)
	v_fmac_f32_e32 v118, v91, v115
	ds_load_2addr_b32 v[90:91], v2 offset0:69 offset1:70
	s_waitcnt lgkmcnt(3)
	v_fmac_f32_e32 v118, v92, v116
	v_fmac_f32_e32 v118, v93, v117
	s_waitcnt lgkmcnt(2)
	s_delay_alu instid0(VALU_DEP_1) | instskip(SKIP_1) | instid1(VALU_DEP_1)
	v_fmac_f32_e32 v118, v94, v3
	s_waitcnt vmcnt(4)
	v_fmac_f32_e32 v118, v95, v4
	ds_load_2addr_b32 v[3:4], v2 offset0:71 offset1:72
	s_waitcnt lgkmcnt(2)
	v_fmac_f32_e32 v118, v96, v88
	s_delay_alu instid0(VALU_DEP_1) | instskip(SKIP_4) | instid1(VALU_DEP_1)
	v_fmac_f32_e32 v118, v97, v89
	ds_load_2addr_b32 v[88:89], v2 offset0:73 offset1:74
	s_waitcnt lgkmcnt(2)
	v_fmac_f32_e32 v118, v98, v90
	s_waitcnt vmcnt(3)
	v_fmac_f32_e32 v118, v99, v91
	ds_load_2addr_b32 v[90:91], v2 offset0:75 offset1:76
	s_waitcnt lgkmcnt(2)
	v_fmac_f32_e32 v118, v100, v3
	s_delay_alu instid0(VALU_DEP_1) | instskip(SKIP_4) | instid1(VALU_DEP_1)
	v_fmac_f32_e32 v118, v101, v4
	ds_load_2addr_b32 v[3:4], v2 offset0:77 offset1:78
	s_waitcnt lgkmcnt(2)
	v_fmac_f32_e32 v118, v102, v88
	s_waitcnt vmcnt(2)
	v_fmac_f32_e32 v118, v103, v89
	ds_load_2addr_b32 v[88:89], v2 offset0:79 offset1:80
	s_waitcnt lgkmcnt(2)
	v_fmac_f32_e32 v118, v104, v90
	s_delay_alu instid0(VALU_DEP_1)
	v_fmac_f32_e32 v118, v105, v91
	ds_load_2addr_b32 v[90:91], v2 offset0:81 offset1:82
	s_waitcnt lgkmcnt(2)
	v_fmac_f32_e32 v118, v106, v3
	ds_load_2addr_b32 v[2:3], v2 offset0:83 offset1:84
	s_waitcnt vmcnt(1)
	v_fmac_f32_e32 v118, v107, v4
	s_waitcnt lgkmcnt(2)
	s_delay_alu instid0(VALU_DEP_1) | instskip(NEXT) | instid1(VALU_DEP_1)
	v_fmac_f32_e32 v118, v108, v88
	v_fmac_f32_e32 v118, v109, v89
	s_waitcnt lgkmcnt(1)
	s_delay_alu instid0(VALU_DEP_1) | instskip(SKIP_1) | instid1(VALU_DEP_1)
	v_fmac_f32_e32 v118, v110, v90
	s_waitcnt vmcnt(0)
	v_fmac_f32_e32 v118, v111, v91
	s_waitcnt lgkmcnt(0)
	s_delay_alu instid0(VALU_DEP_1) | instskip(NEXT) | instid1(VALU_DEP_1)
	v_fmac_f32_e32 v118, v112, v2
	v_fmac_f32_e32 v118, v113, v3
	s_delay_alu instid0(VALU_DEP_1)
	v_sub_f32_e32 v2, v87, v118
	scratch_store_b32 off, v2, off offset:56
	v_cmpx_lt_u32_e32 13, v0
	s_cbranch_execz .LBB40_227
; %bb.226:
	scratch_load_b32 v2, off, off offset:52
	v_mov_b32_e32 v3, 0
	scratch_store_b32 off, v3, off offset:52
	s_waitcnt vmcnt(0)
	ds_store_b32 v1, v2
.LBB40_227:
	s_or_b32 exec_lo, exec_lo, s0
	s_waitcnt lgkmcnt(0)
	s_waitcnt_vscnt null, 0x0
	s_barrier
	buffer_gl0_inv
	s_clause 0x6
	scratch_load_b128 v[87:90], off, off offset:52
	scratch_load_b128 v[91:94], off, off offset:68
	;; [unrolled: 1-line block ×7, first 2 shown]
	v_mov_b32_e32 v2, 0
	ds_load_2addr_b64 v[115:118], v2 offset0:29 offset1:30
	ds_load_2addr_b64 v[119:122], v2 offset0:31 offset1:32
	s_mov_b32 s0, exec_lo
	s_waitcnt vmcnt(6) lgkmcnt(1)
	v_fma_f32 v115, v88, v115, 0
	s_delay_alu instid0(VALU_DEP_1) | instskip(SKIP_3) | instid1(VALU_DEP_1)
	v_fmac_f32_e32 v115, v89, v116
	ds_load_b64 v[3:4], v2 offset:328
	v_fmac_f32_e32 v115, v90, v117
	s_waitcnt vmcnt(5)
	v_fmac_f32_e32 v115, v91, v118
	ds_load_2addr_b64 v[88:91], v2 offset0:33 offset1:34
	s_waitcnt lgkmcnt(2)
	v_fmac_f32_e32 v115, v92, v119
	s_delay_alu instid0(VALU_DEP_1) | instskip(NEXT) | instid1(VALU_DEP_1)
	v_fmac_f32_e32 v115, v93, v120
	v_fmac_f32_e32 v115, v94, v121
	s_waitcnt vmcnt(4)
	s_delay_alu instid0(VALU_DEP_1) | instskip(SKIP_3) | instid1(VALU_DEP_1)
	v_fmac_f32_e32 v115, v95, v122
	ds_load_2addr_b64 v[92:95], v2 offset0:35 offset1:36
	s_waitcnt lgkmcnt(1)
	v_fmac_f32_e32 v115, v96, v88
	v_fmac_f32_e32 v115, v97, v89
	s_delay_alu instid0(VALU_DEP_1) | instskip(SKIP_1) | instid1(VALU_DEP_1)
	v_fmac_f32_e32 v115, v98, v90
	s_waitcnt vmcnt(3)
	v_fmac_f32_e32 v115, v99, v91
	ds_load_2addr_b64 v[88:91], v2 offset0:37 offset1:38
	s_waitcnt lgkmcnt(1)
	v_fmac_f32_e32 v115, v100, v92
	s_delay_alu instid0(VALU_DEP_1) | instskip(NEXT) | instid1(VALU_DEP_1)
	v_fmac_f32_e32 v115, v101, v93
	v_fmac_f32_e32 v115, v102, v94
	s_waitcnt vmcnt(2)
	s_delay_alu instid0(VALU_DEP_1)
	v_fmac_f32_e32 v115, v103, v95
	ds_load_2addr_b64 v[92:95], v2 offset0:39 offset1:40
	s_waitcnt lgkmcnt(1)
	v_fmac_f32_e32 v115, v104, v88
	ds_load_b32 v88, v2 offset:336
	v_fmac_f32_e32 v115, v105, v89
	s_delay_alu instid0(VALU_DEP_1) | instskip(SKIP_1) | instid1(VALU_DEP_1)
	v_fmac_f32_e32 v115, v106, v90
	s_waitcnt vmcnt(1)
	v_fmac_f32_e32 v115, v107, v91
	s_waitcnt lgkmcnt(1)
	s_delay_alu instid0(VALU_DEP_1) | instskip(NEXT) | instid1(VALU_DEP_1)
	v_fmac_f32_e32 v115, v108, v92
	v_fmac_f32_e32 v115, v109, v93
	s_delay_alu instid0(VALU_DEP_1) | instskip(SKIP_1) | instid1(VALU_DEP_1)
	v_fmac_f32_e32 v115, v110, v94
	s_waitcnt vmcnt(0)
	v_fmac_f32_e32 v115, v111, v95
	s_delay_alu instid0(VALU_DEP_1) | instskip(NEXT) | instid1(VALU_DEP_1)
	v_fmac_f32_e32 v115, v112, v3
	v_fmac_f32_e32 v115, v113, v4
	s_waitcnt lgkmcnt(0)
	s_delay_alu instid0(VALU_DEP_1) | instskip(NEXT) | instid1(VALU_DEP_1)
	v_fmac_f32_e32 v115, v114, v88
	v_sub_f32_e32 v3, v87, v115
	scratch_store_b32 off, v3, off offset:52
	v_cmpx_lt_u32_e32 12, v0
	s_cbranch_execz .LBB40_229
; %bb.228:
	scratch_load_b32 v3, off, off offset:48
	scratch_store_b32 off, v2, off offset:48
	s_waitcnt vmcnt(0)
	ds_store_b32 v1, v3
.LBB40_229:
	s_or_b32 exec_lo, exec_lo, s0
	s_waitcnt lgkmcnt(0)
	s_waitcnt_vscnt null, 0x0
	s_barrier
	buffer_gl0_inv
	s_clause 0x7
	scratch_load_b128 v[87:90], off, off offset:48
	scratch_load_b128 v[91:94], off, off offset:64
	;; [unrolled: 1-line block ×7, first 2 shown]
	scratch_load_b32 v121, off, off offset:160
	ds_load_2addr_b32 v[3:4], v2 offset0:57 offset1:58
	ds_load_2addr_b32 v[115:116], v2 offset0:59 offset1:60
	;; [unrolled: 1-line block ×4, first 2 shown]
	s_mov_b32 s0, exec_lo
	s_waitcnt vmcnt(7) lgkmcnt(3)
	v_fma_f32 v122, v88, v3, 0
	s_delay_alu instid0(VALU_DEP_1)
	v_fmac_f32_e32 v122, v89, v4
	ds_load_2addr_b32 v[3:4], v2 offset0:65 offset1:66
	ds_load_2addr_b32 v[88:89], v2 offset0:67 offset1:68
	s_waitcnt lgkmcnt(4)
	v_fmac_f32_e32 v122, v90, v115
	s_waitcnt vmcnt(6)
	s_delay_alu instid0(VALU_DEP_1) | instskip(SKIP_1) | instid1(VALU_DEP_1)
	v_fmac_f32_e32 v122, v91, v116
	s_waitcnt lgkmcnt(3)
	v_fmac_f32_e32 v122, v92, v117
	s_delay_alu instid0(VALU_DEP_1)
	v_fmac_f32_e32 v122, v93, v118
	ds_load_2addr_b32 v[90:91], v2 offset0:69 offset1:70
	ds_load_2addr_b32 v[92:93], v2 offset0:71 offset1:72
	s_waitcnt lgkmcnt(4)
	v_fmac_f32_e32 v122, v94, v119
	s_waitcnt vmcnt(5)
	s_delay_alu instid0(VALU_DEP_1) | instskip(SKIP_1) | instid1(VALU_DEP_1)
	v_fmac_f32_e32 v122, v95, v120
	s_waitcnt lgkmcnt(3)
	v_fmac_f32_e32 v122, v96, v3
	s_delay_alu instid0(VALU_DEP_1) | instskip(SKIP_4) | instid1(VALU_DEP_1)
	v_fmac_f32_e32 v122, v97, v4
	ds_load_2addr_b32 v[3:4], v2 offset0:73 offset1:74
	s_waitcnt lgkmcnt(3)
	v_fmac_f32_e32 v122, v98, v88
	s_waitcnt vmcnt(4)
	v_fmac_f32_e32 v122, v99, v89
	ds_load_2addr_b32 v[88:89], v2 offset0:75 offset1:76
	s_waitcnt lgkmcnt(3)
	v_fmac_f32_e32 v122, v100, v90
	s_delay_alu instid0(VALU_DEP_1) | instskip(SKIP_1) | instid1(VALU_DEP_1)
	v_fmac_f32_e32 v122, v101, v91
	s_waitcnt lgkmcnt(2)
	v_fmac_f32_e32 v122, v102, v92
	s_waitcnt vmcnt(3)
	s_delay_alu instid0(VALU_DEP_1) | instskip(SKIP_4) | instid1(VALU_DEP_1)
	v_fmac_f32_e32 v122, v103, v93
	ds_load_2addr_b32 v[90:91], v2 offset0:77 offset1:78
	ds_load_2addr_b32 v[92:93], v2 offset0:79 offset1:80
	s_waitcnt lgkmcnt(3)
	v_fmac_f32_e32 v122, v104, v3
	v_fmac_f32_e32 v122, v105, v4
	ds_load_2addr_b32 v[3:4], v2 offset0:81 offset1:82
	s_waitcnt lgkmcnt(3)
	v_fmac_f32_e32 v122, v106, v88
	s_waitcnt vmcnt(2)
	s_delay_alu instid0(VALU_DEP_1) | instskip(SKIP_3) | instid1(VALU_DEP_1)
	v_fmac_f32_e32 v122, v107, v89
	ds_load_2addr_b32 v[88:89], v2 offset0:83 offset1:84
	s_waitcnt lgkmcnt(3)
	v_fmac_f32_e32 v122, v108, v90
	v_fmac_f32_e32 v122, v109, v91
	s_waitcnt lgkmcnt(2)
	s_delay_alu instid0(VALU_DEP_1) | instskip(SKIP_1) | instid1(VALU_DEP_1)
	v_fmac_f32_e32 v122, v110, v92
	s_waitcnt vmcnt(1)
	v_fmac_f32_e32 v122, v111, v93
	s_waitcnt lgkmcnt(1)
	s_delay_alu instid0(VALU_DEP_1) | instskip(NEXT) | instid1(VALU_DEP_1)
	v_fmac_f32_e32 v122, v112, v3
	v_fmac_f32_e32 v122, v113, v4
	s_waitcnt lgkmcnt(0)
	s_delay_alu instid0(VALU_DEP_1) | instskip(SKIP_1) | instid1(VALU_DEP_1)
	v_fmac_f32_e32 v122, v114, v88
	s_waitcnt vmcnt(0)
	v_fmac_f32_e32 v122, v121, v89
	s_delay_alu instid0(VALU_DEP_1)
	v_sub_f32_e32 v2, v87, v122
	scratch_store_b32 off, v2, off offset:48
	v_cmpx_lt_u32_e32 11, v0
	s_cbranch_execz .LBB40_231
; %bb.230:
	scratch_load_b32 v2, off, off offset:44
	v_mov_b32_e32 v3, 0
	scratch_store_b32 off, v3, off offset:44
	s_waitcnt vmcnt(0)
	ds_store_b32 v1, v2
.LBB40_231:
	s_or_b32 exec_lo, exec_lo, s0
	s_waitcnt lgkmcnt(0)
	s_waitcnt_vscnt null, 0x0
	s_barrier
	buffer_gl0_inv
	s_clause 0x7
	scratch_load_b128 v[87:90], off, off offset:44
	scratch_load_b128 v[91:94], off, off offset:60
	;; [unrolled: 1-line block ×7, first 2 shown]
	scratch_load_b64 v[3:4], off, off offset:156
	v_mov_b32_e32 v2, 0
	ds_load_b128 v[115:118], v2 offset:224
	ds_load_b128 v[119:122], v2 offset:240
	s_mov_b32 s0, exec_lo
	s_waitcnt vmcnt(7) lgkmcnt(1)
	v_fma_f32 v115, v88, v115, 0
	s_delay_alu instid0(VALU_DEP_1) | instskip(NEXT) | instid1(VALU_DEP_1)
	v_fmac_f32_e32 v115, v89, v116
	v_fmac_f32_e32 v115, v90, v117
	s_waitcnt vmcnt(6)
	s_delay_alu instid0(VALU_DEP_1) | instskip(SKIP_3) | instid1(VALU_DEP_1)
	v_fmac_f32_e32 v115, v91, v118
	ds_load_b128 v[88:91], v2 offset:256
	s_waitcnt lgkmcnt(1)
	v_fmac_f32_e32 v115, v92, v119
	v_fmac_f32_e32 v115, v93, v120
	s_delay_alu instid0(VALU_DEP_1) | instskip(SKIP_1) | instid1(VALU_DEP_1)
	v_fmac_f32_e32 v115, v94, v121
	s_waitcnt vmcnt(5)
	v_fmac_f32_e32 v115, v95, v122
	ds_load_b128 v[92:95], v2 offset:272
	s_waitcnt lgkmcnt(1)
	v_fmac_f32_e32 v115, v96, v88
	s_delay_alu instid0(VALU_DEP_1) | instskip(NEXT) | instid1(VALU_DEP_1)
	v_fmac_f32_e32 v115, v97, v89
	v_fmac_f32_e32 v115, v98, v90
	s_waitcnt vmcnt(4)
	s_delay_alu instid0(VALU_DEP_1) | instskip(SKIP_3) | instid1(VALU_DEP_1)
	v_fmac_f32_e32 v115, v99, v91
	ds_load_b128 v[88:91], v2 offset:288
	s_waitcnt lgkmcnt(1)
	v_fmac_f32_e32 v115, v100, v92
	v_fmac_f32_e32 v115, v101, v93
	s_delay_alu instid0(VALU_DEP_1) | instskip(SKIP_1) | instid1(VALU_DEP_1)
	v_fmac_f32_e32 v115, v102, v94
	s_waitcnt vmcnt(3)
	v_fmac_f32_e32 v115, v103, v95
	ds_load_b128 v[92:95], v2 offset:304
	s_waitcnt lgkmcnt(1)
	v_fmac_f32_e32 v115, v104, v88
	s_delay_alu instid0(VALU_DEP_1) | instskip(NEXT) | instid1(VALU_DEP_1)
	v_fmac_f32_e32 v115, v105, v89
	v_fmac_f32_e32 v115, v106, v90
	s_waitcnt vmcnt(2)
	s_delay_alu instid0(VALU_DEP_1)
	v_fmac_f32_e32 v115, v107, v91
	ds_load_b128 v[88:91], v2 offset:320
	s_waitcnt lgkmcnt(1)
	v_fmac_f32_e32 v115, v108, v92
	ds_load_b32 v92, v2 offset:336
	v_fmac_f32_e32 v115, v109, v93
	s_delay_alu instid0(VALU_DEP_1) | instskip(SKIP_1) | instid1(VALU_DEP_1)
	v_fmac_f32_e32 v115, v110, v94
	s_waitcnt vmcnt(1)
	v_fmac_f32_e32 v115, v111, v95
	s_waitcnt lgkmcnt(1)
	s_delay_alu instid0(VALU_DEP_1) | instskip(NEXT) | instid1(VALU_DEP_1)
	v_fmac_f32_e32 v115, v112, v88
	v_fmac_f32_e32 v115, v113, v89
	s_delay_alu instid0(VALU_DEP_1) | instskip(SKIP_1) | instid1(VALU_DEP_1)
	v_fmac_f32_e32 v115, v114, v90
	s_waitcnt vmcnt(0)
	v_fmac_f32_e32 v115, v3, v91
	s_waitcnt lgkmcnt(0)
	s_delay_alu instid0(VALU_DEP_1) | instskip(NEXT) | instid1(VALU_DEP_1)
	v_fmac_f32_e32 v115, v4, v92
	v_sub_f32_e32 v3, v87, v115
	scratch_store_b32 off, v3, off offset:44
	v_cmpx_lt_u32_e32 10, v0
	s_cbranch_execz .LBB40_233
; %bb.232:
	scratch_load_b32 v3, off, off offset:40
	scratch_store_b32 off, v2, off offset:40
	s_waitcnt vmcnt(0)
	ds_store_b32 v1, v3
.LBB40_233:
	s_or_b32 exec_lo, exec_lo, s0
	s_waitcnt lgkmcnt(0)
	s_waitcnt_vscnt null, 0x0
	s_barrier
	buffer_gl0_inv
	s_clause 0x7
	scratch_load_b128 v[87:90], off, off offset:40
	scratch_load_b128 v[91:94], off, off offset:56
	;; [unrolled: 1-line block ×7, first 2 shown]
	scratch_load_b96 v[115:117], off, off offset:152
	ds_load_2addr_b32 v[3:4], v2 offset0:55 offset1:56
	ds_load_2addr_b32 v[118:119], v2 offset0:57 offset1:58
	;; [unrolled: 1-line block ×4, first 2 shown]
	s_mov_b32 s0, exec_lo
	s_waitcnt vmcnt(7) lgkmcnt(3)
	v_fma_f32 v124, v88, v3, 0
	s_delay_alu instid0(VALU_DEP_1)
	v_fmac_f32_e32 v124, v89, v4
	ds_load_2addr_b32 v[3:4], v2 offset0:63 offset1:64
	ds_load_2addr_b32 v[88:89], v2 offset0:65 offset1:66
	s_waitcnt lgkmcnt(4)
	v_fmac_f32_e32 v124, v90, v118
	s_waitcnt vmcnt(6)
	s_delay_alu instid0(VALU_DEP_1) | instskip(SKIP_1) | instid1(VALU_DEP_1)
	v_fmac_f32_e32 v124, v91, v119
	s_waitcnt lgkmcnt(3)
	v_fmac_f32_e32 v124, v92, v120
	s_delay_alu instid0(VALU_DEP_1)
	v_fmac_f32_e32 v124, v93, v121
	ds_load_2addr_b32 v[90:91], v2 offset0:67 offset1:68
	ds_load_2addr_b32 v[92:93], v2 offset0:69 offset1:70
	s_waitcnt lgkmcnt(4)
	v_fmac_f32_e32 v124, v94, v122
	s_waitcnt vmcnt(5)
	s_delay_alu instid0(VALU_DEP_1) | instskip(SKIP_1) | instid1(VALU_DEP_1)
	v_fmac_f32_e32 v124, v95, v123
	s_waitcnt lgkmcnt(3)
	v_fmac_f32_e32 v124, v96, v3
	s_delay_alu instid0(VALU_DEP_1) | instskip(SKIP_4) | instid1(VALU_DEP_1)
	v_fmac_f32_e32 v124, v97, v4
	ds_load_2addr_b32 v[3:4], v2 offset0:71 offset1:72
	s_waitcnt lgkmcnt(3)
	v_fmac_f32_e32 v124, v98, v88
	s_waitcnt vmcnt(4)
	v_fmac_f32_e32 v124, v99, v89
	ds_load_2addr_b32 v[88:89], v2 offset0:73 offset1:74
	s_waitcnt lgkmcnt(3)
	v_fmac_f32_e32 v124, v100, v90
	s_delay_alu instid0(VALU_DEP_1) | instskip(SKIP_1) | instid1(VALU_DEP_1)
	v_fmac_f32_e32 v124, v101, v91
	s_waitcnt lgkmcnt(2)
	v_fmac_f32_e32 v124, v102, v92
	s_waitcnt vmcnt(3)
	s_delay_alu instid0(VALU_DEP_1) | instskip(SKIP_4) | instid1(VALU_DEP_1)
	v_fmac_f32_e32 v124, v103, v93
	ds_load_2addr_b32 v[90:91], v2 offset0:75 offset1:76
	ds_load_2addr_b32 v[92:93], v2 offset0:77 offset1:78
	s_waitcnt lgkmcnt(3)
	v_fmac_f32_e32 v124, v104, v3
	v_fmac_f32_e32 v124, v105, v4
	ds_load_2addr_b32 v[3:4], v2 offset0:79 offset1:80
	s_waitcnt lgkmcnt(3)
	v_fmac_f32_e32 v124, v106, v88
	s_waitcnt vmcnt(2)
	s_delay_alu instid0(VALU_DEP_1) | instskip(SKIP_3) | instid1(VALU_DEP_1)
	v_fmac_f32_e32 v124, v107, v89
	ds_load_2addr_b32 v[88:89], v2 offset0:81 offset1:82
	s_waitcnt lgkmcnt(3)
	v_fmac_f32_e32 v124, v108, v90
	v_fmac_f32_e32 v124, v109, v91
	ds_load_2addr_b32 v[90:91], v2 offset0:83 offset1:84
	s_waitcnt lgkmcnt(3)
	v_fmac_f32_e32 v124, v110, v92
	s_waitcnt vmcnt(1)
	s_delay_alu instid0(VALU_DEP_1) | instskip(SKIP_1) | instid1(VALU_DEP_1)
	v_fmac_f32_e32 v124, v111, v93
	s_waitcnt lgkmcnt(2)
	v_fmac_f32_e32 v124, v112, v3
	s_delay_alu instid0(VALU_DEP_1) | instskip(SKIP_1) | instid1(VALU_DEP_1)
	v_fmac_f32_e32 v124, v113, v4
	s_waitcnt lgkmcnt(1)
	v_fmac_f32_e32 v124, v114, v88
	s_waitcnt vmcnt(0)
	s_delay_alu instid0(VALU_DEP_1) | instskip(SKIP_1) | instid1(VALU_DEP_1)
	v_fmac_f32_e32 v124, v115, v89
	s_waitcnt lgkmcnt(0)
	v_fmac_f32_e32 v124, v116, v90
	s_delay_alu instid0(VALU_DEP_1) | instskip(NEXT) | instid1(VALU_DEP_1)
	v_fmac_f32_e32 v124, v117, v91
	v_sub_f32_e32 v2, v87, v124
	scratch_store_b32 off, v2, off offset:40
	v_cmpx_lt_u32_e32 9, v0
	s_cbranch_execz .LBB40_235
; %bb.234:
	scratch_load_b32 v2, off, off offset:36
	v_mov_b32_e32 v3, 0
	scratch_store_b32 off, v3, off offset:36
	s_waitcnt vmcnt(0)
	ds_store_b32 v1, v2
.LBB40_235:
	s_or_b32 exec_lo, exec_lo, s0
	s_waitcnt lgkmcnt(0)
	s_waitcnt_vscnt null, 0x0
	s_barrier
	buffer_gl0_inv
	s_clause 0x7
	scratch_load_b128 v[87:90], off, off offset:36
	scratch_load_b128 v[91:94], off, off offset:52
	;; [unrolled: 1-line block ×8, first 2 shown]
	v_mov_b32_e32 v2, 0
	ds_load_2addr_b64 v[119:122], v2 offset0:27 offset1:28
	ds_load_2addr_b64 v[123:126], v2 offset0:29 offset1:30
	s_mov_b32 s0, exec_lo
	s_waitcnt vmcnt(7) lgkmcnt(1)
	v_fma_f32 v119, v88, v119, 0
	s_delay_alu instid0(VALU_DEP_1) | instskip(SKIP_3) | instid1(VALU_DEP_1)
	v_fmac_f32_e32 v119, v89, v120
	ds_load_b64 v[3:4], v2 offset:328
	v_fmac_f32_e32 v119, v90, v121
	s_waitcnt vmcnt(6)
	v_fmac_f32_e32 v119, v91, v122
	ds_load_2addr_b64 v[88:91], v2 offset0:31 offset1:32
	s_waitcnt lgkmcnt(2)
	v_fmac_f32_e32 v119, v92, v123
	s_delay_alu instid0(VALU_DEP_1) | instskip(NEXT) | instid1(VALU_DEP_1)
	v_fmac_f32_e32 v119, v93, v124
	v_fmac_f32_e32 v119, v94, v125
	s_waitcnt vmcnt(5)
	s_delay_alu instid0(VALU_DEP_1) | instskip(SKIP_3) | instid1(VALU_DEP_1)
	v_fmac_f32_e32 v119, v95, v126
	ds_load_2addr_b64 v[92:95], v2 offset0:33 offset1:34
	s_waitcnt lgkmcnt(1)
	v_fmac_f32_e32 v119, v96, v88
	v_fmac_f32_e32 v119, v97, v89
	s_delay_alu instid0(VALU_DEP_1) | instskip(SKIP_1) | instid1(VALU_DEP_1)
	v_fmac_f32_e32 v119, v98, v90
	s_waitcnt vmcnt(4)
	v_fmac_f32_e32 v119, v99, v91
	ds_load_2addr_b64 v[88:91], v2 offset0:35 offset1:36
	s_waitcnt lgkmcnt(1)
	v_fmac_f32_e32 v119, v100, v92
	s_delay_alu instid0(VALU_DEP_1) | instskip(NEXT) | instid1(VALU_DEP_1)
	v_fmac_f32_e32 v119, v101, v93
	v_fmac_f32_e32 v119, v102, v94
	s_waitcnt vmcnt(3)
	s_delay_alu instid0(VALU_DEP_1) | instskip(SKIP_3) | instid1(VALU_DEP_1)
	v_fmac_f32_e32 v119, v103, v95
	ds_load_2addr_b64 v[92:95], v2 offset0:37 offset1:38
	s_waitcnt lgkmcnt(1)
	v_fmac_f32_e32 v119, v104, v88
	v_fmac_f32_e32 v119, v105, v89
	s_delay_alu instid0(VALU_DEP_1) | instskip(SKIP_1) | instid1(VALU_DEP_1)
	v_fmac_f32_e32 v119, v106, v90
	s_waitcnt vmcnt(2)
	v_fmac_f32_e32 v119, v107, v91
	ds_load_2addr_b64 v[88:91], v2 offset0:39 offset1:40
	s_waitcnt lgkmcnt(1)
	v_fmac_f32_e32 v119, v108, v92
	s_delay_alu instid0(VALU_DEP_1) | instskip(NEXT) | instid1(VALU_DEP_1)
	v_fmac_f32_e32 v119, v109, v93
	v_fmac_f32_e32 v119, v110, v94
	s_waitcnt vmcnt(1)
	s_delay_alu instid0(VALU_DEP_1) | instskip(SKIP_1) | instid1(VALU_DEP_1)
	v_fmac_f32_e32 v119, v111, v95
	s_waitcnt lgkmcnt(0)
	v_fmac_f32_e32 v119, v112, v88
	ds_load_b32 v88, v2 offset:336
	v_fmac_f32_e32 v119, v113, v89
	s_delay_alu instid0(VALU_DEP_1) | instskip(SKIP_1) | instid1(VALU_DEP_1)
	v_fmac_f32_e32 v119, v114, v90
	s_waitcnt vmcnt(0)
	v_fmac_f32_e32 v119, v115, v91
	s_delay_alu instid0(VALU_DEP_1) | instskip(NEXT) | instid1(VALU_DEP_1)
	v_fmac_f32_e32 v119, v116, v3
	v_fmac_f32_e32 v119, v117, v4
	s_waitcnt lgkmcnt(0)
	s_delay_alu instid0(VALU_DEP_1) | instskip(NEXT) | instid1(VALU_DEP_1)
	v_fmac_f32_e32 v119, v118, v88
	v_sub_f32_e32 v3, v87, v119
	scratch_store_b32 off, v3, off offset:36
	v_cmpx_lt_u32_e32 8, v0
	s_cbranch_execz .LBB40_237
; %bb.236:
	scratch_load_b32 v3, off, off offset:32
	scratch_store_b32 off, v2, off offset:32
	s_waitcnt vmcnt(0)
	ds_store_b32 v1, v3
.LBB40_237:
	s_or_b32 exec_lo, exec_lo, s0
	s_waitcnt lgkmcnt(0)
	s_waitcnt_vscnt null, 0x0
	s_barrier
	buffer_gl0_inv
	s_clause 0x8
	scratch_load_b128 v[87:90], off, off offset:32
	scratch_load_b128 v[91:94], off, off offset:48
	;; [unrolled: 1-line block ×8, first 2 shown]
	scratch_load_b32 v125, off, off offset:160
	ds_load_2addr_b32 v[3:4], v2 offset0:53 offset1:54
	ds_load_2addr_b32 v[119:120], v2 offset0:55 offset1:56
	;; [unrolled: 1-line block ×4, first 2 shown]
	s_mov_b32 s0, exec_lo
	s_waitcnt vmcnt(8) lgkmcnt(3)
	v_fma_f32 v126, v88, v3, 0
	s_delay_alu instid0(VALU_DEP_1)
	v_fmac_f32_e32 v126, v89, v4
	ds_load_2addr_b32 v[3:4], v2 offset0:61 offset1:62
	ds_load_2addr_b32 v[88:89], v2 offset0:63 offset1:64
	s_waitcnt lgkmcnt(4)
	v_fmac_f32_e32 v126, v90, v119
	s_waitcnt vmcnt(7)
	s_delay_alu instid0(VALU_DEP_1) | instskip(SKIP_1) | instid1(VALU_DEP_1)
	v_fmac_f32_e32 v126, v91, v120
	s_waitcnt lgkmcnt(3)
	v_fmac_f32_e32 v126, v92, v121
	s_delay_alu instid0(VALU_DEP_1)
	v_fmac_f32_e32 v126, v93, v122
	ds_load_2addr_b32 v[90:91], v2 offset0:65 offset1:66
	ds_load_2addr_b32 v[92:93], v2 offset0:67 offset1:68
	s_waitcnt lgkmcnt(4)
	v_fmac_f32_e32 v126, v94, v123
	s_waitcnt vmcnt(6)
	s_delay_alu instid0(VALU_DEP_1) | instskip(SKIP_1) | instid1(VALU_DEP_1)
	v_fmac_f32_e32 v126, v95, v124
	s_waitcnt lgkmcnt(3)
	v_fmac_f32_e32 v126, v96, v3
	s_delay_alu instid0(VALU_DEP_1) | instskip(SKIP_4) | instid1(VALU_DEP_1)
	v_fmac_f32_e32 v126, v97, v4
	ds_load_2addr_b32 v[3:4], v2 offset0:69 offset1:70
	s_waitcnt lgkmcnt(3)
	v_fmac_f32_e32 v126, v98, v88
	s_waitcnt vmcnt(5)
	v_fmac_f32_e32 v126, v99, v89
	ds_load_2addr_b32 v[88:89], v2 offset0:71 offset1:72
	s_waitcnt lgkmcnt(3)
	v_fmac_f32_e32 v126, v100, v90
	s_delay_alu instid0(VALU_DEP_1) | instskip(SKIP_1) | instid1(VALU_DEP_1)
	v_fmac_f32_e32 v126, v101, v91
	s_waitcnt lgkmcnt(2)
	v_fmac_f32_e32 v126, v102, v92
	s_waitcnt vmcnt(4)
	s_delay_alu instid0(VALU_DEP_1) | instskip(SKIP_4) | instid1(VALU_DEP_1)
	v_fmac_f32_e32 v126, v103, v93
	ds_load_2addr_b32 v[90:91], v2 offset0:73 offset1:74
	ds_load_2addr_b32 v[92:93], v2 offset0:75 offset1:76
	s_waitcnt lgkmcnt(3)
	v_fmac_f32_e32 v126, v104, v3
	v_fmac_f32_e32 v126, v105, v4
	ds_load_2addr_b32 v[3:4], v2 offset0:77 offset1:78
	s_waitcnt lgkmcnt(3)
	v_fmac_f32_e32 v126, v106, v88
	s_waitcnt vmcnt(3)
	s_delay_alu instid0(VALU_DEP_1) | instskip(SKIP_3) | instid1(VALU_DEP_1)
	v_fmac_f32_e32 v126, v107, v89
	ds_load_2addr_b32 v[88:89], v2 offset0:79 offset1:80
	s_waitcnt lgkmcnt(3)
	v_fmac_f32_e32 v126, v108, v90
	v_fmac_f32_e32 v126, v109, v91
	s_waitcnt lgkmcnt(2)
	s_delay_alu instid0(VALU_DEP_1) | instskip(SKIP_1) | instid1(VALU_DEP_1)
	v_fmac_f32_e32 v126, v110, v92
	s_waitcnt vmcnt(2)
	v_fmac_f32_e32 v126, v111, v93
	ds_load_2addr_b32 v[90:91], v2 offset0:81 offset1:82
	ds_load_2addr_b32 v[92:93], v2 offset0:83 offset1:84
	s_waitcnt lgkmcnt(3)
	v_fmac_f32_e32 v126, v112, v3
	s_delay_alu instid0(VALU_DEP_1) | instskip(SKIP_1) | instid1(VALU_DEP_1)
	v_fmac_f32_e32 v126, v113, v4
	s_waitcnt lgkmcnt(2)
	v_fmac_f32_e32 v126, v114, v88
	s_waitcnt vmcnt(1)
	s_delay_alu instid0(VALU_DEP_1) | instskip(SKIP_1) | instid1(VALU_DEP_1)
	v_fmac_f32_e32 v126, v115, v89
	s_waitcnt lgkmcnt(1)
	v_fmac_f32_e32 v126, v116, v90
	s_delay_alu instid0(VALU_DEP_1) | instskip(SKIP_1) | instid1(VALU_DEP_1)
	v_fmac_f32_e32 v126, v117, v91
	s_waitcnt lgkmcnt(0)
	v_fmac_f32_e32 v126, v118, v92
	s_waitcnt vmcnt(0)
	s_delay_alu instid0(VALU_DEP_1) | instskip(NEXT) | instid1(VALU_DEP_1)
	v_fmac_f32_e32 v126, v125, v93
	v_sub_f32_e32 v2, v87, v126
	scratch_store_b32 off, v2, off offset:32
	v_cmpx_lt_u32_e32 7, v0
	s_cbranch_execz .LBB40_239
; %bb.238:
	scratch_load_b32 v2, off, off offset:28
	v_mov_b32_e32 v3, 0
	scratch_store_b32 off, v3, off offset:28
	s_waitcnt vmcnt(0)
	ds_store_b32 v1, v2
.LBB40_239:
	s_or_b32 exec_lo, exec_lo, s0
	s_waitcnt lgkmcnt(0)
	s_waitcnt_vscnt null, 0x0
	s_barrier
	buffer_gl0_inv
	s_clause 0x8
	scratch_load_b128 v[87:90], off, off offset:28
	scratch_load_b128 v[91:94], off, off offset:44
	;; [unrolled: 1-line block ×8, first 2 shown]
	scratch_load_b64 v[3:4], off, off offset:156
	v_mov_b32_e32 v2, 0
	ds_load_b128 v[119:122], v2 offset:208
	ds_load_b128 v[123:126], v2 offset:224
	s_mov_b32 s0, exec_lo
	s_waitcnt vmcnt(8) lgkmcnt(1)
	v_fma_f32 v119, v88, v119, 0
	s_delay_alu instid0(VALU_DEP_1) | instskip(NEXT) | instid1(VALU_DEP_1)
	v_fmac_f32_e32 v119, v89, v120
	v_fmac_f32_e32 v119, v90, v121
	s_waitcnt vmcnt(7)
	s_delay_alu instid0(VALU_DEP_1) | instskip(SKIP_3) | instid1(VALU_DEP_1)
	v_fmac_f32_e32 v119, v91, v122
	ds_load_b128 v[88:91], v2 offset:240
	s_waitcnt lgkmcnt(1)
	v_fmac_f32_e32 v119, v92, v123
	v_fmac_f32_e32 v119, v93, v124
	s_delay_alu instid0(VALU_DEP_1) | instskip(SKIP_1) | instid1(VALU_DEP_1)
	v_fmac_f32_e32 v119, v94, v125
	s_waitcnt vmcnt(6)
	v_fmac_f32_e32 v119, v95, v126
	ds_load_b128 v[92:95], v2 offset:256
	s_waitcnt lgkmcnt(1)
	v_fmac_f32_e32 v119, v96, v88
	s_delay_alu instid0(VALU_DEP_1) | instskip(NEXT) | instid1(VALU_DEP_1)
	v_fmac_f32_e32 v119, v97, v89
	v_fmac_f32_e32 v119, v98, v90
	s_waitcnt vmcnt(5)
	s_delay_alu instid0(VALU_DEP_1) | instskip(SKIP_3) | instid1(VALU_DEP_1)
	v_fmac_f32_e32 v119, v99, v91
	ds_load_b128 v[88:91], v2 offset:272
	s_waitcnt lgkmcnt(1)
	v_fmac_f32_e32 v119, v100, v92
	v_fmac_f32_e32 v119, v101, v93
	s_delay_alu instid0(VALU_DEP_1) | instskip(SKIP_1) | instid1(VALU_DEP_1)
	v_fmac_f32_e32 v119, v102, v94
	s_waitcnt vmcnt(4)
	v_fmac_f32_e32 v119, v103, v95
	ds_load_b128 v[92:95], v2 offset:288
	s_waitcnt lgkmcnt(1)
	v_fmac_f32_e32 v119, v104, v88
	;; [unrolled: 17-line block ×3, first 2 shown]
	ds_load_b32 v88, v2 offset:336
	v_fmac_f32_e32 v119, v113, v89
	s_delay_alu instid0(VALU_DEP_1) | instskip(SKIP_1) | instid1(VALU_DEP_1)
	v_fmac_f32_e32 v119, v114, v90
	s_waitcnt vmcnt(1)
	v_fmac_f32_e32 v119, v115, v91
	s_waitcnt lgkmcnt(1)
	s_delay_alu instid0(VALU_DEP_1) | instskip(NEXT) | instid1(VALU_DEP_1)
	v_fmac_f32_e32 v119, v116, v92
	v_fmac_f32_e32 v119, v117, v93
	s_delay_alu instid0(VALU_DEP_1) | instskip(SKIP_1) | instid1(VALU_DEP_1)
	v_fmac_f32_e32 v119, v118, v94
	s_waitcnt vmcnt(0)
	v_fmac_f32_e32 v119, v3, v95
	s_waitcnt lgkmcnt(0)
	s_delay_alu instid0(VALU_DEP_1) | instskip(NEXT) | instid1(VALU_DEP_1)
	v_fmac_f32_e32 v119, v4, v88
	v_sub_f32_e32 v3, v87, v119
	scratch_store_b32 off, v3, off offset:28
	v_cmpx_lt_u32_e32 6, v0
	s_cbranch_execz .LBB40_241
; %bb.240:
	scratch_load_b32 v3, off, off offset:24
	scratch_store_b32 off, v2, off offset:24
	s_waitcnt vmcnt(0)
	ds_store_b32 v1, v3
.LBB40_241:
	s_or_b32 exec_lo, exec_lo, s0
	s_waitcnt lgkmcnt(0)
	s_waitcnt_vscnt null, 0x0
	s_barrier
	buffer_gl0_inv
	s_clause 0x8
	scratch_load_b128 v[87:90], off, off offset:24
	scratch_load_b128 v[91:94], off, off offset:40
	;; [unrolled: 1-line block ×8, first 2 shown]
	scratch_load_b96 v[119:121], off, off offset:152
	ds_load_2addr_b32 v[3:4], v2 offset0:51 offset1:52
	ds_load_2addr_b32 v[122:123], v2 offset0:53 offset1:54
	;; [unrolled: 1-line block ×4, first 2 shown]
	s_mov_b32 s0, exec_lo
	s_waitcnt vmcnt(8) lgkmcnt(3)
	v_fma_f32 v128, v88, v3, 0
	s_delay_alu instid0(VALU_DEP_1)
	v_fmac_f32_e32 v128, v89, v4
	ds_load_2addr_b32 v[3:4], v2 offset0:59 offset1:60
	ds_load_2addr_b32 v[88:89], v2 offset0:61 offset1:62
	s_waitcnt lgkmcnt(4)
	v_fmac_f32_e32 v128, v90, v122
	s_waitcnt vmcnt(7)
	s_delay_alu instid0(VALU_DEP_1) | instskip(SKIP_1) | instid1(VALU_DEP_1)
	v_fmac_f32_e32 v128, v91, v123
	s_waitcnt lgkmcnt(3)
	v_fmac_f32_e32 v128, v92, v124
	s_delay_alu instid0(VALU_DEP_1)
	v_fmac_f32_e32 v128, v93, v125
	ds_load_2addr_b32 v[90:91], v2 offset0:63 offset1:64
	ds_load_2addr_b32 v[92:93], v2 offset0:65 offset1:66
	s_waitcnt lgkmcnt(4)
	v_fmac_f32_e32 v128, v94, v126
	s_waitcnt vmcnt(6)
	s_delay_alu instid0(VALU_DEP_1) | instskip(SKIP_1) | instid1(VALU_DEP_1)
	v_fmac_f32_e32 v128, v95, v127
	s_waitcnt lgkmcnt(3)
	v_fmac_f32_e32 v128, v96, v3
	s_delay_alu instid0(VALU_DEP_1) | instskip(SKIP_4) | instid1(VALU_DEP_1)
	v_fmac_f32_e32 v128, v97, v4
	ds_load_2addr_b32 v[3:4], v2 offset0:67 offset1:68
	s_waitcnt lgkmcnt(3)
	v_fmac_f32_e32 v128, v98, v88
	s_waitcnt vmcnt(5)
	v_fmac_f32_e32 v128, v99, v89
	ds_load_2addr_b32 v[88:89], v2 offset0:69 offset1:70
	s_waitcnt lgkmcnt(3)
	v_fmac_f32_e32 v128, v100, v90
	s_delay_alu instid0(VALU_DEP_1) | instskip(SKIP_1) | instid1(VALU_DEP_1)
	v_fmac_f32_e32 v128, v101, v91
	s_waitcnt lgkmcnt(2)
	v_fmac_f32_e32 v128, v102, v92
	s_waitcnt vmcnt(4)
	s_delay_alu instid0(VALU_DEP_1) | instskip(SKIP_4) | instid1(VALU_DEP_1)
	v_fmac_f32_e32 v128, v103, v93
	ds_load_2addr_b32 v[90:91], v2 offset0:71 offset1:72
	ds_load_2addr_b32 v[92:93], v2 offset0:73 offset1:74
	s_waitcnt lgkmcnt(3)
	v_fmac_f32_e32 v128, v104, v3
	v_fmac_f32_e32 v128, v105, v4
	ds_load_2addr_b32 v[3:4], v2 offset0:75 offset1:76
	s_waitcnt lgkmcnt(3)
	v_fmac_f32_e32 v128, v106, v88
	s_waitcnt vmcnt(3)
	s_delay_alu instid0(VALU_DEP_1) | instskip(SKIP_3) | instid1(VALU_DEP_1)
	v_fmac_f32_e32 v128, v107, v89
	ds_load_2addr_b32 v[88:89], v2 offset0:77 offset1:78
	s_waitcnt lgkmcnt(3)
	v_fmac_f32_e32 v128, v108, v90
	v_fmac_f32_e32 v128, v109, v91
	s_waitcnt lgkmcnt(2)
	s_delay_alu instid0(VALU_DEP_1) | instskip(SKIP_1) | instid1(VALU_DEP_1)
	v_fmac_f32_e32 v128, v110, v92
	s_waitcnt vmcnt(2)
	v_fmac_f32_e32 v128, v111, v93
	ds_load_2addr_b32 v[90:91], v2 offset0:79 offset1:80
	ds_load_2addr_b32 v[92:93], v2 offset0:81 offset1:82
	s_waitcnt lgkmcnt(3)
	v_fmac_f32_e32 v128, v112, v3
	ds_load_2addr_b32 v[2:3], v2 offset0:83 offset1:84
	v_fmac_f32_e32 v128, v113, v4
	s_waitcnt lgkmcnt(3)
	s_delay_alu instid0(VALU_DEP_1) | instskip(SKIP_1) | instid1(VALU_DEP_1)
	v_fmac_f32_e32 v128, v114, v88
	s_waitcnt vmcnt(1)
	v_fmac_f32_e32 v128, v115, v89
	s_waitcnt lgkmcnt(2)
	s_delay_alu instid0(VALU_DEP_1) | instskip(NEXT) | instid1(VALU_DEP_1)
	v_fmac_f32_e32 v128, v116, v90
	v_fmac_f32_e32 v128, v117, v91
	s_waitcnt lgkmcnt(1)
	s_delay_alu instid0(VALU_DEP_1) | instskip(SKIP_1) | instid1(VALU_DEP_1)
	v_fmac_f32_e32 v128, v118, v92
	s_waitcnt vmcnt(0)
	v_fmac_f32_e32 v128, v119, v93
	s_waitcnt lgkmcnt(0)
	s_delay_alu instid0(VALU_DEP_1) | instskip(NEXT) | instid1(VALU_DEP_1)
	v_fmac_f32_e32 v128, v120, v2
	v_fmac_f32_e32 v128, v121, v3
	s_delay_alu instid0(VALU_DEP_1)
	v_sub_f32_e32 v2, v87, v128
	scratch_store_b32 off, v2, off offset:24
	v_cmpx_lt_u32_e32 5, v0
	s_cbranch_execz .LBB40_243
; %bb.242:
	scratch_load_b32 v2, off, off offset:20
	v_mov_b32_e32 v3, 0
	scratch_store_b32 off, v3, off offset:20
	s_waitcnt vmcnt(0)
	ds_store_b32 v1, v2
.LBB40_243:
	s_or_b32 exec_lo, exec_lo, s0
	s_waitcnt lgkmcnt(0)
	s_waitcnt_vscnt null, 0x0
	s_barrier
	buffer_gl0_inv
	s_clause 0x8
	scratch_load_b128 v[87:90], off, off offset:20
	scratch_load_b128 v[91:94], off, off offset:36
	;; [unrolled: 1-line block ×9, first 2 shown]
	v_mov_b32_e32 v2, 0
	ds_load_2addr_b64 v[123:126], v2 offset0:25 offset1:26
	ds_load_2addr_b64 v[127:130], v2 offset0:27 offset1:28
	s_mov_b32 s0, exec_lo
	s_waitcnt vmcnt(8) lgkmcnt(1)
	v_fma_f32 v123, v88, v123, 0
	s_delay_alu instid0(VALU_DEP_1) | instskip(SKIP_3) | instid1(VALU_DEP_1)
	v_fmac_f32_e32 v123, v89, v124
	ds_load_b64 v[3:4], v2 offset:328
	v_fmac_f32_e32 v123, v90, v125
	s_waitcnt vmcnt(7)
	v_fmac_f32_e32 v123, v91, v126
	ds_load_2addr_b64 v[88:91], v2 offset0:29 offset1:30
	s_waitcnt lgkmcnt(2)
	v_fmac_f32_e32 v123, v92, v127
	s_delay_alu instid0(VALU_DEP_1) | instskip(NEXT) | instid1(VALU_DEP_1)
	v_fmac_f32_e32 v123, v93, v128
	v_fmac_f32_e32 v123, v94, v129
	s_waitcnt vmcnt(6)
	s_delay_alu instid0(VALU_DEP_1) | instskip(SKIP_3) | instid1(VALU_DEP_1)
	v_fmac_f32_e32 v123, v95, v130
	ds_load_2addr_b64 v[92:95], v2 offset0:31 offset1:32
	s_waitcnt lgkmcnt(1)
	v_fmac_f32_e32 v123, v96, v88
	v_fmac_f32_e32 v123, v97, v89
	s_delay_alu instid0(VALU_DEP_1) | instskip(SKIP_1) | instid1(VALU_DEP_1)
	v_fmac_f32_e32 v123, v98, v90
	s_waitcnt vmcnt(5)
	v_fmac_f32_e32 v123, v99, v91
	ds_load_2addr_b64 v[88:91], v2 offset0:33 offset1:34
	s_waitcnt lgkmcnt(1)
	v_fmac_f32_e32 v123, v100, v92
	s_delay_alu instid0(VALU_DEP_1) | instskip(NEXT) | instid1(VALU_DEP_1)
	v_fmac_f32_e32 v123, v101, v93
	v_fmac_f32_e32 v123, v102, v94
	s_waitcnt vmcnt(4)
	s_delay_alu instid0(VALU_DEP_1) | instskip(SKIP_3) | instid1(VALU_DEP_1)
	v_fmac_f32_e32 v123, v103, v95
	ds_load_2addr_b64 v[92:95], v2 offset0:35 offset1:36
	s_waitcnt lgkmcnt(1)
	v_fmac_f32_e32 v123, v104, v88
	v_fmac_f32_e32 v123, v105, v89
	s_delay_alu instid0(VALU_DEP_1) | instskip(SKIP_1) | instid1(VALU_DEP_1)
	v_fmac_f32_e32 v123, v106, v90
	s_waitcnt vmcnt(3)
	v_fmac_f32_e32 v123, v107, v91
	ds_load_2addr_b64 v[88:91], v2 offset0:37 offset1:38
	s_waitcnt lgkmcnt(1)
	v_fmac_f32_e32 v123, v108, v92
	s_delay_alu instid0(VALU_DEP_1) | instskip(NEXT) | instid1(VALU_DEP_1)
	v_fmac_f32_e32 v123, v109, v93
	v_fmac_f32_e32 v123, v110, v94
	s_waitcnt vmcnt(2)
	s_delay_alu instid0(VALU_DEP_1)
	v_fmac_f32_e32 v123, v111, v95
	ds_load_2addr_b64 v[92:95], v2 offset0:39 offset1:40
	s_waitcnt lgkmcnt(1)
	v_fmac_f32_e32 v123, v112, v88
	ds_load_b32 v88, v2 offset:336
	v_fmac_f32_e32 v123, v113, v89
	s_delay_alu instid0(VALU_DEP_1) | instskip(SKIP_1) | instid1(VALU_DEP_1)
	v_fmac_f32_e32 v123, v114, v90
	s_waitcnt vmcnt(1)
	v_fmac_f32_e32 v123, v115, v91
	s_waitcnt lgkmcnt(1)
	s_delay_alu instid0(VALU_DEP_1) | instskip(NEXT) | instid1(VALU_DEP_1)
	v_fmac_f32_e32 v123, v116, v92
	v_fmac_f32_e32 v123, v117, v93
	s_delay_alu instid0(VALU_DEP_1) | instskip(SKIP_1) | instid1(VALU_DEP_1)
	v_fmac_f32_e32 v123, v118, v94
	s_waitcnt vmcnt(0)
	v_fmac_f32_e32 v123, v119, v95
	s_delay_alu instid0(VALU_DEP_1) | instskip(NEXT) | instid1(VALU_DEP_1)
	v_fmac_f32_e32 v123, v120, v3
	v_fmac_f32_e32 v123, v121, v4
	s_waitcnt lgkmcnt(0)
	s_delay_alu instid0(VALU_DEP_1) | instskip(NEXT) | instid1(VALU_DEP_1)
	v_fmac_f32_e32 v123, v122, v88
	v_sub_f32_e32 v3, v87, v123
	scratch_store_b32 off, v3, off offset:20
	v_cmpx_lt_u32_e32 4, v0
	s_cbranch_execz .LBB40_245
; %bb.244:
	scratch_load_b32 v3, off, off offset:16
	scratch_store_b32 off, v2, off offset:16
	s_waitcnt vmcnt(0)
	ds_store_b32 v1, v3
.LBB40_245:
	s_or_b32 exec_lo, exec_lo, s0
	s_waitcnt lgkmcnt(0)
	s_waitcnt_vscnt null, 0x0
	s_barrier
	buffer_gl0_inv
	s_clause 0x9
	scratch_load_b128 v[87:90], off, off offset:16
	scratch_load_b128 v[91:94], off, off offset:32
	;; [unrolled: 1-line block ×9, first 2 shown]
	scratch_load_b32 v129, off, off offset:160
	ds_load_2addr_b32 v[3:4], v2 offset0:49 offset1:50
	ds_load_2addr_b32 v[123:124], v2 offset0:51 offset1:52
	;; [unrolled: 1-line block ×4, first 2 shown]
	s_mov_b32 s0, exec_lo
	s_waitcnt vmcnt(9) lgkmcnt(3)
	v_fma_f32 v130, v88, v3, 0
	s_delay_alu instid0(VALU_DEP_1)
	v_fmac_f32_e32 v130, v89, v4
	ds_load_2addr_b32 v[3:4], v2 offset0:57 offset1:58
	ds_load_2addr_b32 v[88:89], v2 offset0:59 offset1:60
	s_waitcnt lgkmcnt(4)
	v_fmac_f32_e32 v130, v90, v123
	s_waitcnt vmcnt(8)
	s_delay_alu instid0(VALU_DEP_1) | instskip(SKIP_1) | instid1(VALU_DEP_1)
	v_fmac_f32_e32 v130, v91, v124
	s_waitcnt lgkmcnt(3)
	v_fmac_f32_e32 v130, v92, v125
	s_delay_alu instid0(VALU_DEP_1)
	v_fmac_f32_e32 v130, v93, v126
	ds_load_2addr_b32 v[90:91], v2 offset0:61 offset1:62
	ds_load_2addr_b32 v[92:93], v2 offset0:63 offset1:64
	s_waitcnt lgkmcnt(4)
	v_fmac_f32_e32 v130, v94, v127
	s_waitcnt vmcnt(7)
	s_delay_alu instid0(VALU_DEP_1) | instskip(SKIP_1) | instid1(VALU_DEP_1)
	v_fmac_f32_e32 v130, v95, v128
	s_waitcnt lgkmcnt(3)
	v_fmac_f32_e32 v130, v96, v3
	s_delay_alu instid0(VALU_DEP_1) | instskip(SKIP_4) | instid1(VALU_DEP_1)
	v_fmac_f32_e32 v130, v97, v4
	ds_load_2addr_b32 v[3:4], v2 offset0:65 offset1:66
	s_waitcnt lgkmcnt(3)
	v_fmac_f32_e32 v130, v98, v88
	s_waitcnt vmcnt(6)
	v_fmac_f32_e32 v130, v99, v89
	ds_load_2addr_b32 v[88:89], v2 offset0:67 offset1:68
	s_waitcnt lgkmcnt(3)
	v_fmac_f32_e32 v130, v100, v90
	s_delay_alu instid0(VALU_DEP_1) | instskip(SKIP_1) | instid1(VALU_DEP_1)
	v_fmac_f32_e32 v130, v101, v91
	s_waitcnt lgkmcnt(2)
	v_fmac_f32_e32 v130, v102, v92
	s_waitcnt vmcnt(5)
	s_delay_alu instid0(VALU_DEP_1) | instskip(SKIP_4) | instid1(VALU_DEP_1)
	v_fmac_f32_e32 v130, v103, v93
	ds_load_2addr_b32 v[90:91], v2 offset0:69 offset1:70
	ds_load_2addr_b32 v[92:93], v2 offset0:71 offset1:72
	s_waitcnt lgkmcnt(3)
	v_fmac_f32_e32 v130, v104, v3
	v_fmac_f32_e32 v130, v105, v4
	ds_load_2addr_b32 v[3:4], v2 offset0:73 offset1:74
	s_waitcnt lgkmcnt(3)
	v_fmac_f32_e32 v130, v106, v88
	s_waitcnt vmcnt(4)
	s_delay_alu instid0(VALU_DEP_1) | instskip(SKIP_3) | instid1(VALU_DEP_1)
	v_fmac_f32_e32 v130, v107, v89
	ds_load_2addr_b32 v[88:89], v2 offset0:75 offset1:76
	s_waitcnt lgkmcnt(3)
	v_fmac_f32_e32 v130, v108, v90
	v_fmac_f32_e32 v130, v109, v91
	s_waitcnt lgkmcnt(2)
	s_delay_alu instid0(VALU_DEP_1) | instskip(SKIP_1) | instid1(VALU_DEP_1)
	v_fmac_f32_e32 v130, v110, v92
	s_waitcnt vmcnt(3)
	v_fmac_f32_e32 v130, v111, v93
	ds_load_2addr_b32 v[90:91], v2 offset0:77 offset1:78
	ds_load_2addr_b32 v[92:93], v2 offset0:79 offset1:80
	s_waitcnt lgkmcnt(3)
	v_fmac_f32_e32 v130, v112, v3
	s_delay_alu instid0(VALU_DEP_1) | instskip(SKIP_4) | instid1(VALU_DEP_1)
	v_fmac_f32_e32 v130, v113, v4
	ds_load_2addr_b32 v[3:4], v2 offset0:81 offset1:82
	s_waitcnt lgkmcnt(3)
	v_fmac_f32_e32 v130, v114, v88
	s_waitcnt vmcnt(2)
	v_fmac_f32_e32 v130, v115, v89
	ds_load_2addr_b32 v[88:89], v2 offset0:83 offset1:84
	s_waitcnt lgkmcnt(3)
	v_fmac_f32_e32 v130, v116, v90
	s_delay_alu instid0(VALU_DEP_1) | instskip(SKIP_1) | instid1(VALU_DEP_1)
	v_fmac_f32_e32 v130, v117, v91
	s_waitcnt lgkmcnt(2)
	v_fmac_f32_e32 v130, v118, v92
	s_waitcnt vmcnt(1)
	s_delay_alu instid0(VALU_DEP_1) | instskip(SKIP_1) | instid1(VALU_DEP_1)
	v_fmac_f32_e32 v130, v119, v93
	s_waitcnt lgkmcnt(1)
	v_fmac_f32_e32 v130, v120, v3
	s_delay_alu instid0(VALU_DEP_1) | instskip(SKIP_1) | instid1(VALU_DEP_1)
	v_fmac_f32_e32 v130, v121, v4
	s_waitcnt lgkmcnt(0)
	v_fmac_f32_e32 v130, v122, v88
	s_waitcnt vmcnt(0)
	s_delay_alu instid0(VALU_DEP_1) | instskip(NEXT) | instid1(VALU_DEP_1)
	v_fmac_f32_e32 v130, v129, v89
	v_sub_f32_e32 v2, v87, v130
	scratch_store_b32 off, v2, off offset:16
	v_cmpx_lt_u32_e32 3, v0
	s_cbranch_execz .LBB40_247
; %bb.246:
	scratch_load_b32 v2, off, off offset:12
	v_mov_b32_e32 v3, 0
	scratch_store_b32 off, v3, off offset:12
	s_waitcnt vmcnt(0)
	ds_store_b32 v1, v2
.LBB40_247:
	s_or_b32 exec_lo, exec_lo, s0
	s_waitcnt lgkmcnt(0)
	s_waitcnt_vscnt null, 0x0
	s_barrier
	buffer_gl0_inv
	s_clause 0x9
	scratch_load_b128 v[87:90], off, off offset:12
	scratch_load_b128 v[91:94], off, off offset:28
	;; [unrolled: 1-line block ×9, first 2 shown]
	scratch_load_b64 v[3:4], off, off offset:156
	v_mov_b32_e32 v2, 0
	ds_load_b128 v[123:126], v2 offset:192
	ds_load_b128 v[127:130], v2 offset:208
	s_mov_b32 s0, exec_lo
	s_waitcnt vmcnt(9) lgkmcnt(1)
	v_fma_f32 v123, v88, v123, 0
	s_delay_alu instid0(VALU_DEP_1) | instskip(NEXT) | instid1(VALU_DEP_1)
	v_fmac_f32_e32 v123, v89, v124
	v_fmac_f32_e32 v123, v90, v125
	s_waitcnt vmcnt(8)
	s_delay_alu instid0(VALU_DEP_1) | instskip(SKIP_3) | instid1(VALU_DEP_1)
	v_fmac_f32_e32 v123, v91, v126
	ds_load_b128 v[88:91], v2 offset:224
	s_waitcnt lgkmcnt(1)
	v_fmac_f32_e32 v123, v92, v127
	v_fmac_f32_e32 v123, v93, v128
	s_delay_alu instid0(VALU_DEP_1) | instskip(SKIP_1) | instid1(VALU_DEP_1)
	v_fmac_f32_e32 v123, v94, v129
	s_waitcnt vmcnt(7)
	v_fmac_f32_e32 v123, v95, v130
	ds_load_b128 v[92:95], v2 offset:240
	s_waitcnt lgkmcnt(1)
	v_fmac_f32_e32 v123, v96, v88
	s_delay_alu instid0(VALU_DEP_1) | instskip(NEXT) | instid1(VALU_DEP_1)
	v_fmac_f32_e32 v123, v97, v89
	v_fmac_f32_e32 v123, v98, v90
	s_waitcnt vmcnt(6)
	s_delay_alu instid0(VALU_DEP_1) | instskip(SKIP_3) | instid1(VALU_DEP_1)
	v_fmac_f32_e32 v123, v99, v91
	ds_load_b128 v[88:91], v2 offset:256
	s_waitcnt lgkmcnt(1)
	v_fmac_f32_e32 v123, v100, v92
	v_fmac_f32_e32 v123, v101, v93
	s_delay_alu instid0(VALU_DEP_1) | instskip(SKIP_1) | instid1(VALU_DEP_1)
	v_fmac_f32_e32 v123, v102, v94
	s_waitcnt vmcnt(5)
	v_fmac_f32_e32 v123, v103, v95
	ds_load_b128 v[92:95], v2 offset:272
	s_waitcnt lgkmcnt(1)
	v_fmac_f32_e32 v123, v104, v88
	;; [unrolled: 17-line block ×3, first 2 shown]
	s_delay_alu instid0(VALU_DEP_1) | instskip(NEXT) | instid1(VALU_DEP_1)
	v_fmac_f32_e32 v123, v113, v89
	v_fmac_f32_e32 v123, v114, v90
	s_waitcnt vmcnt(2)
	s_delay_alu instid0(VALU_DEP_1)
	v_fmac_f32_e32 v123, v115, v91
	ds_load_b128 v[88:91], v2 offset:320
	s_waitcnt lgkmcnt(1)
	v_fmac_f32_e32 v123, v116, v92
	ds_load_b32 v92, v2 offset:336
	v_fmac_f32_e32 v123, v117, v93
	s_delay_alu instid0(VALU_DEP_1) | instskip(SKIP_1) | instid1(VALU_DEP_1)
	v_fmac_f32_e32 v123, v118, v94
	s_waitcnt vmcnt(1)
	v_fmac_f32_e32 v123, v119, v95
	s_waitcnt lgkmcnt(1)
	s_delay_alu instid0(VALU_DEP_1) | instskip(NEXT) | instid1(VALU_DEP_1)
	v_fmac_f32_e32 v123, v120, v88
	v_fmac_f32_e32 v123, v121, v89
	s_delay_alu instid0(VALU_DEP_1) | instskip(SKIP_1) | instid1(VALU_DEP_1)
	v_fmac_f32_e32 v123, v122, v90
	s_waitcnt vmcnt(0)
	v_fmac_f32_e32 v123, v3, v91
	s_waitcnt lgkmcnt(0)
	s_delay_alu instid0(VALU_DEP_1) | instskip(NEXT) | instid1(VALU_DEP_1)
	v_fmac_f32_e32 v123, v4, v92
	v_sub_f32_e32 v3, v87, v123
	scratch_store_b32 off, v3, off offset:12
	v_cmpx_lt_u32_e32 2, v0
	s_cbranch_execz .LBB40_249
; %bb.248:
	scratch_load_b32 v3, off, off offset:8
	scratch_store_b32 off, v2, off offset:8
	s_waitcnt vmcnt(0)
	ds_store_b32 v1, v3
.LBB40_249:
	s_or_b32 exec_lo, exec_lo, s0
	s_waitcnt lgkmcnt(0)
	s_waitcnt_vscnt null, 0x0
	s_barrier
	buffer_gl0_inv
	s_clause 0x9
	scratch_load_b128 v[87:90], off, off offset:8
	scratch_load_b128 v[91:94], off, off offset:24
	;; [unrolled: 1-line block ×9, first 2 shown]
	scratch_load_b96 v[123:125], off, off offset:152
	ds_load_2addr_b32 v[3:4], v2 offset0:47 offset1:48
	ds_load_2addr_b32 v[126:127], v2 offset0:49 offset1:50
	ds_load_2addr_b32 v[128:129], v2 offset0:51 offset1:52
	ds_load_2addr_b32 v[130:131], v2 offset0:53 offset1:54
	s_mov_b32 s0, exec_lo
	s_waitcnt vmcnt(9) lgkmcnt(3)
	v_fma_f32 v132, v88, v3, 0
	s_delay_alu instid0(VALU_DEP_1)
	v_fmac_f32_e32 v132, v89, v4
	ds_load_2addr_b32 v[3:4], v2 offset0:55 offset1:56
	ds_load_2addr_b32 v[88:89], v2 offset0:57 offset1:58
	s_waitcnt lgkmcnt(4)
	v_fmac_f32_e32 v132, v90, v126
	s_waitcnt vmcnt(8)
	s_delay_alu instid0(VALU_DEP_1) | instskip(SKIP_1) | instid1(VALU_DEP_1)
	v_fmac_f32_e32 v132, v91, v127
	s_waitcnt lgkmcnt(3)
	v_fmac_f32_e32 v132, v92, v128
	s_delay_alu instid0(VALU_DEP_1)
	v_fmac_f32_e32 v132, v93, v129
	ds_load_2addr_b32 v[90:91], v2 offset0:59 offset1:60
	ds_load_2addr_b32 v[92:93], v2 offset0:61 offset1:62
	s_waitcnt lgkmcnt(4)
	v_fmac_f32_e32 v132, v94, v130
	s_waitcnt vmcnt(7)
	s_delay_alu instid0(VALU_DEP_1) | instskip(SKIP_1) | instid1(VALU_DEP_1)
	v_fmac_f32_e32 v132, v95, v131
	s_waitcnt lgkmcnt(3)
	v_fmac_f32_e32 v132, v96, v3
	s_delay_alu instid0(VALU_DEP_1) | instskip(SKIP_4) | instid1(VALU_DEP_1)
	v_fmac_f32_e32 v132, v97, v4
	ds_load_2addr_b32 v[3:4], v2 offset0:63 offset1:64
	s_waitcnt lgkmcnt(3)
	v_fmac_f32_e32 v132, v98, v88
	s_waitcnt vmcnt(6)
	v_fmac_f32_e32 v132, v99, v89
	ds_load_2addr_b32 v[88:89], v2 offset0:65 offset1:66
	s_waitcnt lgkmcnt(3)
	v_fmac_f32_e32 v132, v100, v90
	s_delay_alu instid0(VALU_DEP_1) | instskip(SKIP_1) | instid1(VALU_DEP_1)
	v_fmac_f32_e32 v132, v101, v91
	s_waitcnt lgkmcnt(2)
	v_fmac_f32_e32 v132, v102, v92
	s_waitcnt vmcnt(5)
	s_delay_alu instid0(VALU_DEP_1) | instskip(SKIP_4) | instid1(VALU_DEP_1)
	v_fmac_f32_e32 v132, v103, v93
	ds_load_2addr_b32 v[90:91], v2 offset0:67 offset1:68
	ds_load_2addr_b32 v[92:93], v2 offset0:69 offset1:70
	s_waitcnt lgkmcnt(3)
	v_fmac_f32_e32 v132, v104, v3
	v_fmac_f32_e32 v132, v105, v4
	ds_load_2addr_b32 v[3:4], v2 offset0:71 offset1:72
	s_waitcnt lgkmcnt(3)
	v_fmac_f32_e32 v132, v106, v88
	s_waitcnt vmcnt(4)
	s_delay_alu instid0(VALU_DEP_1) | instskip(SKIP_3) | instid1(VALU_DEP_1)
	v_fmac_f32_e32 v132, v107, v89
	ds_load_2addr_b32 v[88:89], v2 offset0:73 offset1:74
	s_waitcnt lgkmcnt(3)
	v_fmac_f32_e32 v132, v108, v90
	v_fmac_f32_e32 v132, v109, v91
	s_waitcnt lgkmcnt(2)
	s_delay_alu instid0(VALU_DEP_1) | instskip(SKIP_1) | instid1(VALU_DEP_1)
	v_fmac_f32_e32 v132, v110, v92
	s_waitcnt vmcnt(3)
	v_fmac_f32_e32 v132, v111, v93
	ds_load_2addr_b32 v[90:91], v2 offset0:75 offset1:76
	ds_load_2addr_b32 v[92:93], v2 offset0:77 offset1:78
	s_waitcnt lgkmcnt(3)
	v_fmac_f32_e32 v132, v112, v3
	s_delay_alu instid0(VALU_DEP_1) | instskip(SKIP_4) | instid1(VALU_DEP_1)
	v_fmac_f32_e32 v132, v113, v4
	ds_load_2addr_b32 v[3:4], v2 offset0:79 offset1:80
	s_waitcnt lgkmcnt(3)
	v_fmac_f32_e32 v132, v114, v88
	s_waitcnt vmcnt(2)
	v_fmac_f32_e32 v132, v115, v89
	ds_load_2addr_b32 v[88:89], v2 offset0:81 offset1:82
	s_waitcnt lgkmcnt(3)
	v_fmac_f32_e32 v132, v116, v90
	s_delay_alu instid0(VALU_DEP_1) | instskip(SKIP_4) | instid1(VALU_DEP_1)
	v_fmac_f32_e32 v132, v117, v91
	ds_load_2addr_b32 v[90:91], v2 offset0:83 offset1:84
	s_waitcnt lgkmcnt(3)
	v_fmac_f32_e32 v132, v118, v92
	s_waitcnt vmcnt(1)
	v_fmac_f32_e32 v132, v119, v93
	s_waitcnt lgkmcnt(2)
	s_delay_alu instid0(VALU_DEP_1) | instskip(NEXT) | instid1(VALU_DEP_1)
	v_fmac_f32_e32 v132, v120, v3
	v_fmac_f32_e32 v132, v121, v4
	s_waitcnt lgkmcnt(1)
	s_delay_alu instid0(VALU_DEP_1) | instskip(SKIP_1) | instid1(VALU_DEP_1)
	v_fmac_f32_e32 v132, v122, v88
	s_waitcnt vmcnt(0)
	v_fmac_f32_e32 v132, v123, v89
	s_waitcnt lgkmcnt(0)
	s_delay_alu instid0(VALU_DEP_1) | instskip(NEXT) | instid1(VALU_DEP_1)
	v_fmac_f32_e32 v132, v124, v90
	v_fmac_f32_e32 v132, v125, v91
	s_delay_alu instid0(VALU_DEP_1)
	v_sub_f32_e32 v2, v87, v132
	scratch_store_b32 off, v2, off offset:8
	v_cmpx_lt_u32_e32 1, v0
	s_cbranch_execz .LBB40_251
; %bb.250:
	scratch_load_b32 v2, off, off offset:4
	v_mov_b32_e32 v3, 0
	scratch_store_b32 off, v3, off offset:4
	s_waitcnt vmcnt(0)
	ds_store_b32 v1, v2
.LBB40_251:
	s_or_b32 exec_lo, exec_lo, s0
	s_waitcnt lgkmcnt(0)
	s_waitcnt_vscnt null, 0x0
	s_barrier
	buffer_gl0_inv
	s_clause 0x9
	scratch_load_b128 v[87:90], off, off offset:4
	scratch_load_b128 v[91:94], off, off offset:20
	;; [unrolled: 1-line block ×10, first 2 shown]
	v_mov_b32_e32 v4, 0
	ds_load_2addr_b64 v[127:130], v4 offset0:23 offset1:24
	ds_load_2addr_b64 v[131:134], v4 offset0:25 offset1:26
	s_mov_b32 s0, exec_lo
	s_waitcnt vmcnt(9) lgkmcnt(1)
	v_fma_f32 v127, v88, v127, 0
	s_delay_alu instid0(VALU_DEP_1) | instskip(SKIP_3) | instid1(VALU_DEP_1)
	v_fmac_f32_e32 v127, v89, v128
	ds_load_b64 v[2:3], v4 offset:328
	v_fmac_f32_e32 v127, v90, v129
	s_waitcnt vmcnt(8)
	v_fmac_f32_e32 v127, v91, v130
	ds_load_2addr_b64 v[88:91], v4 offset0:27 offset1:28
	s_waitcnt lgkmcnt(2)
	v_fmac_f32_e32 v127, v92, v131
	s_delay_alu instid0(VALU_DEP_1) | instskip(NEXT) | instid1(VALU_DEP_1)
	v_fmac_f32_e32 v127, v93, v132
	v_fmac_f32_e32 v127, v94, v133
	s_waitcnt vmcnt(7)
	s_delay_alu instid0(VALU_DEP_1) | instskip(SKIP_3) | instid1(VALU_DEP_1)
	v_fmac_f32_e32 v127, v95, v134
	ds_load_2addr_b64 v[92:95], v4 offset0:29 offset1:30
	s_waitcnt lgkmcnt(1)
	v_fmac_f32_e32 v127, v96, v88
	v_fmac_f32_e32 v127, v97, v89
	s_delay_alu instid0(VALU_DEP_1) | instskip(SKIP_1) | instid1(VALU_DEP_1)
	v_fmac_f32_e32 v127, v98, v90
	s_waitcnt vmcnt(6)
	v_fmac_f32_e32 v127, v99, v91
	ds_load_2addr_b64 v[88:91], v4 offset0:31 offset1:32
	s_waitcnt lgkmcnt(1)
	v_fmac_f32_e32 v127, v100, v92
	s_delay_alu instid0(VALU_DEP_1) | instskip(NEXT) | instid1(VALU_DEP_1)
	v_fmac_f32_e32 v127, v101, v93
	v_fmac_f32_e32 v127, v102, v94
	s_waitcnt vmcnt(5)
	s_delay_alu instid0(VALU_DEP_1) | instskip(SKIP_3) | instid1(VALU_DEP_1)
	v_fmac_f32_e32 v127, v103, v95
	ds_load_2addr_b64 v[92:95], v4 offset0:33 offset1:34
	s_waitcnt lgkmcnt(1)
	v_fmac_f32_e32 v127, v104, v88
	v_fmac_f32_e32 v127, v105, v89
	s_delay_alu instid0(VALU_DEP_1) | instskip(SKIP_1) | instid1(VALU_DEP_1)
	;; [unrolled: 17-line block ×3, first 2 shown]
	v_fmac_f32_e32 v127, v114, v90
	s_waitcnt vmcnt(2)
	v_fmac_f32_e32 v127, v115, v91
	ds_load_2addr_b64 v[88:91], v4 offset0:39 offset1:40
	s_waitcnt lgkmcnt(1)
	v_fmac_f32_e32 v127, v116, v92
	s_delay_alu instid0(VALU_DEP_1) | instskip(NEXT) | instid1(VALU_DEP_1)
	v_fmac_f32_e32 v127, v117, v93
	v_fmac_f32_e32 v127, v118, v94
	s_waitcnt vmcnt(1)
	s_delay_alu instid0(VALU_DEP_1) | instskip(SKIP_1) | instid1(VALU_DEP_1)
	v_fmac_f32_e32 v127, v119, v95
	s_waitcnt lgkmcnt(0)
	v_fmac_f32_e32 v127, v120, v88
	ds_load_b32 v88, v4 offset:336
	v_fmac_f32_e32 v127, v121, v89
	s_delay_alu instid0(VALU_DEP_1) | instskip(SKIP_1) | instid1(VALU_DEP_1)
	v_fmac_f32_e32 v127, v122, v90
	s_waitcnt vmcnt(0)
	v_fmac_f32_e32 v127, v123, v91
	s_delay_alu instid0(VALU_DEP_1) | instskip(NEXT) | instid1(VALU_DEP_1)
	v_fmac_f32_e32 v127, v124, v2
	v_fmac_f32_e32 v127, v125, v3
	s_waitcnt lgkmcnt(0)
	s_delay_alu instid0(VALU_DEP_1) | instskip(NEXT) | instid1(VALU_DEP_1)
	v_fmac_f32_e32 v127, v126, v88
	v_sub_f32_e32 v2, v87, v127
	scratch_store_b32 off, v2, off offset:4
	v_cmpx_ne_u32_e32 0, v0
	s_cbranch_execz .LBB40_253
; %bb.252:
	scratch_load_b32 v0, off, off
	scratch_store_b32 off, v4, off
	s_waitcnt vmcnt(0)
	ds_store_b32 v1, v0
.LBB40_253:
	s_or_b32 exec_lo, exec_lo, s0
	s_waitcnt lgkmcnt(0)
	s_waitcnt_vscnt null, 0x0
	s_barrier
	buffer_gl0_inv
	s_clause 0xa
	scratch_load_b128 v[87:90], off, off
	scratch_load_b128 v[91:94], off, off offset:16
	scratch_load_b128 v[95:98], off, off offset:32
	;; [unrolled: 1-line block ×9, first 2 shown]
	scratch_load_b32 v131, off, off offset:160
	ds_load_2addr_b32 v[123:124], v4 offset0:45 offset1:46
	ds_load_2addr_b32 v[125:126], v4 offset0:47 offset1:48
	;; [unrolled: 1-line block ×4, first 2 shown]
	s_and_b32 vcc_lo, exec_lo, s16
	s_waitcnt vmcnt(10) lgkmcnt(3)
	v_fma_f32 v123, v88, v123, 0
	s_delay_alu instid0(VALU_DEP_1) | instskip(SKIP_4) | instid1(VALU_DEP_1)
	v_fmac_f32_e32 v123, v89, v124
	ds_load_2addr_b32 v[88:89], v4 offset0:53 offset1:54
	s_waitcnt lgkmcnt(3)
	v_fmac_f32_e32 v123, v90, v125
	s_waitcnt vmcnt(9)
	v_fmac_f32_e32 v123, v91, v126
	ds_load_2addr_b32 v[90:91], v4 offset0:55 offset1:56
	s_waitcnt lgkmcnt(3)
	v_fmac_f32_e32 v123, v92, v127
	s_delay_alu instid0(VALU_DEP_1) | instskip(SKIP_1) | instid1(VALU_DEP_1)
	v_fmac_f32_e32 v123, v93, v128
	s_waitcnt lgkmcnt(2)
	v_fmac_f32_e32 v123, v94, v129
	s_waitcnt vmcnt(8)
	s_delay_alu instid0(VALU_DEP_1) | instskip(SKIP_4) | instid1(VALU_DEP_1)
	v_fmac_f32_e32 v123, v95, v130
	ds_load_2addr_b32 v[92:93], v4 offset0:57 offset1:58
	ds_load_2addr_b32 v[94:95], v4 offset0:59 offset1:60
	s_waitcnt lgkmcnt(3)
	v_fmac_f32_e32 v123, v96, v88
	v_fmac_f32_e32 v123, v97, v89
	ds_load_2addr_b32 v[88:89], v4 offset0:61 offset1:62
	s_waitcnt lgkmcnt(3)
	v_fmac_f32_e32 v123, v98, v90
	s_waitcnt vmcnt(7)
	s_delay_alu instid0(VALU_DEP_1) | instskip(SKIP_3) | instid1(VALU_DEP_1)
	v_fmac_f32_e32 v123, v99, v91
	ds_load_2addr_b32 v[90:91], v4 offset0:63 offset1:64
	s_waitcnt lgkmcnt(3)
	v_fmac_f32_e32 v123, v100, v92
	v_fmac_f32_e32 v123, v101, v93
	s_waitcnt lgkmcnt(2)
	s_delay_alu instid0(VALU_DEP_1) | instskip(SKIP_1) | instid1(VALU_DEP_1)
	v_fmac_f32_e32 v123, v102, v94
	s_waitcnt vmcnt(6)
	v_fmac_f32_e32 v123, v103, v95
	ds_load_2addr_b32 v[92:93], v4 offset0:65 offset1:66
	ds_load_2addr_b32 v[94:95], v4 offset0:67 offset1:68
	s_waitcnt lgkmcnt(3)
	v_fmac_f32_e32 v123, v104, v88
	s_delay_alu instid0(VALU_DEP_1) | instskip(SKIP_4) | instid1(VALU_DEP_1)
	v_fmac_f32_e32 v123, v105, v89
	ds_load_2addr_b32 v[88:89], v4 offset0:69 offset1:70
	s_waitcnt lgkmcnt(3)
	v_fmac_f32_e32 v123, v106, v90
	s_waitcnt vmcnt(5)
	v_fmac_f32_e32 v123, v107, v91
	ds_load_2addr_b32 v[90:91], v4 offset0:71 offset1:72
	s_waitcnt lgkmcnt(3)
	v_fmac_f32_e32 v123, v108, v92
	s_delay_alu instid0(VALU_DEP_1) | instskip(SKIP_1) | instid1(VALU_DEP_1)
	v_fmac_f32_e32 v123, v109, v93
	s_waitcnt lgkmcnt(2)
	v_fmac_f32_e32 v123, v110, v94
	s_waitcnt vmcnt(4)
	s_delay_alu instid0(VALU_DEP_1) | instskip(SKIP_4) | instid1(VALU_DEP_1)
	v_fmac_f32_e32 v123, v111, v95
	ds_load_2addr_b32 v[92:93], v4 offset0:73 offset1:74
	ds_load_2addr_b32 v[94:95], v4 offset0:75 offset1:76
	s_waitcnt lgkmcnt(3)
	v_fmac_f32_e32 v123, v112, v88
	v_fmac_f32_e32 v123, v113, v89
	ds_load_2addr_b32 v[88:89], v4 offset0:77 offset1:78
	s_waitcnt lgkmcnt(3)
	v_fmac_f32_e32 v123, v114, v90
	s_waitcnt vmcnt(3)
	s_delay_alu instid0(VALU_DEP_1) | instskip(SKIP_3) | instid1(VALU_DEP_1)
	v_fmac_f32_e32 v123, v115, v91
	ds_load_2addr_b32 v[90:91], v4 offset0:79 offset1:80
	s_waitcnt lgkmcnt(3)
	v_fmac_f32_e32 v123, v116, v92
	v_fmac_f32_e32 v123, v117, v93
	s_waitcnt lgkmcnt(2)
	s_delay_alu instid0(VALU_DEP_1) | instskip(SKIP_1) | instid1(VALU_DEP_1)
	v_fmac_f32_e32 v123, v118, v94
	s_waitcnt vmcnt(2)
	v_fmac_f32_e32 v123, v119, v95
	ds_load_2addr_b32 v[92:93], v4 offset0:81 offset1:82
	ds_load_2addr_b32 v[94:95], v4 offset0:83 offset1:84
	s_waitcnt lgkmcnt(3)
	v_fmac_f32_e32 v123, v120, v88
	s_delay_alu instid0(VALU_DEP_1) | instskip(SKIP_1) | instid1(VALU_DEP_1)
	v_fmac_f32_e32 v123, v121, v89
	s_waitcnt lgkmcnt(2)
	v_fmac_f32_e32 v123, v122, v90
	s_waitcnt vmcnt(1)
	s_delay_alu instid0(VALU_DEP_1) | instskip(SKIP_1) | instid1(VALU_DEP_1)
	v_fmac_f32_e32 v123, v0, v91
	s_waitcnt lgkmcnt(1)
	v_fmac_f32_e32 v123, v1, v92
	s_delay_alu instid0(VALU_DEP_1) | instskip(SKIP_1) | instid1(VALU_DEP_1)
	v_fmac_f32_e32 v123, v2, v93
	s_waitcnt lgkmcnt(0)
	v_fmac_f32_e32 v123, v3, v94
	s_waitcnt vmcnt(0)
	s_delay_alu instid0(VALU_DEP_1) | instskip(NEXT) | instid1(VALU_DEP_1)
	v_fmac_f32_e32 v123, v131, v95
	v_sub_f32_e32 v0, v87, v123
	scratch_store_b32 off, v0, off
	s_cbranch_vccz .LBB40_335
; %bb.254:
	v_dual_mov_b32 v0, s12 :: v_dual_mov_b32 v1, s13
	s_mov_b32 s0, exec_lo
	flat_load_b32 v0, v[0:1] offset:156
	s_waitcnt vmcnt(0) lgkmcnt(0)
	v_cmpx_ne_u32_e32 40, v0
	s_cbranch_execz .LBB40_256
; %bb.255:
	v_lshl_add_u32 v0, v0, 2, 0
	scratch_load_b32 v1, v0, off offset:-4
	s_waitcnt vmcnt(0)
	scratch_store_b32 off, v1, off offset:156
	scratch_store_b32 v0, v3, off offset:-4
.LBB40_256:
	s_or_b32 exec_lo, exec_lo, s0
	v_dual_mov_b32 v0, s12 :: v_dual_mov_b32 v1, s13
	s_mov_b32 s0, exec_lo
	flat_load_b32 v0, v[0:1] offset:152
	s_waitcnt vmcnt(0) lgkmcnt(0)
	v_cmpx_ne_u32_e32 39, v0
	s_cbranch_execz .LBB40_258
; %bb.257:
	v_lshl_add_u32 v0, v0, 2, 0
	scratch_load_b32 v1, v0, off offset:-4
	scratch_load_b32 v2, off, off offset:152
	s_waitcnt vmcnt(1)
	scratch_store_b32 off, v1, off offset:152
	s_waitcnt vmcnt(0)
	scratch_store_b32 v0, v2, off offset:-4
.LBB40_258:
	s_or_b32 exec_lo, exec_lo, s0
	v_dual_mov_b32 v0, s12 :: v_dual_mov_b32 v1, s13
	s_mov_b32 s0, exec_lo
	flat_load_b32 v0, v[0:1] offset:148
	s_waitcnt vmcnt(0) lgkmcnt(0)
	v_cmpx_ne_u32_e32 38, v0
	s_cbranch_execz .LBB40_260
; %bb.259:
	v_lshl_add_u32 v0, v0, 2, 0
	scratch_load_b32 v1, v0, off offset:-4
	scratch_load_b32 v2, off, off offset:148
	s_waitcnt vmcnt(1)
	scratch_store_b32 off, v1, off offset:148
	s_waitcnt vmcnt(0)
	scratch_store_b32 v0, v2, off offset:-4
.LBB40_260:
	;; [unrolled: 16-line block ×38, first 2 shown]
	s_or_b32 exec_lo, exec_lo, s0
	v_dual_mov_b32 v0, s12 :: v_dual_mov_b32 v1, s13
	s_mov_b32 s0, exec_lo
	flat_load_b32 v1, v[0:1]
	scratch_load_b32 v0, off, off
	s_waitcnt vmcnt(1) lgkmcnt(0)
	v_cmpx_ne_u32_e32 1, v1
	s_cbranch_execz .LBB40_334
; %bb.333:
	v_lshl_add_u32 v1, v1, 2, 0
	scratch_load_b32 v2, v1, off offset:-4
	s_waitcnt vmcnt(0)
	scratch_store_b32 off, v2, off
	scratch_store_b32 v1, v0, off offset:-4
	scratch_load_b32 v0, off, off
.LBB40_334:
	s_or_b32 exec_lo, exec_lo, s0
.LBB40_335:
	s_clause 0x9
	scratch_load_b128 v[1:4], off, off offset:4
	scratch_load_b128 v[87:90], off, off offset:20
	;; [unrolled: 1-line block ×10, first 2 shown]
	s_waitcnt vmcnt(10)
	global_store_b32 v[5:6], v0, off
	s_waitcnt vmcnt(9)
	s_clause 0x3
	global_store_b32 v[7:8], v1, off
	global_store_b32 v[9:10], v2, off
	global_store_b32 v[11:12], v3, off
	global_store_b32 v[13:14], v4, off
	s_waitcnt vmcnt(8)
	s_clause 0x3
	global_store_b32 v[15:16], v87, off
	global_store_b32 v[17:18], v88, off
	global_store_b32 v[19:20], v89, off
	;; [unrolled: 6-line block ×10, first 2 shown]
	global_store_b32 v[85:86], v122, off
	s_endpgm
	.section	.rodata,"a",@progbits
	.p2align	6, 0x0
	.amdhsa_kernel _ZN9rocsolver6v33100L18getri_kernel_smallILi41EfPfEEvT1_iilPiilS4_bb
		.amdhsa_group_segment_fixed_size 340
		.amdhsa_private_segment_fixed_size 176
		.amdhsa_kernarg_size 60
		.amdhsa_user_sgpr_count 15
		.amdhsa_user_sgpr_dispatch_ptr 0
		.amdhsa_user_sgpr_queue_ptr 0
		.amdhsa_user_sgpr_kernarg_segment_ptr 1
		.amdhsa_user_sgpr_dispatch_id 0
		.amdhsa_user_sgpr_private_segment_size 0
		.amdhsa_wavefront_size32 1
		.amdhsa_uses_dynamic_stack 0
		.amdhsa_enable_private_segment 1
		.amdhsa_system_sgpr_workgroup_id_x 1
		.amdhsa_system_sgpr_workgroup_id_y 0
		.amdhsa_system_sgpr_workgroup_id_z 0
		.amdhsa_system_sgpr_workgroup_info 0
		.amdhsa_system_vgpr_workitem_id 0
		.amdhsa_next_free_vgpr 135
		.amdhsa_next_free_sgpr 18
		.amdhsa_reserve_vcc 1
		.amdhsa_float_round_mode_32 0
		.amdhsa_float_round_mode_16_64 0
		.amdhsa_float_denorm_mode_32 3
		.amdhsa_float_denorm_mode_16_64 3
		.amdhsa_dx10_clamp 1
		.amdhsa_ieee_mode 1
		.amdhsa_fp16_overflow 0
		.amdhsa_workgroup_processor_mode 1
		.amdhsa_memory_ordered 1
		.amdhsa_forward_progress 0
		.amdhsa_shared_vgpr_count 0
		.amdhsa_exception_fp_ieee_invalid_op 0
		.amdhsa_exception_fp_denorm_src 0
		.amdhsa_exception_fp_ieee_div_zero 0
		.amdhsa_exception_fp_ieee_overflow 0
		.amdhsa_exception_fp_ieee_underflow 0
		.amdhsa_exception_fp_ieee_inexact 0
		.amdhsa_exception_int_div_zero 0
	.end_amdhsa_kernel
	.section	.text._ZN9rocsolver6v33100L18getri_kernel_smallILi41EfPfEEvT1_iilPiilS4_bb,"axG",@progbits,_ZN9rocsolver6v33100L18getri_kernel_smallILi41EfPfEEvT1_iilPiilS4_bb,comdat
.Lfunc_end40:
	.size	_ZN9rocsolver6v33100L18getri_kernel_smallILi41EfPfEEvT1_iilPiilS4_bb, .Lfunc_end40-_ZN9rocsolver6v33100L18getri_kernel_smallILi41EfPfEEvT1_iilPiilS4_bb
                                        ; -- End function
	.section	.AMDGPU.csdata,"",@progbits
; Kernel info:
; codeLenInByte = 28028
; NumSgprs: 20
; NumVgprs: 135
; ScratchSize: 176
; MemoryBound: 0
; FloatMode: 240
; IeeeMode: 1
; LDSByteSize: 340 bytes/workgroup (compile time only)
; SGPRBlocks: 2
; VGPRBlocks: 16
; NumSGPRsForWavesPerEU: 20
; NumVGPRsForWavesPerEU: 135
; Occupancy: 10
; WaveLimiterHint : 1
; COMPUTE_PGM_RSRC2:SCRATCH_EN: 1
; COMPUTE_PGM_RSRC2:USER_SGPR: 15
; COMPUTE_PGM_RSRC2:TRAP_HANDLER: 0
; COMPUTE_PGM_RSRC2:TGID_X_EN: 1
; COMPUTE_PGM_RSRC2:TGID_Y_EN: 0
; COMPUTE_PGM_RSRC2:TGID_Z_EN: 0
; COMPUTE_PGM_RSRC2:TIDIG_COMP_CNT: 0
	.section	.text._ZN9rocsolver6v33100L18getri_kernel_smallILi42EfPfEEvT1_iilPiilS4_bb,"axG",@progbits,_ZN9rocsolver6v33100L18getri_kernel_smallILi42EfPfEEvT1_iilPiilS4_bb,comdat
	.globl	_ZN9rocsolver6v33100L18getri_kernel_smallILi42EfPfEEvT1_iilPiilS4_bb ; -- Begin function _ZN9rocsolver6v33100L18getri_kernel_smallILi42EfPfEEvT1_iilPiilS4_bb
	.p2align	8
	.type	_ZN9rocsolver6v33100L18getri_kernel_smallILi42EfPfEEvT1_iilPiilS4_bb,@function
_ZN9rocsolver6v33100L18getri_kernel_smallILi42EfPfEEvT1_iilPiilS4_bb: ; @_ZN9rocsolver6v33100L18getri_kernel_smallILi42EfPfEEvT1_iilPiilS4_bb
; %bb.0:
	s_mov_b32 s2, exec_lo
	v_cmpx_gt_u32_e32 42, v0
	s_cbranch_execz .LBB41_176
; %bb.1:
	s_clause 0x2
	s_load_b32 s17, s[0:1], 0x38
	s_load_b128 s[8:11], s[0:1], 0x10
	s_load_b128 s[4:7], s[0:1], 0x28
	s_mov_b32 s14, s15
                                        ; implicit-def: $sgpr12_sgpr13
	s_waitcnt lgkmcnt(0)
	s_bitcmp1_b32 s17, 8
	s_cselect_b32 s16, -1, 0
	s_bfe_u32 s2, s17, 0x10008
	s_ashr_i32 s15, s15, 31
	s_cmp_eq_u32 s2, 0
	s_cbranch_scc1 .LBB41_3
; %bb.2:
	s_load_b32 s2, s[0:1], 0x20
	s_mul_i32 s3, s14, s5
	s_mul_hi_u32 s5, s14, s4
	s_mul_i32 s12, s15, s4
	s_add_i32 s3, s5, s3
	s_mul_i32 s4, s14, s4
	s_add_i32 s5, s3, s12
	s_delay_alu instid0(SALU_CYCLE_1)
	s_lshl_b64 s[4:5], s[4:5], 2
	s_waitcnt lgkmcnt(0)
	s_ashr_i32 s3, s2, 31
	s_add_u32 s4, s10, s4
	s_addc_u32 s5, s11, s5
	s_lshl_b64 s[2:3], s[2:3], 2
	s_delay_alu instid0(SALU_CYCLE_1)
	s_add_u32 s12, s4, s2
	s_addc_u32 s13, s5, s3
.LBB41_3:
	s_load_b128 s[0:3], s[0:1], 0x0
	s_mul_i32 s4, s14, s9
	s_mul_hi_u32 s5, s14, s8
	s_mul_i32 s9, s15, s8
	s_add_i32 s5, s5, s4
	s_mul_i32 s4, s14, s8
	s_add_i32 s5, s5, s9
	v_lshlrev_b32_e32 v85, 2, v0
	s_lshl_b64 s[4:5], s[4:5], 2
	s_waitcnt lgkmcnt(0)
	v_add3_u32 v3, s3, s3, v0
	s_ashr_i32 s9, s2, 31
	s_mov_b32 s8, s2
	s_add_u32 s2, s0, s4
	s_addc_u32 s4, s1, s5
	v_add_nc_u32_e32 v5, s3, v3
	s_lshl_b64 s[0:1], s[8:9], 2
	v_ashrrev_i32_e32 v4, 31, v3
	s_add_u32 s0, s2, s0
	s_addc_u32 s1, s4, s1
	v_add_nc_u32_e32 v7, s3, v5
	v_add_co_u32 v1, s2, s0, v85
	v_ashrrev_i32_e32 v6, 31, v5
	s_mov_b32 s10, s3
	s_delay_alu instid0(VALU_DEP_3) | instskip(SKIP_3) | instid1(VALU_DEP_3)
	v_add_nc_u32_e32 v9, s3, v7
	s_ashr_i32 s11, s3, 31
	v_add_co_ci_u32_e64 v2, null, s1, 0, s2
	v_lshlrev_b64 v[34:35], 2, v[3:4]
	v_add_nc_u32_e32 v11, s3, v9
	s_lshl_b64 s[4:5], s[10:11], 2
	v_lshlrev_b64 v[37:38], 2, v[5:6]
	v_add_co_u32 v3, vcc_lo, v1, s4
	s_delay_alu instid0(VALU_DEP_3) | instskip(SKIP_3) | instid1(VALU_DEP_4)
	v_add_nc_u32_e32 v13, s3, v11
	v_ashrrev_i32_e32 v8, 31, v7
	v_add_co_ci_u32_e32 v4, vcc_lo, s5, v2, vcc_lo
	v_add_co_u32 v5, vcc_lo, s0, v34
	v_add_nc_u32_e32 v15, s3, v13
	v_ashrrev_i32_e32 v10, 31, v9
	v_add_co_ci_u32_e32 v6, vcc_lo, s1, v35, vcc_lo
	v_lshlrev_b64 v[34:35], 2, v[7:8]
	s_delay_alu instid0(VALU_DEP_4) | instskip(SKIP_2) | instid1(VALU_DEP_3)
	v_add_nc_u32_e32 v17, s3, v15
	v_add_co_u32 v7, vcc_lo, s0, v37
	v_add_co_ci_u32_e32 v8, vcc_lo, s1, v38, vcc_lo
	v_add_nc_u32_e32 v19, s3, v17
	v_lshlrev_b64 v[37:38], 2, v[9:10]
	v_ashrrev_i32_e32 v12, 31, v11
	v_add_co_u32 v9, vcc_lo, s0, v34
	s_delay_alu instid0(VALU_DEP_4) | instskip(SKIP_3) | instid1(VALU_DEP_4)
	v_add_nc_u32_e32 v21, s3, v19
	v_ashrrev_i32_e32 v14, 31, v13
	v_add_co_ci_u32_e32 v10, vcc_lo, s1, v35, vcc_lo
	v_lshlrev_b64 v[34:35], 2, v[11:12]
	v_add_nc_u32_e32 v23, s3, v21
	v_add_co_u32 v11, vcc_lo, s0, v37
	v_add_co_ci_u32_e32 v12, vcc_lo, s1, v38, vcc_lo
	s_delay_alu instid0(VALU_DEP_3) | instskip(SKIP_3) | instid1(VALU_DEP_4)
	v_add_nc_u32_e32 v25, s3, v23
	v_lshlrev_b64 v[37:38], 2, v[13:14]
	v_ashrrev_i32_e32 v16, 31, v15
	v_add_co_u32 v13, vcc_lo, s0, v34
	v_add_nc_u32_e32 v27, s3, v25
	v_ashrrev_i32_e32 v18, 31, v17
	v_add_co_ci_u32_e32 v14, vcc_lo, s1, v35, vcc_lo
	v_lshlrev_b64 v[34:35], 2, v[15:16]
	s_delay_alu instid0(VALU_DEP_4) | instskip(SKIP_2) | instid1(VALU_DEP_3)
	v_add_nc_u32_e32 v29, s3, v27
	v_add_co_u32 v15, vcc_lo, s0, v37
	v_add_co_ci_u32_e32 v16, vcc_lo, s1, v38, vcc_lo
	v_add_nc_u32_e32 v31, s3, v29
	v_lshlrev_b64 v[37:38], 2, v[17:18]
	v_ashrrev_i32_e32 v20, 31, v19
	v_add_co_u32 v17, vcc_lo, s0, v34
	s_delay_alu instid0(VALU_DEP_4) | instskip(SKIP_3) | instid1(VALU_DEP_4)
	v_add_nc_u32_e32 v33, s3, v31
	v_ashrrev_i32_e32 v22, 31, v21
	v_add_co_ci_u32_e32 v18, vcc_lo, s1, v35, vcc_lo
	v_lshlrev_b64 v[34:35], 2, v[19:20]
	v_add_nc_u32_e32 v36, s3, v33
	v_add_co_u32 v19, vcc_lo, s0, v37
	v_add_co_ci_u32_e32 v20, vcc_lo, s1, v38, vcc_lo
	s_delay_alu instid0(VALU_DEP_3) | instskip(SKIP_3) | instid1(VALU_DEP_4)
	v_add_nc_u32_e32 v39, s3, v36
	v_lshlrev_b64 v[37:38], 2, v[21:22]
	v_ashrrev_i32_e32 v24, 31, v23
	;; [unrolled: 25-line block ×3, first 2 shown]
	v_add_co_u32 v29, vcc_lo, s0, v34
	v_add_nc_u32_e32 v53, s3, v51
	v_ashrrev_i32_e32 v34, 31, v33
	v_add_co_ci_u32_e32 v30, vcc_lo, s1, v35, vcc_lo
	v_lshlrev_b64 v[66:67], 2, v[31:32]
	s_delay_alu instid0(VALU_DEP_4) | instskip(SKIP_3) | instid1(VALU_DEP_4)
	v_add_nc_u32_e32 v55, s3, v53
	v_add_co_u32 v31, vcc_lo, s0, v37
	v_ashrrev_i32_e32 v37, 31, v36
	v_lshlrev_b64 v[70:71], 2, v[33:34]
	v_add_nc_u32_e32 v57, s3, v55
	v_ashrrev_i32_e32 v40, 31, v39
	v_add_co_ci_u32_e32 v32, vcc_lo, s1, v38, vcc_lo
	v_add_co_u32 v33, vcc_lo, s0, v66
	s_delay_alu instid0(VALU_DEP_4) | instskip(SKIP_3) | instid1(VALU_DEP_4)
	v_add_nc_u32_e32 v59, s3, v57
	v_lshlrev_b64 v[37:38], 2, v[36:37]
	v_ashrrev_i32_e32 v42, 31, v41
	v_add_co_ci_u32_e32 v34, vcc_lo, s1, v67, vcc_lo
	v_add_nc_u32_e32 v61, s3, v59
	v_add_co_u32 v35, vcc_lo, s0, v70
	v_lshlrev_b64 v[39:40], 2, v[39:40]
	v_ashrrev_i32_e32 v44, 31, v43
	s_delay_alu instid0(VALU_DEP_4) | instskip(SKIP_2) | instid1(VALU_DEP_3)
	v_add_nc_u32_e32 v63, s3, v61
	v_add_co_ci_u32_e32 v36, vcc_lo, s1, v71, vcc_lo
	v_add_co_u32 v37, vcc_lo, s0, v37
	v_add_nc_u32_e32 v65, s3, v63
	v_lshlrev_b64 v[41:42], 2, v[41:42]
	v_ashrrev_i32_e32 v46, 31, v45
	v_add_co_ci_u32_e32 v38, vcc_lo, s1, v38, vcc_lo
	s_delay_alu instid0(VALU_DEP_4) | instskip(SKIP_3) | instid1(VALU_DEP_4)
	v_add_nc_u32_e32 v69, s3, v65
	v_add_co_u32 v39, vcc_lo, s0, v39
	v_lshlrev_b64 v[43:44], 2, v[43:44]
	v_ashrrev_i32_e32 v48, 31, v47
	v_add_nc_u32_e32 v72, s3, v69
	v_add_co_ci_u32_e32 v40, vcc_lo, s1, v40, vcc_lo
	v_add_co_u32 v41, vcc_lo, s0, v41
	s_delay_alu instid0(VALU_DEP_3) | instskip(SKIP_3) | instid1(VALU_DEP_4)
	v_add_nc_u32_e32 v74, s3, v72
	v_lshlrev_b64 v[45:46], 2, v[45:46]
	v_add_co_ci_u32_e32 v42, vcc_lo, s1, v42, vcc_lo
	v_add_co_u32 v43, vcc_lo, s0, v43
	v_add_nc_u32_e32 v76, s3, v74
	v_lshlrev_b64 v[47:48], 2, v[47:48]
	v_ashrrev_i32_e32 v50, 31, v49
	v_add_co_ci_u32_e32 v44, vcc_lo, s1, v44, vcc_lo
	s_delay_alu instid0(VALU_DEP_4) | instskip(SKIP_2) | instid1(VALU_DEP_3)
	v_add_nc_u32_e32 v78, s3, v76
	v_add_co_u32 v45, vcc_lo, s0, v45
	v_add_co_ci_u32_e32 v46, vcc_lo, s1, v46, vcc_lo
	v_add_nc_u32_e32 v80, s3, v78
	v_lshlrev_b64 v[70:71], 2, v[49:50]
	v_ashrrev_i32_e32 v52, 31, v51
	v_add_co_u32 v49, vcc_lo, s0, v47
	s_delay_alu instid0(VALU_DEP_4) | instskip(SKIP_3) | instid1(VALU_DEP_4)
	v_add_nc_u32_e32 v82, s3, v80
	v_add_co_ci_u32_e32 v50, vcc_lo, s1, v48, vcc_lo
	v_ashrrev_i32_e32 v54, 31, v53
	v_lshlrev_b64 v[83:84], 2, v[51:52]
	v_add_nc_u32_e32 v119, s3, v82
	v_add_co_u32 v51, vcc_lo, s0, v70
	v_ashrrev_i32_e32 v56, 31, v55
	v_add_co_ci_u32_e32 v52, vcc_lo, s1, v71, vcc_lo
	s_delay_alu instid0(VALU_DEP_4) | instskip(SKIP_1) | instid1(VALU_DEP_4)
	v_add_nc_u32_e32 v66, s3, v119
	v_ashrrev_i32_e32 v58, 31, v57
	v_lshlrev_b64 v[70:71], 2, v[55:56]
	v_ashrrev_i32_e32 v60, 31, v59
	v_ashrrev_i32_e32 v62, 31, v61
	;; [unrolled: 1-line block ×7, first 2 shown]
	v_lshlrev_b64 v[47:48], 2, v[66:67]
	v_lshlrev_b64 v[66:67], 2, v[53:54]
	v_ashrrev_i32_e32 v79, 31, v78
	v_ashrrev_i32_e32 v81, 31, v80
	;; [unrolled: 1-line block ×3, first 2 shown]
	global_load_b32 v86, v85, s[0:1]
	v_add_co_u32 v47, vcc_lo, s0, v47
	v_add_co_ci_u32_e32 v48, vcc_lo, s1, v48, vcc_lo
	v_add_co_u32 v53, vcc_lo, s0, v83
	v_add_co_ci_u32_e32 v54, vcc_lo, s1, v84, vcc_lo
	;; [unrolled: 2-line block ×3, first 2 shown]
	v_lshlrev_b64 v[66:67], 2, v[57:58]
	v_add_co_u32 v57, vcc_lo, s0, v70
	v_add_co_ci_u32_e32 v58, vcc_lo, s1, v71, vcc_lo
	v_lshlrev_b64 v[70:71], 2, v[59:60]
	s_delay_alu instid0(VALU_DEP_4) | instskip(SKIP_2) | instid1(VALU_DEP_4)
	v_add_co_u32 v59, vcc_lo, s0, v66
	v_add_co_ci_u32_e32 v60, vcc_lo, s1, v67, vcc_lo
	v_lshlrev_b64 v[67:68], 2, v[61:62]
	v_add_co_u32 v61, vcc_lo, s0, v70
	v_add_co_ci_u32_e32 v62, vcc_lo, s1, v71, vcc_lo
	v_lshlrev_b64 v[70:71], 2, v[63:64]
	v_ashrrev_i32_e32 v66, 31, v65
	v_add_co_u32 v63, vcc_lo, s0, v67
	v_add_co_ci_u32_e32 v64, vcc_lo, s1, v68, vcc_lo
	s_delay_alu instid0(VALU_DEP_3) | instskip(SKIP_3) | instid1(VALU_DEP_4)
	v_lshlrev_b64 v[67:68], 2, v[65:66]
	v_add_co_u32 v65, vcc_lo, s0, v70
	v_ashrrev_i32_e32 v70, 31, v69
	v_add_co_ci_u32_e32 v66, vcc_lo, s1, v71, vcc_lo
	v_add_co_u32 v67, vcc_lo, s0, v67
	s_delay_alu instid0(VALU_DEP_3)
	v_lshlrev_b64 v[69:70], 2, v[69:70]
	v_lshlrev_b64 v[71:72], 2, v[72:73]
	v_add_co_ci_u32_e32 v68, vcc_lo, s1, v68, vcc_lo
	v_lshlrev_b64 v[73:74], 2, v[74:75]
	v_lshlrev_b64 v[75:76], 2, v[76:77]
	v_add_co_u32 v69, vcc_lo, s0, v69
	v_add_co_ci_u32_e32 v70, vcc_lo, s1, v70, vcc_lo
	v_add_co_u32 v71, vcc_lo, s0, v71
	v_add_co_ci_u32_e32 v72, vcc_lo, s1, v72, vcc_lo
	v_add_co_u32 v73, vcc_lo, s0, v73
	v_lshlrev_b64 v[77:78], 2, v[78:79]
	v_ashrrev_i32_e32 v83, 31, v82
	v_add_co_ci_u32_e32 v74, vcc_lo, s1, v74, vcc_lo
	v_add_co_u32 v75, vcc_lo, s0, v75
	v_lshlrev_b64 v[79:80], 2, v[80:81]
	v_add_co_ci_u32_e32 v76, vcc_lo, s1, v76, vcc_lo
	v_add_co_u32 v77, vcc_lo, s0, v77
	v_lshlrev_b64 v[81:82], 2, v[82:83]
	;; [unrolled: 3-line block ×3, first 2 shown]
	v_add_co_ci_u32_e32 v80, vcc_lo, s1, v80, vcc_lo
	v_add_co_u32 v81, vcc_lo, s0, v81
	v_add_co_ci_u32_e32 v82, vcc_lo, s1, v82, vcc_lo
	s_delay_alu instid0(VALU_DEP_4)
	v_add_co_u32 v83, vcc_lo, s0, v83
	s_clause 0x1f
	global_load_b32 v87, v[3:4], off
	global_load_b32 v88, v[5:6], off
	;; [unrolled: 1-line block ×32, first 2 shown]
	v_add_co_ci_u32_e32 v84, vcc_lo, s1, v84, vcc_lo
	s_clause 0x8
	global_load_b32 v119, v[69:70], off
	global_load_b32 v120, v[71:72], off
	;; [unrolled: 1-line block ×9, first 2 shown]
	s_bitcmp0_b32 s17, 0
	s_mov_b32 s1, -1
	s_waitcnt vmcnt(38)
	scratch_store_b128 off, v[86:89], off
	s_waitcnt vmcnt(34)
	scratch_store_b128 off, v[90:93], off offset:16
	s_waitcnt vmcnt(30)
	scratch_store_b128 off, v[94:97], off offset:32
	;; [unrolled: 2-line block ×9, first 2 shown]
	s_waitcnt vmcnt(0)
	scratch_store_b64 off, v[126:127], off offset:160
	s_cbranch_scc1 .LBB41_174
; %bb.4:
	v_cmp_eq_u32_e64 s0, 0, v0
	s_delay_alu instid0(VALU_DEP_1)
	s_and_saveexec_b32 s1, s0
	s_cbranch_execz .LBB41_6
; %bb.5:
	v_mov_b32_e32 v86, 0
	ds_store_b32 v86, v86 offset:168
.LBB41_6:
	s_or_b32 exec_lo, exec_lo, s1
	s_waitcnt lgkmcnt(0)
	s_waitcnt_vscnt null, 0x0
	s_barrier
	buffer_gl0_inv
	scratch_load_b32 v86, v85, off
	s_mov_b32 s2, exec_lo
	s_waitcnt vmcnt(0)
	v_cmpx_eq_f32_e32 0, v86
	s_cbranch_execz .LBB41_10
; %bb.7:
	v_mov_b32_e32 v86, 0
	s_mov_b32 s3, 0
	ds_load_b32 v87, v86 offset:168
	s_waitcnt lgkmcnt(0)
	v_readfirstlane_b32 s1, v87
	v_add_nc_u32_e32 v87, 1, v0
	s_delay_alu instid0(VALU_DEP_2) | instskip(NEXT) | instid1(VALU_DEP_1)
	s_cmp_eq_u32 s1, 0
	v_cmp_gt_i32_e32 vcc_lo, s1, v87
	s_cselect_b32 s4, -1, 0
	s_delay_alu instid0(SALU_CYCLE_1) | instskip(NEXT) | instid1(SALU_CYCLE_1)
	s_or_b32 s4, s4, vcc_lo
	s_and_b32 exec_lo, exec_lo, s4
	s_cbranch_execz .LBB41_10
; %bb.8:
	v_mov_b32_e32 v88, s1
.LBB41_9:                               ; =>This Inner Loop Header: Depth=1
	ds_cmpstore_rtn_b32 v88, v86, v87, v88 offset:168
	s_waitcnt lgkmcnt(0)
	v_cmp_ne_u32_e32 vcc_lo, 0, v88
	v_cmp_le_i32_e64 s1, v88, v87
	s_delay_alu instid0(VALU_DEP_1) | instskip(NEXT) | instid1(SALU_CYCLE_1)
	s_and_b32 s1, vcc_lo, s1
	s_and_b32 s1, exec_lo, s1
	s_delay_alu instid0(SALU_CYCLE_1) | instskip(NEXT) | instid1(SALU_CYCLE_1)
	s_or_b32 s3, s1, s3
	s_and_not1_b32 exec_lo, exec_lo, s3
	s_cbranch_execnz .LBB41_9
.LBB41_10:
	s_or_b32 exec_lo, exec_lo, s2
	v_mov_b32_e32 v86, 0
	s_barrier
	buffer_gl0_inv
	ds_load_b32 v87, v86 offset:168
	s_and_saveexec_b32 s1, s0
	s_cbranch_execz .LBB41_12
; %bb.11:
	s_lshl_b64 s[2:3], s[14:15], 2
	s_delay_alu instid0(SALU_CYCLE_1)
	s_add_u32 s2, s6, s2
	s_addc_u32 s3, s7, s3
	s_waitcnt lgkmcnt(0)
	global_store_b32 v86, v87, s[2:3]
.LBB41_12:
	s_or_b32 exec_lo, exec_lo, s1
	s_waitcnt lgkmcnt(0)
	v_cmp_ne_u32_e32 vcc_lo, 0, v87
	s_mov_b32 s1, 0
	s_cbranch_vccnz .LBB41_174
; %bb.13:
	v_add_nc_u32_e32 v86, 0, v85
	scratch_load_b32 v87, v86, off
	s_waitcnt vmcnt(0)
	v_div_scale_f32 v88, null, v87, v87, 1.0
	v_div_scale_f32 v91, vcc_lo, 1.0, v87, 1.0
	s_delay_alu instid0(VALU_DEP_2) | instskip(SKIP_2) | instid1(VALU_DEP_1)
	v_rcp_f32_e32 v89, v88
	s_waitcnt_depctr 0xfff
	v_fma_f32 v90, -v88, v89, 1.0
	v_fmac_f32_e32 v89, v90, v89
	s_delay_alu instid0(VALU_DEP_1) | instskip(NEXT) | instid1(VALU_DEP_1)
	v_mul_f32_e32 v90, v91, v89
	v_fma_f32 v92, -v88, v90, v91
	s_delay_alu instid0(VALU_DEP_1) | instskip(NEXT) | instid1(VALU_DEP_1)
	v_fmac_f32_e32 v90, v92, v89
	v_fma_f32 v88, -v88, v90, v91
	s_delay_alu instid0(VALU_DEP_1) | instskip(NEXT) | instid1(VALU_DEP_1)
	v_div_fmas_f32 v88, v88, v89, v90
	v_div_fixup_f32 v87, v88, v87, 1.0
	scratch_store_b32 v86, v87, off
	scratch_load_b32 v88, off, off offset:4
	v_xor_b32_e32 v89, 0x80000000, v87
	v_add_nc_u32_e32 v87, 0xb0, v85
	s_waitcnt vmcnt(0)
	ds_store_2addr_b32 v85, v89, v88 offset1:44
	s_waitcnt lgkmcnt(0)
	s_waitcnt_vscnt null, 0x0
	s_barrier
	buffer_gl0_inv
	s_and_saveexec_b32 s1, s0
	s_cbranch_execz .LBB41_15
; %bb.14:
	scratch_load_b32 v88, v86, off
	ds_load_b32 v89, v87
	v_mov_b32_e32 v90, 0
	ds_load_b32 v90, v90 offset:4
	s_waitcnt vmcnt(0) lgkmcnt(1)
	v_fma_f32 v88, v88, v89, 0
	s_waitcnt lgkmcnt(0)
	s_delay_alu instid0(VALU_DEP_1)
	v_mul_f32_e32 v88, v88, v90
	scratch_store_b32 off, v88, off offset:4
.LBB41_15:
	s_or_b32 exec_lo, exec_lo, s1
	s_waitcnt_vscnt null, 0x0
	s_barrier
	buffer_gl0_inv
	scratch_load_b32 v88, off, off offset:8
	s_mov_b32 s1, exec_lo
	s_waitcnt vmcnt(0)
	ds_store_b32 v87, v88
	s_waitcnt lgkmcnt(0)
	s_barrier
	buffer_gl0_inv
	v_cmpx_gt_u32_e32 2, v0
	s_cbranch_execz .LBB41_17
; %bb.16:
	scratch_load_b32 v90, v86, off
	scratch_load_b32 v91, off, off offset:4
	ds_load_b32 v92, v87
	v_mov_b32_e32 v88, 0
	ds_load_2addr_b32 v[88:89], v88 offset0:2 offset1:45
	s_waitcnt vmcnt(1) lgkmcnt(1)
	v_fma_f32 v90, v90, v92, 0
	s_waitcnt vmcnt(0) lgkmcnt(0)
	s_delay_alu instid0(VALU_DEP_1) | instskip(NEXT) | instid1(VALU_DEP_1)
	v_fma_f32 v89, v91, v89, v90
	v_cndmask_b32_e64 v89, v90, v89, s0
	s_delay_alu instid0(VALU_DEP_1)
	v_mul_f32_e32 v88, v89, v88
	scratch_store_b32 off, v88, off offset:8
.LBB41_17:
	s_or_b32 exec_lo, exec_lo, s1
	s_waitcnt_vscnt null, 0x0
	s_barrier
	buffer_gl0_inv
	scratch_load_b32 v89, off, off offset:12
	v_add_nc_u32_e32 v88, -1, v0
	s_mov_b32 s0, exec_lo
	s_waitcnt vmcnt(0)
	ds_store_b32 v87, v89
	s_waitcnt lgkmcnt(0)
	s_barrier
	buffer_gl0_inv
	v_cmpx_gt_u32_e32 3, v0
	s_cbranch_execz .LBB41_21
; %bb.18:
	v_dual_mov_b32 v89, 0 :: v_dual_add_nc_u32 v90, -1, v0
	v_add_nc_u32_e32 v91, 0xb0, v85
	v_add_nc_u32_e32 v92, 0, v85
	s_mov_b32 s1, 0
.LBB41_19:                              ; =>This Inner Loop Header: Depth=1
	scratch_load_b32 v93, v92, off
	ds_load_b32 v94, v91
	v_add_nc_u32_e32 v90, 1, v90
	v_add_nc_u32_e32 v91, 4, v91
	v_add_nc_u32_e32 v92, 4, v92
	s_delay_alu instid0(VALU_DEP_3)
	v_cmp_lt_u32_e32 vcc_lo, 1, v90
	s_or_b32 s1, vcc_lo, s1
	s_waitcnt vmcnt(0) lgkmcnt(0)
	v_fmac_f32_e32 v89, v93, v94
	s_and_not1_b32 exec_lo, exec_lo, s1
	s_cbranch_execnz .LBB41_19
; %bb.20:
	s_or_b32 exec_lo, exec_lo, s1
	v_mov_b32_e32 v90, 0
	ds_load_b32 v90, v90 offset:12
	s_waitcnt lgkmcnt(0)
	v_mul_f32_e32 v89, v89, v90
	scratch_store_b32 off, v89, off offset:12
.LBB41_21:
	s_or_b32 exec_lo, exec_lo, s0
	s_waitcnt_vscnt null, 0x0
	s_barrier
	buffer_gl0_inv
	scratch_load_b32 v89, off, off offset:16
	s_mov_b32 s0, exec_lo
	s_waitcnt vmcnt(0)
	ds_store_b32 v87, v89
	s_waitcnt lgkmcnt(0)
	s_barrier
	buffer_gl0_inv
	v_cmpx_gt_u32_e32 4, v0
	s_cbranch_execz .LBB41_25
; %bb.22:
	v_dual_mov_b32 v89, 0 :: v_dual_add_nc_u32 v90, -1, v0
	v_add_nc_u32_e32 v91, 0xb0, v85
	v_add_nc_u32_e32 v92, 0, v85
	s_mov_b32 s1, 0
.LBB41_23:                              ; =>This Inner Loop Header: Depth=1
	scratch_load_b32 v93, v92, off
	ds_load_b32 v94, v91
	v_add_nc_u32_e32 v90, 1, v90
	v_add_nc_u32_e32 v91, 4, v91
	v_add_nc_u32_e32 v92, 4, v92
	s_delay_alu instid0(VALU_DEP_3)
	v_cmp_lt_u32_e32 vcc_lo, 2, v90
	s_or_b32 s1, vcc_lo, s1
	s_waitcnt vmcnt(0) lgkmcnt(0)
	v_fmac_f32_e32 v89, v93, v94
	s_and_not1_b32 exec_lo, exec_lo, s1
	s_cbranch_execnz .LBB41_23
; %bb.24:
	s_or_b32 exec_lo, exec_lo, s1
	v_mov_b32_e32 v90, 0
	ds_load_b32 v90, v90 offset:16
	s_waitcnt lgkmcnt(0)
	v_mul_f32_e32 v89, v89, v90
	scratch_store_b32 off, v89, off offset:16
.LBB41_25:
	s_or_b32 exec_lo, exec_lo, s0
	s_waitcnt_vscnt null, 0x0
	s_barrier
	buffer_gl0_inv
	scratch_load_b32 v89, off, off offset:20
	s_mov_b32 s0, exec_lo
	s_waitcnt vmcnt(0)
	ds_store_b32 v87, v89
	s_waitcnt lgkmcnt(0)
	s_barrier
	buffer_gl0_inv
	v_cmpx_gt_u32_e32 5, v0
	s_cbranch_execz .LBB41_29
; %bb.26:
	v_dual_mov_b32 v89, 0 :: v_dual_add_nc_u32 v90, -1, v0
	v_add_nc_u32_e32 v91, 0xb0, v85
	v_add_nc_u32_e32 v92, 0, v85
	s_mov_b32 s1, 0
.LBB41_27:                              ; =>This Inner Loop Header: Depth=1
	scratch_load_b32 v93, v92, off
	ds_load_b32 v94, v91
	v_add_nc_u32_e32 v90, 1, v90
	v_add_nc_u32_e32 v91, 4, v91
	v_add_nc_u32_e32 v92, 4, v92
	s_delay_alu instid0(VALU_DEP_3)
	v_cmp_lt_u32_e32 vcc_lo, 3, v90
	s_or_b32 s1, vcc_lo, s1
	s_waitcnt vmcnt(0) lgkmcnt(0)
	v_fmac_f32_e32 v89, v93, v94
	s_and_not1_b32 exec_lo, exec_lo, s1
	s_cbranch_execnz .LBB41_27
; %bb.28:
	s_or_b32 exec_lo, exec_lo, s1
	v_mov_b32_e32 v90, 0
	ds_load_b32 v90, v90 offset:20
	s_waitcnt lgkmcnt(0)
	v_mul_f32_e32 v89, v89, v90
	scratch_store_b32 off, v89, off offset:20
.LBB41_29:
	s_or_b32 exec_lo, exec_lo, s0
	s_waitcnt_vscnt null, 0x0
	s_barrier
	buffer_gl0_inv
	scratch_load_b32 v89, off, off offset:24
	s_mov_b32 s0, exec_lo
	s_waitcnt vmcnt(0)
	ds_store_b32 v87, v89
	s_waitcnt lgkmcnt(0)
	s_barrier
	buffer_gl0_inv
	v_cmpx_gt_u32_e32 6, v0
	s_cbranch_execz .LBB41_33
; %bb.30:
	v_dual_mov_b32 v89, 0 :: v_dual_add_nc_u32 v90, -1, v0
	v_add_nc_u32_e32 v91, 0xb0, v85
	v_add_nc_u32_e32 v92, 0, v85
	s_mov_b32 s1, 0
.LBB41_31:                              ; =>This Inner Loop Header: Depth=1
	scratch_load_b32 v93, v92, off
	ds_load_b32 v94, v91
	v_add_nc_u32_e32 v90, 1, v90
	v_add_nc_u32_e32 v91, 4, v91
	v_add_nc_u32_e32 v92, 4, v92
	s_delay_alu instid0(VALU_DEP_3)
	v_cmp_lt_u32_e32 vcc_lo, 4, v90
	s_or_b32 s1, vcc_lo, s1
	s_waitcnt vmcnt(0) lgkmcnt(0)
	v_fmac_f32_e32 v89, v93, v94
	s_and_not1_b32 exec_lo, exec_lo, s1
	s_cbranch_execnz .LBB41_31
; %bb.32:
	s_or_b32 exec_lo, exec_lo, s1
	v_mov_b32_e32 v90, 0
	ds_load_b32 v90, v90 offset:24
	s_waitcnt lgkmcnt(0)
	v_mul_f32_e32 v89, v89, v90
	scratch_store_b32 off, v89, off offset:24
.LBB41_33:
	s_or_b32 exec_lo, exec_lo, s0
	s_waitcnt_vscnt null, 0x0
	s_barrier
	buffer_gl0_inv
	scratch_load_b32 v89, off, off offset:28
	s_mov_b32 s0, exec_lo
	s_waitcnt vmcnt(0)
	ds_store_b32 v87, v89
	s_waitcnt lgkmcnt(0)
	s_barrier
	buffer_gl0_inv
	v_cmpx_gt_u32_e32 7, v0
	s_cbranch_execz .LBB41_37
; %bb.34:
	v_dual_mov_b32 v89, 0 :: v_dual_add_nc_u32 v90, -1, v0
	v_add_nc_u32_e32 v91, 0xb0, v85
	v_add_nc_u32_e32 v92, 0, v85
	s_mov_b32 s1, 0
.LBB41_35:                              ; =>This Inner Loop Header: Depth=1
	scratch_load_b32 v93, v92, off
	ds_load_b32 v94, v91
	v_add_nc_u32_e32 v90, 1, v90
	v_add_nc_u32_e32 v91, 4, v91
	v_add_nc_u32_e32 v92, 4, v92
	s_delay_alu instid0(VALU_DEP_3)
	v_cmp_lt_u32_e32 vcc_lo, 5, v90
	s_or_b32 s1, vcc_lo, s1
	s_waitcnt vmcnt(0) lgkmcnt(0)
	v_fmac_f32_e32 v89, v93, v94
	s_and_not1_b32 exec_lo, exec_lo, s1
	s_cbranch_execnz .LBB41_35
; %bb.36:
	s_or_b32 exec_lo, exec_lo, s1
	v_mov_b32_e32 v90, 0
	ds_load_b32 v90, v90 offset:28
	s_waitcnt lgkmcnt(0)
	v_mul_f32_e32 v89, v89, v90
	scratch_store_b32 off, v89, off offset:28
.LBB41_37:
	s_or_b32 exec_lo, exec_lo, s0
	s_waitcnt_vscnt null, 0x0
	s_barrier
	buffer_gl0_inv
	scratch_load_b32 v89, off, off offset:32
	s_mov_b32 s0, exec_lo
	s_waitcnt vmcnt(0)
	ds_store_b32 v87, v89
	s_waitcnt lgkmcnt(0)
	s_barrier
	buffer_gl0_inv
	v_cmpx_gt_u32_e32 8, v0
	s_cbranch_execz .LBB41_41
; %bb.38:
	v_dual_mov_b32 v89, 0 :: v_dual_add_nc_u32 v90, -1, v0
	v_add_nc_u32_e32 v91, 0xb0, v85
	v_add_nc_u32_e32 v92, 0, v85
	s_mov_b32 s1, 0
.LBB41_39:                              ; =>This Inner Loop Header: Depth=1
	scratch_load_b32 v93, v92, off
	ds_load_b32 v94, v91
	v_add_nc_u32_e32 v90, 1, v90
	v_add_nc_u32_e32 v91, 4, v91
	v_add_nc_u32_e32 v92, 4, v92
	s_delay_alu instid0(VALU_DEP_3)
	v_cmp_lt_u32_e32 vcc_lo, 6, v90
	s_or_b32 s1, vcc_lo, s1
	s_waitcnt vmcnt(0) lgkmcnt(0)
	v_fmac_f32_e32 v89, v93, v94
	s_and_not1_b32 exec_lo, exec_lo, s1
	s_cbranch_execnz .LBB41_39
; %bb.40:
	s_or_b32 exec_lo, exec_lo, s1
	v_mov_b32_e32 v90, 0
	ds_load_b32 v90, v90 offset:32
	s_waitcnt lgkmcnt(0)
	v_mul_f32_e32 v89, v89, v90
	scratch_store_b32 off, v89, off offset:32
.LBB41_41:
	s_or_b32 exec_lo, exec_lo, s0
	s_waitcnt_vscnt null, 0x0
	s_barrier
	buffer_gl0_inv
	scratch_load_b32 v89, off, off offset:36
	s_mov_b32 s0, exec_lo
	s_waitcnt vmcnt(0)
	ds_store_b32 v87, v89
	s_waitcnt lgkmcnt(0)
	s_barrier
	buffer_gl0_inv
	v_cmpx_gt_u32_e32 9, v0
	s_cbranch_execz .LBB41_45
; %bb.42:
	v_dual_mov_b32 v89, 0 :: v_dual_add_nc_u32 v90, -1, v0
	v_add_nc_u32_e32 v91, 0xb0, v85
	v_add_nc_u32_e32 v92, 0, v85
	s_mov_b32 s1, 0
.LBB41_43:                              ; =>This Inner Loop Header: Depth=1
	scratch_load_b32 v93, v92, off
	ds_load_b32 v94, v91
	v_add_nc_u32_e32 v90, 1, v90
	v_add_nc_u32_e32 v91, 4, v91
	v_add_nc_u32_e32 v92, 4, v92
	s_delay_alu instid0(VALU_DEP_3)
	v_cmp_lt_u32_e32 vcc_lo, 7, v90
	s_or_b32 s1, vcc_lo, s1
	s_waitcnt vmcnt(0) lgkmcnt(0)
	v_fmac_f32_e32 v89, v93, v94
	s_and_not1_b32 exec_lo, exec_lo, s1
	s_cbranch_execnz .LBB41_43
; %bb.44:
	s_or_b32 exec_lo, exec_lo, s1
	v_mov_b32_e32 v90, 0
	ds_load_b32 v90, v90 offset:36
	s_waitcnt lgkmcnt(0)
	v_mul_f32_e32 v89, v89, v90
	scratch_store_b32 off, v89, off offset:36
.LBB41_45:
	s_or_b32 exec_lo, exec_lo, s0
	s_waitcnt_vscnt null, 0x0
	s_barrier
	buffer_gl0_inv
	scratch_load_b32 v89, off, off offset:40
	s_mov_b32 s0, exec_lo
	s_waitcnt vmcnt(0)
	ds_store_b32 v87, v89
	s_waitcnt lgkmcnt(0)
	s_barrier
	buffer_gl0_inv
	v_cmpx_gt_u32_e32 10, v0
	s_cbranch_execz .LBB41_49
; %bb.46:
	v_dual_mov_b32 v89, 0 :: v_dual_add_nc_u32 v90, -1, v0
	v_add_nc_u32_e32 v91, 0xb0, v85
	v_add_nc_u32_e32 v92, 0, v85
	s_mov_b32 s1, 0
.LBB41_47:                              ; =>This Inner Loop Header: Depth=1
	scratch_load_b32 v93, v92, off
	ds_load_b32 v94, v91
	v_add_nc_u32_e32 v90, 1, v90
	v_add_nc_u32_e32 v91, 4, v91
	v_add_nc_u32_e32 v92, 4, v92
	s_delay_alu instid0(VALU_DEP_3)
	v_cmp_lt_u32_e32 vcc_lo, 8, v90
	s_or_b32 s1, vcc_lo, s1
	s_waitcnt vmcnt(0) lgkmcnt(0)
	v_fmac_f32_e32 v89, v93, v94
	s_and_not1_b32 exec_lo, exec_lo, s1
	s_cbranch_execnz .LBB41_47
; %bb.48:
	s_or_b32 exec_lo, exec_lo, s1
	v_mov_b32_e32 v90, 0
	ds_load_b32 v90, v90 offset:40
	s_waitcnt lgkmcnt(0)
	v_mul_f32_e32 v89, v89, v90
	scratch_store_b32 off, v89, off offset:40
.LBB41_49:
	s_or_b32 exec_lo, exec_lo, s0
	s_waitcnt_vscnt null, 0x0
	s_barrier
	buffer_gl0_inv
	scratch_load_b32 v89, off, off offset:44
	s_mov_b32 s0, exec_lo
	s_waitcnt vmcnt(0)
	ds_store_b32 v87, v89
	s_waitcnt lgkmcnt(0)
	s_barrier
	buffer_gl0_inv
	v_cmpx_gt_u32_e32 11, v0
	s_cbranch_execz .LBB41_53
; %bb.50:
	v_dual_mov_b32 v89, 0 :: v_dual_add_nc_u32 v90, -1, v0
	v_add_nc_u32_e32 v91, 0xb0, v85
	v_add_nc_u32_e32 v92, 0, v85
	s_mov_b32 s1, 0
.LBB41_51:                              ; =>This Inner Loop Header: Depth=1
	scratch_load_b32 v93, v92, off
	ds_load_b32 v94, v91
	v_add_nc_u32_e32 v90, 1, v90
	v_add_nc_u32_e32 v91, 4, v91
	v_add_nc_u32_e32 v92, 4, v92
	s_delay_alu instid0(VALU_DEP_3)
	v_cmp_lt_u32_e32 vcc_lo, 9, v90
	s_or_b32 s1, vcc_lo, s1
	s_waitcnt vmcnt(0) lgkmcnt(0)
	v_fmac_f32_e32 v89, v93, v94
	s_and_not1_b32 exec_lo, exec_lo, s1
	s_cbranch_execnz .LBB41_51
; %bb.52:
	s_or_b32 exec_lo, exec_lo, s1
	v_mov_b32_e32 v90, 0
	ds_load_b32 v90, v90 offset:44
	s_waitcnt lgkmcnt(0)
	v_mul_f32_e32 v89, v89, v90
	scratch_store_b32 off, v89, off offset:44
.LBB41_53:
	s_or_b32 exec_lo, exec_lo, s0
	s_waitcnt_vscnt null, 0x0
	s_barrier
	buffer_gl0_inv
	scratch_load_b32 v89, off, off offset:48
	s_mov_b32 s0, exec_lo
	s_waitcnt vmcnt(0)
	ds_store_b32 v87, v89
	s_waitcnt lgkmcnt(0)
	s_barrier
	buffer_gl0_inv
	v_cmpx_gt_u32_e32 12, v0
	s_cbranch_execz .LBB41_57
; %bb.54:
	v_dual_mov_b32 v89, 0 :: v_dual_add_nc_u32 v90, -1, v0
	v_add_nc_u32_e32 v91, 0xb0, v85
	v_add_nc_u32_e32 v92, 0, v85
	s_mov_b32 s1, 0
.LBB41_55:                              ; =>This Inner Loop Header: Depth=1
	scratch_load_b32 v93, v92, off
	ds_load_b32 v94, v91
	v_add_nc_u32_e32 v90, 1, v90
	v_add_nc_u32_e32 v91, 4, v91
	v_add_nc_u32_e32 v92, 4, v92
	s_delay_alu instid0(VALU_DEP_3)
	v_cmp_lt_u32_e32 vcc_lo, 10, v90
	s_or_b32 s1, vcc_lo, s1
	s_waitcnt vmcnt(0) lgkmcnt(0)
	v_fmac_f32_e32 v89, v93, v94
	s_and_not1_b32 exec_lo, exec_lo, s1
	s_cbranch_execnz .LBB41_55
; %bb.56:
	s_or_b32 exec_lo, exec_lo, s1
	v_mov_b32_e32 v90, 0
	ds_load_b32 v90, v90 offset:48
	s_waitcnt lgkmcnt(0)
	v_mul_f32_e32 v89, v89, v90
	scratch_store_b32 off, v89, off offset:48
.LBB41_57:
	s_or_b32 exec_lo, exec_lo, s0
	s_waitcnt_vscnt null, 0x0
	s_barrier
	buffer_gl0_inv
	scratch_load_b32 v89, off, off offset:52
	s_mov_b32 s0, exec_lo
	s_waitcnt vmcnt(0)
	ds_store_b32 v87, v89
	s_waitcnt lgkmcnt(0)
	s_barrier
	buffer_gl0_inv
	v_cmpx_gt_u32_e32 13, v0
	s_cbranch_execz .LBB41_61
; %bb.58:
	v_dual_mov_b32 v89, 0 :: v_dual_add_nc_u32 v90, -1, v0
	v_add_nc_u32_e32 v91, 0xb0, v85
	v_add_nc_u32_e32 v92, 0, v85
	s_mov_b32 s1, 0
.LBB41_59:                              ; =>This Inner Loop Header: Depth=1
	scratch_load_b32 v93, v92, off
	ds_load_b32 v94, v91
	v_add_nc_u32_e32 v90, 1, v90
	v_add_nc_u32_e32 v91, 4, v91
	v_add_nc_u32_e32 v92, 4, v92
	s_delay_alu instid0(VALU_DEP_3)
	v_cmp_lt_u32_e32 vcc_lo, 11, v90
	s_or_b32 s1, vcc_lo, s1
	s_waitcnt vmcnt(0) lgkmcnt(0)
	v_fmac_f32_e32 v89, v93, v94
	s_and_not1_b32 exec_lo, exec_lo, s1
	s_cbranch_execnz .LBB41_59
; %bb.60:
	s_or_b32 exec_lo, exec_lo, s1
	v_mov_b32_e32 v90, 0
	ds_load_b32 v90, v90 offset:52
	s_waitcnt lgkmcnt(0)
	v_mul_f32_e32 v89, v89, v90
	scratch_store_b32 off, v89, off offset:52
.LBB41_61:
	s_or_b32 exec_lo, exec_lo, s0
	s_waitcnt_vscnt null, 0x0
	s_barrier
	buffer_gl0_inv
	scratch_load_b32 v89, off, off offset:56
	s_mov_b32 s0, exec_lo
	s_waitcnt vmcnt(0)
	ds_store_b32 v87, v89
	s_waitcnt lgkmcnt(0)
	s_barrier
	buffer_gl0_inv
	v_cmpx_gt_u32_e32 14, v0
	s_cbranch_execz .LBB41_65
; %bb.62:
	v_dual_mov_b32 v89, 0 :: v_dual_add_nc_u32 v90, -1, v0
	v_add_nc_u32_e32 v91, 0xb0, v85
	v_add_nc_u32_e32 v92, 0, v85
	s_mov_b32 s1, 0
.LBB41_63:                              ; =>This Inner Loop Header: Depth=1
	scratch_load_b32 v93, v92, off
	ds_load_b32 v94, v91
	v_add_nc_u32_e32 v90, 1, v90
	v_add_nc_u32_e32 v91, 4, v91
	v_add_nc_u32_e32 v92, 4, v92
	s_delay_alu instid0(VALU_DEP_3)
	v_cmp_lt_u32_e32 vcc_lo, 12, v90
	s_or_b32 s1, vcc_lo, s1
	s_waitcnt vmcnt(0) lgkmcnt(0)
	v_fmac_f32_e32 v89, v93, v94
	s_and_not1_b32 exec_lo, exec_lo, s1
	s_cbranch_execnz .LBB41_63
; %bb.64:
	s_or_b32 exec_lo, exec_lo, s1
	v_mov_b32_e32 v90, 0
	ds_load_b32 v90, v90 offset:56
	s_waitcnt lgkmcnt(0)
	v_mul_f32_e32 v89, v89, v90
	scratch_store_b32 off, v89, off offset:56
.LBB41_65:
	s_or_b32 exec_lo, exec_lo, s0
	s_waitcnt_vscnt null, 0x0
	s_barrier
	buffer_gl0_inv
	scratch_load_b32 v89, off, off offset:60
	s_mov_b32 s0, exec_lo
	s_waitcnt vmcnt(0)
	ds_store_b32 v87, v89
	s_waitcnt lgkmcnt(0)
	s_barrier
	buffer_gl0_inv
	v_cmpx_gt_u32_e32 15, v0
	s_cbranch_execz .LBB41_69
; %bb.66:
	v_dual_mov_b32 v89, 0 :: v_dual_add_nc_u32 v90, -1, v0
	v_add_nc_u32_e32 v91, 0xb0, v85
	v_add_nc_u32_e32 v92, 0, v85
	s_mov_b32 s1, 0
.LBB41_67:                              ; =>This Inner Loop Header: Depth=1
	scratch_load_b32 v93, v92, off
	ds_load_b32 v94, v91
	v_add_nc_u32_e32 v90, 1, v90
	v_add_nc_u32_e32 v91, 4, v91
	v_add_nc_u32_e32 v92, 4, v92
	s_delay_alu instid0(VALU_DEP_3)
	v_cmp_lt_u32_e32 vcc_lo, 13, v90
	s_or_b32 s1, vcc_lo, s1
	s_waitcnt vmcnt(0) lgkmcnt(0)
	v_fmac_f32_e32 v89, v93, v94
	s_and_not1_b32 exec_lo, exec_lo, s1
	s_cbranch_execnz .LBB41_67
; %bb.68:
	s_or_b32 exec_lo, exec_lo, s1
	v_mov_b32_e32 v90, 0
	ds_load_b32 v90, v90 offset:60
	s_waitcnt lgkmcnt(0)
	v_mul_f32_e32 v89, v89, v90
	scratch_store_b32 off, v89, off offset:60
.LBB41_69:
	s_or_b32 exec_lo, exec_lo, s0
	s_waitcnt_vscnt null, 0x0
	s_barrier
	buffer_gl0_inv
	scratch_load_b32 v89, off, off offset:64
	s_mov_b32 s0, exec_lo
	s_waitcnt vmcnt(0)
	ds_store_b32 v87, v89
	s_waitcnt lgkmcnt(0)
	s_barrier
	buffer_gl0_inv
	v_cmpx_gt_u32_e32 16, v0
	s_cbranch_execz .LBB41_73
; %bb.70:
	v_dual_mov_b32 v89, 0 :: v_dual_add_nc_u32 v90, -1, v0
	v_add_nc_u32_e32 v91, 0xb0, v85
	v_add_nc_u32_e32 v92, 0, v85
	s_mov_b32 s1, 0
.LBB41_71:                              ; =>This Inner Loop Header: Depth=1
	scratch_load_b32 v93, v92, off
	ds_load_b32 v94, v91
	v_add_nc_u32_e32 v90, 1, v90
	v_add_nc_u32_e32 v91, 4, v91
	v_add_nc_u32_e32 v92, 4, v92
	s_delay_alu instid0(VALU_DEP_3)
	v_cmp_lt_u32_e32 vcc_lo, 14, v90
	s_or_b32 s1, vcc_lo, s1
	s_waitcnt vmcnt(0) lgkmcnt(0)
	v_fmac_f32_e32 v89, v93, v94
	s_and_not1_b32 exec_lo, exec_lo, s1
	s_cbranch_execnz .LBB41_71
; %bb.72:
	s_or_b32 exec_lo, exec_lo, s1
	v_mov_b32_e32 v90, 0
	ds_load_b32 v90, v90 offset:64
	s_waitcnt lgkmcnt(0)
	v_mul_f32_e32 v89, v89, v90
	scratch_store_b32 off, v89, off offset:64
.LBB41_73:
	s_or_b32 exec_lo, exec_lo, s0
	s_waitcnt_vscnt null, 0x0
	s_barrier
	buffer_gl0_inv
	scratch_load_b32 v89, off, off offset:68
	s_mov_b32 s0, exec_lo
	s_waitcnt vmcnt(0)
	ds_store_b32 v87, v89
	s_waitcnt lgkmcnt(0)
	s_barrier
	buffer_gl0_inv
	v_cmpx_gt_u32_e32 17, v0
	s_cbranch_execz .LBB41_77
; %bb.74:
	v_dual_mov_b32 v89, 0 :: v_dual_add_nc_u32 v90, -1, v0
	v_add_nc_u32_e32 v91, 0xb0, v85
	v_add_nc_u32_e32 v92, 0, v85
	s_mov_b32 s1, 0
.LBB41_75:                              ; =>This Inner Loop Header: Depth=1
	scratch_load_b32 v93, v92, off
	ds_load_b32 v94, v91
	v_add_nc_u32_e32 v90, 1, v90
	v_add_nc_u32_e32 v91, 4, v91
	v_add_nc_u32_e32 v92, 4, v92
	s_delay_alu instid0(VALU_DEP_3)
	v_cmp_lt_u32_e32 vcc_lo, 15, v90
	s_or_b32 s1, vcc_lo, s1
	s_waitcnt vmcnt(0) lgkmcnt(0)
	v_fmac_f32_e32 v89, v93, v94
	s_and_not1_b32 exec_lo, exec_lo, s1
	s_cbranch_execnz .LBB41_75
; %bb.76:
	s_or_b32 exec_lo, exec_lo, s1
	v_mov_b32_e32 v90, 0
	ds_load_b32 v90, v90 offset:68
	s_waitcnt lgkmcnt(0)
	v_mul_f32_e32 v89, v89, v90
	scratch_store_b32 off, v89, off offset:68
.LBB41_77:
	s_or_b32 exec_lo, exec_lo, s0
	s_waitcnt_vscnt null, 0x0
	s_barrier
	buffer_gl0_inv
	scratch_load_b32 v89, off, off offset:72
	s_mov_b32 s0, exec_lo
	s_waitcnt vmcnt(0)
	ds_store_b32 v87, v89
	s_waitcnt lgkmcnt(0)
	s_barrier
	buffer_gl0_inv
	v_cmpx_gt_u32_e32 18, v0
	s_cbranch_execz .LBB41_81
; %bb.78:
	v_dual_mov_b32 v89, 0 :: v_dual_add_nc_u32 v90, -1, v0
	v_add_nc_u32_e32 v91, 0xb0, v85
	v_add_nc_u32_e32 v92, 0, v85
	s_mov_b32 s1, 0
.LBB41_79:                              ; =>This Inner Loop Header: Depth=1
	scratch_load_b32 v93, v92, off
	ds_load_b32 v94, v91
	v_add_nc_u32_e32 v90, 1, v90
	v_add_nc_u32_e32 v91, 4, v91
	v_add_nc_u32_e32 v92, 4, v92
	s_delay_alu instid0(VALU_DEP_3)
	v_cmp_lt_u32_e32 vcc_lo, 16, v90
	s_or_b32 s1, vcc_lo, s1
	s_waitcnt vmcnt(0) lgkmcnt(0)
	v_fmac_f32_e32 v89, v93, v94
	s_and_not1_b32 exec_lo, exec_lo, s1
	s_cbranch_execnz .LBB41_79
; %bb.80:
	s_or_b32 exec_lo, exec_lo, s1
	v_mov_b32_e32 v90, 0
	ds_load_b32 v90, v90 offset:72
	s_waitcnt lgkmcnt(0)
	v_mul_f32_e32 v89, v89, v90
	scratch_store_b32 off, v89, off offset:72
.LBB41_81:
	s_or_b32 exec_lo, exec_lo, s0
	s_waitcnt_vscnt null, 0x0
	s_barrier
	buffer_gl0_inv
	scratch_load_b32 v89, off, off offset:76
	s_mov_b32 s0, exec_lo
	s_waitcnt vmcnt(0)
	ds_store_b32 v87, v89
	s_waitcnt lgkmcnt(0)
	s_barrier
	buffer_gl0_inv
	v_cmpx_gt_u32_e32 19, v0
	s_cbranch_execz .LBB41_85
; %bb.82:
	v_dual_mov_b32 v89, 0 :: v_dual_add_nc_u32 v90, -1, v0
	v_add_nc_u32_e32 v91, 0xb0, v85
	v_add_nc_u32_e32 v92, 0, v85
	s_mov_b32 s1, 0
.LBB41_83:                              ; =>This Inner Loop Header: Depth=1
	scratch_load_b32 v93, v92, off
	ds_load_b32 v94, v91
	v_add_nc_u32_e32 v90, 1, v90
	v_add_nc_u32_e32 v91, 4, v91
	v_add_nc_u32_e32 v92, 4, v92
	s_delay_alu instid0(VALU_DEP_3)
	v_cmp_lt_u32_e32 vcc_lo, 17, v90
	s_or_b32 s1, vcc_lo, s1
	s_waitcnt vmcnt(0) lgkmcnt(0)
	v_fmac_f32_e32 v89, v93, v94
	s_and_not1_b32 exec_lo, exec_lo, s1
	s_cbranch_execnz .LBB41_83
; %bb.84:
	s_or_b32 exec_lo, exec_lo, s1
	v_mov_b32_e32 v90, 0
	ds_load_b32 v90, v90 offset:76
	s_waitcnt lgkmcnt(0)
	v_mul_f32_e32 v89, v89, v90
	scratch_store_b32 off, v89, off offset:76
.LBB41_85:
	s_or_b32 exec_lo, exec_lo, s0
	s_waitcnt_vscnt null, 0x0
	s_barrier
	buffer_gl0_inv
	scratch_load_b32 v89, off, off offset:80
	s_mov_b32 s0, exec_lo
	s_waitcnt vmcnt(0)
	ds_store_b32 v87, v89
	s_waitcnt lgkmcnt(0)
	s_barrier
	buffer_gl0_inv
	v_cmpx_gt_u32_e32 20, v0
	s_cbranch_execz .LBB41_89
; %bb.86:
	v_dual_mov_b32 v89, 0 :: v_dual_add_nc_u32 v90, -1, v0
	v_add_nc_u32_e32 v91, 0xb0, v85
	v_add_nc_u32_e32 v92, 0, v85
	s_mov_b32 s1, 0
.LBB41_87:                              ; =>This Inner Loop Header: Depth=1
	scratch_load_b32 v93, v92, off
	ds_load_b32 v94, v91
	v_add_nc_u32_e32 v90, 1, v90
	v_add_nc_u32_e32 v91, 4, v91
	v_add_nc_u32_e32 v92, 4, v92
	s_delay_alu instid0(VALU_DEP_3)
	v_cmp_lt_u32_e32 vcc_lo, 18, v90
	s_or_b32 s1, vcc_lo, s1
	s_waitcnt vmcnt(0) lgkmcnt(0)
	v_fmac_f32_e32 v89, v93, v94
	s_and_not1_b32 exec_lo, exec_lo, s1
	s_cbranch_execnz .LBB41_87
; %bb.88:
	s_or_b32 exec_lo, exec_lo, s1
	v_mov_b32_e32 v90, 0
	ds_load_b32 v90, v90 offset:80
	s_waitcnt lgkmcnt(0)
	v_mul_f32_e32 v89, v89, v90
	scratch_store_b32 off, v89, off offset:80
.LBB41_89:
	s_or_b32 exec_lo, exec_lo, s0
	s_waitcnt_vscnt null, 0x0
	s_barrier
	buffer_gl0_inv
	scratch_load_b32 v89, off, off offset:84
	s_mov_b32 s0, exec_lo
	s_waitcnt vmcnt(0)
	ds_store_b32 v87, v89
	s_waitcnt lgkmcnt(0)
	s_barrier
	buffer_gl0_inv
	v_cmpx_gt_u32_e32 21, v0
	s_cbranch_execz .LBB41_93
; %bb.90:
	v_dual_mov_b32 v89, 0 :: v_dual_add_nc_u32 v90, -1, v0
	v_add_nc_u32_e32 v91, 0xb0, v85
	v_add_nc_u32_e32 v92, 0, v85
	s_mov_b32 s1, 0
.LBB41_91:                              ; =>This Inner Loop Header: Depth=1
	scratch_load_b32 v93, v92, off
	ds_load_b32 v94, v91
	v_add_nc_u32_e32 v90, 1, v90
	v_add_nc_u32_e32 v91, 4, v91
	v_add_nc_u32_e32 v92, 4, v92
	s_delay_alu instid0(VALU_DEP_3)
	v_cmp_lt_u32_e32 vcc_lo, 19, v90
	s_or_b32 s1, vcc_lo, s1
	s_waitcnt vmcnt(0) lgkmcnt(0)
	v_fmac_f32_e32 v89, v93, v94
	s_and_not1_b32 exec_lo, exec_lo, s1
	s_cbranch_execnz .LBB41_91
; %bb.92:
	s_or_b32 exec_lo, exec_lo, s1
	v_mov_b32_e32 v90, 0
	ds_load_b32 v90, v90 offset:84
	s_waitcnt lgkmcnt(0)
	v_mul_f32_e32 v89, v89, v90
	scratch_store_b32 off, v89, off offset:84
.LBB41_93:
	s_or_b32 exec_lo, exec_lo, s0
	s_waitcnt_vscnt null, 0x0
	s_barrier
	buffer_gl0_inv
	scratch_load_b32 v89, off, off offset:88
	s_mov_b32 s0, exec_lo
	s_waitcnt vmcnt(0)
	ds_store_b32 v87, v89
	s_waitcnt lgkmcnt(0)
	s_barrier
	buffer_gl0_inv
	v_cmpx_gt_u32_e32 22, v0
	s_cbranch_execz .LBB41_97
; %bb.94:
	v_dual_mov_b32 v89, 0 :: v_dual_add_nc_u32 v90, -1, v0
	v_add_nc_u32_e32 v91, 0xb0, v85
	v_add_nc_u32_e32 v92, 0, v85
	s_mov_b32 s1, 0
.LBB41_95:                              ; =>This Inner Loop Header: Depth=1
	scratch_load_b32 v93, v92, off
	ds_load_b32 v94, v91
	v_add_nc_u32_e32 v90, 1, v90
	v_add_nc_u32_e32 v91, 4, v91
	v_add_nc_u32_e32 v92, 4, v92
	s_delay_alu instid0(VALU_DEP_3)
	v_cmp_lt_u32_e32 vcc_lo, 20, v90
	s_or_b32 s1, vcc_lo, s1
	s_waitcnt vmcnt(0) lgkmcnt(0)
	v_fmac_f32_e32 v89, v93, v94
	s_and_not1_b32 exec_lo, exec_lo, s1
	s_cbranch_execnz .LBB41_95
; %bb.96:
	s_or_b32 exec_lo, exec_lo, s1
	v_mov_b32_e32 v90, 0
	ds_load_b32 v90, v90 offset:88
	s_waitcnt lgkmcnt(0)
	v_mul_f32_e32 v89, v89, v90
	scratch_store_b32 off, v89, off offset:88
.LBB41_97:
	s_or_b32 exec_lo, exec_lo, s0
	s_waitcnt_vscnt null, 0x0
	s_barrier
	buffer_gl0_inv
	scratch_load_b32 v89, off, off offset:92
	s_mov_b32 s0, exec_lo
	s_waitcnt vmcnt(0)
	ds_store_b32 v87, v89
	s_waitcnt lgkmcnt(0)
	s_barrier
	buffer_gl0_inv
	v_cmpx_gt_u32_e32 23, v0
	s_cbranch_execz .LBB41_101
; %bb.98:
	v_dual_mov_b32 v89, 0 :: v_dual_add_nc_u32 v90, -1, v0
	v_add_nc_u32_e32 v91, 0xb0, v85
	v_add_nc_u32_e32 v92, 0, v85
	s_mov_b32 s1, 0
.LBB41_99:                              ; =>This Inner Loop Header: Depth=1
	scratch_load_b32 v93, v92, off
	ds_load_b32 v94, v91
	v_add_nc_u32_e32 v90, 1, v90
	v_add_nc_u32_e32 v91, 4, v91
	v_add_nc_u32_e32 v92, 4, v92
	s_delay_alu instid0(VALU_DEP_3)
	v_cmp_lt_u32_e32 vcc_lo, 21, v90
	s_or_b32 s1, vcc_lo, s1
	s_waitcnt vmcnt(0) lgkmcnt(0)
	v_fmac_f32_e32 v89, v93, v94
	s_and_not1_b32 exec_lo, exec_lo, s1
	s_cbranch_execnz .LBB41_99
; %bb.100:
	s_or_b32 exec_lo, exec_lo, s1
	v_mov_b32_e32 v90, 0
	ds_load_b32 v90, v90 offset:92
	s_waitcnt lgkmcnt(0)
	v_mul_f32_e32 v89, v89, v90
	scratch_store_b32 off, v89, off offset:92
.LBB41_101:
	s_or_b32 exec_lo, exec_lo, s0
	s_waitcnt_vscnt null, 0x0
	s_barrier
	buffer_gl0_inv
	scratch_load_b32 v89, off, off offset:96
	s_mov_b32 s0, exec_lo
	s_waitcnt vmcnt(0)
	ds_store_b32 v87, v89
	s_waitcnt lgkmcnt(0)
	s_barrier
	buffer_gl0_inv
	v_cmpx_gt_u32_e32 24, v0
	s_cbranch_execz .LBB41_105
; %bb.102:
	v_dual_mov_b32 v89, 0 :: v_dual_add_nc_u32 v90, -1, v0
	v_add_nc_u32_e32 v91, 0xb0, v85
	v_add_nc_u32_e32 v92, 0, v85
	s_mov_b32 s1, 0
.LBB41_103:                             ; =>This Inner Loop Header: Depth=1
	scratch_load_b32 v93, v92, off
	ds_load_b32 v94, v91
	v_add_nc_u32_e32 v90, 1, v90
	v_add_nc_u32_e32 v91, 4, v91
	v_add_nc_u32_e32 v92, 4, v92
	s_delay_alu instid0(VALU_DEP_3)
	v_cmp_lt_u32_e32 vcc_lo, 22, v90
	s_or_b32 s1, vcc_lo, s1
	s_waitcnt vmcnt(0) lgkmcnt(0)
	v_fmac_f32_e32 v89, v93, v94
	s_and_not1_b32 exec_lo, exec_lo, s1
	s_cbranch_execnz .LBB41_103
; %bb.104:
	s_or_b32 exec_lo, exec_lo, s1
	v_mov_b32_e32 v90, 0
	ds_load_b32 v90, v90 offset:96
	s_waitcnt lgkmcnt(0)
	v_mul_f32_e32 v89, v89, v90
	scratch_store_b32 off, v89, off offset:96
.LBB41_105:
	s_or_b32 exec_lo, exec_lo, s0
	s_waitcnt_vscnt null, 0x0
	s_barrier
	buffer_gl0_inv
	scratch_load_b32 v89, off, off offset:100
	s_mov_b32 s0, exec_lo
	s_waitcnt vmcnt(0)
	ds_store_b32 v87, v89
	s_waitcnt lgkmcnt(0)
	s_barrier
	buffer_gl0_inv
	v_cmpx_gt_u32_e32 25, v0
	s_cbranch_execz .LBB41_109
; %bb.106:
	v_dual_mov_b32 v89, 0 :: v_dual_add_nc_u32 v90, -1, v0
	v_add_nc_u32_e32 v91, 0xb0, v85
	v_add_nc_u32_e32 v92, 0, v85
	s_mov_b32 s1, 0
.LBB41_107:                             ; =>This Inner Loop Header: Depth=1
	scratch_load_b32 v93, v92, off
	ds_load_b32 v94, v91
	v_add_nc_u32_e32 v90, 1, v90
	v_add_nc_u32_e32 v91, 4, v91
	v_add_nc_u32_e32 v92, 4, v92
	s_delay_alu instid0(VALU_DEP_3)
	v_cmp_lt_u32_e32 vcc_lo, 23, v90
	s_or_b32 s1, vcc_lo, s1
	s_waitcnt vmcnt(0) lgkmcnt(0)
	v_fmac_f32_e32 v89, v93, v94
	s_and_not1_b32 exec_lo, exec_lo, s1
	s_cbranch_execnz .LBB41_107
; %bb.108:
	s_or_b32 exec_lo, exec_lo, s1
	v_mov_b32_e32 v90, 0
	ds_load_b32 v90, v90 offset:100
	s_waitcnt lgkmcnt(0)
	v_mul_f32_e32 v89, v89, v90
	scratch_store_b32 off, v89, off offset:100
.LBB41_109:
	s_or_b32 exec_lo, exec_lo, s0
	s_waitcnt_vscnt null, 0x0
	s_barrier
	buffer_gl0_inv
	scratch_load_b32 v89, off, off offset:104
	;; [unrolled: 39-line block ×16, first 2 shown]
	s_mov_b32 s0, exec_lo
	s_waitcnt vmcnt(0)
	ds_store_b32 v87, v89
	s_waitcnt lgkmcnt(0)
	s_barrier
	buffer_gl0_inv
	v_cmpx_gt_u32_e32 40, v0
	s_cbranch_execz .LBB41_169
; %bb.166:
	v_add_nc_u32_e32 v89, -1, v0
	v_add_nc_u32_e32 v90, 0xb0, v85
	v_add_nc_u32_e32 v91, 0, v85
	v_mov_b32_e32 v85, 0
	s_mov_b32 s1, 0
.LBB41_167:                             ; =>This Inner Loop Header: Depth=1
	scratch_load_b32 v92, v91, off
	ds_load_b32 v93, v90
	v_add_nc_u32_e32 v89, 1, v89
	v_add_nc_u32_e32 v90, 4, v90
	;; [unrolled: 1-line block ×3, first 2 shown]
	s_delay_alu instid0(VALU_DEP_3)
	v_cmp_lt_u32_e32 vcc_lo, 38, v89
	s_or_b32 s1, vcc_lo, s1
	s_waitcnt vmcnt(0) lgkmcnt(0)
	v_fmac_f32_e32 v85, v92, v93
	s_and_not1_b32 exec_lo, exec_lo, s1
	s_cbranch_execnz .LBB41_167
; %bb.168:
	s_or_b32 exec_lo, exec_lo, s1
	v_mov_b32_e32 v89, 0
	ds_load_b32 v89, v89 offset:160
	s_waitcnt lgkmcnt(0)
	v_mul_f32_e32 v85, v85, v89
	scratch_store_b32 off, v85, off offset:160
.LBB41_169:
	s_or_b32 exec_lo, exec_lo, s0
	s_waitcnt_vscnt null, 0x0
	s_barrier
	buffer_gl0_inv
	scratch_load_b32 v85, off, off offset:164
	s_mov_b32 s0, exec_lo
	s_waitcnt vmcnt(0)
	ds_store_b32 v87, v85
	s_waitcnt lgkmcnt(0)
	s_barrier
	buffer_gl0_inv
	v_cmpx_ne_u32_e32 41, v0
	s_cbranch_execz .LBB41_173
; %bb.170:
	v_mov_b32_e32 v85, 0
	s_mov_b32 s1, 0
.LBB41_171:                             ; =>This Inner Loop Header: Depth=1
	scratch_load_b32 v89, v86, off
	ds_load_b32 v90, v87
	v_add_nc_u32_e32 v88, 1, v88
	v_add_nc_u32_e32 v87, 4, v87
	;; [unrolled: 1-line block ×3, first 2 shown]
	s_waitcnt vmcnt(0) lgkmcnt(0)
	v_fmac_f32_e32 v85, v89, v90
	v_cmp_lt_u32_e32 vcc_lo, 39, v88
	s_or_b32 s1, vcc_lo, s1
	s_delay_alu instid0(SALU_CYCLE_1)
	s_and_not1_b32 exec_lo, exec_lo, s1
	s_cbranch_execnz .LBB41_171
; %bb.172:
	s_or_b32 exec_lo, exec_lo, s1
	v_mov_b32_e32 v86, 0
	ds_load_b32 v86, v86 offset:164
	s_waitcnt lgkmcnt(0)
	v_mul_f32_e32 v85, v85, v86
	scratch_store_b32 off, v85, off offset:164
.LBB41_173:
	s_or_b32 exec_lo, exec_lo, s0
	s_mov_b32 s1, -1
	s_waitcnt_vscnt null, 0x0
	s_barrier
	buffer_gl0_inv
.LBB41_174:
	s_and_b32 vcc_lo, exec_lo, s1
	s_cbranch_vccz .LBB41_176
; %bb.175:
	s_lshl_b64 s[0:1], s[14:15], 2
	v_mov_b32_e32 v85, 0
	s_add_u32 s0, s6, s0
	s_addc_u32 s1, s7, s1
	global_load_b32 v85, v85, s[0:1]
	s_waitcnt vmcnt(0)
	v_cmp_ne_u32_e32 vcc_lo, 0, v85
	s_cbranch_vccz .LBB41_177
.LBB41_176:
	s_endpgm
.LBB41_177:
	v_lshl_add_u32 v85, v0, 2, 0xb0
	s_mov_b32 s0, exec_lo
	v_cmpx_eq_u32_e32 41, v0
	s_cbranch_execz .LBB41_179
; %bb.178:
	scratch_load_b32 v86, off, off offset:160
	v_mov_b32_e32 v87, 0
	scratch_store_b32 off, v87, off offset:160
	s_waitcnt vmcnt(0)
	ds_store_b32 v85, v86
.LBB41_179:
	s_or_b32 exec_lo, exec_lo, s0
	s_waitcnt lgkmcnt(0)
	s_waitcnt_vscnt null, 0x0
	s_barrier
	buffer_gl0_inv
	scratch_load_b64 v[87:88], off, off offset:160
	v_mov_b32_e32 v86, 0
	s_mov_b32 s0, exec_lo
	ds_load_b32 v89, v86 offset:340
	s_waitcnt vmcnt(0) lgkmcnt(0)
	v_fma_f32 v88, v88, v89, 0
	s_delay_alu instid0(VALU_DEP_1)
	v_sub_f32_e32 v87, v87, v88
	scratch_store_b32 off, v87, off offset:160
	v_cmpx_lt_u32_e32 39, v0
	s_cbranch_execz .LBB41_181
; %bb.180:
	scratch_load_b32 v87, off, off offset:156
	scratch_store_b32 off, v86, off offset:156
	s_waitcnt vmcnt(0)
	ds_store_b32 v85, v87
.LBB41_181:
	s_or_b32 exec_lo, exec_lo, s0
	s_waitcnt lgkmcnt(0)
	s_waitcnt_vscnt null, 0x0
	s_barrier
	buffer_gl0_inv
	scratch_load_b96 v[87:89], off, off offset:156
	ds_load_b64 v[90:91], v86 offset:336
	s_mov_b32 s0, exec_lo
	s_waitcnt vmcnt(0) lgkmcnt(0)
	v_fma_f32 v86, v88, v90, 0
	s_delay_alu instid0(VALU_DEP_1) | instskip(NEXT) | instid1(VALU_DEP_1)
	v_fmac_f32_e32 v86, v89, v91
	v_sub_f32_e32 v86, v87, v86
	scratch_store_b32 off, v86, off offset:156
	v_cmpx_lt_u32_e32 38, v0
	s_cbranch_execz .LBB41_183
; %bb.182:
	scratch_load_b32 v86, off, off offset:152
	v_mov_b32_e32 v87, 0
	scratch_store_b32 off, v87, off offset:152
	s_waitcnt vmcnt(0)
	ds_store_b32 v85, v86
.LBB41_183:
	s_or_b32 exec_lo, exec_lo, s0
	s_waitcnt lgkmcnt(0)
	s_waitcnt_vscnt null, 0x0
	s_barrier
	buffer_gl0_inv
	scratch_load_b128 v[87:90], off, off offset:152
	v_mov_b32_e32 v86, 0
	ds_load_2addr_b32 v[91:92], v86 offset0:83 offset1:84
	ds_load_b32 v93, v86 offset:340
	s_mov_b32 s0, exec_lo
	s_waitcnt vmcnt(0) lgkmcnt(1)
	v_fma_f32 v88, v88, v91, 0
	s_delay_alu instid0(VALU_DEP_1) | instskip(SKIP_1) | instid1(VALU_DEP_1)
	v_fmac_f32_e32 v88, v89, v92
	s_waitcnt lgkmcnt(0)
	v_fmac_f32_e32 v88, v90, v93
	s_delay_alu instid0(VALU_DEP_1)
	v_sub_f32_e32 v87, v87, v88
	scratch_store_b32 off, v87, off offset:152
	v_cmpx_lt_u32_e32 37, v0
	s_cbranch_execz .LBB41_185
; %bb.184:
	scratch_load_b32 v87, off, off offset:148
	scratch_store_b32 off, v86, off offset:148
	s_waitcnt vmcnt(0)
	ds_store_b32 v85, v87
.LBB41_185:
	s_or_b32 exec_lo, exec_lo, s0
	s_waitcnt lgkmcnt(0)
	s_waitcnt_vscnt null, 0x0
	s_barrier
	buffer_gl0_inv
	s_clause 0x1
	scratch_load_b128 v[87:90], off, off offset:148
	scratch_load_b32 v95, off, off offset:164
	ds_load_2addr_b64 v[91:94], v86 offset0:41 offset1:42
	s_mov_b32 s0, exec_lo
	s_waitcnt vmcnt(1) lgkmcnt(0)
	v_fma_f32 v86, v88, v91, 0
	s_delay_alu instid0(VALU_DEP_1) | instskip(NEXT) | instid1(VALU_DEP_1)
	v_fmac_f32_e32 v86, v89, v92
	v_fmac_f32_e32 v86, v90, v93
	s_waitcnt vmcnt(0)
	s_delay_alu instid0(VALU_DEP_1) | instskip(NEXT) | instid1(VALU_DEP_1)
	v_fmac_f32_e32 v86, v95, v94
	v_sub_f32_e32 v86, v87, v86
	scratch_store_b32 off, v86, off offset:148
	v_cmpx_lt_u32_e32 36, v0
	s_cbranch_execz .LBB41_187
; %bb.186:
	scratch_load_b32 v86, off, off offset:144
	v_mov_b32_e32 v87, 0
	scratch_store_b32 off, v87, off offset:144
	s_waitcnt vmcnt(0)
	ds_store_b32 v85, v86
.LBB41_187:
	s_or_b32 exec_lo, exec_lo, s0
	s_waitcnt lgkmcnt(0)
	s_waitcnt_vscnt null, 0x0
	s_barrier
	buffer_gl0_inv
	s_clause 0x1
	scratch_load_b128 v[87:90], off, off offset:144
	scratch_load_b64 v[91:92], off, off offset:160
	v_mov_b32_e32 v86, 0
	ds_load_2addr_b32 v[93:94], v86 offset0:81 offset1:82
	ds_load_2addr_b32 v[95:96], v86 offset0:83 offset1:84
	ds_load_b32 v97, v86 offset:340
	s_mov_b32 s0, exec_lo
	s_waitcnt vmcnt(1) lgkmcnt(2)
	v_fma_f32 v88, v88, v93, 0
	s_delay_alu instid0(VALU_DEP_1) | instskip(SKIP_1) | instid1(VALU_DEP_1)
	v_fmac_f32_e32 v88, v89, v94
	s_waitcnt lgkmcnt(1)
	v_fmac_f32_e32 v88, v90, v95
	s_waitcnt vmcnt(0)
	s_delay_alu instid0(VALU_DEP_1) | instskip(SKIP_1) | instid1(VALU_DEP_1)
	v_fmac_f32_e32 v88, v91, v96
	s_waitcnt lgkmcnt(0)
	v_fmac_f32_e32 v88, v92, v97
	s_delay_alu instid0(VALU_DEP_1)
	v_sub_f32_e32 v87, v87, v88
	scratch_store_b32 off, v87, off offset:144
	v_cmpx_lt_u32_e32 35, v0
	s_cbranch_execz .LBB41_189
; %bb.188:
	scratch_load_b32 v87, off, off offset:140
	scratch_store_b32 off, v86, off offset:140
	s_waitcnt vmcnt(0)
	ds_store_b32 v85, v87
.LBB41_189:
	s_or_b32 exec_lo, exec_lo, s0
	s_waitcnt lgkmcnt(0)
	s_waitcnt_vscnt null, 0x0
	s_barrier
	buffer_gl0_inv
	s_clause 0x1
	scratch_load_b128 v[87:90], off, off offset:140
	scratch_load_b96 v[95:97], off, off offset:156
	ds_load_b128 v[91:94], v86 offset:320
	ds_load_b64 v[98:99], v86 offset:336
	s_mov_b32 s0, exec_lo
	s_waitcnt vmcnt(1) lgkmcnt(1)
	v_fma_f32 v86, v88, v91, 0
	s_delay_alu instid0(VALU_DEP_1) | instskip(NEXT) | instid1(VALU_DEP_1)
	v_fmac_f32_e32 v86, v89, v92
	v_fmac_f32_e32 v86, v90, v93
	s_waitcnt vmcnt(0)
	s_delay_alu instid0(VALU_DEP_1) | instskip(SKIP_1) | instid1(VALU_DEP_1)
	v_fmac_f32_e32 v86, v95, v94
	s_waitcnt lgkmcnt(0)
	v_fmac_f32_e32 v86, v96, v98
	s_delay_alu instid0(VALU_DEP_1) | instskip(NEXT) | instid1(VALU_DEP_1)
	v_fmac_f32_e32 v86, v97, v99
	v_sub_f32_e32 v86, v87, v86
	scratch_store_b32 off, v86, off offset:140
	v_cmpx_lt_u32_e32 34, v0
	s_cbranch_execz .LBB41_191
; %bb.190:
	scratch_load_b32 v86, off, off offset:136
	v_mov_b32_e32 v87, 0
	scratch_store_b32 off, v87, off offset:136
	s_waitcnt vmcnt(0)
	ds_store_b32 v85, v86
.LBB41_191:
	s_or_b32 exec_lo, exec_lo, s0
	s_waitcnt lgkmcnt(0)
	s_waitcnt_vscnt null, 0x0
	s_barrier
	buffer_gl0_inv
	s_clause 0x1
	scratch_load_b128 v[87:90], off, off offset:136
	scratch_load_b128 v[91:94], off, off offset:152
	v_mov_b32_e32 v86, 0
	ds_load_2addr_b32 v[95:96], v86 offset0:79 offset1:80
	ds_load_2addr_b32 v[97:98], v86 offset0:81 offset1:82
	ds_load_2addr_b32 v[99:100], v86 offset0:83 offset1:84
	ds_load_b32 v101, v86 offset:340
	s_mov_b32 s0, exec_lo
	s_waitcnt vmcnt(1) lgkmcnt(3)
	v_fma_f32 v88, v88, v95, 0
	s_delay_alu instid0(VALU_DEP_1) | instskip(SKIP_1) | instid1(VALU_DEP_1)
	v_fmac_f32_e32 v88, v89, v96
	s_waitcnt lgkmcnt(2)
	v_fmac_f32_e32 v88, v90, v97
	s_waitcnt vmcnt(0)
	s_delay_alu instid0(VALU_DEP_1) | instskip(SKIP_1) | instid1(VALU_DEP_1)
	v_fmac_f32_e32 v88, v91, v98
	s_waitcnt lgkmcnt(1)
	v_fmac_f32_e32 v88, v92, v99
	s_delay_alu instid0(VALU_DEP_1) | instskip(SKIP_1) | instid1(VALU_DEP_1)
	v_fmac_f32_e32 v88, v93, v100
	s_waitcnt lgkmcnt(0)
	v_fmac_f32_e32 v88, v94, v101
	s_delay_alu instid0(VALU_DEP_1)
	v_sub_f32_e32 v87, v87, v88
	scratch_store_b32 off, v87, off offset:136
	v_cmpx_lt_u32_e32 33, v0
	s_cbranch_execz .LBB41_193
; %bb.192:
	scratch_load_b32 v87, off, off offset:132
	scratch_store_b32 off, v86, off offset:132
	s_waitcnt vmcnt(0)
	ds_store_b32 v85, v87
.LBB41_193:
	s_or_b32 exec_lo, exec_lo, s0
	s_waitcnt lgkmcnt(0)
	s_waitcnt_vscnt null, 0x0
	s_barrier
	buffer_gl0_inv
	s_clause 0x2
	scratch_load_b128 v[87:90], off, off offset:132
	scratch_load_b128 v[91:94], off, off offset:148
	scratch_load_b32 v103, off, off offset:164
	ds_load_2addr_b64 v[95:98], v86 offset0:39 offset1:40
	ds_load_2addr_b64 v[99:102], v86 offset0:41 offset1:42
	s_mov_b32 s0, exec_lo
	s_waitcnt vmcnt(2) lgkmcnt(1)
	v_fma_f32 v86, v88, v95, 0
	s_delay_alu instid0(VALU_DEP_1) | instskip(NEXT) | instid1(VALU_DEP_1)
	v_fmac_f32_e32 v86, v89, v96
	v_fmac_f32_e32 v86, v90, v97
	s_waitcnt vmcnt(1)
	s_delay_alu instid0(VALU_DEP_1) | instskip(SKIP_1) | instid1(VALU_DEP_1)
	v_fmac_f32_e32 v86, v91, v98
	s_waitcnt lgkmcnt(0)
	v_fmac_f32_e32 v86, v92, v99
	s_delay_alu instid0(VALU_DEP_1) | instskip(NEXT) | instid1(VALU_DEP_1)
	v_fmac_f32_e32 v86, v93, v100
	v_fmac_f32_e32 v86, v94, v101
	s_waitcnt vmcnt(0)
	s_delay_alu instid0(VALU_DEP_1) | instskip(NEXT) | instid1(VALU_DEP_1)
	v_fmac_f32_e32 v86, v103, v102
	v_sub_f32_e32 v86, v87, v86
	scratch_store_b32 off, v86, off offset:132
	v_cmpx_lt_u32_e32 32, v0
	s_cbranch_execz .LBB41_195
; %bb.194:
	scratch_load_b32 v86, off, off offset:128
	v_mov_b32_e32 v87, 0
	scratch_store_b32 off, v87, off offset:128
	s_waitcnt vmcnt(0)
	ds_store_b32 v85, v86
.LBB41_195:
	s_or_b32 exec_lo, exec_lo, s0
	s_waitcnt lgkmcnt(0)
	s_waitcnt_vscnt null, 0x0
	s_barrier
	buffer_gl0_inv
	s_clause 0x2
	scratch_load_b128 v[87:90], off, off offset:128
	scratch_load_b128 v[91:94], off, off offset:144
	scratch_load_b64 v[95:96], off, off offset:160
	v_mov_b32_e32 v86, 0
	ds_load_2addr_b32 v[97:98], v86 offset0:77 offset1:78
	ds_load_2addr_b32 v[99:100], v86 offset0:79 offset1:80
	;; [unrolled: 1-line block ×4, first 2 shown]
	s_mov_b32 s0, exec_lo
	s_waitcnt vmcnt(2) lgkmcnt(3)
	v_fma_f32 v88, v88, v97, 0
	s_delay_alu instid0(VALU_DEP_1) | instskip(SKIP_4) | instid1(VALU_DEP_1)
	v_fmac_f32_e32 v88, v89, v98
	ds_load_b32 v89, v86 offset:340
	s_waitcnt lgkmcnt(3)
	v_fmac_f32_e32 v88, v90, v99
	s_waitcnt vmcnt(1)
	v_fmac_f32_e32 v88, v91, v100
	s_waitcnt lgkmcnt(2)
	s_delay_alu instid0(VALU_DEP_1) | instskip(NEXT) | instid1(VALU_DEP_1)
	v_fmac_f32_e32 v88, v92, v101
	v_fmac_f32_e32 v88, v93, v102
	s_waitcnt lgkmcnt(1)
	s_delay_alu instid0(VALU_DEP_1) | instskip(SKIP_1) | instid1(VALU_DEP_1)
	v_fmac_f32_e32 v88, v94, v103
	s_waitcnt vmcnt(0)
	v_fmac_f32_e32 v88, v95, v104
	s_waitcnt lgkmcnt(0)
	s_delay_alu instid0(VALU_DEP_1) | instskip(NEXT) | instid1(VALU_DEP_1)
	v_fmac_f32_e32 v88, v96, v89
	v_sub_f32_e32 v87, v87, v88
	scratch_store_b32 off, v87, off offset:128
	v_cmpx_lt_u32_e32 31, v0
	s_cbranch_execz .LBB41_197
; %bb.196:
	scratch_load_b32 v87, off, off offset:124
	scratch_store_b32 off, v86, off offset:124
	s_waitcnt vmcnt(0)
	ds_store_b32 v85, v87
.LBB41_197:
	s_or_b32 exec_lo, exec_lo, s0
	s_waitcnt lgkmcnt(0)
	s_waitcnt_vscnt null, 0x0
	s_barrier
	buffer_gl0_inv
	s_clause 0x2
	scratch_load_b128 v[87:90], off, off offset:124
	scratch_load_b128 v[91:94], off, off offset:140
	scratch_load_b96 v[103:105], off, off offset:156
	ds_load_b128 v[95:98], v86 offset:304
	ds_load_b128 v[99:102], v86 offset:320
	s_mov_b32 s0, exec_lo
	s_waitcnt vmcnt(2) lgkmcnt(1)
	v_fma_f32 v95, v88, v95, 0
	s_delay_alu instid0(VALU_DEP_1) | instskip(SKIP_3) | instid1(VALU_DEP_1)
	v_fmac_f32_e32 v95, v89, v96
	ds_load_b64 v[88:89], v86 offset:336
	v_fmac_f32_e32 v95, v90, v97
	s_waitcnt vmcnt(1)
	v_fmac_f32_e32 v95, v91, v98
	s_waitcnt lgkmcnt(1)
	s_delay_alu instid0(VALU_DEP_1) | instskip(NEXT) | instid1(VALU_DEP_1)
	v_fmac_f32_e32 v95, v92, v99
	v_fmac_f32_e32 v95, v93, v100
	s_delay_alu instid0(VALU_DEP_1) | instskip(SKIP_1) | instid1(VALU_DEP_1)
	v_fmac_f32_e32 v95, v94, v101
	s_waitcnt vmcnt(0)
	v_fmac_f32_e32 v95, v103, v102
	s_waitcnt lgkmcnt(0)
	s_delay_alu instid0(VALU_DEP_1) | instskip(NEXT) | instid1(VALU_DEP_1)
	v_fmac_f32_e32 v95, v104, v88
	v_fmac_f32_e32 v95, v105, v89
	s_delay_alu instid0(VALU_DEP_1)
	v_sub_f32_e32 v86, v87, v95
	scratch_store_b32 off, v86, off offset:124
	v_cmpx_lt_u32_e32 30, v0
	s_cbranch_execz .LBB41_199
; %bb.198:
	scratch_load_b32 v86, off, off offset:120
	v_mov_b32_e32 v87, 0
	scratch_store_b32 off, v87, off offset:120
	s_waitcnt vmcnt(0)
	ds_store_b32 v85, v86
.LBB41_199:
	s_or_b32 exec_lo, exec_lo, s0
	s_waitcnt lgkmcnt(0)
	s_waitcnt_vscnt null, 0x0
	s_barrier
	buffer_gl0_inv
	s_clause 0x2
	scratch_load_b128 v[87:90], off, off offset:120
	scratch_load_b128 v[91:94], off, off offset:136
	;; [unrolled: 1-line block ×3, first 2 shown]
	v_mov_b32_e32 v86, 0
	ds_load_2addr_b32 v[99:100], v86 offset0:75 offset1:76
	ds_load_2addr_b32 v[101:102], v86 offset0:77 offset1:78
	;; [unrolled: 1-line block ×4, first 2 shown]
	s_mov_b32 s0, exec_lo
	s_waitcnt vmcnt(2) lgkmcnt(3)
	v_fma_f32 v99, v88, v99, 0
	s_delay_alu instid0(VALU_DEP_1)
	v_fmac_f32_e32 v99, v89, v100
	ds_load_2addr_b32 v[88:89], v86 offset0:83 offset1:84
	s_waitcnt lgkmcnt(3)
	v_fmac_f32_e32 v99, v90, v101
	ds_load_b32 v90, v86 offset:340
	s_waitcnt vmcnt(1)
	v_fmac_f32_e32 v99, v91, v102
	s_waitcnt lgkmcnt(3)
	s_delay_alu instid0(VALU_DEP_1) | instskip(NEXT) | instid1(VALU_DEP_1)
	v_fmac_f32_e32 v99, v92, v103
	v_fmac_f32_e32 v99, v93, v104
	s_waitcnt lgkmcnt(2)
	s_delay_alu instid0(VALU_DEP_1) | instskip(SKIP_1) | instid1(VALU_DEP_1)
	v_fmac_f32_e32 v99, v94, v105
	s_waitcnt vmcnt(0)
	v_fmac_f32_e32 v99, v95, v106
	s_waitcnt lgkmcnt(1)
	s_delay_alu instid0(VALU_DEP_1) | instskip(NEXT) | instid1(VALU_DEP_1)
	v_fmac_f32_e32 v99, v96, v88
	v_fmac_f32_e32 v99, v97, v89
	s_waitcnt lgkmcnt(0)
	s_delay_alu instid0(VALU_DEP_1) | instskip(NEXT) | instid1(VALU_DEP_1)
	v_fmac_f32_e32 v99, v98, v90
	v_sub_f32_e32 v87, v87, v99
	scratch_store_b32 off, v87, off offset:120
	v_cmpx_lt_u32_e32 29, v0
	s_cbranch_execz .LBB41_201
; %bb.200:
	scratch_load_b32 v87, off, off offset:116
	scratch_store_b32 off, v86, off offset:116
	s_waitcnt vmcnt(0)
	ds_store_b32 v85, v87
.LBB41_201:
	s_or_b32 exec_lo, exec_lo, s0
	s_waitcnt lgkmcnt(0)
	s_waitcnt_vscnt null, 0x0
	s_barrier
	buffer_gl0_inv
	s_clause 0x3
	scratch_load_b128 v[87:90], off, off offset:116
	scratch_load_b128 v[91:94], off, off offset:132
	scratch_load_b128 v[95:98], off, off offset:148
	scratch_load_b32 v107, off, off offset:164
	ds_load_2addr_b64 v[99:102], v86 offset0:37 offset1:38
	ds_load_2addr_b64 v[103:106], v86 offset0:39 offset1:40
	s_mov_b32 s0, exec_lo
	s_waitcnt vmcnt(3) lgkmcnt(1)
	v_fma_f32 v99, v88, v99, 0
	s_delay_alu instid0(VALU_DEP_1) | instskip(NEXT) | instid1(VALU_DEP_1)
	v_fmac_f32_e32 v99, v89, v100
	v_fmac_f32_e32 v99, v90, v101
	s_waitcnt vmcnt(2)
	s_delay_alu instid0(VALU_DEP_1) | instskip(SKIP_3) | instid1(VALU_DEP_1)
	v_fmac_f32_e32 v99, v91, v102
	ds_load_2addr_b64 v[88:91], v86 offset0:41 offset1:42
	s_waitcnt lgkmcnt(1)
	v_fmac_f32_e32 v99, v92, v103
	v_fmac_f32_e32 v99, v93, v104
	s_delay_alu instid0(VALU_DEP_1) | instskip(SKIP_1) | instid1(VALU_DEP_1)
	v_fmac_f32_e32 v99, v94, v105
	s_waitcnt vmcnt(1)
	v_fmac_f32_e32 v99, v95, v106
	s_waitcnt lgkmcnt(0)
	s_delay_alu instid0(VALU_DEP_1) | instskip(NEXT) | instid1(VALU_DEP_1)
	v_fmac_f32_e32 v99, v96, v88
	v_fmac_f32_e32 v99, v97, v89
	s_delay_alu instid0(VALU_DEP_1) | instskip(SKIP_1) | instid1(VALU_DEP_1)
	v_fmac_f32_e32 v99, v98, v90
	s_waitcnt vmcnt(0)
	v_fmac_f32_e32 v99, v107, v91
	s_delay_alu instid0(VALU_DEP_1)
	v_sub_f32_e32 v86, v87, v99
	scratch_store_b32 off, v86, off offset:116
	v_cmpx_lt_u32_e32 28, v0
	s_cbranch_execz .LBB41_203
; %bb.202:
	scratch_load_b32 v86, off, off offset:112
	v_mov_b32_e32 v87, 0
	scratch_store_b32 off, v87, off offset:112
	s_waitcnt vmcnt(0)
	ds_store_b32 v85, v86
.LBB41_203:
	s_or_b32 exec_lo, exec_lo, s0
	s_waitcnt lgkmcnt(0)
	s_waitcnt_vscnt null, 0x0
	s_barrier
	buffer_gl0_inv
	s_clause 0x3
	scratch_load_b128 v[87:90], off, off offset:112
	scratch_load_b128 v[91:94], off, off offset:128
	;; [unrolled: 1-line block ×3, first 2 shown]
	scratch_load_b64 v[99:100], off, off offset:160
	v_mov_b32_e32 v86, 0
	ds_load_2addr_b32 v[101:102], v86 offset0:73 offset1:74
	ds_load_2addr_b32 v[103:104], v86 offset0:75 offset1:76
	;; [unrolled: 1-line block ×4, first 2 shown]
	s_mov_b32 s0, exec_lo
	s_waitcnt vmcnt(3) lgkmcnt(3)
	v_fma_f32 v101, v88, v101, 0
	s_delay_alu instid0(VALU_DEP_1) | instskip(SKIP_4) | instid1(VALU_DEP_1)
	v_fmac_f32_e32 v101, v89, v102
	ds_load_2addr_b32 v[88:89], v86 offset0:81 offset1:82
	s_waitcnt lgkmcnt(3)
	v_fmac_f32_e32 v101, v90, v103
	s_waitcnt vmcnt(2)
	v_fmac_f32_e32 v101, v91, v104
	ds_load_2addr_b32 v[90:91], v86 offset0:83 offset1:84
	s_waitcnt lgkmcnt(3)
	v_fmac_f32_e32 v101, v92, v105
	ds_load_b32 v92, v86 offset:340
	v_fmac_f32_e32 v101, v93, v106
	s_waitcnt lgkmcnt(3)
	s_delay_alu instid0(VALU_DEP_1) | instskip(SKIP_1) | instid1(VALU_DEP_1)
	v_fmac_f32_e32 v101, v94, v107
	s_waitcnt vmcnt(1)
	v_fmac_f32_e32 v101, v95, v108
	s_waitcnt lgkmcnt(2)
	s_delay_alu instid0(VALU_DEP_1) | instskip(NEXT) | instid1(VALU_DEP_1)
	v_fmac_f32_e32 v101, v96, v88
	v_fmac_f32_e32 v101, v97, v89
	s_waitcnt lgkmcnt(1)
	s_delay_alu instid0(VALU_DEP_1) | instskip(SKIP_1) | instid1(VALU_DEP_1)
	v_fmac_f32_e32 v101, v98, v90
	s_waitcnt vmcnt(0)
	v_fmac_f32_e32 v101, v99, v91
	s_waitcnt lgkmcnt(0)
	s_delay_alu instid0(VALU_DEP_1) | instskip(NEXT) | instid1(VALU_DEP_1)
	v_fmac_f32_e32 v101, v100, v92
	v_sub_f32_e32 v87, v87, v101
	scratch_store_b32 off, v87, off offset:112
	v_cmpx_lt_u32_e32 27, v0
	s_cbranch_execz .LBB41_205
; %bb.204:
	scratch_load_b32 v87, off, off offset:108
	scratch_store_b32 off, v86, off offset:108
	s_waitcnt vmcnt(0)
	ds_store_b32 v85, v87
.LBB41_205:
	s_or_b32 exec_lo, exec_lo, s0
	s_waitcnt lgkmcnt(0)
	s_waitcnt_vscnt null, 0x0
	s_barrier
	buffer_gl0_inv
	s_clause 0x3
	scratch_load_b128 v[87:90], off, off offset:108
	scratch_load_b128 v[91:94], off, off offset:124
	;; [unrolled: 1-line block ×3, first 2 shown]
	scratch_load_b96 v[107:109], off, off offset:156
	ds_load_b128 v[99:102], v86 offset:288
	ds_load_b128 v[103:106], v86 offset:304
	s_mov_b32 s0, exec_lo
	s_waitcnt vmcnt(3) lgkmcnt(1)
	v_fma_f32 v99, v88, v99, 0
	s_delay_alu instid0(VALU_DEP_1) | instskip(NEXT) | instid1(VALU_DEP_1)
	v_fmac_f32_e32 v99, v89, v100
	v_fmac_f32_e32 v99, v90, v101
	s_waitcnt vmcnt(2)
	s_delay_alu instid0(VALU_DEP_1) | instskip(SKIP_3) | instid1(VALU_DEP_1)
	v_fmac_f32_e32 v99, v91, v102
	ds_load_b128 v[88:91], v86 offset:320
	s_waitcnt lgkmcnt(1)
	v_fmac_f32_e32 v99, v92, v103
	v_fmac_f32_e32 v99, v93, v104
	ds_load_b64 v[92:93], v86 offset:336
	v_fmac_f32_e32 v99, v94, v105
	s_waitcnt vmcnt(1)
	s_delay_alu instid0(VALU_DEP_1) | instskip(SKIP_1) | instid1(VALU_DEP_1)
	v_fmac_f32_e32 v99, v95, v106
	s_waitcnt lgkmcnt(1)
	v_fmac_f32_e32 v99, v96, v88
	s_delay_alu instid0(VALU_DEP_1) | instskip(NEXT) | instid1(VALU_DEP_1)
	v_fmac_f32_e32 v99, v97, v89
	v_fmac_f32_e32 v99, v98, v90
	s_waitcnt vmcnt(0)
	s_delay_alu instid0(VALU_DEP_1) | instskip(SKIP_1) | instid1(VALU_DEP_1)
	v_fmac_f32_e32 v99, v107, v91
	s_waitcnt lgkmcnt(0)
	v_fmac_f32_e32 v99, v108, v92
	s_delay_alu instid0(VALU_DEP_1) | instskip(NEXT) | instid1(VALU_DEP_1)
	v_fmac_f32_e32 v99, v109, v93
	v_sub_f32_e32 v86, v87, v99
	scratch_store_b32 off, v86, off offset:108
	v_cmpx_lt_u32_e32 26, v0
	s_cbranch_execz .LBB41_207
; %bb.206:
	scratch_load_b32 v86, off, off offset:104
	v_mov_b32_e32 v87, 0
	scratch_store_b32 off, v87, off offset:104
	s_waitcnt vmcnt(0)
	ds_store_b32 v85, v86
.LBB41_207:
	s_or_b32 exec_lo, exec_lo, s0
	s_waitcnt lgkmcnt(0)
	s_waitcnt_vscnt null, 0x0
	s_barrier
	buffer_gl0_inv
	s_clause 0x3
	scratch_load_b128 v[87:90], off, off offset:104
	scratch_load_b128 v[91:94], off, off offset:120
	;; [unrolled: 1-line block ×4, first 2 shown]
	v_mov_b32_e32 v86, 0
	ds_load_2addr_b32 v[103:104], v86 offset0:71 offset1:72
	ds_load_2addr_b32 v[105:106], v86 offset0:73 offset1:74
	;; [unrolled: 1-line block ×4, first 2 shown]
	s_mov_b32 s0, exec_lo
	s_waitcnt vmcnt(3) lgkmcnt(3)
	v_fma_f32 v103, v88, v103, 0
	s_delay_alu instid0(VALU_DEP_1) | instskip(SKIP_4) | instid1(VALU_DEP_1)
	v_fmac_f32_e32 v103, v89, v104
	ds_load_2addr_b32 v[88:89], v86 offset0:79 offset1:80
	s_waitcnt lgkmcnt(3)
	v_fmac_f32_e32 v103, v90, v105
	s_waitcnt vmcnt(2)
	v_fmac_f32_e32 v103, v91, v106
	ds_load_2addr_b32 v[90:91], v86 offset0:81 offset1:82
	s_waitcnt lgkmcnt(3)
	v_fmac_f32_e32 v103, v92, v107
	s_delay_alu instid0(VALU_DEP_1) | instskip(SKIP_1) | instid1(VALU_DEP_1)
	v_fmac_f32_e32 v103, v93, v108
	s_waitcnt lgkmcnt(2)
	v_fmac_f32_e32 v103, v94, v109
	ds_load_2addr_b32 v[92:93], v86 offset0:83 offset1:84
	ds_load_b32 v94, v86 offset:340
	s_waitcnt vmcnt(1)
	v_fmac_f32_e32 v103, v95, v110
	s_waitcnt lgkmcnt(3)
	s_delay_alu instid0(VALU_DEP_1) | instskip(NEXT) | instid1(VALU_DEP_1)
	v_fmac_f32_e32 v103, v96, v88
	v_fmac_f32_e32 v103, v97, v89
	s_waitcnt lgkmcnt(2)
	s_delay_alu instid0(VALU_DEP_1) | instskip(SKIP_1) | instid1(VALU_DEP_1)
	v_fmac_f32_e32 v103, v98, v90
	s_waitcnt vmcnt(0)
	v_fmac_f32_e32 v103, v99, v91
	s_waitcnt lgkmcnt(1)
	s_delay_alu instid0(VALU_DEP_1) | instskip(NEXT) | instid1(VALU_DEP_1)
	v_fmac_f32_e32 v103, v100, v92
	v_fmac_f32_e32 v103, v101, v93
	s_waitcnt lgkmcnt(0)
	s_delay_alu instid0(VALU_DEP_1) | instskip(NEXT) | instid1(VALU_DEP_1)
	v_fmac_f32_e32 v103, v102, v94
	v_sub_f32_e32 v87, v87, v103
	scratch_store_b32 off, v87, off offset:104
	v_cmpx_lt_u32_e32 25, v0
	s_cbranch_execz .LBB41_209
; %bb.208:
	scratch_load_b32 v87, off, off offset:100
	scratch_store_b32 off, v86, off offset:100
	s_waitcnt vmcnt(0)
	ds_store_b32 v85, v87
.LBB41_209:
	s_or_b32 exec_lo, exec_lo, s0
	s_waitcnt lgkmcnt(0)
	s_waitcnt_vscnt null, 0x0
	s_barrier
	buffer_gl0_inv
	s_clause 0x4
	scratch_load_b128 v[87:90], off, off offset:100
	scratch_load_b128 v[91:94], off, off offset:116
	;; [unrolled: 1-line block ×4, first 2 shown]
	scratch_load_b32 v111, off, off offset:164
	ds_load_2addr_b64 v[103:106], v86 offset0:35 offset1:36
	ds_load_2addr_b64 v[107:110], v86 offset0:37 offset1:38
	s_mov_b32 s0, exec_lo
	s_waitcnt vmcnt(4) lgkmcnt(1)
	v_fma_f32 v103, v88, v103, 0
	s_delay_alu instid0(VALU_DEP_1) | instskip(NEXT) | instid1(VALU_DEP_1)
	v_fmac_f32_e32 v103, v89, v104
	v_fmac_f32_e32 v103, v90, v105
	s_waitcnt vmcnt(3)
	s_delay_alu instid0(VALU_DEP_1) | instskip(SKIP_3) | instid1(VALU_DEP_1)
	v_fmac_f32_e32 v103, v91, v106
	ds_load_2addr_b64 v[88:91], v86 offset0:39 offset1:40
	s_waitcnt lgkmcnt(1)
	v_fmac_f32_e32 v103, v92, v107
	v_fmac_f32_e32 v103, v93, v108
	s_delay_alu instid0(VALU_DEP_1) | instskip(SKIP_1) | instid1(VALU_DEP_1)
	v_fmac_f32_e32 v103, v94, v109
	s_waitcnt vmcnt(2)
	v_fmac_f32_e32 v103, v95, v110
	ds_load_2addr_b64 v[92:95], v86 offset0:41 offset1:42
	s_waitcnt lgkmcnt(1)
	v_fmac_f32_e32 v103, v96, v88
	s_delay_alu instid0(VALU_DEP_1) | instskip(NEXT) | instid1(VALU_DEP_1)
	v_fmac_f32_e32 v103, v97, v89
	v_fmac_f32_e32 v103, v98, v90
	s_waitcnt vmcnt(1)
	s_delay_alu instid0(VALU_DEP_1) | instskip(SKIP_1) | instid1(VALU_DEP_1)
	v_fmac_f32_e32 v103, v99, v91
	s_waitcnt lgkmcnt(0)
	v_fmac_f32_e32 v103, v100, v92
	s_delay_alu instid0(VALU_DEP_1) | instskip(NEXT) | instid1(VALU_DEP_1)
	v_fmac_f32_e32 v103, v101, v93
	v_fmac_f32_e32 v103, v102, v94
	s_waitcnt vmcnt(0)
	s_delay_alu instid0(VALU_DEP_1) | instskip(NEXT) | instid1(VALU_DEP_1)
	v_fmac_f32_e32 v103, v111, v95
	v_sub_f32_e32 v86, v87, v103
	scratch_store_b32 off, v86, off offset:100
	v_cmpx_lt_u32_e32 24, v0
	s_cbranch_execz .LBB41_211
; %bb.210:
	scratch_load_b32 v86, off, off offset:96
	v_mov_b32_e32 v87, 0
	scratch_store_b32 off, v87, off offset:96
	s_waitcnt vmcnt(0)
	ds_store_b32 v85, v86
.LBB41_211:
	s_or_b32 exec_lo, exec_lo, s0
	s_waitcnt lgkmcnt(0)
	s_waitcnt_vscnt null, 0x0
	s_barrier
	buffer_gl0_inv
	s_clause 0x4
	scratch_load_b128 v[87:90], off, off offset:96
	scratch_load_b128 v[91:94], off, off offset:112
	;; [unrolled: 1-line block ×4, first 2 shown]
	scratch_load_b64 v[103:104], off, off offset:160
	v_mov_b32_e32 v86, 0
	ds_load_2addr_b32 v[105:106], v86 offset0:69 offset1:70
	ds_load_2addr_b32 v[107:108], v86 offset0:71 offset1:72
	;; [unrolled: 1-line block ×4, first 2 shown]
	s_mov_b32 s0, exec_lo
	s_waitcnt vmcnt(4) lgkmcnt(3)
	v_fma_f32 v105, v88, v105, 0
	s_delay_alu instid0(VALU_DEP_1) | instskip(SKIP_4) | instid1(VALU_DEP_1)
	v_fmac_f32_e32 v105, v89, v106
	ds_load_2addr_b32 v[88:89], v86 offset0:77 offset1:78
	s_waitcnt lgkmcnt(3)
	v_fmac_f32_e32 v105, v90, v107
	s_waitcnt vmcnt(3)
	v_fmac_f32_e32 v105, v91, v108
	ds_load_2addr_b32 v[90:91], v86 offset0:79 offset1:80
	s_waitcnt lgkmcnt(3)
	v_fmac_f32_e32 v105, v92, v109
	s_delay_alu instid0(VALU_DEP_1) | instskip(SKIP_1) | instid1(VALU_DEP_1)
	v_fmac_f32_e32 v105, v93, v110
	s_waitcnt lgkmcnt(2)
	v_fmac_f32_e32 v105, v94, v111
	s_waitcnt vmcnt(2)
	s_delay_alu instid0(VALU_DEP_1)
	v_fmac_f32_e32 v105, v95, v112
	ds_load_2addr_b32 v[92:93], v86 offset0:81 offset1:82
	ds_load_2addr_b32 v[94:95], v86 offset0:83 offset1:84
	s_waitcnt lgkmcnt(3)
	v_fmac_f32_e32 v105, v96, v88
	ds_load_b32 v88, v86 offset:340
	v_fmac_f32_e32 v105, v97, v89
	s_waitcnt lgkmcnt(3)
	s_delay_alu instid0(VALU_DEP_1) | instskip(SKIP_1) | instid1(VALU_DEP_1)
	v_fmac_f32_e32 v105, v98, v90
	s_waitcnt vmcnt(1)
	v_fmac_f32_e32 v105, v99, v91
	s_waitcnt lgkmcnt(2)
	s_delay_alu instid0(VALU_DEP_1) | instskip(NEXT) | instid1(VALU_DEP_1)
	v_fmac_f32_e32 v105, v100, v92
	v_fmac_f32_e32 v105, v101, v93
	s_waitcnt lgkmcnt(1)
	s_delay_alu instid0(VALU_DEP_1) | instskip(SKIP_1) | instid1(VALU_DEP_1)
	v_fmac_f32_e32 v105, v102, v94
	s_waitcnt vmcnt(0)
	v_fmac_f32_e32 v105, v103, v95
	s_waitcnt lgkmcnt(0)
	s_delay_alu instid0(VALU_DEP_1) | instskip(NEXT) | instid1(VALU_DEP_1)
	v_fmac_f32_e32 v105, v104, v88
	v_sub_f32_e32 v87, v87, v105
	scratch_store_b32 off, v87, off offset:96
	v_cmpx_lt_u32_e32 23, v0
	s_cbranch_execz .LBB41_213
; %bb.212:
	scratch_load_b32 v87, off, off offset:92
	scratch_store_b32 off, v86, off offset:92
	s_waitcnt vmcnt(0)
	ds_store_b32 v85, v87
.LBB41_213:
	s_or_b32 exec_lo, exec_lo, s0
	s_waitcnt lgkmcnt(0)
	s_waitcnt_vscnt null, 0x0
	s_barrier
	buffer_gl0_inv
	s_clause 0x4
	scratch_load_b128 v[87:90], off, off offset:92
	scratch_load_b128 v[91:94], off, off offset:108
	;; [unrolled: 1-line block ×4, first 2 shown]
	scratch_load_b96 v[111:113], off, off offset:156
	ds_load_b128 v[103:106], v86 offset:272
	ds_load_b128 v[107:110], v86 offset:288
	s_mov_b32 s0, exec_lo
	s_waitcnt vmcnt(4) lgkmcnt(1)
	v_fma_f32 v103, v88, v103, 0
	s_delay_alu instid0(VALU_DEP_1) | instskip(NEXT) | instid1(VALU_DEP_1)
	v_fmac_f32_e32 v103, v89, v104
	v_fmac_f32_e32 v103, v90, v105
	s_waitcnt vmcnt(3)
	s_delay_alu instid0(VALU_DEP_1) | instskip(SKIP_3) | instid1(VALU_DEP_1)
	v_fmac_f32_e32 v103, v91, v106
	ds_load_b128 v[88:91], v86 offset:304
	s_waitcnt lgkmcnt(1)
	v_fmac_f32_e32 v103, v92, v107
	v_fmac_f32_e32 v103, v93, v108
	s_delay_alu instid0(VALU_DEP_1) | instskip(SKIP_1) | instid1(VALU_DEP_1)
	v_fmac_f32_e32 v103, v94, v109
	s_waitcnt vmcnt(2)
	v_fmac_f32_e32 v103, v95, v110
	ds_load_b128 v[92:95], v86 offset:320
	s_waitcnt lgkmcnt(1)
	v_fmac_f32_e32 v103, v96, v88
	s_delay_alu instid0(VALU_DEP_1) | instskip(SKIP_3) | instid1(VALU_DEP_1)
	v_fmac_f32_e32 v103, v97, v89
	ds_load_b64 v[88:89], v86 offset:336
	v_fmac_f32_e32 v103, v98, v90
	s_waitcnt vmcnt(1)
	v_fmac_f32_e32 v103, v99, v91
	s_waitcnt lgkmcnt(1)
	s_delay_alu instid0(VALU_DEP_1) | instskip(NEXT) | instid1(VALU_DEP_1)
	v_fmac_f32_e32 v103, v100, v92
	v_fmac_f32_e32 v103, v101, v93
	s_delay_alu instid0(VALU_DEP_1) | instskip(SKIP_1) | instid1(VALU_DEP_1)
	v_fmac_f32_e32 v103, v102, v94
	s_waitcnt vmcnt(0)
	v_fmac_f32_e32 v103, v111, v95
	s_waitcnt lgkmcnt(0)
	s_delay_alu instid0(VALU_DEP_1) | instskip(NEXT) | instid1(VALU_DEP_1)
	v_fmac_f32_e32 v103, v112, v88
	v_fmac_f32_e32 v103, v113, v89
	s_delay_alu instid0(VALU_DEP_1)
	v_sub_f32_e32 v86, v87, v103
	scratch_store_b32 off, v86, off offset:92
	v_cmpx_lt_u32_e32 22, v0
	s_cbranch_execz .LBB41_215
; %bb.214:
	scratch_load_b32 v86, off, off offset:88
	v_mov_b32_e32 v87, 0
	scratch_store_b32 off, v87, off offset:88
	s_waitcnt vmcnt(0)
	ds_store_b32 v85, v86
.LBB41_215:
	s_or_b32 exec_lo, exec_lo, s0
	s_waitcnt lgkmcnt(0)
	s_waitcnt_vscnt null, 0x0
	s_barrier
	buffer_gl0_inv
	s_clause 0x4
	scratch_load_b128 v[87:90], off, off offset:88
	scratch_load_b128 v[91:94], off, off offset:104
	;; [unrolled: 1-line block ×5, first 2 shown]
	v_mov_b32_e32 v86, 0
	ds_load_2addr_b32 v[107:108], v86 offset0:67 offset1:68
	ds_load_2addr_b32 v[109:110], v86 offset0:69 offset1:70
	;; [unrolled: 1-line block ×4, first 2 shown]
	s_mov_b32 s0, exec_lo
	s_waitcnt vmcnt(4) lgkmcnt(3)
	v_fma_f32 v107, v88, v107, 0
	s_delay_alu instid0(VALU_DEP_1) | instskip(SKIP_4) | instid1(VALU_DEP_1)
	v_fmac_f32_e32 v107, v89, v108
	ds_load_2addr_b32 v[88:89], v86 offset0:75 offset1:76
	s_waitcnt lgkmcnt(3)
	v_fmac_f32_e32 v107, v90, v109
	s_waitcnt vmcnt(3)
	v_fmac_f32_e32 v107, v91, v110
	ds_load_2addr_b32 v[90:91], v86 offset0:77 offset1:78
	s_waitcnt lgkmcnt(3)
	v_fmac_f32_e32 v107, v92, v111
	s_delay_alu instid0(VALU_DEP_1) | instskip(SKIP_1) | instid1(VALU_DEP_1)
	v_fmac_f32_e32 v107, v93, v112
	s_waitcnt lgkmcnt(2)
	v_fmac_f32_e32 v107, v94, v113
	s_waitcnt vmcnt(2)
	s_delay_alu instid0(VALU_DEP_1) | instskip(SKIP_4) | instid1(VALU_DEP_1)
	v_fmac_f32_e32 v107, v95, v114
	ds_load_2addr_b32 v[92:93], v86 offset0:79 offset1:80
	ds_load_2addr_b32 v[94:95], v86 offset0:81 offset1:82
	s_waitcnt lgkmcnt(3)
	v_fmac_f32_e32 v107, v96, v88
	v_fmac_f32_e32 v107, v97, v89
	ds_load_2addr_b32 v[88:89], v86 offset0:83 offset1:84
	s_waitcnt lgkmcnt(3)
	v_fmac_f32_e32 v107, v98, v90
	ds_load_b32 v90, v86 offset:340
	s_waitcnt vmcnt(1)
	v_fmac_f32_e32 v107, v99, v91
	s_waitcnt lgkmcnt(3)
	s_delay_alu instid0(VALU_DEP_1) | instskip(NEXT) | instid1(VALU_DEP_1)
	v_fmac_f32_e32 v107, v100, v92
	v_fmac_f32_e32 v107, v101, v93
	s_waitcnt lgkmcnt(2)
	s_delay_alu instid0(VALU_DEP_1) | instskip(SKIP_1) | instid1(VALU_DEP_1)
	v_fmac_f32_e32 v107, v102, v94
	s_waitcnt vmcnt(0)
	v_fmac_f32_e32 v107, v103, v95
	s_waitcnt lgkmcnt(1)
	s_delay_alu instid0(VALU_DEP_1) | instskip(NEXT) | instid1(VALU_DEP_1)
	v_fmac_f32_e32 v107, v104, v88
	v_fmac_f32_e32 v107, v105, v89
	s_waitcnt lgkmcnt(0)
	s_delay_alu instid0(VALU_DEP_1) | instskip(NEXT) | instid1(VALU_DEP_1)
	v_fmac_f32_e32 v107, v106, v90
	v_sub_f32_e32 v87, v87, v107
	scratch_store_b32 off, v87, off offset:88
	v_cmpx_lt_u32_e32 21, v0
	s_cbranch_execz .LBB41_217
; %bb.216:
	scratch_load_b32 v87, off, off offset:84
	scratch_store_b32 off, v86, off offset:84
	s_waitcnt vmcnt(0)
	ds_store_b32 v85, v87
.LBB41_217:
	s_or_b32 exec_lo, exec_lo, s0
	s_waitcnt lgkmcnt(0)
	s_waitcnt_vscnt null, 0x0
	s_barrier
	buffer_gl0_inv
	s_clause 0x5
	scratch_load_b128 v[87:90], off, off offset:84
	scratch_load_b128 v[91:94], off, off offset:100
	;; [unrolled: 1-line block ×5, first 2 shown]
	scratch_load_b32 v115, off, off offset:164
	ds_load_2addr_b64 v[107:110], v86 offset0:33 offset1:34
	ds_load_2addr_b64 v[111:114], v86 offset0:35 offset1:36
	s_mov_b32 s0, exec_lo
	s_waitcnt vmcnt(5) lgkmcnt(1)
	v_fma_f32 v107, v88, v107, 0
	s_delay_alu instid0(VALU_DEP_1) | instskip(NEXT) | instid1(VALU_DEP_1)
	v_fmac_f32_e32 v107, v89, v108
	v_fmac_f32_e32 v107, v90, v109
	s_waitcnt vmcnt(4)
	s_delay_alu instid0(VALU_DEP_1) | instskip(SKIP_3) | instid1(VALU_DEP_1)
	v_fmac_f32_e32 v107, v91, v110
	ds_load_2addr_b64 v[88:91], v86 offset0:37 offset1:38
	s_waitcnt lgkmcnt(1)
	v_fmac_f32_e32 v107, v92, v111
	v_fmac_f32_e32 v107, v93, v112
	s_delay_alu instid0(VALU_DEP_1) | instskip(SKIP_1) | instid1(VALU_DEP_1)
	v_fmac_f32_e32 v107, v94, v113
	s_waitcnt vmcnt(3)
	v_fmac_f32_e32 v107, v95, v114
	ds_load_2addr_b64 v[92:95], v86 offset0:39 offset1:40
	s_waitcnt lgkmcnt(1)
	v_fmac_f32_e32 v107, v96, v88
	s_delay_alu instid0(VALU_DEP_1) | instskip(NEXT) | instid1(VALU_DEP_1)
	v_fmac_f32_e32 v107, v97, v89
	v_fmac_f32_e32 v107, v98, v90
	s_waitcnt vmcnt(2)
	s_delay_alu instid0(VALU_DEP_1) | instskip(SKIP_3) | instid1(VALU_DEP_1)
	v_fmac_f32_e32 v107, v99, v91
	ds_load_2addr_b64 v[88:91], v86 offset0:41 offset1:42
	s_waitcnt lgkmcnt(1)
	v_fmac_f32_e32 v107, v100, v92
	v_fmac_f32_e32 v107, v101, v93
	s_delay_alu instid0(VALU_DEP_1) | instskip(SKIP_1) | instid1(VALU_DEP_1)
	v_fmac_f32_e32 v107, v102, v94
	s_waitcnt vmcnt(1)
	v_fmac_f32_e32 v107, v103, v95
	s_waitcnt lgkmcnt(0)
	s_delay_alu instid0(VALU_DEP_1) | instskip(NEXT) | instid1(VALU_DEP_1)
	v_fmac_f32_e32 v107, v104, v88
	v_fmac_f32_e32 v107, v105, v89
	s_delay_alu instid0(VALU_DEP_1) | instskip(SKIP_1) | instid1(VALU_DEP_1)
	v_fmac_f32_e32 v107, v106, v90
	s_waitcnt vmcnt(0)
	v_fmac_f32_e32 v107, v115, v91
	s_delay_alu instid0(VALU_DEP_1)
	v_sub_f32_e32 v86, v87, v107
	scratch_store_b32 off, v86, off offset:84
	v_cmpx_lt_u32_e32 20, v0
	s_cbranch_execz .LBB41_219
; %bb.218:
	scratch_load_b32 v86, off, off offset:80
	v_mov_b32_e32 v87, 0
	scratch_store_b32 off, v87, off offset:80
	s_waitcnt vmcnt(0)
	ds_store_b32 v85, v86
.LBB41_219:
	s_or_b32 exec_lo, exec_lo, s0
	s_waitcnt lgkmcnt(0)
	s_waitcnt_vscnt null, 0x0
	s_barrier
	buffer_gl0_inv
	s_clause 0x5
	scratch_load_b128 v[87:90], off, off offset:80
	scratch_load_b128 v[91:94], off, off offset:96
	;; [unrolled: 1-line block ×5, first 2 shown]
	scratch_load_b64 v[107:108], off, off offset:160
	v_mov_b32_e32 v86, 0
	ds_load_2addr_b32 v[109:110], v86 offset0:65 offset1:66
	ds_load_2addr_b32 v[111:112], v86 offset0:67 offset1:68
	;; [unrolled: 1-line block ×4, first 2 shown]
	s_mov_b32 s0, exec_lo
	s_waitcnt vmcnt(5) lgkmcnt(3)
	v_fma_f32 v109, v88, v109, 0
	s_delay_alu instid0(VALU_DEP_1) | instskip(SKIP_4) | instid1(VALU_DEP_1)
	v_fmac_f32_e32 v109, v89, v110
	ds_load_2addr_b32 v[88:89], v86 offset0:73 offset1:74
	s_waitcnt lgkmcnt(3)
	v_fmac_f32_e32 v109, v90, v111
	s_waitcnt vmcnt(4)
	v_fmac_f32_e32 v109, v91, v112
	ds_load_2addr_b32 v[90:91], v86 offset0:75 offset1:76
	s_waitcnt lgkmcnt(3)
	v_fmac_f32_e32 v109, v92, v113
	s_delay_alu instid0(VALU_DEP_1) | instskip(SKIP_1) | instid1(VALU_DEP_1)
	v_fmac_f32_e32 v109, v93, v114
	s_waitcnt lgkmcnt(2)
	v_fmac_f32_e32 v109, v94, v115
	s_waitcnt vmcnt(3)
	s_delay_alu instid0(VALU_DEP_1) | instskip(SKIP_4) | instid1(VALU_DEP_1)
	v_fmac_f32_e32 v109, v95, v116
	ds_load_2addr_b32 v[92:93], v86 offset0:77 offset1:78
	ds_load_2addr_b32 v[94:95], v86 offset0:79 offset1:80
	s_waitcnt lgkmcnt(3)
	v_fmac_f32_e32 v109, v96, v88
	v_fmac_f32_e32 v109, v97, v89
	ds_load_2addr_b32 v[88:89], v86 offset0:81 offset1:82
	s_waitcnt lgkmcnt(3)
	v_fmac_f32_e32 v109, v98, v90
	s_waitcnt vmcnt(2)
	s_delay_alu instid0(VALU_DEP_1)
	v_fmac_f32_e32 v109, v99, v91
	ds_load_2addr_b32 v[90:91], v86 offset0:83 offset1:84
	s_waitcnt lgkmcnt(3)
	v_fmac_f32_e32 v109, v100, v92
	ds_load_b32 v92, v86 offset:340
	v_fmac_f32_e32 v109, v101, v93
	s_waitcnt lgkmcnt(3)
	s_delay_alu instid0(VALU_DEP_1) | instskip(SKIP_1) | instid1(VALU_DEP_1)
	v_fmac_f32_e32 v109, v102, v94
	s_waitcnt vmcnt(1)
	v_fmac_f32_e32 v109, v103, v95
	s_waitcnt lgkmcnt(2)
	s_delay_alu instid0(VALU_DEP_1) | instskip(NEXT) | instid1(VALU_DEP_1)
	v_fmac_f32_e32 v109, v104, v88
	v_fmac_f32_e32 v109, v105, v89
	s_waitcnt lgkmcnt(1)
	s_delay_alu instid0(VALU_DEP_1) | instskip(SKIP_1) | instid1(VALU_DEP_1)
	v_fmac_f32_e32 v109, v106, v90
	s_waitcnt vmcnt(0)
	v_fmac_f32_e32 v109, v107, v91
	s_waitcnt lgkmcnt(0)
	s_delay_alu instid0(VALU_DEP_1) | instskip(NEXT) | instid1(VALU_DEP_1)
	v_fmac_f32_e32 v109, v108, v92
	v_sub_f32_e32 v87, v87, v109
	scratch_store_b32 off, v87, off offset:80
	v_cmpx_lt_u32_e32 19, v0
	s_cbranch_execz .LBB41_221
; %bb.220:
	scratch_load_b32 v87, off, off offset:76
	scratch_store_b32 off, v86, off offset:76
	s_waitcnt vmcnt(0)
	ds_store_b32 v85, v87
.LBB41_221:
	s_or_b32 exec_lo, exec_lo, s0
	s_waitcnt lgkmcnt(0)
	s_waitcnt_vscnt null, 0x0
	s_barrier
	buffer_gl0_inv
	s_clause 0x5
	scratch_load_b128 v[87:90], off, off offset:76
	scratch_load_b128 v[91:94], off, off offset:92
	;; [unrolled: 1-line block ×5, first 2 shown]
	scratch_load_b96 v[115:117], off, off offset:156
	ds_load_b128 v[107:110], v86 offset:256
	ds_load_b128 v[111:114], v86 offset:272
	s_mov_b32 s0, exec_lo
	s_waitcnt vmcnt(5) lgkmcnt(1)
	v_fma_f32 v107, v88, v107, 0
	s_delay_alu instid0(VALU_DEP_1) | instskip(NEXT) | instid1(VALU_DEP_1)
	v_fmac_f32_e32 v107, v89, v108
	v_fmac_f32_e32 v107, v90, v109
	s_waitcnt vmcnt(4)
	s_delay_alu instid0(VALU_DEP_1) | instskip(SKIP_3) | instid1(VALU_DEP_1)
	v_fmac_f32_e32 v107, v91, v110
	ds_load_b128 v[88:91], v86 offset:288
	s_waitcnt lgkmcnt(1)
	v_fmac_f32_e32 v107, v92, v111
	v_fmac_f32_e32 v107, v93, v112
	s_delay_alu instid0(VALU_DEP_1) | instskip(SKIP_1) | instid1(VALU_DEP_1)
	v_fmac_f32_e32 v107, v94, v113
	s_waitcnt vmcnt(3)
	v_fmac_f32_e32 v107, v95, v114
	ds_load_b128 v[92:95], v86 offset:304
	s_waitcnt lgkmcnt(1)
	v_fmac_f32_e32 v107, v96, v88
	s_delay_alu instid0(VALU_DEP_1) | instskip(NEXT) | instid1(VALU_DEP_1)
	v_fmac_f32_e32 v107, v97, v89
	v_fmac_f32_e32 v107, v98, v90
	s_waitcnt vmcnt(2)
	s_delay_alu instid0(VALU_DEP_1) | instskip(SKIP_3) | instid1(VALU_DEP_1)
	v_fmac_f32_e32 v107, v99, v91
	ds_load_b128 v[88:91], v86 offset:320
	s_waitcnt lgkmcnt(1)
	v_fmac_f32_e32 v107, v100, v92
	v_fmac_f32_e32 v107, v101, v93
	ds_load_b64 v[92:93], v86 offset:336
	v_fmac_f32_e32 v107, v102, v94
	s_waitcnt vmcnt(1)
	s_delay_alu instid0(VALU_DEP_1) | instskip(SKIP_1) | instid1(VALU_DEP_1)
	v_fmac_f32_e32 v107, v103, v95
	s_waitcnt lgkmcnt(1)
	v_fmac_f32_e32 v107, v104, v88
	s_delay_alu instid0(VALU_DEP_1) | instskip(NEXT) | instid1(VALU_DEP_1)
	v_fmac_f32_e32 v107, v105, v89
	v_fmac_f32_e32 v107, v106, v90
	s_waitcnt vmcnt(0)
	s_delay_alu instid0(VALU_DEP_1) | instskip(SKIP_1) | instid1(VALU_DEP_1)
	v_fmac_f32_e32 v107, v115, v91
	s_waitcnt lgkmcnt(0)
	v_fmac_f32_e32 v107, v116, v92
	s_delay_alu instid0(VALU_DEP_1) | instskip(NEXT) | instid1(VALU_DEP_1)
	v_fmac_f32_e32 v107, v117, v93
	v_sub_f32_e32 v86, v87, v107
	scratch_store_b32 off, v86, off offset:76
	v_cmpx_lt_u32_e32 18, v0
	s_cbranch_execz .LBB41_223
; %bb.222:
	scratch_load_b32 v86, off, off offset:72
	v_mov_b32_e32 v87, 0
	scratch_store_b32 off, v87, off offset:72
	s_waitcnt vmcnt(0)
	ds_store_b32 v85, v86
.LBB41_223:
	s_or_b32 exec_lo, exec_lo, s0
	s_waitcnt lgkmcnt(0)
	s_waitcnt_vscnt null, 0x0
	s_barrier
	buffer_gl0_inv
	s_clause 0x5
	scratch_load_b128 v[87:90], off, off offset:72
	scratch_load_b128 v[91:94], off, off offset:88
	;; [unrolled: 1-line block ×6, first 2 shown]
	v_mov_b32_e32 v86, 0
	ds_load_2addr_b32 v[111:112], v86 offset0:63 offset1:64
	ds_load_2addr_b32 v[113:114], v86 offset0:65 offset1:66
	;; [unrolled: 1-line block ×4, first 2 shown]
	s_mov_b32 s0, exec_lo
	s_waitcnt vmcnt(5) lgkmcnt(3)
	v_fma_f32 v111, v88, v111, 0
	s_delay_alu instid0(VALU_DEP_1) | instskip(SKIP_4) | instid1(VALU_DEP_1)
	v_fmac_f32_e32 v111, v89, v112
	ds_load_2addr_b32 v[88:89], v86 offset0:71 offset1:72
	s_waitcnt lgkmcnt(3)
	v_fmac_f32_e32 v111, v90, v113
	s_waitcnt vmcnt(4)
	v_fmac_f32_e32 v111, v91, v114
	ds_load_2addr_b32 v[90:91], v86 offset0:73 offset1:74
	s_waitcnt lgkmcnt(3)
	v_fmac_f32_e32 v111, v92, v115
	s_delay_alu instid0(VALU_DEP_1) | instskip(SKIP_1) | instid1(VALU_DEP_1)
	v_fmac_f32_e32 v111, v93, v116
	s_waitcnt lgkmcnt(2)
	v_fmac_f32_e32 v111, v94, v117
	s_waitcnt vmcnt(3)
	s_delay_alu instid0(VALU_DEP_1) | instskip(SKIP_4) | instid1(VALU_DEP_1)
	v_fmac_f32_e32 v111, v95, v118
	ds_load_2addr_b32 v[92:93], v86 offset0:75 offset1:76
	ds_load_2addr_b32 v[94:95], v86 offset0:77 offset1:78
	s_waitcnt lgkmcnt(3)
	v_fmac_f32_e32 v111, v96, v88
	v_fmac_f32_e32 v111, v97, v89
	ds_load_2addr_b32 v[88:89], v86 offset0:79 offset1:80
	s_waitcnt lgkmcnt(3)
	v_fmac_f32_e32 v111, v98, v90
	s_waitcnt vmcnt(2)
	s_delay_alu instid0(VALU_DEP_1) | instskip(SKIP_3) | instid1(VALU_DEP_1)
	v_fmac_f32_e32 v111, v99, v91
	ds_load_2addr_b32 v[90:91], v86 offset0:81 offset1:82
	s_waitcnt lgkmcnt(3)
	v_fmac_f32_e32 v111, v100, v92
	v_fmac_f32_e32 v111, v101, v93
	s_waitcnt lgkmcnt(2)
	s_delay_alu instid0(VALU_DEP_1)
	v_fmac_f32_e32 v111, v102, v94
	ds_load_2addr_b32 v[92:93], v86 offset0:83 offset1:84
	ds_load_b32 v94, v86 offset:340
	s_waitcnt vmcnt(1)
	v_fmac_f32_e32 v111, v103, v95
	s_waitcnt lgkmcnt(3)
	s_delay_alu instid0(VALU_DEP_1) | instskip(NEXT) | instid1(VALU_DEP_1)
	v_fmac_f32_e32 v111, v104, v88
	v_fmac_f32_e32 v111, v105, v89
	s_waitcnt lgkmcnt(2)
	s_delay_alu instid0(VALU_DEP_1) | instskip(SKIP_1) | instid1(VALU_DEP_1)
	v_fmac_f32_e32 v111, v106, v90
	s_waitcnt vmcnt(0)
	v_fmac_f32_e32 v111, v107, v91
	s_waitcnt lgkmcnt(1)
	s_delay_alu instid0(VALU_DEP_1) | instskip(NEXT) | instid1(VALU_DEP_1)
	v_fmac_f32_e32 v111, v108, v92
	v_fmac_f32_e32 v111, v109, v93
	s_waitcnt lgkmcnt(0)
	s_delay_alu instid0(VALU_DEP_1) | instskip(NEXT) | instid1(VALU_DEP_1)
	v_fmac_f32_e32 v111, v110, v94
	v_sub_f32_e32 v87, v87, v111
	scratch_store_b32 off, v87, off offset:72
	v_cmpx_lt_u32_e32 17, v0
	s_cbranch_execz .LBB41_225
; %bb.224:
	scratch_load_b32 v87, off, off offset:68
	scratch_store_b32 off, v86, off offset:68
	s_waitcnt vmcnt(0)
	ds_store_b32 v85, v87
.LBB41_225:
	s_or_b32 exec_lo, exec_lo, s0
	s_waitcnt lgkmcnt(0)
	s_waitcnt_vscnt null, 0x0
	s_barrier
	buffer_gl0_inv
	s_clause 0x6
	scratch_load_b128 v[87:90], off, off offset:68
	scratch_load_b128 v[91:94], off, off offset:84
	;; [unrolled: 1-line block ×6, first 2 shown]
	scratch_load_b32 v119, off, off offset:164
	ds_load_2addr_b64 v[111:114], v86 offset0:31 offset1:32
	ds_load_2addr_b64 v[115:118], v86 offset0:33 offset1:34
	s_mov_b32 s0, exec_lo
	s_waitcnt vmcnt(6) lgkmcnt(1)
	v_fma_f32 v111, v88, v111, 0
	s_delay_alu instid0(VALU_DEP_1) | instskip(NEXT) | instid1(VALU_DEP_1)
	v_fmac_f32_e32 v111, v89, v112
	v_fmac_f32_e32 v111, v90, v113
	s_waitcnt vmcnt(5)
	s_delay_alu instid0(VALU_DEP_1) | instskip(SKIP_3) | instid1(VALU_DEP_1)
	v_fmac_f32_e32 v111, v91, v114
	ds_load_2addr_b64 v[88:91], v86 offset0:35 offset1:36
	s_waitcnt lgkmcnt(1)
	v_fmac_f32_e32 v111, v92, v115
	v_fmac_f32_e32 v111, v93, v116
	s_delay_alu instid0(VALU_DEP_1) | instskip(SKIP_1) | instid1(VALU_DEP_1)
	v_fmac_f32_e32 v111, v94, v117
	s_waitcnt vmcnt(4)
	v_fmac_f32_e32 v111, v95, v118
	ds_load_2addr_b64 v[92:95], v86 offset0:37 offset1:38
	s_waitcnt lgkmcnt(1)
	v_fmac_f32_e32 v111, v96, v88
	s_delay_alu instid0(VALU_DEP_1) | instskip(NEXT) | instid1(VALU_DEP_1)
	v_fmac_f32_e32 v111, v97, v89
	v_fmac_f32_e32 v111, v98, v90
	s_waitcnt vmcnt(3)
	s_delay_alu instid0(VALU_DEP_1) | instskip(SKIP_3) | instid1(VALU_DEP_1)
	v_fmac_f32_e32 v111, v99, v91
	ds_load_2addr_b64 v[88:91], v86 offset0:39 offset1:40
	s_waitcnt lgkmcnt(1)
	v_fmac_f32_e32 v111, v100, v92
	v_fmac_f32_e32 v111, v101, v93
	s_delay_alu instid0(VALU_DEP_1) | instskip(SKIP_1) | instid1(VALU_DEP_1)
	v_fmac_f32_e32 v111, v102, v94
	s_waitcnt vmcnt(2)
	v_fmac_f32_e32 v111, v103, v95
	ds_load_2addr_b64 v[92:95], v86 offset0:41 offset1:42
	s_waitcnt lgkmcnt(1)
	v_fmac_f32_e32 v111, v104, v88
	s_delay_alu instid0(VALU_DEP_1) | instskip(NEXT) | instid1(VALU_DEP_1)
	v_fmac_f32_e32 v111, v105, v89
	v_fmac_f32_e32 v111, v106, v90
	s_waitcnt vmcnt(1)
	s_delay_alu instid0(VALU_DEP_1) | instskip(SKIP_1) | instid1(VALU_DEP_1)
	v_fmac_f32_e32 v111, v107, v91
	s_waitcnt lgkmcnt(0)
	v_fmac_f32_e32 v111, v108, v92
	s_delay_alu instid0(VALU_DEP_1) | instskip(NEXT) | instid1(VALU_DEP_1)
	v_fmac_f32_e32 v111, v109, v93
	v_fmac_f32_e32 v111, v110, v94
	s_waitcnt vmcnt(0)
	s_delay_alu instid0(VALU_DEP_1) | instskip(NEXT) | instid1(VALU_DEP_1)
	v_fmac_f32_e32 v111, v119, v95
	v_sub_f32_e32 v86, v87, v111
	scratch_store_b32 off, v86, off offset:68
	v_cmpx_lt_u32_e32 16, v0
	s_cbranch_execz .LBB41_227
; %bb.226:
	scratch_load_b32 v86, off, off offset:64
	v_mov_b32_e32 v87, 0
	scratch_store_b32 off, v87, off offset:64
	s_waitcnt vmcnt(0)
	ds_store_b32 v85, v86
.LBB41_227:
	s_or_b32 exec_lo, exec_lo, s0
	s_waitcnt lgkmcnt(0)
	s_waitcnt_vscnt null, 0x0
	s_barrier
	buffer_gl0_inv
	s_clause 0x6
	scratch_load_b128 v[87:90], off, off offset:64
	scratch_load_b128 v[91:94], off, off offset:80
	;; [unrolled: 1-line block ×6, first 2 shown]
	scratch_load_b64 v[111:112], off, off offset:160
	v_mov_b32_e32 v86, 0
	ds_load_2addr_b32 v[113:114], v86 offset0:61 offset1:62
	ds_load_2addr_b32 v[115:116], v86 offset0:63 offset1:64
	;; [unrolled: 1-line block ×4, first 2 shown]
	s_mov_b32 s0, exec_lo
	s_waitcnt vmcnt(6) lgkmcnt(3)
	v_fma_f32 v113, v88, v113, 0
	s_delay_alu instid0(VALU_DEP_1) | instskip(SKIP_4) | instid1(VALU_DEP_1)
	v_fmac_f32_e32 v113, v89, v114
	ds_load_2addr_b32 v[88:89], v86 offset0:69 offset1:70
	s_waitcnt lgkmcnt(3)
	v_fmac_f32_e32 v113, v90, v115
	s_waitcnt vmcnt(5)
	v_fmac_f32_e32 v113, v91, v116
	ds_load_2addr_b32 v[90:91], v86 offset0:71 offset1:72
	s_waitcnt lgkmcnt(3)
	v_fmac_f32_e32 v113, v92, v117
	s_delay_alu instid0(VALU_DEP_1) | instskip(SKIP_1) | instid1(VALU_DEP_1)
	v_fmac_f32_e32 v113, v93, v118
	s_waitcnt lgkmcnt(2)
	v_fmac_f32_e32 v113, v94, v119
	s_waitcnt vmcnt(4)
	s_delay_alu instid0(VALU_DEP_1) | instskip(SKIP_4) | instid1(VALU_DEP_1)
	v_fmac_f32_e32 v113, v95, v120
	ds_load_2addr_b32 v[92:93], v86 offset0:73 offset1:74
	ds_load_2addr_b32 v[94:95], v86 offset0:75 offset1:76
	s_waitcnt lgkmcnt(3)
	v_fmac_f32_e32 v113, v96, v88
	v_fmac_f32_e32 v113, v97, v89
	ds_load_2addr_b32 v[88:89], v86 offset0:77 offset1:78
	s_waitcnt lgkmcnt(3)
	v_fmac_f32_e32 v113, v98, v90
	s_waitcnt vmcnt(3)
	s_delay_alu instid0(VALU_DEP_1) | instskip(SKIP_3) | instid1(VALU_DEP_1)
	v_fmac_f32_e32 v113, v99, v91
	ds_load_2addr_b32 v[90:91], v86 offset0:79 offset1:80
	s_waitcnt lgkmcnt(3)
	v_fmac_f32_e32 v113, v100, v92
	v_fmac_f32_e32 v113, v101, v93
	s_waitcnt lgkmcnt(2)
	s_delay_alu instid0(VALU_DEP_1) | instskip(SKIP_1) | instid1(VALU_DEP_1)
	v_fmac_f32_e32 v113, v102, v94
	s_waitcnt vmcnt(2)
	v_fmac_f32_e32 v113, v103, v95
	ds_load_2addr_b32 v[92:93], v86 offset0:81 offset1:82
	ds_load_2addr_b32 v[94:95], v86 offset0:83 offset1:84
	s_waitcnt lgkmcnt(3)
	v_fmac_f32_e32 v113, v104, v88
	ds_load_b32 v88, v86 offset:340
	v_fmac_f32_e32 v113, v105, v89
	s_waitcnt lgkmcnt(3)
	s_delay_alu instid0(VALU_DEP_1) | instskip(SKIP_1) | instid1(VALU_DEP_1)
	v_fmac_f32_e32 v113, v106, v90
	s_waitcnt vmcnt(1)
	v_fmac_f32_e32 v113, v107, v91
	s_waitcnt lgkmcnt(2)
	s_delay_alu instid0(VALU_DEP_1) | instskip(NEXT) | instid1(VALU_DEP_1)
	v_fmac_f32_e32 v113, v108, v92
	v_fmac_f32_e32 v113, v109, v93
	s_waitcnt lgkmcnt(1)
	s_delay_alu instid0(VALU_DEP_1) | instskip(SKIP_1) | instid1(VALU_DEP_1)
	v_fmac_f32_e32 v113, v110, v94
	s_waitcnt vmcnt(0)
	v_fmac_f32_e32 v113, v111, v95
	s_waitcnt lgkmcnt(0)
	s_delay_alu instid0(VALU_DEP_1) | instskip(NEXT) | instid1(VALU_DEP_1)
	v_fmac_f32_e32 v113, v112, v88
	v_sub_f32_e32 v87, v87, v113
	scratch_store_b32 off, v87, off offset:64
	v_cmpx_lt_u32_e32 15, v0
	s_cbranch_execz .LBB41_229
; %bb.228:
	scratch_load_b32 v87, off, off offset:60
	scratch_store_b32 off, v86, off offset:60
	s_waitcnt vmcnt(0)
	ds_store_b32 v85, v87
.LBB41_229:
	s_or_b32 exec_lo, exec_lo, s0
	s_waitcnt lgkmcnt(0)
	s_waitcnt_vscnt null, 0x0
	s_barrier
	buffer_gl0_inv
	s_clause 0x6
	scratch_load_b128 v[87:90], off, off offset:60
	scratch_load_b128 v[91:94], off, off offset:76
	;; [unrolled: 1-line block ×6, first 2 shown]
	scratch_load_b96 v[119:121], off, off offset:156
	ds_load_b128 v[111:114], v86 offset:240
	ds_load_b128 v[115:118], v86 offset:256
	s_mov_b32 s0, exec_lo
	s_waitcnt vmcnt(6) lgkmcnt(1)
	v_fma_f32 v111, v88, v111, 0
	s_delay_alu instid0(VALU_DEP_1) | instskip(NEXT) | instid1(VALU_DEP_1)
	v_fmac_f32_e32 v111, v89, v112
	v_fmac_f32_e32 v111, v90, v113
	s_waitcnt vmcnt(5)
	s_delay_alu instid0(VALU_DEP_1) | instskip(SKIP_3) | instid1(VALU_DEP_1)
	v_fmac_f32_e32 v111, v91, v114
	ds_load_b128 v[88:91], v86 offset:272
	s_waitcnt lgkmcnt(1)
	v_fmac_f32_e32 v111, v92, v115
	v_fmac_f32_e32 v111, v93, v116
	s_delay_alu instid0(VALU_DEP_1) | instskip(SKIP_1) | instid1(VALU_DEP_1)
	v_fmac_f32_e32 v111, v94, v117
	s_waitcnt vmcnt(4)
	v_fmac_f32_e32 v111, v95, v118
	ds_load_b128 v[92:95], v86 offset:288
	s_waitcnt lgkmcnt(1)
	v_fmac_f32_e32 v111, v96, v88
	s_delay_alu instid0(VALU_DEP_1) | instskip(NEXT) | instid1(VALU_DEP_1)
	v_fmac_f32_e32 v111, v97, v89
	v_fmac_f32_e32 v111, v98, v90
	s_waitcnt vmcnt(3)
	s_delay_alu instid0(VALU_DEP_1) | instskip(SKIP_3) | instid1(VALU_DEP_1)
	v_fmac_f32_e32 v111, v99, v91
	ds_load_b128 v[88:91], v86 offset:304
	s_waitcnt lgkmcnt(1)
	v_fmac_f32_e32 v111, v100, v92
	v_fmac_f32_e32 v111, v101, v93
	s_delay_alu instid0(VALU_DEP_1) | instskip(SKIP_1) | instid1(VALU_DEP_1)
	v_fmac_f32_e32 v111, v102, v94
	s_waitcnt vmcnt(2)
	v_fmac_f32_e32 v111, v103, v95
	ds_load_b128 v[92:95], v86 offset:320
	s_waitcnt lgkmcnt(1)
	v_fmac_f32_e32 v111, v104, v88
	s_delay_alu instid0(VALU_DEP_1) | instskip(SKIP_3) | instid1(VALU_DEP_1)
	v_fmac_f32_e32 v111, v105, v89
	ds_load_b64 v[88:89], v86 offset:336
	v_fmac_f32_e32 v111, v106, v90
	s_waitcnt vmcnt(1)
	v_fmac_f32_e32 v111, v107, v91
	s_waitcnt lgkmcnt(1)
	s_delay_alu instid0(VALU_DEP_1) | instskip(NEXT) | instid1(VALU_DEP_1)
	v_fmac_f32_e32 v111, v108, v92
	v_fmac_f32_e32 v111, v109, v93
	s_delay_alu instid0(VALU_DEP_1) | instskip(SKIP_1) | instid1(VALU_DEP_1)
	v_fmac_f32_e32 v111, v110, v94
	s_waitcnt vmcnt(0)
	v_fmac_f32_e32 v111, v119, v95
	s_waitcnt lgkmcnt(0)
	s_delay_alu instid0(VALU_DEP_1) | instskip(NEXT) | instid1(VALU_DEP_1)
	v_fmac_f32_e32 v111, v120, v88
	v_fmac_f32_e32 v111, v121, v89
	s_delay_alu instid0(VALU_DEP_1)
	v_sub_f32_e32 v86, v87, v111
	scratch_store_b32 off, v86, off offset:60
	v_cmpx_lt_u32_e32 14, v0
	s_cbranch_execz .LBB41_231
; %bb.230:
	scratch_load_b32 v86, off, off offset:56
	v_mov_b32_e32 v87, 0
	scratch_store_b32 off, v87, off offset:56
	s_waitcnt vmcnt(0)
	ds_store_b32 v85, v86
.LBB41_231:
	s_or_b32 exec_lo, exec_lo, s0
	s_waitcnt lgkmcnt(0)
	s_waitcnt_vscnt null, 0x0
	s_barrier
	buffer_gl0_inv
	s_clause 0x6
	scratch_load_b128 v[87:90], off, off offset:56
	scratch_load_b128 v[91:94], off, off offset:72
	;; [unrolled: 1-line block ×7, first 2 shown]
	v_mov_b32_e32 v86, 0
	ds_load_2addr_b32 v[115:116], v86 offset0:59 offset1:60
	ds_load_2addr_b32 v[117:118], v86 offset0:61 offset1:62
	;; [unrolled: 1-line block ×4, first 2 shown]
	s_mov_b32 s0, exec_lo
	s_waitcnt vmcnt(6) lgkmcnt(3)
	v_fma_f32 v115, v88, v115, 0
	s_delay_alu instid0(VALU_DEP_1) | instskip(SKIP_4) | instid1(VALU_DEP_1)
	v_fmac_f32_e32 v115, v89, v116
	ds_load_2addr_b32 v[88:89], v86 offset0:67 offset1:68
	s_waitcnt lgkmcnt(3)
	v_fmac_f32_e32 v115, v90, v117
	s_waitcnt vmcnt(5)
	v_fmac_f32_e32 v115, v91, v118
	ds_load_2addr_b32 v[90:91], v86 offset0:69 offset1:70
	s_waitcnt lgkmcnt(3)
	v_fmac_f32_e32 v115, v92, v119
	s_delay_alu instid0(VALU_DEP_1) | instskip(SKIP_1) | instid1(VALU_DEP_1)
	v_fmac_f32_e32 v115, v93, v120
	s_waitcnt lgkmcnt(2)
	v_fmac_f32_e32 v115, v94, v121
	s_waitcnt vmcnt(4)
	s_delay_alu instid0(VALU_DEP_1) | instskip(SKIP_4) | instid1(VALU_DEP_1)
	v_fmac_f32_e32 v115, v95, v122
	ds_load_2addr_b32 v[92:93], v86 offset0:71 offset1:72
	ds_load_2addr_b32 v[94:95], v86 offset0:73 offset1:74
	s_waitcnt lgkmcnt(3)
	v_fmac_f32_e32 v115, v96, v88
	v_fmac_f32_e32 v115, v97, v89
	ds_load_2addr_b32 v[88:89], v86 offset0:75 offset1:76
	s_waitcnt lgkmcnt(3)
	v_fmac_f32_e32 v115, v98, v90
	s_waitcnt vmcnt(3)
	s_delay_alu instid0(VALU_DEP_1) | instskip(SKIP_3) | instid1(VALU_DEP_1)
	v_fmac_f32_e32 v115, v99, v91
	ds_load_2addr_b32 v[90:91], v86 offset0:77 offset1:78
	s_waitcnt lgkmcnt(3)
	v_fmac_f32_e32 v115, v100, v92
	v_fmac_f32_e32 v115, v101, v93
	s_waitcnt lgkmcnt(2)
	s_delay_alu instid0(VALU_DEP_1) | instskip(SKIP_1) | instid1(VALU_DEP_1)
	v_fmac_f32_e32 v115, v102, v94
	s_waitcnt vmcnt(2)
	v_fmac_f32_e32 v115, v103, v95
	ds_load_2addr_b32 v[92:93], v86 offset0:79 offset1:80
	ds_load_2addr_b32 v[94:95], v86 offset0:81 offset1:82
	s_waitcnt lgkmcnt(3)
	v_fmac_f32_e32 v115, v104, v88
	s_delay_alu instid0(VALU_DEP_1)
	v_fmac_f32_e32 v115, v105, v89
	ds_load_2addr_b32 v[88:89], v86 offset0:83 offset1:84
	s_waitcnt lgkmcnt(3)
	v_fmac_f32_e32 v115, v106, v90
	ds_load_b32 v90, v86 offset:340
	s_waitcnt vmcnt(1)
	v_fmac_f32_e32 v115, v107, v91
	s_waitcnt lgkmcnt(3)
	s_delay_alu instid0(VALU_DEP_1) | instskip(NEXT) | instid1(VALU_DEP_1)
	v_fmac_f32_e32 v115, v108, v92
	v_fmac_f32_e32 v115, v109, v93
	s_waitcnt lgkmcnt(2)
	s_delay_alu instid0(VALU_DEP_1) | instskip(SKIP_1) | instid1(VALU_DEP_1)
	v_fmac_f32_e32 v115, v110, v94
	s_waitcnt vmcnt(0)
	v_fmac_f32_e32 v115, v111, v95
	s_waitcnt lgkmcnt(1)
	s_delay_alu instid0(VALU_DEP_1) | instskip(NEXT) | instid1(VALU_DEP_1)
	v_fmac_f32_e32 v115, v112, v88
	v_fmac_f32_e32 v115, v113, v89
	s_waitcnt lgkmcnt(0)
	s_delay_alu instid0(VALU_DEP_1) | instskip(NEXT) | instid1(VALU_DEP_1)
	v_fmac_f32_e32 v115, v114, v90
	v_sub_f32_e32 v87, v87, v115
	scratch_store_b32 off, v87, off offset:56
	v_cmpx_lt_u32_e32 13, v0
	s_cbranch_execz .LBB41_233
; %bb.232:
	scratch_load_b32 v87, off, off offset:52
	scratch_store_b32 off, v86, off offset:52
	s_waitcnt vmcnt(0)
	ds_store_b32 v85, v87
.LBB41_233:
	s_or_b32 exec_lo, exec_lo, s0
	s_waitcnt lgkmcnt(0)
	s_waitcnt_vscnt null, 0x0
	s_barrier
	buffer_gl0_inv
	s_clause 0x7
	scratch_load_b128 v[87:90], off, off offset:52
	scratch_load_b128 v[91:94], off, off offset:68
	;; [unrolled: 1-line block ×7, first 2 shown]
	scratch_load_b32 v123, off, off offset:164
	ds_load_2addr_b64 v[115:118], v86 offset0:29 offset1:30
	ds_load_2addr_b64 v[119:122], v86 offset0:31 offset1:32
	s_mov_b32 s0, exec_lo
	s_waitcnt vmcnt(7) lgkmcnt(1)
	v_fma_f32 v115, v88, v115, 0
	s_delay_alu instid0(VALU_DEP_1) | instskip(NEXT) | instid1(VALU_DEP_1)
	v_fmac_f32_e32 v115, v89, v116
	v_fmac_f32_e32 v115, v90, v117
	s_waitcnt vmcnt(6)
	s_delay_alu instid0(VALU_DEP_1) | instskip(SKIP_3) | instid1(VALU_DEP_1)
	v_fmac_f32_e32 v115, v91, v118
	ds_load_2addr_b64 v[88:91], v86 offset0:33 offset1:34
	s_waitcnt lgkmcnt(1)
	v_fmac_f32_e32 v115, v92, v119
	v_fmac_f32_e32 v115, v93, v120
	s_delay_alu instid0(VALU_DEP_1) | instskip(SKIP_1) | instid1(VALU_DEP_1)
	v_fmac_f32_e32 v115, v94, v121
	s_waitcnt vmcnt(5)
	v_fmac_f32_e32 v115, v95, v122
	ds_load_2addr_b64 v[92:95], v86 offset0:35 offset1:36
	s_waitcnt lgkmcnt(1)
	v_fmac_f32_e32 v115, v96, v88
	s_delay_alu instid0(VALU_DEP_1) | instskip(NEXT) | instid1(VALU_DEP_1)
	v_fmac_f32_e32 v115, v97, v89
	v_fmac_f32_e32 v115, v98, v90
	s_waitcnt vmcnt(4)
	s_delay_alu instid0(VALU_DEP_1) | instskip(SKIP_3) | instid1(VALU_DEP_1)
	v_fmac_f32_e32 v115, v99, v91
	ds_load_2addr_b64 v[88:91], v86 offset0:37 offset1:38
	s_waitcnt lgkmcnt(1)
	v_fmac_f32_e32 v115, v100, v92
	v_fmac_f32_e32 v115, v101, v93
	s_delay_alu instid0(VALU_DEP_1) | instskip(SKIP_1) | instid1(VALU_DEP_1)
	v_fmac_f32_e32 v115, v102, v94
	s_waitcnt vmcnt(3)
	v_fmac_f32_e32 v115, v103, v95
	ds_load_2addr_b64 v[92:95], v86 offset0:39 offset1:40
	s_waitcnt lgkmcnt(1)
	v_fmac_f32_e32 v115, v104, v88
	s_delay_alu instid0(VALU_DEP_1) | instskip(NEXT) | instid1(VALU_DEP_1)
	v_fmac_f32_e32 v115, v105, v89
	v_fmac_f32_e32 v115, v106, v90
	s_waitcnt vmcnt(2)
	s_delay_alu instid0(VALU_DEP_1) | instskip(SKIP_3) | instid1(VALU_DEP_1)
	v_fmac_f32_e32 v115, v107, v91
	ds_load_2addr_b64 v[88:91], v86 offset0:41 offset1:42
	s_waitcnt lgkmcnt(1)
	v_fmac_f32_e32 v115, v108, v92
	v_fmac_f32_e32 v115, v109, v93
	s_delay_alu instid0(VALU_DEP_1) | instskip(SKIP_1) | instid1(VALU_DEP_1)
	v_fmac_f32_e32 v115, v110, v94
	s_waitcnt vmcnt(1)
	v_fmac_f32_e32 v115, v111, v95
	s_waitcnt lgkmcnt(0)
	s_delay_alu instid0(VALU_DEP_1) | instskip(NEXT) | instid1(VALU_DEP_1)
	v_fmac_f32_e32 v115, v112, v88
	v_fmac_f32_e32 v115, v113, v89
	s_delay_alu instid0(VALU_DEP_1) | instskip(SKIP_1) | instid1(VALU_DEP_1)
	v_fmac_f32_e32 v115, v114, v90
	s_waitcnt vmcnt(0)
	v_fmac_f32_e32 v115, v123, v91
	s_delay_alu instid0(VALU_DEP_1)
	v_sub_f32_e32 v86, v87, v115
	scratch_store_b32 off, v86, off offset:52
	v_cmpx_lt_u32_e32 12, v0
	s_cbranch_execz .LBB41_235
; %bb.234:
	scratch_load_b32 v86, off, off offset:48
	v_mov_b32_e32 v87, 0
	scratch_store_b32 off, v87, off offset:48
	s_waitcnt vmcnt(0)
	ds_store_b32 v85, v86
.LBB41_235:
	s_or_b32 exec_lo, exec_lo, s0
	s_waitcnt lgkmcnt(0)
	s_waitcnt_vscnt null, 0x0
	s_barrier
	buffer_gl0_inv
	s_clause 0x7
	scratch_load_b128 v[87:90], off, off offset:48
	scratch_load_b128 v[91:94], off, off offset:64
	;; [unrolled: 1-line block ×7, first 2 shown]
	scratch_load_b64 v[115:116], off, off offset:160
	v_mov_b32_e32 v86, 0
	ds_load_2addr_b32 v[117:118], v86 offset0:57 offset1:58
	ds_load_2addr_b32 v[119:120], v86 offset0:59 offset1:60
	;; [unrolled: 1-line block ×4, first 2 shown]
	s_mov_b32 s0, exec_lo
	s_waitcnt vmcnt(7) lgkmcnt(3)
	v_fma_f32 v117, v88, v117, 0
	s_delay_alu instid0(VALU_DEP_1) | instskip(SKIP_4) | instid1(VALU_DEP_1)
	v_fmac_f32_e32 v117, v89, v118
	ds_load_2addr_b32 v[88:89], v86 offset0:65 offset1:66
	s_waitcnt lgkmcnt(3)
	v_fmac_f32_e32 v117, v90, v119
	s_waitcnt vmcnt(6)
	v_fmac_f32_e32 v117, v91, v120
	ds_load_2addr_b32 v[90:91], v86 offset0:67 offset1:68
	s_waitcnt lgkmcnt(3)
	v_fmac_f32_e32 v117, v92, v121
	s_delay_alu instid0(VALU_DEP_1) | instskip(SKIP_1) | instid1(VALU_DEP_1)
	v_fmac_f32_e32 v117, v93, v122
	s_waitcnt lgkmcnt(2)
	v_fmac_f32_e32 v117, v94, v123
	s_waitcnt vmcnt(5)
	s_delay_alu instid0(VALU_DEP_1) | instskip(SKIP_4) | instid1(VALU_DEP_1)
	v_fmac_f32_e32 v117, v95, v124
	ds_load_2addr_b32 v[92:93], v86 offset0:69 offset1:70
	ds_load_2addr_b32 v[94:95], v86 offset0:71 offset1:72
	s_waitcnt lgkmcnt(3)
	v_fmac_f32_e32 v117, v96, v88
	v_fmac_f32_e32 v117, v97, v89
	ds_load_2addr_b32 v[88:89], v86 offset0:73 offset1:74
	s_waitcnt lgkmcnt(3)
	v_fmac_f32_e32 v117, v98, v90
	s_waitcnt vmcnt(4)
	s_delay_alu instid0(VALU_DEP_1) | instskip(SKIP_3) | instid1(VALU_DEP_1)
	v_fmac_f32_e32 v117, v99, v91
	ds_load_2addr_b32 v[90:91], v86 offset0:75 offset1:76
	s_waitcnt lgkmcnt(3)
	v_fmac_f32_e32 v117, v100, v92
	v_fmac_f32_e32 v117, v101, v93
	s_waitcnt lgkmcnt(2)
	s_delay_alu instid0(VALU_DEP_1) | instskip(SKIP_1) | instid1(VALU_DEP_1)
	v_fmac_f32_e32 v117, v102, v94
	s_waitcnt vmcnt(3)
	v_fmac_f32_e32 v117, v103, v95
	ds_load_2addr_b32 v[92:93], v86 offset0:77 offset1:78
	ds_load_2addr_b32 v[94:95], v86 offset0:79 offset1:80
	s_waitcnt lgkmcnt(3)
	v_fmac_f32_e32 v117, v104, v88
	s_delay_alu instid0(VALU_DEP_1) | instskip(SKIP_4) | instid1(VALU_DEP_1)
	v_fmac_f32_e32 v117, v105, v89
	ds_load_2addr_b32 v[88:89], v86 offset0:81 offset1:82
	s_waitcnt lgkmcnt(3)
	v_fmac_f32_e32 v117, v106, v90
	s_waitcnt vmcnt(2)
	v_fmac_f32_e32 v117, v107, v91
	ds_load_2addr_b32 v[90:91], v86 offset0:83 offset1:84
	s_waitcnt lgkmcnt(3)
	v_fmac_f32_e32 v117, v108, v92
	ds_load_b32 v92, v86 offset:340
	v_fmac_f32_e32 v117, v109, v93
	s_waitcnt lgkmcnt(3)
	s_delay_alu instid0(VALU_DEP_1) | instskip(SKIP_1) | instid1(VALU_DEP_1)
	v_fmac_f32_e32 v117, v110, v94
	s_waitcnt vmcnt(1)
	v_fmac_f32_e32 v117, v111, v95
	s_waitcnt lgkmcnt(2)
	s_delay_alu instid0(VALU_DEP_1) | instskip(NEXT) | instid1(VALU_DEP_1)
	v_fmac_f32_e32 v117, v112, v88
	v_fmac_f32_e32 v117, v113, v89
	s_waitcnt lgkmcnt(1)
	s_delay_alu instid0(VALU_DEP_1) | instskip(SKIP_1) | instid1(VALU_DEP_1)
	v_fmac_f32_e32 v117, v114, v90
	s_waitcnt vmcnt(0)
	v_fmac_f32_e32 v117, v115, v91
	s_waitcnt lgkmcnt(0)
	s_delay_alu instid0(VALU_DEP_1) | instskip(NEXT) | instid1(VALU_DEP_1)
	v_fmac_f32_e32 v117, v116, v92
	v_sub_f32_e32 v87, v87, v117
	scratch_store_b32 off, v87, off offset:48
	v_cmpx_lt_u32_e32 11, v0
	s_cbranch_execz .LBB41_237
; %bb.236:
	scratch_load_b32 v87, off, off offset:44
	scratch_store_b32 off, v86, off offset:44
	s_waitcnt vmcnt(0)
	ds_store_b32 v85, v87
.LBB41_237:
	s_or_b32 exec_lo, exec_lo, s0
	s_waitcnt lgkmcnt(0)
	s_waitcnt_vscnt null, 0x0
	s_barrier
	buffer_gl0_inv
	s_clause 0x7
	scratch_load_b128 v[87:90], off, off offset:44
	scratch_load_b128 v[91:94], off, off offset:60
	;; [unrolled: 1-line block ×7, first 2 shown]
	scratch_load_b96 v[123:125], off, off offset:156
	ds_load_b128 v[115:118], v86 offset:224
	ds_load_b128 v[119:122], v86 offset:240
	s_mov_b32 s0, exec_lo
	s_waitcnt vmcnt(7) lgkmcnt(1)
	v_fma_f32 v115, v88, v115, 0
	s_delay_alu instid0(VALU_DEP_1) | instskip(NEXT) | instid1(VALU_DEP_1)
	v_fmac_f32_e32 v115, v89, v116
	v_fmac_f32_e32 v115, v90, v117
	s_waitcnt vmcnt(6)
	s_delay_alu instid0(VALU_DEP_1) | instskip(SKIP_3) | instid1(VALU_DEP_1)
	v_fmac_f32_e32 v115, v91, v118
	ds_load_b128 v[88:91], v86 offset:256
	s_waitcnt lgkmcnt(1)
	v_fmac_f32_e32 v115, v92, v119
	v_fmac_f32_e32 v115, v93, v120
	s_delay_alu instid0(VALU_DEP_1) | instskip(SKIP_1) | instid1(VALU_DEP_1)
	v_fmac_f32_e32 v115, v94, v121
	s_waitcnt vmcnt(5)
	v_fmac_f32_e32 v115, v95, v122
	ds_load_b128 v[92:95], v86 offset:272
	s_waitcnt lgkmcnt(1)
	v_fmac_f32_e32 v115, v96, v88
	s_delay_alu instid0(VALU_DEP_1) | instskip(NEXT) | instid1(VALU_DEP_1)
	v_fmac_f32_e32 v115, v97, v89
	v_fmac_f32_e32 v115, v98, v90
	s_waitcnt vmcnt(4)
	s_delay_alu instid0(VALU_DEP_1) | instskip(SKIP_3) | instid1(VALU_DEP_1)
	v_fmac_f32_e32 v115, v99, v91
	ds_load_b128 v[88:91], v86 offset:288
	s_waitcnt lgkmcnt(1)
	v_fmac_f32_e32 v115, v100, v92
	v_fmac_f32_e32 v115, v101, v93
	s_delay_alu instid0(VALU_DEP_1) | instskip(SKIP_1) | instid1(VALU_DEP_1)
	v_fmac_f32_e32 v115, v102, v94
	s_waitcnt vmcnt(3)
	v_fmac_f32_e32 v115, v103, v95
	ds_load_b128 v[92:95], v86 offset:304
	s_waitcnt lgkmcnt(1)
	v_fmac_f32_e32 v115, v104, v88
	s_delay_alu instid0(VALU_DEP_1) | instskip(NEXT) | instid1(VALU_DEP_1)
	v_fmac_f32_e32 v115, v105, v89
	v_fmac_f32_e32 v115, v106, v90
	s_waitcnt vmcnt(2)
	s_delay_alu instid0(VALU_DEP_1) | instskip(SKIP_3) | instid1(VALU_DEP_1)
	v_fmac_f32_e32 v115, v107, v91
	ds_load_b128 v[88:91], v86 offset:320
	s_waitcnt lgkmcnt(1)
	v_fmac_f32_e32 v115, v108, v92
	v_fmac_f32_e32 v115, v109, v93
	ds_load_b64 v[92:93], v86 offset:336
	v_fmac_f32_e32 v115, v110, v94
	s_waitcnt vmcnt(1)
	s_delay_alu instid0(VALU_DEP_1) | instskip(SKIP_1) | instid1(VALU_DEP_1)
	v_fmac_f32_e32 v115, v111, v95
	s_waitcnt lgkmcnt(1)
	v_fmac_f32_e32 v115, v112, v88
	s_delay_alu instid0(VALU_DEP_1) | instskip(NEXT) | instid1(VALU_DEP_1)
	v_fmac_f32_e32 v115, v113, v89
	v_fmac_f32_e32 v115, v114, v90
	s_waitcnt vmcnt(0)
	s_delay_alu instid0(VALU_DEP_1) | instskip(SKIP_1) | instid1(VALU_DEP_1)
	v_fmac_f32_e32 v115, v123, v91
	s_waitcnt lgkmcnt(0)
	v_fmac_f32_e32 v115, v124, v92
	s_delay_alu instid0(VALU_DEP_1) | instskip(NEXT) | instid1(VALU_DEP_1)
	v_fmac_f32_e32 v115, v125, v93
	v_sub_f32_e32 v86, v87, v115
	scratch_store_b32 off, v86, off offset:44
	v_cmpx_lt_u32_e32 10, v0
	s_cbranch_execz .LBB41_239
; %bb.238:
	scratch_load_b32 v86, off, off offset:40
	v_mov_b32_e32 v87, 0
	scratch_store_b32 off, v87, off offset:40
	s_waitcnt vmcnt(0)
	ds_store_b32 v85, v86
.LBB41_239:
	s_or_b32 exec_lo, exec_lo, s0
	s_waitcnt lgkmcnt(0)
	s_waitcnt_vscnt null, 0x0
	s_barrier
	buffer_gl0_inv
	s_clause 0x7
	scratch_load_b128 v[87:90], off, off offset:40
	scratch_load_b128 v[91:94], off, off offset:56
	;; [unrolled: 1-line block ×8, first 2 shown]
	v_mov_b32_e32 v86, 0
	ds_load_2addr_b32 v[119:120], v86 offset0:55 offset1:56
	ds_load_2addr_b32 v[121:122], v86 offset0:57 offset1:58
	;; [unrolled: 1-line block ×4, first 2 shown]
	s_mov_b32 s0, exec_lo
	s_waitcnt vmcnt(7) lgkmcnt(3)
	v_fma_f32 v119, v88, v119, 0
	s_delay_alu instid0(VALU_DEP_1) | instskip(SKIP_4) | instid1(VALU_DEP_1)
	v_fmac_f32_e32 v119, v89, v120
	ds_load_2addr_b32 v[88:89], v86 offset0:63 offset1:64
	s_waitcnt lgkmcnt(3)
	v_fmac_f32_e32 v119, v90, v121
	s_waitcnt vmcnt(6)
	v_fmac_f32_e32 v119, v91, v122
	ds_load_2addr_b32 v[90:91], v86 offset0:65 offset1:66
	s_waitcnt lgkmcnt(3)
	v_fmac_f32_e32 v119, v92, v123
	s_delay_alu instid0(VALU_DEP_1) | instskip(SKIP_1) | instid1(VALU_DEP_1)
	v_fmac_f32_e32 v119, v93, v124
	s_waitcnt lgkmcnt(2)
	v_fmac_f32_e32 v119, v94, v125
	s_waitcnt vmcnt(5)
	s_delay_alu instid0(VALU_DEP_1) | instskip(SKIP_4) | instid1(VALU_DEP_1)
	v_fmac_f32_e32 v119, v95, v126
	ds_load_2addr_b32 v[92:93], v86 offset0:67 offset1:68
	ds_load_2addr_b32 v[94:95], v86 offset0:69 offset1:70
	s_waitcnt lgkmcnt(3)
	v_fmac_f32_e32 v119, v96, v88
	v_fmac_f32_e32 v119, v97, v89
	ds_load_2addr_b32 v[88:89], v86 offset0:71 offset1:72
	s_waitcnt lgkmcnt(3)
	v_fmac_f32_e32 v119, v98, v90
	s_waitcnt vmcnt(4)
	s_delay_alu instid0(VALU_DEP_1) | instskip(SKIP_3) | instid1(VALU_DEP_1)
	v_fmac_f32_e32 v119, v99, v91
	ds_load_2addr_b32 v[90:91], v86 offset0:73 offset1:74
	s_waitcnt lgkmcnt(3)
	v_fmac_f32_e32 v119, v100, v92
	v_fmac_f32_e32 v119, v101, v93
	s_waitcnt lgkmcnt(2)
	s_delay_alu instid0(VALU_DEP_1) | instskip(SKIP_1) | instid1(VALU_DEP_1)
	v_fmac_f32_e32 v119, v102, v94
	s_waitcnt vmcnt(3)
	v_fmac_f32_e32 v119, v103, v95
	ds_load_2addr_b32 v[92:93], v86 offset0:75 offset1:76
	ds_load_2addr_b32 v[94:95], v86 offset0:77 offset1:78
	s_waitcnt lgkmcnt(3)
	v_fmac_f32_e32 v119, v104, v88
	s_delay_alu instid0(VALU_DEP_1) | instskip(SKIP_4) | instid1(VALU_DEP_1)
	v_fmac_f32_e32 v119, v105, v89
	ds_load_2addr_b32 v[88:89], v86 offset0:79 offset1:80
	s_waitcnt lgkmcnt(3)
	v_fmac_f32_e32 v119, v106, v90
	s_waitcnt vmcnt(2)
	v_fmac_f32_e32 v119, v107, v91
	ds_load_2addr_b32 v[90:91], v86 offset0:81 offset1:82
	s_waitcnt lgkmcnt(3)
	v_fmac_f32_e32 v119, v108, v92
	s_delay_alu instid0(VALU_DEP_1) | instskip(SKIP_1) | instid1(VALU_DEP_1)
	v_fmac_f32_e32 v119, v109, v93
	s_waitcnt lgkmcnt(2)
	v_fmac_f32_e32 v119, v110, v94
	ds_load_2addr_b32 v[92:93], v86 offset0:83 offset1:84
	ds_load_b32 v94, v86 offset:340
	s_waitcnt vmcnt(1)
	v_fmac_f32_e32 v119, v111, v95
	s_waitcnt lgkmcnt(3)
	s_delay_alu instid0(VALU_DEP_1) | instskip(NEXT) | instid1(VALU_DEP_1)
	v_fmac_f32_e32 v119, v112, v88
	v_fmac_f32_e32 v119, v113, v89
	s_waitcnt lgkmcnt(2)
	s_delay_alu instid0(VALU_DEP_1) | instskip(SKIP_1) | instid1(VALU_DEP_1)
	v_fmac_f32_e32 v119, v114, v90
	s_waitcnt vmcnt(0)
	v_fmac_f32_e32 v119, v115, v91
	s_waitcnt lgkmcnt(1)
	s_delay_alu instid0(VALU_DEP_1) | instskip(NEXT) | instid1(VALU_DEP_1)
	v_fmac_f32_e32 v119, v116, v92
	v_fmac_f32_e32 v119, v117, v93
	s_waitcnt lgkmcnt(0)
	s_delay_alu instid0(VALU_DEP_1) | instskip(NEXT) | instid1(VALU_DEP_1)
	v_fmac_f32_e32 v119, v118, v94
	v_sub_f32_e32 v87, v87, v119
	scratch_store_b32 off, v87, off offset:40
	v_cmpx_lt_u32_e32 9, v0
	s_cbranch_execz .LBB41_241
; %bb.240:
	scratch_load_b32 v87, off, off offset:36
	scratch_store_b32 off, v86, off offset:36
	s_waitcnt vmcnt(0)
	ds_store_b32 v85, v87
.LBB41_241:
	s_or_b32 exec_lo, exec_lo, s0
	s_waitcnt lgkmcnt(0)
	s_waitcnt_vscnt null, 0x0
	s_barrier
	buffer_gl0_inv
	s_clause 0x8
	scratch_load_b128 v[87:90], off, off offset:36
	scratch_load_b128 v[91:94], off, off offset:52
	;; [unrolled: 1-line block ×8, first 2 shown]
	scratch_load_b32 v127, off, off offset:164
	ds_load_2addr_b64 v[119:122], v86 offset0:27 offset1:28
	ds_load_2addr_b64 v[123:126], v86 offset0:29 offset1:30
	s_mov_b32 s0, exec_lo
	s_waitcnt vmcnt(8) lgkmcnt(1)
	v_fma_f32 v119, v88, v119, 0
	s_delay_alu instid0(VALU_DEP_1) | instskip(NEXT) | instid1(VALU_DEP_1)
	v_fmac_f32_e32 v119, v89, v120
	v_fmac_f32_e32 v119, v90, v121
	s_waitcnt vmcnt(7)
	s_delay_alu instid0(VALU_DEP_1) | instskip(SKIP_3) | instid1(VALU_DEP_1)
	v_fmac_f32_e32 v119, v91, v122
	ds_load_2addr_b64 v[88:91], v86 offset0:31 offset1:32
	s_waitcnt lgkmcnt(1)
	v_fmac_f32_e32 v119, v92, v123
	v_fmac_f32_e32 v119, v93, v124
	s_delay_alu instid0(VALU_DEP_1) | instskip(SKIP_1) | instid1(VALU_DEP_1)
	v_fmac_f32_e32 v119, v94, v125
	s_waitcnt vmcnt(6)
	v_fmac_f32_e32 v119, v95, v126
	ds_load_2addr_b64 v[92:95], v86 offset0:33 offset1:34
	s_waitcnt lgkmcnt(1)
	v_fmac_f32_e32 v119, v96, v88
	s_delay_alu instid0(VALU_DEP_1) | instskip(NEXT) | instid1(VALU_DEP_1)
	v_fmac_f32_e32 v119, v97, v89
	v_fmac_f32_e32 v119, v98, v90
	s_waitcnt vmcnt(5)
	s_delay_alu instid0(VALU_DEP_1) | instskip(SKIP_3) | instid1(VALU_DEP_1)
	v_fmac_f32_e32 v119, v99, v91
	ds_load_2addr_b64 v[88:91], v86 offset0:35 offset1:36
	s_waitcnt lgkmcnt(1)
	v_fmac_f32_e32 v119, v100, v92
	v_fmac_f32_e32 v119, v101, v93
	s_delay_alu instid0(VALU_DEP_1) | instskip(SKIP_1) | instid1(VALU_DEP_1)
	v_fmac_f32_e32 v119, v102, v94
	s_waitcnt vmcnt(4)
	v_fmac_f32_e32 v119, v103, v95
	ds_load_2addr_b64 v[92:95], v86 offset0:37 offset1:38
	s_waitcnt lgkmcnt(1)
	v_fmac_f32_e32 v119, v104, v88
	;; [unrolled: 17-line block ×3, first 2 shown]
	s_delay_alu instid0(VALU_DEP_1) | instskip(NEXT) | instid1(VALU_DEP_1)
	v_fmac_f32_e32 v119, v113, v89
	v_fmac_f32_e32 v119, v114, v90
	s_waitcnt vmcnt(1)
	s_delay_alu instid0(VALU_DEP_1) | instskip(SKIP_1) | instid1(VALU_DEP_1)
	v_fmac_f32_e32 v119, v115, v91
	s_waitcnt lgkmcnt(0)
	v_fmac_f32_e32 v119, v116, v92
	s_delay_alu instid0(VALU_DEP_1) | instskip(NEXT) | instid1(VALU_DEP_1)
	v_fmac_f32_e32 v119, v117, v93
	v_fmac_f32_e32 v119, v118, v94
	s_waitcnt vmcnt(0)
	s_delay_alu instid0(VALU_DEP_1) | instskip(NEXT) | instid1(VALU_DEP_1)
	v_fmac_f32_e32 v119, v127, v95
	v_sub_f32_e32 v86, v87, v119
	scratch_store_b32 off, v86, off offset:36
	v_cmpx_lt_u32_e32 8, v0
	s_cbranch_execz .LBB41_243
; %bb.242:
	scratch_load_b32 v86, off, off offset:32
	v_mov_b32_e32 v87, 0
	scratch_store_b32 off, v87, off offset:32
	s_waitcnt vmcnt(0)
	ds_store_b32 v85, v86
.LBB41_243:
	s_or_b32 exec_lo, exec_lo, s0
	s_waitcnt lgkmcnt(0)
	s_waitcnt_vscnt null, 0x0
	s_barrier
	buffer_gl0_inv
	s_clause 0x8
	scratch_load_b128 v[87:90], off, off offset:32
	scratch_load_b128 v[91:94], off, off offset:48
	;; [unrolled: 1-line block ×8, first 2 shown]
	scratch_load_b64 v[119:120], off, off offset:160
	v_mov_b32_e32 v86, 0
	ds_load_2addr_b32 v[121:122], v86 offset0:53 offset1:54
	ds_load_2addr_b32 v[123:124], v86 offset0:55 offset1:56
	;; [unrolled: 1-line block ×4, first 2 shown]
	s_mov_b32 s0, exec_lo
	s_waitcnt vmcnt(8) lgkmcnt(3)
	v_fma_f32 v121, v88, v121, 0
	s_delay_alu instid0(VALU_DEP_1) | instskip(SKIP_4) | instid1(VALU_DEP_1)
	v_fmac_f32_e32 v121, v89, v122
	ds_load_2addr_b32 v[88:89], v86 offset0:61 offset1:62
	s_waitcnt lgkmcnt(3)
	v_fmac_f32_e32 v121, v90, v123
	s_waitcnt vmcnt(7)
	v_fmac_f32_e32 v121, v91, v124
	ds_load_2addr_b32 v[90:91], v86 offset0:63 offset1:64
	s_waitcnt lgkmcnt(3)
	v_fmac_f32_e32 v121, v92, v125
	s_delay_alu instid0(VALU_DEP_1) | instskip(SKIP_1) | instid1(VALU_DEP_1)
	v_fmac_f32_e32 v121, v93, v126
	s_waitcnt lgkmcnt(2)
	v_fmac_f32_e32 v121, v94, v127
	s_waitcnt vmcnt(6)
	s_delay_alu instid0(VALU_DEP_1) | instskip(SKIP_4) | instid1(VALU_DEP_1)
	v_fmac_f32_e32 v121, v95, v128
	ds_load_2addr_b32 v[92:93], v86 offset0:65 offset1:66
	ds_load_2addr_b32 v[94:95], v86 offset0:67 offset1:68
	s_waitcnt lgkmcnt(3)
	v_fmac_f32_e32 v121, v96, v88
	v_fmac_f32_e32 v121, v97, v89
	ds_load_2addr_b32 v[88:89], v86 offset0:69 offset1:70
	s_waitcnt lgkmcnt(3)
	v_fmac_f32_e32 v121, v98, v90
	s_waitcnt vmcnt(5)
	s_delay_alu instid0(VALU_DEP_1) | instskip(SKIP_3) | instid1(VALU_DEP_1)
	v_fmac_f32_e32 v121, v99, v91
	ds_load_2addr_b32 v[90:91], v86 offset0:71 offset1:72
	s_waitcnt lgkmcnt(3)
	v_fmac_f32_e32 v121, v100, v92
	v_fmac_f32_e32 v121, v101, v93
	s_waitcnt lgkmcnt(2)
	s_delay_alu instid0(VALU_DEP_1) | instskip(SKIP_1) | instid1(VALU_DEP_1)
	v_fmac_f32_e32 v121, v102, v94
	s_waitcnt vmcnt(4)
	v_fmac_f32_e32 v121, v103, v95
	ds_load_2addr_b32 v[92:93], v86 offset0:73 offset1:74
	ds_load_2addr_b32 v[94:95], v86 offset0:75 offset1:76
	s_waitcnt lgkmcnt(3)
	v_fmac_f32_e32 v121, v104, v88
	s_delay_alu instid0(VALU_DEP_1) | instskip(SKIP_4) | instid1(VALU_DEP_1)
	v_fmac_f32_e32 v121, v105, v89
	ds_load_2addr_b32 v[88:89], v86 offset0:77 offset1:78
	s_waitcnt lgkmcnt(3)
	v_fmac_f32_e32 v121, v106, v90
	s_waitcnt vmcnt(3)
	v_fmac_f32_e32 v121, v107, v91
	ds_load_2addr_b32 v[90:91], v86 offset0:79 offset1:80
	s_waitcnt lgkmcnt(3)
	v_fmac_f32_e32 v121, v108, v92
	s_delay_alu instid0(VALU_DEP_1) | instskip(SKIP_1) | instid1(VALU_DEP_1)
	v_fmac_f32_e32 v121, v109, v93
	s_waitcnt lgkmcnt(2)
	v_fmac_f32_e32 v121, v110, v94
	s_waitcnt vmcnt(2)
	s_delay_alu instid0(VALU_DEP_1)
	v_fmac_f32_e32 v121, v111, v95
	ds_load_2addr_b32 v[92:93], v86 offset0:81 offset1:82
	ds_load_2addr_b32 v[94:95], v86 offset0:83 offset1:84
	s_waitcnt lgkmcnt(3)
	v_fmac_f32_e32 v121, v112, v88
	ds_load_b32 v88, v86 offset:340
	v_fmac_f32_e32 v121, v113, v89
	s_waitcnt lgkmcnt(3)
	s_delay_alu instid0(VALU_DEP_1) | instskip(SKIP_1) | instid1(VALU_DEP_1)
	v_fmac_f32_e32 v121, v114, v90
	s_waitcnt vmcnt(1)
	v_fmac_f32_e32 v121, v115, v91
	s_waitcnt lgkmcnt(2)
	s_delay_alu instid0(VALU_DEP_1) | instskip(NEXT) | instid1(VALU_DEP_1)
	v_fmac_f32_e32 v121, v116, v92
	v_fmac_f32_e32 v121, v117, v93
	s_waitcnt lgkmcnt(1)
	s_delay_alu instid0(VALU_DEP_1) | instskip(SKIP_1) | instid1(VALU_DEP_1)
	v_fmac_f32_e32 v121, v118, v94
	s_waitcnt vmcnt(0)
	v_fmac_f32_e32 v121, v119, v95
	s_waitcnt lgkmcnt(0)
	s_delay_alu instid0(VALU_DEP_1) | instskip(NEXT) | instid1(VALU_DEP_1)
	v_fmac_f32_e32 v121, v120, v88
	v_sub_f32_e32 v87, v87, v121
	scratch_store_b32 off, v87, off offset:32
	v_cmpx_lt_u32_e32 7, v0
	s_cbranch_execz .LBB41_245
; %bb.244:
	scratch_load_b32 v87, off, off offset:28
	scratch_store_b32 off, v86, off offset:28
	s_waitcnt vmcnt(0)
	ds_store_b32 v85, v87
.LBB41_245:
	s_or_b32 exec_lo, exec_lo, s0
	s_waitcnt lgkmcnt(0)
	s_waitcnt_vscnt null, 0x0
	s_barrier
	buffer_gl0_inv
	s_clause 0x8
	scratch_load_b128 v[87:90], off, off offset:28
	scratch_load_b128 v[91:94], off, off offset:44
	;; [unrolled: 1-line block ×8, first 2 shown]
	scratch_load_b96 v[127:129], off, off offset:156
	ds_load_b128 v[119:122], v86 offset:208
	ds_load_b128 v[123:126], v86 offset:224
	s_mov_b32 s0, exec_lo
	s_waitcnt vmcnt(8) lgkmcnt(1)
	v_fma_f32 v119, v88, v119, 0
	s_delay_alu instid0(VALU_DEP_1) | instskip(NEXT) | instid1(VALU_DEP_1)
	v_fmac_f32_e32 v119, v89, v120
	v_fmac_f32_e32 v119, v90, v121
	s_waitcnt vmcnt(7)
	s_delay_alu instid0(VALU_DEP_1) | instskip(SKIP_3) | instid1(VALU_DEP_1)
	v_fmac_f32_e32 v119, v91, v122
	ds_load_b128 v[88:91], v86 offset:240
	s_waitcnt lgkmcnt(1)
	v_fmac_f32_e32 v119, v92, v123
	v_fmac_f32_e32 v119, v93, v124
	s_delay_alu instid0(VALU_DEP_1) | instskip(SKIP_1) | instid1(VALU_DEP_1)
	v_fmac_f32_e32 v119, v94, v125
	s_waitcnt vmcnt(6)
	v_fmac_f32_e32 v119, v95, v126
	ds_load_b128 v[92:95], v86 offset:256
	s_waitcnt lgkmcnt(1)
	v_fmac_f32_e32 v119, v96, v88
	s_delay_alu instid0(VALU_DEP_1) | instskip(NEXT) | instid1(VALU_DEP_1)
	v_fmac_f32_e32 v119, v97, v89
	v_fmac_f32_e32 v119, v98, v90
	s_waitcnt vmcnt(5)
	s_delay_alu instid0(VALU_DEP_1) | instskip(SKIP_3) | instid1(VALU_DEP_1)
	v_fmac_f32_e32 v119, v99, v91
	ds_load_b128 v[88:91], v86 offset:272
	s_waitcnt lgkmcnt(1)
	v_fmac_f32_e32 v119, v100, v92
	v_fmac_f32_e32 v119, v101, v93
	s_delay_alu instid0(VALU_DEP_1) | instskip(SKIP_1) | instid1(VALU_DEP_1)
	v_fmac_f32_e32 v119, v102, v94
	s_waitcnt vmcnt(4)
	v_fmac_f32_e32 v119, v103, v95
	ds_load_b128 v[92:95], v86 offset:288
	s_waitcnt lgkmcnt(1)
	v_fmac_f32_e32 v119, v104, v88
	s_delay_alu instid0(VALU_DEP_1) | instskip(NEXT) | instid1(VALU_DEP_1)
	v_fmac_f32_e32 v119, v105, v89
	v_fmac_f32_e32 v119, v106, v90
	s_waitcnt vmcnt(3)
	s_delay_alu instid0(VALU_DEP_1) | instskip(SKIP_3) | instid1(VALU_DEP_1)
	v_fmac_f32_e32 v119, v107, v91
	ds_load_b128 v[88:91], v86 offset:304
	s_waitcnt lgkmcnt(1)
	v_fmac_f32_e32 v119, v108, v92
	v_fmac_f32_e32 v119, v109, v93
	s_delay_alu instid0(VALU_DEP_1) | instskip(SKIP_1) | instid1(VALU_DEP_1)
	v_fmac_f32_e32 v119, v110, v94
	s_waitcnt vmcnt(2)
	v_fmac_f32_e32 v119, v111, v95
	ds_load_b128 v[92:95], v86 offset:320
	s_waitcnt lgkmcnt(1)
	v_fmac_f32_e32 v119, v112, v88
	s_delay_alu instid0(VALU_DEP_1) | instskip(SKIP_3) | instid1(VALU_DEP_1)
	v_fmac_f32_e32 v119, v113, v89
	ds_load_b64 v[88:89], v86 offset:336
	v_fmac_f32_e32 v119, v114, v90
	s_waitcnt vmcnt(1)
	v_fmac_f32_e32 v119, v115, v91
	s_waitcnt lgkmcnt(1)
	s_delay_alu instid0(VALU_DEP_1) | instskip(NEXT) | instid1(VALU_DEP_1)
	v_fmac_f32_e32 v119, v116, v92
	v_fmac_f32_e32 v119, v117, v93
	s_delay_alu instid0(VALU_DEP_1) | instskip(SKIP_1) | instid1(VALU_DEP_1)
	v_fmac_f32_e32 v119, v118, v94
	s_waitcnt vmcnt(0)
	v_fmac_f32_e32 v119, v127, v95
	s_waitcnt lgkmcnt(0)
	s_delay_alu instid0(VALU_DEP_1) | instskip(NEXT) | instid1(VALU_DEP_1)
	v_fmac_f32_e32 v119, v128, v88
	v_fmac_f32_e32 v119, v129, v89
	s_delay_alu instid0(VALU_DEP_1)
	v_sub_f32_e32 v86, v87, v119
	scratch_store_b32 off, v86, off offset:28
	v_cmpx_lt_u32_e32 6, v0
	s_cbranch_execz .LBB41_247
; %bb.246:
	scratch_load_b32 v86, off, off offset:24
	v_mov_b32_e32 v87, 0
	scratch_store_b32 off, v87, off offset:24
	s_waitcnt vmcnt(0)
	ds_store_b32 v85, v86
.LBB41_247:
	s_or_b32 exec_lo, exec_lo, s0
	s_waitcnt lgkmcnt(0)
	s_waitcnt_vscnt null, 0x0
	s_barrier
	buffer_gl0_inv
	s_clause 0x8
	scratch_load_b128 v[87:90], off, off offset:24
	scratch_load_b128 v[91:94], off, off offset:40
	;; [unrolled: 1-line block ×9, first 2 shown]
	v_mov_b32_e32 v86, 0
	ds_load_2addr_b32 v[123:124], v86 offset0:51 offset1:52
	ds_load_2addr_b32 v[125:126], v86 offset0:53 offset1:54
	;; [unrolled: 1-line block ×4, first 2 shown]
	s_mov_b32 s0, exec_lo
	s_waitcnt vmcnt(8) lgkmcnt(3)
	v_fma_f32 v123, v88, v123, 0
	s_delay_alu instid0(VALU_DEP_1) | instskip(SKIP_4) | instid1(VALU_DEP_1)
	v_fmac_f32_e32 v123, v89, v124
	ds_load_2addr_b32 v[88:89], v86 offset0:59 offset1:60
	s_waitcnt lgkmcnt(3)
	v_fmac_f32_e32 v123, v90, v125
	s_waitcnt vmcnt(7)
	v_fmac_f32_e32 v123, v91, v126
	ds_load_2addr_b32 v[90:91], v86 offset0:61 offset1:62
	s_waitcnt lgkmcnt(3)
	v_fmac_f32_e32 v123, v92, v127
	s_delay_alu instid0(VALU_DEP_1) | instskip(SKIP_1) | instid1(VALU_DEP_1)
	v_fmac_f32_e32 v123, v93, v128
	s_waitcnt lgkmcnt(2)
	v_fmac_f32_e32 v123, v94, v129
	s_waitcnt vmcnt(6)
	s_delay_alu instid0(VALU_DEP_1) | instskip(SKIP_4) | instid1(VALU_DEP_1)
	v_fmac_f32_e32 v123, v95, v130
	ds_load_2addr_b32 v[92:93], v86 offset0:63 offset1:64
	ds_load_2addr_b32 v[94:95], v86 offset0:65 offset1:66
	s_waitcnt lgkmcnt(3)
	v_fmac_f32_e32 v123, v96, v88
	v_fmac_f32_e32 v123, v97, v89
	ds_load_2addr_b32 v[88:89], v86 offset0:67 offset1:68
	s_waitcnt lgkmcnt(3)
	v_fmac_f32_e32 v123, v98, v90
	s_waitcnt vmcnt(5)
	s_delay_alu instid0(VALU_DEP_1) | instskip(SKIP_3) | instid1(VALU_DEP_1)
	v_fmac_f32_e32 v123, v99, v91
	ds_load_2addr_b32 v[90:91], v86 offset0:69 offset1:70
	s_waitcnt lgkmcnt(3)
	v_fmac_f32_e32 v123, v100, v92
	v_fmac_f32_e32 v123, v101, v93
	s_waitcnt lgkmcnt(2)
	s_delay_alu instid0(VALU_DEP_1) | instskip(SKIP_1) | instid1(VALU_DEP_1)
	v_fmac_f32_e32 v123, v102, v94
	s_waitcnt vmcnt(4)
	v_fmac_f32_e32 v123, v103, v95
	ds_load_2addr_b32 v[92:93], v86 offset0:71 offset1:72
	ds_load_2addr_b32 v[94:95], v86 offset0:73 offset1:74
	s_waitcnt lgkmcnt(3)
	v_fmac_f32_e32 v123, v104, v88
	s_delay_alu instid0(VALU_DEP_1) | instskip(SKIP_4) | instid1(VALU_DEP_1)
	v_fmac_f32_e32 v123, v105, v89
	ds_load_2addr_b32 v[88:89], v86 offset0:75 offset1:76
	s_waitcnt lgkmcnt(3)
	v_fmac_f32_e32 v123, v106, v90
	s_waitcnt vmcnt(3)
	v_fmac_f32_e32 v123, v107, v91
	ds_load_2addr_b32 v[90:91], v86 offset0:77 offset1:78
	s_waitcnt lgkmcnt(3)
	v_fmac_f32_e32 v123, v108, v92
	s_delay_alu instid0(VALU_DEP_1) | instskip(SKIP_1) | instid1(VALU_DEP_1)
	v_fmac_f32_e32 v123, v109, v93
	s_waitcnt lgkmcnt(2)
	v_fmac_f32_e32 v123, v110, v94
	s_waitcnt vmcnt(2)
	s_delay_alu instid0(VALU_DEP_1) | instskip(SKIP_4) | instid1(VALU_DEP_1)
	v_fmac_f32_e32 v123, v111, v95
	ds_load_2addr_b32 v[92:93], v86 offset0:79 offset1:80
	ds_load_2addr_b32 v[94:95], v86 offset0:81 offset1:82
	s_waitcnt lgkmcnt(3)
	v_fmac_f32_e32 v123, v112, v88
	v_fmac_f32_e32 v123, v113, v89
	ds_load_2addr_b32 v[88:89], v86 offset0:83 offset1:84
	s_waitcnt lgkmcnt(3)
	v_fmac_f32_e32 v123, v114, v90
	ds_load_b32 v90, v86 offset:340
	s_waitcnt vmcnt(1)
	v_fmac_f32_e32 v123, v115, v91
	s_waitcnt lgkmcnt(3)
	s_delay_alu instid0(VALU_DEP_1) | instskip(NEXT) | instid1(VALU_DEP_1)
	v_fmac_f32_e32 v123, v116, v92
	v_fmac_f32_e32 v123, v117, v93
	s_waitcnt lgkmcnt(2)
	s_delay_alu instid0(VALU_DEP_1) | instskip(SKIP_1) | instid1(VALU_DEP_1)
	v_fmac_f32_e32 v123, v118, v94
	s_waitcnt vmcnt(0)
	v_fmac_f32_e32 v123, v119, v95
	s_waitcnt lgkmcnt(1)
	s_delay_alu instid0(VALU_DEP_1) | instskip(NEXT) | instid1(VALU_DEP_1)
	v_fmac_f32_e32 v123, v120, v88
	v_fmac_f32_e32 v123, v121, v89
	s_waitcnt lgkmcnt(0)
	s_delay_alu instid0(VALU_DEP_1) | instskip(NEXT) | instid1(VALU_DEP_1)
	v_fmac_f32_e32 v123, v122, v90
	v_sub_f32_e32 v87, v87, v123
	scratch_store_b32 off, v87, off offset:24
	v_cmpx_lt_u32_e32 5, v0
	s_cbranch_execz .LBB41_249
; %bb.248:
	scratch_load_b32 v87, off, off offset:20
	scratch_store_b32 off, v86, off offset:20
	s_waitcnt vmcnt(0)
	ds_store_b32 v85, v87
.LBB41_249:
	s_or_b32 exec_lo, exec_lo, s0
	s_waitcnt lgkmcnt(0)
	s_waitcnt_vscnt null, 0x0
	s_barrier
	buffer_gl0_inv
	s_clause 0x9
	scratch_load_b128 v[87:90], off, off offset:20
	scratch_load_b128 v[91:94], off, off offset:36
	;; [unrolled: 1-line block ×9, first 2 shown]
	scratch_load_b32 v131, off, off offset:164
	ds_load_2addr_b64 v[123:126], v86 offset0:25 offset1:26
	ds_load_2addr_b64 v[127:130], v86 offset0:27 offset1:28
	s_mov_b32 s0, exec_lo
	s_waitcnt vmcnt(9) lgkmcnt(1)
	v_fma_f32 v123, v88, v123, 0
	s_delay_alu instid0(VALU_DEP_1) | instskip(NEXT) | instid1(VALU_DEP_1)
	v_fmac_f32_e32 v123, v89, v124
	v_fmac_f32_e32 v123, v90, v125
	s_waitcnt vmcnt(8)
	s_delay_alu instid0(VALU_DEP_1) | instskip(SKIP_3) | instid1(VALU_DEP_1)
	v_fmac_f32_e32 v123, v91, v126
	ds_load_2addr_b64 v[88:91], v86 offset0:29 offset1:30
	s_waitcnt lgkmcnt(1)
	v_fmac_f32_e32 v123, v92, v127
	v_fmac_f32_e32 v123, v93, v128
	s_delay_alu instid0(VALU_DEP_1) | instskip(SKIP_1) | instid1(VALU_DEP_1)
	v_fmac_f32_e32 v123, v94, v129
	s_waitcnt vmcnt(7)
	v_fmac_f32_e32 v123, v95, v130
	ds_load_2addr_b64 v[92:95], v86 offset0:31 offset1:32
	s_waitcnt lgkmcnt(1)
	v_fmac_f32_e32 v123, v96, v88
	s_delay_alu instid0(VALU_DEP_1) | instskip(NEXT) | instid1(VALU_DEP_1)
	v_fmac_f32_e32 v123, v97, v89
	v_fmac_f32_e32 v123, v98, v90
	s_waitcnt vmcnt(6)
	s_delay_alu instid0(VALU_DEP_1) | instskip(SKIP_3) | instid1(VALU_DEP_1)
	v_fmac_f32_e32 v123, v99, v91
	ds_load_2addr_b64 v[88:91], v86 offset0:33 offset1:34
	s_waitcnt lgkmcnt(1)
	v_fmac_f32_e32 v123, v100, v92
	v_fmac_f32_e32 v123, v101, v93
	s_delay_alu instid0(VALU_DEP_1) | instskip(SKIP_1) | instid1(VALU_DEP_1)
	v_fmac_f32_e32 v123, v102, v94
	s_waitcnt vmcnt(5)
	v_fmac_f32_e32 v123, v103, v95
	ds_load_2addr_b64 v[92:95], v86 offset0:35 offset1:36
	s_waitcnt lgkmcnt(1)
	v_fmac_f32_e32 v123, v104, v88
	;; [unrolled: 17-line block ×3, first 2 shown]
	s_delay_alu instid0(VALU_DEP_1) | instskip(NEXT) | instid1(VALU_DEP_1)
	v_fmac_f32_e32 v123, v113, v89
	v_fmac_f32_e32 v123, v114, v90
	s_waitcnt vmcnt(2)
	s_delay_alu instid0(VALU_DEP_1) | instskip(SKIP_3) | instid1(VALU_DEP_1)
	v_fmac_f32_e32 v123, v115, v91
	ds_load_2addr_b64 v[88:91], v86 offset0:41 offset1:42
	s_waitcnt lgkmcnt(1)
	v_fmac_f32_e32 v123, v116, v92
	v_fmac_f32_e32 v123, v117, v93
	s_delay_alu instid0(VALU_DEP_1) | instskip(SKIP_1) | instid1(VALU_DEP_1)
	v_fmac_f32_e32 v123, v118, v94
	s_waitcnt vmcnt(1)
	v_fmac_f32_e32 v123, v119, v95
	s_waitcnt lgkmcnt(0)
	s_delay_alu instid0(VALU_DEP_1) | instskip(NEXT) | instid1(VALU_DEP_1)
	v_fmac_f32_e32 v123, v120, v88
	v_fmac_f32_e32 v123, v121, v89
	s_delay_alu instid0(VALU_DEP_1) | instskip(SKIP_1) | instid1(VALU_DEP_1)
	v_fmac_f32_e32 v123, v122, v90
	s_waitcnt vmcnt(0)
	v_fmac_f32_e32 v123, v131, v91
	s_delay_alu instid0(VALU_DEP_1)
	v_sub_f32_e32 v86, v87, v123
	scratch_store_b32 off, v86, off offset:20
	v_cmpx_lt_u32_e32 4, v0
	s_cbranch_execz .LBB41_251
; %bb.250:
	scratch_load_b32 v86, off, off offset:16
	v_mov_b32_e32 v87, 0
	scratch_store_b32 off, v87, off offset:16
	s_waitcnt vmcnt(0)
	ds_store_b32 v85, v86
.LBB41_251:
	s_or_b32 exec_lo, exec_lo, s0
	s_waitcnt lgkmcnt(0)
	s_waitcnt_vscnt null, 0x0
	s_barrier
	buffer_gl0_inv
	s_clause 0x9
	scratch_load_b128 v[87:90], off, off offset:16
	scratch_load_b128 v[91:94], off, off offset:32
	;; [unrolled: 1-line block ×9, first 2 shown]
	scratch_load_b64 v[123:124], off, off offset:160
	v_mov_b32_e32 v86, 0
	ds_load_2addr_b32 v[125:126], v86 offset0:49 offset1:50
	ds_load_2addr_b32 v[127:128], v86 offset0:51 offset1:52
	;; [unrolled: 1-line block ×4, first 2 shown]
	s_mov_b32 s0, exec_lo
	s_waitcnt vmcnt(9) lgkmcnt(3)
	v_fma_f32 v125, v88, v125, 0
	s_delay_alu instid0(VALU_DEP_1) | instskip(SKIP_4) | instid1(VALU_DEP_1)
	v_fmac_f32_e32 v125, v89, v126
	ds_load_2addr_b32 v[88:89], v86 offset0:57 offset1:58
	s_waitcnt lgkmcnt(3)
	v_fmac_f32_e32 v125, v90, v127
	s_waitcnt vmcnt(8)
	v_fmac_f32_e32 v125, v91, v128
	ds_load_2addr_b32 v[90:91], v86 offset0:59 offset1:60
	s_waitcnt lgkmcnt(3)
	v_fmac_f32_e32 v125, v92, v129
	s_delay_alu instid0(VALU_DEP_1) | instskip(SKIP_1) | instid1(VALU_DEP_1)
	v_fmac_f32_e32 v125, v93, v130
	s_waitcnt lgkmcnt(2)
	v_fmac_f32_e32 v125, v94, v131
	s_waitcnt vmcnt(7)
	s_delay_alu instid0(VALU_DEP_1) | instskip(SKIP_4) | instid1(VALU_DEP_1)
	v_fmac_f32_e32 v125, v95, v132
	ds_load_2addr_b32 v[92:93], v86 offset0:61 offset1:62
	ds_load_2addr_b32 v[94:95], v86 offset0:63 offset1:64
	s_waitcnt lgkmcnt(3)
	v_fmac_f32_e32 v125, v96, v88
	v_fmac_f32_e32 v125, v97, v89
	ds_load_2addr_b32 v[88:89], v86 offset0:65 offset1:66
	s_waitcnt lgkmcnt(3)
	v_fmac_f32_e32 v125, v98, v90
	s_waitcnt vmcnt(6)
	s_delay_alu instid0(VALU_DEP_1) | instskip(SKIP_3) | instid1(VALU_DEP_1)
	v_fmac_f32_e32 v125, v99, v91
	ds_load_2addr_b32 v[90:91], v86 offset0:67 offset1:68
	s_waitcnt lgkmcnt(3)
	v_fmac_f32_e32 v125, v100, v92
	v_fmac_f32_e32 v125, v101, v93
	s_waitcnt lgkmcnt(2)
	s_delay_alu instid0(VALU_DEP_1) | instskip(SKIP_1) | instid1(VALU_DEP_1)
	v_fmac_f32_e32 v125, v102, v94
	s_waitcnt vmcnt(5)
	v_fmac_f32_e32 v125, v103, v95
	ds_load_2addr_b32 v[92:93], v86 offset0:69 offset1:70
	ds_load_2addr_b32 v[94:95], v86 offset0:71 offset1:72
	s_waitcnt lgkmcnt(3)
	v_fmac_f32_e32 v125, v104, v88
	s_delay_alu instid0(VALU_DEP_1) | instskip(SKIP_4) | instid1(VALU_DEP_1)
	v_fmac_f32_e32 v125, v105, v89
	ds_load_2addr_b32 v[88:89], v86 offset0:73 offset1:74
	s_waitcnt lgkmcnt(3)
	v_fmac_f32_e32 v125, v106, v90
	s_waitcnt vmcnt(4)
	v_fmac_f32_e32 v125, v107, v91
	ds_load_2addr_b32 v[90:91], v86 offset0:75 offset1:76
	s_waitcnt lgkmcnt(3)
	v_fmac_f32_e32 v125, v108, v92
	s_delay_alu instid0(VALU_DEP_1) | instskip(SKIP_1) | instid1(VALU_DEP_1)
	v_fmac_f32_e32 v125, v109, v93
	s_waitcnt lgkmcnt(2)
	v_fmac_f32_e32 v125, v110, v94
	s_waitcnt vmcnt(3)
	s_delay_alu instid0(VALU_DEP_1) | instskip(SKIP_4) | instid1(VALU_DEP_1)
	v_fmac_f32_e32 v125, v111, v95
	ds_load_2addr_b32 v[92:93], v86 offset0:77 offset1:78
	ds_load_2addr_b32 v[94:95], v86 offset0:79 offset1:80
	s_waitcnt lgkmcnt(3)
	v_fmac_f32_e32 v125, v112, v88
	v_fmac_f32_e32 v125, v113, v89
	ds_load_2addr_b32 v[88:89], v86 offset0:81 offset1:82
	s_waitcnt lgkmcnt(3)
	v_fmac_f32_e32 v125, v114, v90
	s_waitcnt vmcnt(2)
	s_delay_alu instid0(VALU_DEP_1)
	v_fmac_f32_e32 v125, v115, v91
	ds_load_2addr_b32 v[90:91], v86 offset0:83 offset1:84
	s_waitcnt lgkmcnt(3)
	v_fmac_f32_e32 v125, v116, v92
	ds_load_b32 v92, v86 offset:340
	v_fmac_f32_e32 v125, v117, v93
	s_waitcnt lgkmcnt(3)
	s_delay_alu instid0(VALU_DEP_1) | instskip(SKIP_1) | instid1(VALU_DEP_1)
	v_fmac_f32_e32 v125, v118, v94
	s_waitcnt vmcnt(1)
	v_fmac_f32_e32 v125, v119, v95
	s_waitcnt lgkmcnt(2)
	s_delay_alu instid0(VALU_DEP_1) | instskip(NEXT) | instid1(VALU_DEP_1)
	v_fmac_f32_e32 v125, v120, v88
	v_fmac_f32_e32 v125, v121, v89
	s_waitcnt lgkmcnt(1)
	s_delay_alu instid0(VALU_DEP_1) | instskip(SKIP_1) | instid1(VALU_DEP_1)
	v_fmac_f32_e32 v125, v122, v90
	s_waitcnt vmcnt(0)
	v_fmac_f32_e32 v125, v123, v91
	s_waitcnt lgkmcnt(0)
	s_delay_alu instid0(VALU_DEP_1) | instskip(NEXT) | instid1(VALU_DEP_1)
	v_fmac_f32_e32 v125, v124, v92
	v_sub_f32_e32 v87, v87, v125
	scratch_store_b32 off, v87, off offset:16
	v_cmpx_lt_u32_e32 3, v0
	s_cbranch_execz .LBB41_253
; %bb.252:
	scratch_load_b32 v87, off, off offset:12
	scratch_store_b32 off, v86, off offset:12
	s_waitcnt vmcnt(0)
	ds_store_b32 v85, v87
.LBB41_253:
	s_or_b32 exec_lo, exec_lo, s0
	s_waitcnt lgkmcnt(0)
	s_waitcnt_vscnt null, 0x0
	s_barrier
	buffer_gl0_inv
	s_clause 0x9
	scratch_load_b128 v[87:90], off, off offset:12
	scratch_load_b128 v[91:94], off, off offset:28
	;; [unrolled: 1-line block ×9, first 2 shown]
	scratch_load_b96 v[131:133], off, off offset:156
	ds_load_b128 v[123:126], v86 offset:192
	ds_load_b128 v[127:130], v86 offset:208
	s_mov_b32 s0, exec_lo
	s_waitcnt vmcnt(9) lgkmcnt(1)
	v_fma_f32 v123, v88, v123, 0
	s_delay_alu instid0(VALU_DEP_1) | instskip(NEXT) | instid1(VALU_DEP_1)
	v_fmac_f32_e32 v123, v89, v124
	v_fmac_f32_e32 v123, v90, v125
	s_waitcnt vmcnt(8)
	s_delay_alu instid0(VALU_DEP_1) | instskip(SKIP_3) | instid1(VALU_DEP_1)
	v_fmac_f32_e32 v123, v91, v126
	ds_load_b128 v[88:91], v86 offset:224
	s_waitcnt lgkmcnt(1)
	v_fmac_f32_e32 v123, v92, v127
	v_fmac_f32_e32 v123, v93, v128
	s_delay_alu instid0(VALU_DEP_1) | instskip(SKIP_1) | instid1(VALU_DEP_1)
	v_fmac_f32_e32 v123, v94, v129
	s_waitcnt vmcnt(7)
	v_fmac_f32_e32 v123, v95, v130
	ds_load_b128 v[92:95], v86 offset:240
	s_waitcnt lgkmcnt(1)
	v_fmac_f32_e32 v123, v96, v88
	s_delay_alu instid0(VALU_DEP_1) | instskip(NEXT) | instid1(VALU_DEP_1)
	v_fmac_f32_e32 v123, v97, v89
	v_fmac_f32_e32 v123, v98, v90
	s_waitcnt vmcnt(6)
	s_delay_alu instid0(VALU_DEP_1) | instskip(SKIP_3) | instid1(VALU_DEP_1)
	v_fmac_f32_e32 v123, v99, v91
	ds_load_b128 v[88:91], v86 offset:256
	s_waitcnt lgkmcnt(1)
	v_fmac_f32_e32 v123, v100, v92
	v_fmac_f32_e32 v123, v101, v93
	s_delay_alu instid0(VALU_DEP_1) | instskip(SKIP_1) | instid1(VALU_DEP_1)
	v_fmac_f32_e32 v123, v102, v94
	s_waitcnt vmcnt(5)
	v_fmac_f32_e32 v123, v103, v95
	ds_load_b128 v[92:95], v86 offset:272
	s_waitcnt lgkmcnt(1)
	v_fmac_f32_e32 v123, v104, v88
	;; [unrolled: 17-line block ×3, first 2 shown]
	s_delay_alu instid0(VALU_DEP_1) | instskip(NEXT) | instid1(VALU_DEP_1)
	v_fmac_f32_e32 v123, v113, v89
	v_fmac_f32_e32 v123, v114, v90
	s_waitcnt vmcnt(2)
	s_delay_alu instid0(VALU_DEP_1) | instskip(SKIP_3) | instid1(VALU_DEP_1)
	v_fmac_f32_e32 v123, v115, v91
	ds_load_b128 v[88:91], v86 offset:320
	s_waitcnt lgkmcnt(1)
	v_fmac_f32_e32 v123, v116, v92
	v_fmac_f32_e32 v123, v117, v93
	ds_load_b64 v[92:93], v86 offset:336
	v_fmac_f32_e32 v123, v118, v94
	s_waitcnt vmcnt(1)
	s_delay_alu instid0(VALU_DEP_1) | instskip(SKIP_1) | instid1(VALU_DEP_1)
	v_fmac_f32_e32 v123, v119, v95
	s_waitcnt lgkmcnt(1)
	v_fmac_f32_e32 v123, v120, v88
	s_delay_alu instid0(VALU_DEP_1) | instskip(NEXT) | instid1(VALU_DEP_1)
	v_fmac_f32_e32 v123, v121, v89
	v_fmac_f32_e32 v123, v122, v90
	s_waitcnt vmcnt(0)
	s_delay_alu instid0(VALU_DEP_1) | instskip(SKIP_1) | instid1(VALU_DEP_1)
	v_fmac_f32_e32 v123, v131, v91
	s_waitcnt lgkmcnt(0)
	v_fmac_f32_e32 v123, v132, v92
	s_delay_alu instid0(VALU_DEP_1) | instskip(NEXT) | instid1(VALU_DEP_1)
	v_fmac_f32_e32 v123, v133, v93
	v_sub_f32_e32 v86, v87, v123
	scratch_store_b32 off, v86, off offset:12
	v_cmpx_lt_u32_e32 2, v0
	s_cbranch_execz .LBB41_255
; %bb.254:
	scratch_load_b32 v86, off, off offset:8
	v_mov_b32_e32 v87, 0
	scratch_store_b32 off, v87, off offset:8
	s_waitcnt vmcnt(0)
	ds_store_b32 v85, v86
.LBB41_255:
	s_or_b32 exec_lo, exec_lo, s0
	s_waitcnt lgkmcnt(0)
	s_waitcnt_vscnt null, 0x0
	s_barrier
	buffer_gl0_inv
	s_clause 0x9
	scratch_load_b128 v[87:90], off, off offset:8
	scratch_load_b128 v[91:94], off, off offset:24
	;; [unrolled: 1-line block ×10, first 2 shown]
	v_mov_b32_e32 v86, 0
	ds_load_2addr_b32 v[127:128], v86 offset0:47 offset1:48
	ds_load_2addr_b32 v[129:130], v86 offset0:49 offset1:50
	;; [unrolled: 1-line block ×4, first 2 shown]
	s_mov_b32 s0, exec_lo
	s_waitcnt vmcnt(9) lgkmcnt(3)
	v_fma_f32 v127, v88, v127, 0
	s_delay_alu instid0(VALU_DEP_1) | instskip(SKIP_4) | instid1(VALU_DEP_1)
	v_fmac_f32_e32 v127, v89, v128
	ds_load_2addr_b32 v[88:89], v86 offset0:55 offset1:56
	s_waitcnt lgkmcnt(3)
	v_fmac_f32_e32 v127, v90, v129
	s_waitcnt vmcnt(8)
	v_fmac_f32_e32 v127, v91, v130
	ds_load_2addr_b32 v[90:91], v86 offset0:57 offset1:58
	s_waitcnt lgkmcnt(3)
	v_fmac_f32_e32 v127, v92, v131
	s_delay_alu instid0(VALU_DEP_1) | instskip(SKIP_1) | instid1(VALU_DEP_1)
	v_fmac_f32_e32 v127, v93, v132
	s_waitcnt lgkmcnt(2)
	v_fmac_f32_e32 v127, v94, v133
	s_waitcnt vmcnt(7)
	s_delay_alu instid0(VALU_DEP_1) | instskip(SKIP_4) | instid1(VALU_DEP_1)
	v_fmac_f32_e32 v127, v95, v134
	ds_load_2addr_b32 v[92:93], v86 offset0:59 offset1:60
	ds_load_2addr_b32 v[94:95], v86 offset0:61 offset1:62
	s_waitcnt lgkmcnt(3)
	v_fmac_f32_e32 v127, v96, v88
	v_fmac_f32_e32 v127, v97, v89
	ds_load_2addr_b32 v[88:89], v86 offset0:63 offset1:64
	s_waitcnt lgkmcnt(3)
	v_fmac_f32_e32 v127, v98, v90
	s_waitcnt vmcnt(6)
	s_delay_alu instid0(VALU_DEP_1) | instskip(SKIP_3) | instid1(VALU_DEP_1)
	v_fmac_f32_e32 v127, v99, v91
	ds_load_2addr_b32 v[90:91], v86 offset0:65 offset1:66
	s_waitcnt lgkmcnt(3)
	v_fmac_f32_e32 v127, v100, v92
	v_fmac_f32_e32 v127, v101, v93
	s_waitcnt lgkmcnt(2)
	s_delay_alu instid0(VALU_DEP_1) | instskip(SKIP_1) | instid1(VALU_DEP_1)
	v_fmac_f32_e32 v127, v102, v94
	s_waitcnt vmcnt(5)
	v_fmac_f32_e32 v127, v103, v95
	ds_load_2addr_b32 v[92:93], v86 offset0:67 offset1:68
	ds_load_2addr_b32 v[94:95], v86 offset0:69 offset1:70
	s_waitcnt lgkmcnt(3)
	v_fmac_f32_e32 v127, v104, v88
	s_delay_alu instid0(VALU_DEP_1) | instskip(SKIP_4) | instid1(VALU_DEP_1)
	v_fmac_f32_e32 v127, v105, v89
	ds_load_2addr_b32 v[88:89], v86 offset0:71 offset1:72
	s_waitcnt lgkmcnt(3)
	v_fmac_f32_e32 v127, v106, v90
	s_waitcnt vmcnt(4)
	v_fmac_f32_e32 v127, v107, v91
	ds_load_2addr_b32 v[90:91], v86 offset0:73 offset1:74
	s_waitcnt lgkmcnt(3)
	v_fmac_f32_e32 v127, v108, v92
	s_delay_alu instid0(VALU_DEP_1) | instskip(SKIP_1) | instid1(VALU_DEP_1)
	v_fmac_f32_e32 v127, v109, v93
	s_waitcnt lgkmcnt(2)
	v_fmac_f32_e32 v127, v110, v94
	s_waitcnt vmcnt(3)
	s_delay_alu instid0(VALU_DEP_1) | instskip(SKIP_4) | instid1(VALU_DEP_1)
	v_fmac_f32_e32 v127, v111, v95
	ds_load_2addr_b32 v[92:93], v86 offset0:75 offset1:76
	ds_load_2addr_b32 v[94:95], v86 offset0:77 offset1:78
	s_waitcnt lgkmcnt(3)
	v_fmac_f32_e32 v127, v112, v88
	v_fmac_f32_e32 v127, v113, v89
	ds_load_2addr_b32 v[88:89], v86 offset0:79 offset1:80
	s_waitcnt lgkmcnt(3)
	v_fmac_f32_e32 v127, v114, v90
	s_waitcnt vmcnt(2)
	s_delay_alu instid0(VALU_DEP_1) | instskip(SKIP_3) | instid1(VALU_DEP_1)
	v_fmac_f32_e32 v127, v115, v91
	ds_load_2addr_b32 v[90:91], v86 offset0:81 offset1:82
	s_waitcnt lgkmcnt(3)
	v_fmac_f32_e32 v127, v116, v92
	v_fmac_f32_e32 v127, v117, v93
	s_waitcnt lgkmcnt(2)
	s_delay_alu instid0(VALU_DEP_1)
	v_fmac_f32_e32 v127, v118, v94
	ds_load_2addr_b32 v[92:93], v86 offset0:83 offset1:84
	ds_load_b32 v94, v86 offset:340
	s_waitcnt vmcnt(1)
	v_fmac_f32_e32 v127, v119, v95
	s_waitcnt lgkmcnt(3)
	s_delay_alu instid0(VALU_DEP_1) | instskip(NEXT) | instid1(VALU_DEP_1)
	v_fmac_f32_e32 v127, v120, v88
	v_fmac_f32_e32 v127, v121, v89
	s_waitcnt lgkmcnt(2)
	s_delay_alu instid0(VALU_DEP_1) | instskip(SKIP_1) | instid1(VALU_DEP_1)
	v_fmac_f32_e32 v127, v122, v90
	s_waitcnt vmcnt(0)
	v_fmac_f32_e32 v127, v123, v91
	s_waitcnt lgkmcnt(1)
	s_delay_alu instid0(VALU_DEP_1) | instskip(NEXT) | instid1(VALU_DEP_1)
	v_fmac_f32_e32 v127, v124, v92
	v_fmac_f32_e32 v127, v125, v93
	s_waitcnt lgkmcnt(0)
	s_delay_alu instid0(VALU_DEP_1) | instskip(NEXT) | instid1(VALU_DEP_1)
	v_fmac_f32_e32 v127, v126, v94
	v_sub_f32_e32 v87, v87, v127
	scratch_store_b32 off, v87, off offset:8
	v_cmpx_lt_u32_e32 1, v0
	s_cbranch_execz .LBB41_257
; %bb.256:
	scratch_load_b32 v87, off, off offset:4
	scratch_store_b32 off, v86, off offset:4
	s_waitcnt vmcnt(0)
	ds_store_b32 v85, v87
.LBB41_257:
	s_or_b32 exec_lo, exec_lo, s0
	s_waitcnt lgkmcnt(0)
	s_waitcnt_vscnt null, 0x0
	s_barrier
	buffer_gl0_inv
	s_clause 0xa
	scratch_load_b128 v[87:90], off, off offset:4
	scratch_load_b128 v[91:94], off, off offset:20
	;; [unrolled: 1-line block ×10, first 2 shown]
	scratch_load_b32 v135, off, off offset:164
	ds_load_2addr_b64 v[127:130], v86 offset0:23 offset1:24
	ds_load_2addr_b64 v[131:134], v86 offset0:25 offset1:26
	s_mov_b32 s0, exec_lo
	s_waitcnt vmcnt(10) lgkmcnt(1)
	v_fma_f32 v127, v88, v127, 0
	s_delay_alu instid0(VALU_DEP_1) | instskip(NEXT) | instid1(VALU_DEP_1)
	v_fmac_f32_e32 v127, v89, v128
	v_fmac_f32_e32 v127, v90, v129
	s_waitcnt vmcnt(9)
	s_delay_alu instid0(VALU_DEP_1) | instskip(SKIP_3) | instid1(VALU_DEP_1)
	v_fmac_f32_e32 v127, v91, v130
	ds_load_2addr_b64 v[88:91], v86 offset0:27 offset1:28
	s_waitcnt lgkmcnt(1)
	v_fmac_f32_e32 v127, v92, v131
	v_fmac_f32_e32 v127, v93, v132
	s_delay_alu instid0(VALU_DEP_1) | instskip(SKIP_1) | instid1(VALU_DEP_1)
	v_fmac_f32_e32 v127, v94, v133
	s_waitcnt vmcnt(8)
	v_fmac_f32_e32 v127, v95, v134
	ds_load_2addr_b64 v[92:95], v86 offset0:29 offset1:30
	s_waitcnt lgkmcnt(1)
	v_fmac_f32_e32 v127, v96, v88
	s_delay_alu instid0(VALU_DEP_1) | instskip(NEXT) | instid1(VALU_DEP_1)
	v_fmac_f32_e32 v127, v97, v89
	v_fmac_f32_e32 v127, v98, v90
	s_waitcnt vmcnt(7)
	s_delay_alu instid0(VALU_DEP_1) | instskip(SKIP_3) | instid1(VALU_DEP_1)
	v_fmac_f32_e32 v127, v99, v91
	ds_load_2addr_b64 v[88:91], v86 offset0:31 offset1:32
	s_waitcnt lgkmcnt(1)
	v_fmac_f32_e32 v127, v100, v92
	v_fmac_f32_e32 v127, v101, v93
	s_delay_alu instid0(VALU_DEP_1) | instskip(SKIP_1) | instid1(VALU_DEP_1)
	v_fmac_f32_e32 v127, v102, v94
	s_waitcnt vmcnt(6)
	v_fmac_f32_e32 v127, v103, v95
	ds_load_2addr_b64 v[92:95], v86 offset0:33 offset1:34
	s_waitcnt lgkmcnt(1)
	v_fmac_f32_e32 v127, v104, v88
	;; [unrolled: 17-line block ×4, first 2 shown]
	s_delay_alu instid0(VALU_DEP_1) | instskip(NEXT) | instid1(VALU_DEP_1)
	v_fmac_f32_e32 v127, v121, v89
	v_fmac_f32_e32 v127, v122, v90
	s_waitcnt vmcnt(1)
	s_delay_alu instid0(VALU_DEP_1) | instskip(SKIP_1) | instid1(VALU_DEP_1)
	v_fmac_f32_e32 v127, v123, v91
	s_waitcnt lgkmcnt(0)
	v_fmac_f32_e32 v127, v124, v92
	s_delay_alu instid0(VALU_DEP_1) | instskip(NEXT) | instid1(VALU_DEP_1)
	v_fmac_f32_e32 v127, v125, v93
	v_fmac_f32_e32 v127, v126, v94
	s_waitcnt vmcnt(0)
	s_delay_alu instid0(VALU_DEP_1) | instskip(NEXT) | instid1(VALU_DEP_1)
	v_fmac_f32_e32 v127, v135, v95
	v_sub_f32_e32 v86, v87, v127
	scratch_store_b32 off, v86, off offset:4
	v_cmpx_ne_u32_e32 0, v0
	s_cbranch_execz .LBB41_259
; %bb.258:
	scratch_load_b32 v0, off, off
	v_mov_b32_e32 v86, 0
	scratch_store_b32 off, v86, off
	s_waitcnt vmcnt(0)
	ds_store_b32 v85, v0
.LBB41_259:
	s_or_b32 exec_lo, exec_lo, s0
	s_waitcnt lgkmcnt(0)
	s_waitcnt_vscnt null, 0x0
	s_barrier
	buffer_gl0_inv
	s_clause 0xa
	scratch_load_b128 v[87:90], off, off
	scratch_load_b128 v[91:94], off, off offset:16
	scratch_load_b128 v[95:98], off, off offset:32
	;; [unrolled: 1-line block ×9, first 2 shown]
	scratch_load_b64 v[85:86], off, off offset:160
	v_mov_b32_e32 v0, 0
	ds_load_2addr_b32 v[127:128], v0 offset0:45 offset1:46
	ds_load_2addr_b32 v[129:130], v0 offset0:47 offset1:48
	;; [unrolled: 1-line block ×4, first 2 shown]
	s_and_b32 vcc_lo, exec_lo, s16
	s_waitcnt vmcnt(10) lgkmcnt(3)
	v_fma_f32 v127, v88, v127, 0
	s_delay_alu instid0(VALU_DEP_1) | instskip(SKIP_4) | instid1(VALU_DEP_1)
	v_fmac_f32_e32 v127, v89, v128
	ds_load_2addr_b32 v[88:89], v0 offset0:53 offset1:54
	s_waitcnt lgkmcnt(3)
	v_fmac_f32_e32 v127, v90, v129
	s_waitcnt vmcnt(9)
	v_fmac_f32_e32 v127, v91, v130
	ds_load_2addr_b32 v[90:91], v0 offset0:55 offset1:56
	s_waitcnt lgkmcnt(3)
	v_fmac_f32_e32 v127, v92, v131
	s_delay_alu instid0(VALU_DEP_1) | instskip(SKIP_1) | instid1(VALU_DEP_1)
	v_fmac_f32_e32 v127, v93, v132
	s_waitcnt lgkmcnt(2)
	v_fmac_f32_e32 v127, v94, v133
	s_waitcnt vmcnt(8)
	s_delay_alu instid0(VALU_DEP_1) | instskip(SKIP_4) | instid1(VALU_DEP_1)
	v_fmac_f32_e32 v127, v95, v134
	ds_load_2addr_b32 v[92:93], v0 offset0:57 offset1:58
	ds_load_2addr_b32 v[94:95], v0 offset0:59 offset1:60
	s_waitcnt lgkmcnt(3)
	v_fmac_f32_e32 v127, v96, v88
	v_fmac_f32_e32 v127, v97, v89
	ds_load_2addr_b32 v[88:89], v0 offset0:61 offset1:62
	s_waitcnt lgkmcnt(3)
	v_fmac_f32_e32 v127, v98, v90
	s_waitcnt vmcnt(7)
	s_delay_alu instid0(VALU_DEP_1) | instskip(SKIP_3) | instid1(VALU_DEP_1)
	v_fmac_f32_e32 v127, v99, v91
	ds_load_2addr_b32 v[90:91], v0 offset0:63 offset1:64
	s_waitcnt lgkmcnt(3)
	v_fmac_f32_e32 v127, v100, v92
	v_fmac_f32_e32 v127, v101, v93
	s_waitcnt lgkmcnt(2)
	s_delay_alu instid0(VALU_DEP_1) | instskip(SKIP_1) | instid1(VALU_DEP_1)
	v_fmac_f32_e32 v127, v102, v94
	s_waitcnt vmcnt(6)
	v_fmac_f32_e32 v127, v103, v95
	ds_load_2addr_b32 v[92:93], v0 offset0:65 offset1:66
	ds_load_2addr_b32 v[94:95], v0 offset0:67 offset1:68
	s_waitcnt lgkmcnt(3)
	v_fmac_f32_e32 v127, v104, v88
	s_delay_alu instid0(VALU_DEP_1) | instskip(SKIP_4) | instid1(VALU_DEP_1)
	v_fmac_f32_e32 v127, v105, v89
	ds_load_2addr_b32 v[88:89], v0 offset0:69 offset1:70
	s_waitcnt lgkmcnt(3)
	v_fmac_f32_e32 v127, v106, v90
	s_waitcnt vmcnt(5)
	v_fmac_f32_e32 v127, v107, v91
	ds_load_2addr_b32 v[90:91], v0 offset0:71 offset1:72
	s_waitcnt lgkmcnt(3)
	v_fmac_f32_e32 v127, v108, v92
	s_delay_alu instid0(VALU_DEP_1) | instskip(SKIP_1) | instid1(VALU_DEP_1)
	v_fmac_f32_e32 v127, v109, v93
	s_waitcnt lgkmcnt(2)
	v_fmac_f32_e32 v127, v110, v94
	s_waitcnt vmcnt(4)
	s_delay_alu instid0(VALU_DEP_1) | instskip(SKIP_4) | instid1(VALU_DEP_1)
	v_fmac_f32_e32 v127, v111, v95
	ds_load_2addr_b32 v[92:93], v0 offset0:73 offset1:74
	ds_load_2addr_b32 v[94:95], v0 offset0:75 offset1:76
	s_waitcnt lgkmcnt(3)
	v_fmac_f32_e32 v127, v112, v88
	v_fmac_f32_e32 v127, v113, v89
	ds_load_2addr_b32 v[88:89], v0 offset0:77 offset1:78
	s_waitcnt lgkmcnt(3)
	v_fmac_f32_e32 v127, v114, v90
	s_waitcnt vmcnt(3)
	s_delay_alu instid0(VALU_DEP_1) | instskip(SKIP_3) | instid1(VALU_DEP_1)
	v_fmac_f32_e32 v127, v115, v91
	ds_load_2addr_b32 v[90:91], v0 offset0:79 offset1:80
	s_waitcnt lgkmcnt(3)
	v_fmac_f32_e32 v127, v116, v92
	v_fmac_f32_e32 v127, v117, v93
	s_waitcnt lgkmcnt(2)
	s_delay_alu instid0(VALU_DEP_1) | instskip(SKIP_1) | instid1(VALU_DEP_1)
	v_fmac_f32_e32 v127, v118, v94
	s_waitcnt vmcnt(2)
	v_fmac_f32_e32 v127, v119, v95
	ds_load_2addr_b32 v[92:93], v0 offset0:81 offset1:82
	ds_load_2addr_b32 v[94:95], v0 offset0:83 offset1:84
	ds_load_b32 v0, v0 offset:340
	s_waitcnt lgkmcnt(4)
	v_fmac_f32_e32 v127, v120, v88
	s_delay_alu instid0(VALU_DEP_1) | instskip(SKIP_1) | instid1(VALU_DEP_1)
	v_fmac_f32_e32 v127, v121, v89
	s_waitcnt lgkmcnt(3)
	v_fmac_f32_e32 v127, v122, v90
	s_waitcnt vmcnt(1)
	s_delay_alu instid0(VALU_DEP_1) | instskip(SKIP_1) | instid1(VALU_DEP_1)
	v_fmac_f32_e32 v127, v123, v91
	s_waitcnt lgkmcnt(2)
	v_fmac_f32_e32 v127, v124, v92
	s_delay_alu instid0(VALU_DEP_1) | instskip(SKIP_1) | instid1(VALU_DEP_1)
	v_fmac_f32_e32 v127, v125, v93
	s_waitcnt lgkmcnt(1)
	v_fmac_f32_e32 v127, v126, v94
	s_waitcnt vmcnt(0)
	s_delay_alu instid0(VALU_DEP_1) | instskip(SKIP_1) | instid1(VALU_DEP_1)
	v_fmac_f32_e32 v127, v85, v95
	s_waitcnt lgkmcnt(0)
	v_fmac_f32_e32 v127, v86, v0
	s_delay_alu instid0(VALU_DEP_1)
	v_sub_f32_e32 v0, v87, v127
	scratch_store_b32 off, v0, off
	s_cbranch_vccz .LBB41_343
; %bb.260:
	v_dual_mov_b32 v87, s13 :: v_dual_mov_b32 v86, s12
	s_mov_b32 s0, exec_lo
	flat_load_b32 v0, v[86:87] offset:160
	s_waitcnt vmcnt(0) lgkmcnt(0)
	v_cmpx_ne_u32_e32 41, v0
	s_cbranch_execz .LBB41_262
; %bb.261:
	v_lshl_add_u32 v0, v0, 2, 0
	scratch_load_b32 v86, v0, off offset:-4
	s_waitcnt vmcnt(0)
	scratch_store_b32 off, v86, off offset:160
	scratch_store_b32 v0, v85, off offset:-4
.LBB41_262:
	s_or_b32 exec_lo, exec_lo, s0
	v_dual_mov_b32 v86, s13 :: v_dual_mov_b32 v85, s12
	s_mov_b32 s0, exec_lo
	flat_load_b32 v0, v[85:86] offset:156
	s_waitcnt vmcnt(0) lgkmcnt(0)
	v_cmpx_ne_u32_e32 40, v0
	s_cbranch_execz .LBB41_264
; %bb.263:
	v_lshl_add_u32 v0, v0, 2, 0
	scratch_load_b32 v85, v0, off offset:-4
	scratch_load_b32 v86, off, off offset:156
	s_waitcnt vmcnt(1)
	scratch_store_b32 off, v85, off offset:156
	s_waitcnt vmcnt(0)
	scratch_store_b32 v0, v86, off offset:-4
.LBB41_264:
	s_or_b32 exec_lo, exec_lo, s0
	v_dual_mov_b32 v86, s13 :: v_dual_mov_b32 v85, s12
	s_mov_b32 s0, exec_lo
	flat_load_b32 v0, v[85:86] offset:152
	s_waitcnt vmcnt(0) lgkmcnt(0)
	v_cmpx_ne_u32_e32 39, v0
	s_cbranch_execz .LBB41_266
; %bb.265:
	v_lshl_add_u32 v0, v0, 2, 0
	scratch_load_b32 v85, v0, off offset:-4
	scratch_load_b32 v86, off, off offset:152
	s_waitcnt vmcnt(1)
	scratch_store_b32 off, v85, off offset:152
	s_waitcnt vmcnt(0)
	scratch_store_b32 v0, v86, off offset:-4
.LBB41_266:
	;; [unrolled: 16-line block ×39, first 2 shown]
	s_or_b32 exec_lo, exec_lo, s0
	v_dual_mov_b32 v86, s13 :: v_dual_mov_b32 v85, s12
	s_mov_b32 s0, exec_lo
	flat_load_b32 v85, v[85:86]
	scratch_load_b32 v0, off, off
	s_waitcnt vmcnt(1) lgkmcnt(0)
	v_cmpx_ne_u32_e32 1, v85
	s_cbranch_execz .LBB41_342
; %bb.341:
	v_lshl_add_u32 v85, v85, 2, 0
	scratch_load_b32 v86, v85, off offset:-4
	s_waitcnt vmcnt(0)
	scratch_store_b32 off, v86, off
	scratch_store_b32 v85, v0, off offset:-4
	scratch_load_b32 v0, off, off
.LBB41_342:
	s_or_b32 exec_lo, exec_lo, s0
.LBB41_343:
	s_clause 0xa
	scratch_load_b128 v[85:88], off, off offset:4
	scratch_load_b128 v[89:92], off, off offset:20
	;; [unrolled: 1-line block ×10, first 2 shown]
	scratch_load_b32 v125, off, off offset:164
	s_waitcnt vmcnt(11)
	global_store_b32 v[1:2], v0, off
	s_waitcnt vmcnt(10)
	s_clause 0x3
	global_store_b32 v[3:4], v85, off
	global_store_b32 v[5:6], v86, off
	global_store_b32 v[7:8], v87, off
	global_store_b32 v[9:10], v88, off
	s_waitcnt vmcnt(9)
	s_clause 0x3
	global_store_b32 v[11:12], v89, off
	global_store_b32 v[13:14], v90, off
	global_store_b32 v[15:16], v91, off
	;; [unrolled: 6-line block ×10, first 2 shown]
	global_store_b32 v[83:84], v124, off
	s_waitcnt vmcnt(0)
	global_store_b32 v[47:48], v125, off
	s_endpgm
	.section	.rodata,"a",@progbits
	.p2align	6, 0x0
	.amdhsa_kernel _ZN9rocsolver6v33100L18getri_kernel_smallILi42EfPfEEvT1_iilPiilS4_bb
		.amdhsa_group_segment_fixed_size 344
		.amdhsa_private_segment_fixed_size 176
		.amdhsa_kernarg_size 60
		.amdhsa_user_sgpr_count 15
		.amdhsa_user_sgpr_dispatch_ptr 0
		.amdhsa_user_sgpr_queue_ptr 0
		.amdhsa_user_sgpr_kernarg_segment_ptr 1
		.amdhsa_user_sgpr_dispatch_id 0
		.amdhsa_user_sgpr_private_segment_size 0
		.amdhsa_wavefront_size32 1
		.amdhsa_uses_dynamic_stack 0
		.amdhsa_enable_private_segment 1
		.amdhsa_system_sgpr_workgroup_id_x 1
		.amdhsa_system_sgpr_workgroup_id_y 0
		.amdhsa_system_sgpr_workgroup_id_z 0
		.amdhsa_system_sgpr_workgroup_info 0
		.amdhsa_system_vgpr_workitem_id 0
		.amdhsa_next_free_vgpr 136
		.amdhsa_next_free_sgpr 18
		.amdhsa_reserve_vcc 1
		.amdhsa_float_round_mode_32 0
		.amdhsa_float_round_mode_16_64 0
		.amdhsa_float_denorm_mode_32 3
		.amdhsa_float_denorm_mode_16_64 3
		.amdhsa_dx10_clamp 1
		.amdhsa_ieee_mode 1
		.amdhsa_fp16_overflow 0
		.amdhsa_workgroup_processor_mode 1
		.amdhsa_memory_ordered 1
		.amdhsa_forward_progress 0
		.amdhsa_shared_vgpr_count 0
		.amdhsa_exception_fp_ieee_invalid_op 0
		.amdhsa_exception_fp_denorm_src 0
		.amdhsa_exception_fp_ieee_div_zero 0
		.amdhsa_exception_fp_ieee_overflow 0
		.amdhsa_exception_fp_ieee_underflow 0
		.amdhsa_exception_fp_ieee_inexact 0
		.amdhsa_exception_int_div_zero 0
	.end_amdhsa_kernel
	.section	.text._ZN9rocsolver6v33100L18getri_kernel_smallILi42EfPfEEvT1_iilPiilS4_bb,"axG",@progbits,_ZN9rocsolver6v33100L18getri_kernel_smallILi42EfPfEEvT1_iilPiilS4_bb,comdat
.Lfunc_end41:
	.size	_ZN9rocsolver6v33100L18getri_kernel_smallILi42EfPfEEvT1_iilPiilS4_bb, .Lfunc_end41-_ZN9rocsolver6v33100L18getri_kernel_smallILi42EfPfEEvT1_iilPiilS4_bb
                                        ; -- End function
	.section	.AMDGPU.csdata,"",@progbits
; Kernel info:
; codeLenInByte = 28940
; NumSgprs: 20
; NumVgprs: 136
; ScratchSize: 176
; MemoryBound: 0
; FloatMode: 240
; IeeeMode: 1
; LDSByteSize: 344 bytes/workgroup (compile time only)
; SGPRBlocks: 2
; VGPRBlocks: 16
; NumSGPRsForWavesPerEU: 20
; NumVGPRsForWavesPerEU: 136
; Occupancy: 10
; WaveLimiterHint : 1
; COMPUTE_PGM_RSRC2:SCRATCH_EN: 1
; COMPUTE_PGM_RSRC2:USER_SGPR: 15
; COMPUTE_PGM_RSRC2:TRAP_HANDLER: 0
; COMPUTE_PGM_RSRC2:TGID_X_EN: 1
; COMPUTE_PGM_RSRC2:TGID_Y_EN: 0
; COMPUTE_PGM_RSRC2:TGID_Z_EN: 0
; COMPUTE_PGM_RSRC2:TIDIG_COMP_CNT: 0
	.section	.text._ZN9rocsolver6v33100L18getri_kernel_smallILi43EfPfEEvT1_iilPiilS4_bb,"axG",@progbits,_ZN9rocsolver6v33100L18getri_kernel_smallILi43EfPfEEvT1_iilPiilS4_bb,comdat
	.globl	_ZN9rocsolver6v33100L18getri_kernel_smallILi43EfPfEEvT1_iilPiilS4_bb ; -- Begin function _ZN9rocsolver6v33100L18getri_kernel_smallILi43EfPfEEvT1_iilPiilS4_bb
	.p2align	8
	.type	_ZN9rocsolver6v33100L18getri_kernel_smallILi43EfPfEEvT1_iilPiilS4_bb,@function
_ZN9rocsolver6v33100L18getri_kernel_smallILi43EfPfEEvT1_iilPiilS4_bb: ; @_ZN9rocsolver6v33100L18getri_kernel_smallILi43EfPfEEvT1_iilPiilS4_bb
; %bb.0:
	s_mov_b32 s2, exec_lo
	v_cmpx_gt_u32_e32 43, v0
	s_cbranch_execz .LBB42_180
; %bb.1:
	s_clause 0x2
	s_load_b32 s17, s[0:1], 0x38
	s_load_b128 s[8:11], s[0:1], 0x10
	s_load_b128 s[4:7], s[0:1], 0x28
	s_mov_b32 s14, s15
                                        ; implicit-def: $sgpr12_sgpr13
	s_waitcnt lgkmcnt(0)
	s_bitcmp1_b32 s17, 8
	s_cselect_b32 s16, -1, 0
	s_bfe_u32 s2, s17, 0x10008
	s_ashr_i32 s15, s15, 31
	s_cmp_eq_u32 s2, 0
	s_cbranch_scc1 .LBB42_3
; %bb.2:
	s_load_b32 s2, s[0:1], 0x20
	s_mul_i32 s3, s14, s5
	s_mul_hi_u32 s5, s14, s4
	s_mul_i32 s12, s15, s4
	s_add_i32 s3, s5, s3
	s_mul_i32 s4, s14, s4
	s_add_i32 s5, s3, s12
	s_delay_alu instid0(SALU_CYCLE_1)
	s_lshl_b64 s[4:5], s[4:5], 2
	s_waitcnt lgkmcnt(0)
	s_ashr_i32 s3, s2, 31
	s_add_u32 s4, s10, s4
	s_addc_u32 s5, s11, s5
	s_lshl_b64 s[2:3], s[2:3], 2
	s_delay_alu instid0(SALU_CYCLE_1)
	s_add_u32 s12, s4, s2
	s_addc_u32 s13, s5, s3
.LBB42_3:
	s_load_b128 s[0:3], s[0:1], 0x0
	s_mul_i32 s4, s14, s9
	s_mul_hi_u32 s5, s14, s8
	s_mul_i32 s9, s15, s8
	s_add_i32 s5, s5, s4
	s_mul_i32 s4, s14, s8
	s_add_i32 s5, s5, s9
	v_lshlrev_b32_e32 v89, 2, v0
	s_lshl_b64 s[4:5], s[4:5], 2
	s_waitcnt lgkmcnt(0)
	v_add3_u32 v1, s3, s3, v0
	s_ashr_i32 s9, s2, 31
	s_mov_b32 s8, s2
	s_add_u32 s2, s0, s4
	s_addc_u32 s4, s1, s5
	v_add_nc_u32_e32 v7, s3, v1
	s_lshl_b64 s[0:1], s[8:9], 2
	v_ashrrev_i32_e32 v2, 31, v1
	s_add_u32 s0, s2, s0
	s_addc_u32 s1, s4, s1
	v_add_nc_u32_e32 v9, s3, v7
	v_add_co_u32 v3, s2, s0, v89
	s_mov_b32 s10, s3
	s_ashr_i32 s11, s3, 31
	s_delay_alu instid0(VALU_DEP_2) | instskip(SKIP_3) | instid1(VALU_DEP_4)
	v_add_nc_u32_e32 v11, s3, v9
	v_add_co_ci_u32_e64 v4, null, s1, 0, s2
	v_lshlrev_b64 v[1:2], 2, v[1:2]
	v_ashrrev_i32_e32 v8, 31, v7
	v_add_nc_u32_e32 v13, s3, v11
	s_lshl_b64 s[4:5], s[10:11], 2
	v_ashrrev_i32_e32 v10, 31, v9
	v_add_co_u32 v5, vcc_lo, v3, s4
	s_delay_alu instid0(VALU_DEP_3) | instskip(SKIP_3) | instid1(VALU_DEP_4)
	v_add_nc_u32_e32 v15, s3, v13
	v_add_co_ci_u32_e32 v6, vcc_lo, s5, v4, vcc_lo
	v_lshlrev_b64 v[40:41], 2, v[7:8]
	v_add_co_u32 v7, vcc_lo, s0, v1
	v_add_nc_u32_e32 v17, s3, v15
	v_add_co_ci_u32_e32 v8, vcc_lo, s1, v2, vcc_lo
	v_lshlrev_b64 v[1:2], 2, v[9:10]
	v_ashrrev_i32_e32 v12, 31, v11
	s_delay_alu instid0(VALU_DEP_4) | instskip(SKIP_3) | instid1(VALU_DEP_4)
	v_add_nc_u32_e32 v19, s3, v17
	v_add_co_u32 v9, vcc_lo, s0, v40
	v_ashrrev_i32_e32 v14, 31, v13
	v_add_co_ci_u32_e32 v10, vcc_lo, s1, v41, vcc_lo
	v_add_nc_u32_e32 v21, s3, v19
	v_lshlrev_b64 v[40:41], 2, v[11:12]
	v_add_co_u32 v11, vcc_lo, s0, v1
	v_add_co_ci_u32_e32 v12, vcc_lo, s1, v2, vcc_lo
	s_delay_alu instid0(VALU_DEP_4) | instskip(SKIP_3) | instid1(VALU_DEP_4)
	v_add_nc_u32_e32 v23, s3, v21
	v_lshlrev_b64 v[1:2], 2, v[13:14]
	v_ashrrev_i32_e32 v16, 31, v15
	v_add_co_u32 v13, vcc_lo, s0, v40
	v_add_nc_u32_e32 v25, s3, v23
	v_ashrrev_i32_e32 v18, 31, v17
	v_add_co_ci_u32_e32 v14, vcc_lo, s1, v41, vcc_lo
	v_lshlrev_b64 v[40:41], 2, v[15:16]
	s_delay_alu instid0(VALU_DEP_4) | instskip(SKIP_2) | instid1(VALU_DEP_3)
	v_add_nc_u32_e32 v27, s3, v25
	v_add_co_u32 v15, vcc_lo, s0, v1
	v_add_co_ci_u32_e32 v16, vcc_lo, s1, v2, vcc_lo
	v_add_nc_u32_e32 v29, s3, v27
	v_lshlrev_b64 v[1:2], 2, v[17:18]
	v_ashrrev_i32_e32 v20, 31, v19
	v_add_co_u32 v17, vcc_lo, s0, v40
	s_delay_alu instid0(VALU_DEP_4) | instskip(SKIP_3) | instid1(VALU_DEP_4)
	v_add_nc_u32_e32 v31, s3, v29
	v_ashrrev_i32_e32 v22, 31, v21
	v_add_co_ci_u32_e32 v18, vcc_lo, s1, v41, vcc_lo
	v_lshlrev_b64 v[40:41], 2, v[19:20]
	v_add_nc_u32_e32 v33, s3, v31
	v_add_co_u32 v19, vcc_lo, s0, v1
	v_add_co_ci_u32_e32 v20, vcc_lo, s1, v2, vcc_lo
	s_delay_alu instid0(VALU_DEP_3) | instskip(SKIP_3) | instid1(VALU_DEP_4)
	v_add_nc_u32_e32 v35, s3, v33
	v_lshlrev_b64 v[1:2], 2, v[21:22]
	v_ashrrev_i32_e32 v24, 31, v23
	v_add_co_u32 v21, vcc_lo, s0, v40
	v_add_nc_u32_e32 v37, s3, v35
	v_ashrrev_i32_e32 v26, 31, v25
	v_add_co_ci_u32_e32 v22, vcc_lo, s1, v41, vcc_lo
	v_lshlrev_b64 v[40:41], 2, v[23:24]
	s_delay_alu instid0(VALU_DEP_4) | instskip(SKIP_2) | instid1(VALU_DEP_3)
	v_add_nc_u32_e32 v39, s3, v37
	v_add_co_u32 v23, vcc_lo, s0, v1
	v_add_co_ci_u32_e32 v24, vcc_lo, s1, v2, vcc_lo
	v_add_nc_u32_e32 v42, s3, v39
	v_lshlrev_b64 v[1:2], 2, v[25:26]
	v_ashrrev_i32_e32 v28, 31, v27
	v_add_co_u32 v25, vcc_lo, s0, v40
	s_delay_alu instid0(VALU_DEP_4) | instskip(SKIP_3) | instid1(VALU_DEP_4)
	v_add_nc_u32_e32 v44, s3, v42
	v_ashrrev_i32_e32 v30, 31, v29
	v_add_co_ci_u32_e32 v26, vcc_lo, s1, v41, vcc_lo
	v_lshlrev_b64 v[40:41], 2, v[27:28]
	v_add_nc_u32_e32 v46, s3, v44
	v_add_co_u32 v27, vcc_lo, s0, v1
	v_add_co_ci_u32_e32 v28, vcc_lo, s1, v2, vcc_lo
	s_delay_alu instid0(VALU_DEP_3) | instskip(SKIP_3) | instid1(VALU_DEP_4)
	;; [unrolled: 25-line block ×3, first 2 shown]
	v_add_nc_u32_e32 v61, s3, v59
	v_lshlrev_b64 v[1:2], 2, v[37:38]
	v_ashrrev_i32_e32 v40, 31, v39
	v_add_co_u32 v37, vcc_lo, s0, v51
	v_add_nc_u32_e32 v63, s3, v61
	v_ashrrev_i32_e32 v43, 31, v42
	v_add_co_ci_u32_e32 v38, vcc_lo, s1, v52, vcc_lo
	v_lshlrev_b64 v[51:52], 2, v[39:40]
	s_delay_alu instid0(VALU_DEP_4) | instskip(SKIP_2) | instid1(VALU_DEP_3)
	v_add_nc_u32_e32 v65, s3, v63
	v_add_co_u32 v39, vcc_lo, s0, v1
	v_add_co_ci_u32_e32 v40, vcc_lo, s1, v2, vcc_lo
	v_add_nc_u32_e32 v67, s3, v65
	v_lshlrev_b64 v[1:2], 2, v[42:43]
	v_ashrrev_i32_e32 v45, 31, v44
	v_add_co_u32 v41, vcc_lo, s0, v51
	s_delay_alu instid0(VALU_DEP_4) | instskip(SKIP_3) | instid1(VALU_DEP_4)
	v_add_nc_u32_e32 v71, s3, v67
	v_ashrrev_i32_e32 v47, 31, v46
	v_add_co_ci_u32_e32 v42, vcc_lo, s1, v52, vcc_lo
	v_lshlrev_b64 v[51:52], 2, v[44:45]
	v_add_nc_u32_e32 v73, s3, v71
	v_add_co_u32 v43, vcc_lo, s0, v1
	v_ashrrev_i32_e32 v49, 31, v48
	v_add_co_ci_u32_e32 v44, vcc_lo, s1, v2, vcc_lo
	s_delay_alu instid0(VALU_DEP_4) | instskip(SKIP_3) | instid1(VALU_DEP_4)
	v_add_nc_u32_e32 v75, s3, v73
	v_lshlrev_b64 v[1:2], 2, v[46:47]
	v_add_co_u32 v45, vcc_lo, s0, v51
	v_lshlrev_b64 v[68:69], 2, v[48:49]
	v_add_nc_u32_e32 v77, s3, v75
	v_ashrrev_i32_e32 v51, 31, v50
	v_add_co_ci_u32_e32 v46, vcc_lo, s1, v52, vcc_lo
	v_add_co_u32 v47, vcc_lo, s0, v1
	s_delay_alu instid0(VALU_DEP_4) | instskip(SKIP_3) | instid1(VALU_DEP_4)
	v_add_nc_u32_e32 v79, s3, v77
	v_add_co_ci_u32_e32 v48, vcc_lo, s1, v2, vcc_lo
	v_lshlrev_b64 v[1:2], 2, v[50:51]
	v_ashrrev_i32_e32 v54, 31, v53
	v_add_nc_u32_e32 v81, s3, v79
	v_add_co_u32 v51, vcc_lo, s0, v68
	v_ashrrev_i32_e32 v56, 31, v55
	v_add_co_ci_u32_e32 v52, vcc_lo, s1, v69, vcc_lo
	s_delay_alu instid0(VALU_DEP_4) | instskip(SKIP_3) | instid1(VALU_DEP_4)
	v_add_nc_u32_e32 v83, s3, v81
	v_lshlrev_b64 v[68:69], 2, v[53:54]
	v_add_co_u32 v53, vcc_lo, s0, v1
	v_add_co_ci_u32_e32 v54, vcc_lo, s1, v2, vcc_lo
	v_add_nc_u32_e32 v85, s3, v83
	v_lshlrev_b64 v[1:2], 2, v[55:56]
	v_ashrrev_i32_e32 v58, 31, v57
	v_ashrrev_i32_e32 v60, 31, v59
	;; [unrolled: 1-line block ×3, first 2 shown]
	v_add_nc_u32_e32 v87, s3, v85
	v_ashrrev_i32_e32 v64, 31, v63
	v_ashrrev_i32_e32 v66, 31, v65
	;; [unrolled: 1-line block ×4, first 2 shown]
	v_add_nc_u32_e32 v49, s3, v87
	v_ashrrev_i32_e32 v76, 31, v75
	v_ashrrev_i32_e32 v78, 31, v77
	;; [unrolled: 1-line block ×3, first 2 shown]
	v_lshlrev_b64 v[73:74], 2, v[73:74]
	v_ashrrev_i32_e32 v50, 31, v49
	v_ashrrev_i32_e32 v82, 31, v81
	v_lshlrev_b64 v[77:78], 2, v[77:78]
	v_ashrrev_i32_e32 v84, 31, v83
	v_ashrrev_i32_e32 v86, 31, v85
	v_lshlrev_b64 v[49:50], 2, v[49:50]
	v_lshlrev_b64 v[81:82], 2, v[81:82]
	v_ashrrev_i32_e32 v88, 31, v87
	global_load_b32 v90, v89, s[0:1]
	v_lshlrev_b64 v[85:86], 2, v[85:86]
	s_clause 0x7
	global_load_b32 v91, v[5:6], off
	global_load_b32 v92, v[7:8], off
	;; [unrolled: 1-line block ×8, first 2 shown]
	v_add_co_u32 v49, vcc_lo, s0, v49
	v_add_co_ci_u32_e32 v50, vcc_lo, s1, v50, vcc_lo
	v_add_co_u32 v55, vcc_lo, s0, v68
	v_add_co_ci_u32_e32 v56, vcc_lo, s1, v69, vcc_lo
	v_lshlrev_b64 v[68:69], 2, v[57:58]
	v_add_co_u32 v57, vcc_lo, s0, v1
	v_add_co_ci_u32_e32 v58, vcc_lo, s1, v2, vcc_lo
	v_lshlrev_b64 v[1:2], 2, v[59:60]
	s_delay_alu instid0(VALU_DEP_4) | instskip(SKIP_2) | instid1(VALU_DEP_4)
	v_add_co_u32 v59, vcc_lo, s0, v68
	v_add_co_ci_u32_e32 v60, vcc_lo, s1, v69, vcc_lo
	v_lshlrev_b64 v[68:69], 2, v[61:62]
	v_add_co_u32 v61, vcc_lo, s0, v1
	v_add_co_ci_u32_e32 v62, vcc_lo, s1, v2, vcc_lo
	v_lshlrev_b64 v[1:2], 2, v[63:64]
	s_delay_alu instid0(VALU_DEP_4)
	v_add_co_u32 v63, vcc_lo, s0, v68
	v_ashrrev_i32_e32 v68, 31, v67
	v_add_co_ci_u32_e32 v64, vcc_lo, s1, v69, vcc_lo
	v_lshlrev_b64 v[69:70], 2, v[65:66]
	v_add_co_u32 v65, vcc_lo, s0, v1
	v_add_co_ci_u32_e32 v66, vcc_lo, s1, v2, vcc_lo
	v_lshlrev_b64 v[1:2], 2, v[67:68]
	s_delay_alu instid0(VALU_DEP_4)
	v_add_co_u32 v67, vcc_lo, s0, v69
	v_add_co_ci_u32_e32 v68, vcc_lo, s1, v70, vcc_lo
	s_clause 0x7
	global_load_b32 v99, v[21:22], off
	global_load_b32 v100, v[23:24], off
	global_load_b32 v101, v[25:26], off
	global_load_b32 v102, v[27:28], off
	global_load_b32 v103, v[29:30], off
	global_load_b32 v104, v[31:32], off
	global_load_b32 v105, v[33:34], off
	global_load_b32 v106, v[35:36], off
	v_add_co_u32 v69, vcc_lo, s0, v1
	v_add_co_ci_u32_e32 v70, vcc_lo, s1, v2, vcc_lo
	v_lshlrev_b64 v[1:2], 2, v[71:72]
	s_clause 0xf
	global_load_b32 v107, v[37:38], off
	global_load_b32 v108, v[39:40], off
	global_load_b32 v109, v[41:42], off
	global_load_b32 v110, v[43:44], off
	global_load_b32 v111, v[45:46], off
	global_load_b32 v112, v[47:48], off
	global_load_b32 v113, v[51:52], off
	global_load_b32 v114, v[53:54], off
	global_load_b32 v115, v[55:56], off
	global_load_b32 v116, v[57:58], off
	global_load_b32 v117, v[59:60], off
	global_load_b32 v118, v[61:62], off
	global_load_b32 v119, v[63:64], off
	global_load_b32 v120, v[65:66], off
	global_load_b32 v121, v[67:68], off
	global_load_b32 v122, v[69:70], off
	s_bitcmp0_b32 s17, 0
	v_add_co_u32 v71, vcc_lo, s0, v1
	v_add_co_ci_u32_e32 v72, vcc_lo, s1, v2, vcc_lo
	v_lshlrev_b64 v[1:2], 2, v[75:76]
	v_add_co_u32 v73, vcc_lo, s0, v73
	v_add_co_ci_u32_e32 v74, vcc_lo, s1, v74, vcc_lo
	s_delay_alu instid0(VALU_DEP_3) | instskip(NEXT) | instid1(VALU_DEP_4)
	v_add_co_u32 v75, vcc_lo, s0, v1
	v_add_co_ci_u32_e32 v76, vcc_lo, s1, v2, vcc_lo
	v_lshlrev_b64 v[1:2], 2, v[79:80]
	v_add_co_u32 v77, vcc_lo, s0, v77
	v_add_co_ci_u32_e32 v78, vcc_lo, s1, v78, vcc_lo
	s_delay_alu instid0(VALU_DEP_3) | instskip(NEXT) | instid1(VALU_DEP_4)
	;; [unrolled: 6-line block ×4, first 2 shown]
	v_add_co_u32 v87, vcc_lo, s0, v1
	v_add_co_ci_u32_e32 v88, vcc_lo, s1, v2, vcc_lo
	s_clause 0x9
	global_load_b32 v123, v[71:72], off
	global_load_b32 v124, v[73:74], off
	;; [unrolled: 1-line block ×10, first 2 shown]
	s_mov_b32 s1, -1
	s_waitcnt vmcnt(39)
	scratch_store_b128 off, v[90:93], off
	s_waitcnt vmcnt(35)
	scratch_store_b128 off, v[94:97], off offset:16
	s_waitcnt vmcnt(31)
	scratch_store_b128 off, v[98:101], off offset:32
	;; [unrolled: 2-line block ×9, first 2 shown]
	s_waitcnt vmcnt(0)
	scratch_store_b96 off, v[130:132], off offset:160
	s_cbranch_scc1 .LBB42_178
; %bb.4:
	v_cmp_eq_u32_e64 s0, 0, v0
	s_delay_alu instid0(VALU_DEP_1)
	s_and_saveexec_b32 s1, s0
	s_cbranch_execz .LBB42_6
; %bb.5:
	v_mov_b32_e32 v1, 0
	ds_store_b32 v1, v1 offset:172
.LBB42_6:
	s_or_b32 exec_lo, exec_lo, s1
	s_waitcnt lgkmcnt(0)
	s_waitcnt_vscnt null, 0x0
	s_barrier
	buffer_gl0_inv
	scratch_load_b32 v1, v89, off
	s_mov_b32 s2, exec_lo
	s_waitcnt vmcnt(0)
	v_cmpx_eq_f32_e32 0, v1
	s_cbranch_execz .LBB42_10
; %bb.7:
	v_mov_b32_e32 v1, 0
	s_mov_b32 s3, 0
	ds_load_b32 v2, v1 offset:172
	s_waitcnt lgkmcnt(0)
	v_readfirstlane_b32 s1, v2
	v_add_nc_u32_e32 v2, 1, v0
	s_delay_alu instid0(VALU_DEP_2) | instskip(NEXT) | instid1(VALU_DEP_1)
	s_cmp_eq_u32 s1, 0
	v_cmp_gt_i32_e32 vcc_lo, s1, v2
	s_cselect_b32 s4, -1, 0
	s_delay_alu instid0(SALU_CYCLE_1) | instskip(NEXT) | instid1(SALU_CYCLE_1)
	s_or_b32 s4, s4, vcc_lo
	s_and_b32 exec_lo, exec_lo, s4
	s_cbranch_execz .LBB42_10
; %bb.8:
	v_mov_b32_e32 v90, s1
.LBB42_9:                               ; =>This Inner Loop Header: Depth=1
	ds_cmpstore_rtn_b32 v90, v1, v2, v90 offset:172
	s_waitcnt lgkmcnt(0)
	v_cmp_ne_u32_e32 vcc_lo, 0, v90
	v_cmp_le_i32_e64 s1, v90, v2
	s_delay_alu instid0(VALU_DEP_1) | instskip(NEXT) | instid1(SALU_CYCLE_1)
	s_and_b32 s1, vcc_lo, s1
	s_and_b32 s1, exec_lo, s1
	s_delay_alu instid0(SALU_CYCLE_1) | instskip(NEXT) | instid1(SALU_CYCLE_1)
	s_or_b32 s3, s1, s3
	s_and_not1_b32 exec_lo, exec_lo, s3
	s_cbranch_execnz .LBB42_9
.LBB42_10:
	s_or_b32 exec_lo, exec_lo, s2
	v_mov_b32_e32 v1, 0
	s_barrier
	buffer_gl0_inv
	ds_load_b32 v2, v1 offset:172
	s_and_saveexec_b32 s1, s0
	s_cbranch_execz .LBB42_12
; %bb.11:
	s_lshl_b64 s[2:3], s[14:15], 2
	s_delay_alu instid0(SALU_CYCLE_1)
	s_add_u32 s2, s6, s2
	s_addc_u32 s3, s7, s3
	s_waitcnt lgkmcnt(0)
	global_store_b32 v1, v2, s[2:3]
.LBB42_12:
	s_or_b32 exec_lo, exec_lo, s1
	s_waitcnt lgkmcnt(0)
	v_cmp_ne_u32_e32 vcc_lo, 0, v2
	s_mov_b32 s1, 0
	s_cbranch_vccnz .LBB42_178
; %bb.13:
	v_add_nc_u32_e32 v1, 0, v89
	scratch_load_b32 v2, v1, off
	s_waitcnt vmcnt(0)
	v_div_scale_f32 v90, null, v2, v2, 1.0
	v_div_scale_f32 v93, vcc_lo, 1.0, v2, 1.0
	s_delay_alu instid0(VALU_DEP_2) | instskip(SKIP_2) | instid1(VALU_DEP_1)
	v_rcp_f32_e32 v91, v90
	s_waitcnt_depctr 0xfff
	v_fma_f32 v92, -v90, v91, 1.0
	v_fmac_f32_e32 v91, v92, v91
	s_delay_alu instid0(VALU_DEP_1) | instskip(NEXT) | instid1(VALU_DEP_1)
	v_mul_f32_e32 v92, v93, v91
	v_fma_f32 v94, -v90, v92, v93
	s_delay_alu instid0(VALU_DEP_1) | instskip(NEXT) | instid1(VALU_DEP_1)
	v_fmac_f32_e32 v92, v94, v91
	v_fma_f32 v90, -v90, v92, v93
	s_delay_alu instid0(VALU_DEP_1) | instskip(NEXT) | instid1(VALU_DEP_1)
	v_div_fmas_f32 v90, v90, v91, v92
	v_div_fixup_f32 v2, v90, v2, 1.0
	scratch_store_b32 v1, v2, off
	scratch_load_b32 v90, off, off offset:4
	v_xor_b32_e32 v91, 0x80000000, v2
	v_add_nc_u32_e32 v2, 0xb0, v89
	s_waitcnt vmcnt(0)
	ds_store_2addr_b32 v89, v91, v90 offset1:44
	s_waitcnt lgkmcnt(0)
	s_waitcnt_vscnt null, 0x0
	s_barrier
	buffer_gl0_inv
	s_and_saveexec_b32 s1, s0
	s_cbranch_execz .LBB42_15
; %bb.14:
	scratch_load_b32 v90, v1, off
	ds_load_b32 v91, v2
	v_mov_b32_e32 v92, 0
	ds_load_b32 v92, v92 offset:4
	s_waitcnt vmcnt(0) lgkmcnt(1)
	v_fma_f32 v90, v90, v91, 0
	s_waitcnt lgkmcnt(0)
	s_delay_alu instid0(VALU_DEP_1)
	v_mul_f32_e32 v90, v90, v92
	scratch_store_b32 off, v90, off offset:4
.LBB42_15:
	s_or_b32 exec_lo, exec_lo, s1
	s_waitcnt_vscnt null, 0x0
	s_barrier
	buffer_gl0_inv
	scratch_load_b32 v90, off, off offset:8
	s_mov_b32 s1, exec_lo
	s_waitcnt vmcnt(0)
	ds_store_b32 v2, v90
	s_waitcnt lgkmcnt(0)
	s_barrier
	buffer_gl0_inv
	v_cmpx_gt_u32_e32 2, v0
	s_cbranch_execz .LBB42_17
; %bb.16:
	scratch_load_b32 v92, v1, off
	scratch_load_b32 v93, off, off offset:4
	ds_load_b32 v94, v2
	v_mov_b32_e32 v90, 0
	ds_load_2addr_b32 v[90:91], v90 offset0:2 offset1:45
	s_waitcnt vmcnt(1) lgkmcnt(1)
	v_fma_f32 v92, v92, v94, 0
	s_waitcnt vmcnt(0) lgkmcnt(0)
	s_delay_alu instid0(VALU_DEP_1) | instskip(NEXT) | instid1(VALU_DEP_1)
	v_fma_f32 v91, v93, v91, v92
	v_cndmask_b32_e64 v91, v92, v91, s0
	s_delay_alu instid0(VALU_DEP_1)
	v_mul_f32_e32 v90, v91, v90
	scratch_store_b32 off, v90, off offset:8
.LBB42_17:
	s_or_b32 exec_lo, exec_lo, s1
	s_waitcnt_vscnt null, 0x0
	s_barrier
	buffer_gl0_inv
	scratch_load_b32 v91, off, off offset:12
	v_add_nc_u32_e32 v90, -1, v0
	s_mov_b32 s0, exec_lo
	s_waitcnt vmcnt(0)
	ds_store_b32 v2, v91
	s_waitcnt lgkmcnt(0)
	s_barrier
	buffer_gl0_inv
	v_cmpx_gt_u32_e32 3, v0
	s_cbranch_execz .LBB42_21
; %bb.18:
	v_dual_mov_b32 v91, 0 :: v_dual_add_nc_u32 v92, -1, v0
	v_add_nc_u32_e32 v93, 0xb0, v89
	v_add_nc_u32_e32 v94, 0, v89
	s_mov_b32 s1, 0
.LBB42_19:                              ; =>This Inner Loop Header: Depth=1
	scratch_load_b32 v95, v94, off
	ds_load_b32 v96, v93
	v_add_nc_u32_e32 v92, 1, v92
	v_add_nc_u32_e32 v93, 4, v93
	v_add_nc_u32_e32 v94, 4, v94
	s_delay_alu instid0(VALU_DEP_3)
	v_cmp_lt_u32_e32 vcc_lo, 1, v92
	s_or_b32 s1, vcc_lo, s1
	s_waitcnt vmcnt(0) lgkmcnt(0)
	v_fmac_f32_e32 v91, v95, v96
	s_and_not1_b32 exec_lo, exec_lo, s1
	s_cbranch_execnz .LBB42_19
; %bb.20:
	s_or_b32 exec_lo, exec_lo, s1
	v_mov_b32_e32 v92, 0
	ds_load_b32 v92, v92 offset:12
	s_waitcnt lgkmcnt(0)
	v_mul_f32_e32 v91, v91, v92
	scratch_store_b32 off, v91, off offset:12
.LBB42_21:
	s_or_b32 exec_lo, exec_lo, s0
	s_waitcnt_vscnt null, 0x0
	s_barrier
	buffer_gl0_inv
	scratch_load_b32 v91, off, off offset:16
	s_mov_b32 s0, exec_lo
	s_waitcnt vmcnt(0)
	ds_store_b32 v2, v91
	s_waitcnt lgkmcnt(0)
	s_barrier
	buffer_gl0_inv
	v_cmpx_gt_u32_e32 4, v0
	s_cbranch_execz .LBB42_25
; %bb.22:
	v_dual_mov_b32 v91, 0 :: v_dual_add_nc_u32 v92, -1, v0
	v_add_nc_u32_e32 v93, 0xb0, v89
	v_add_nc_u32_e32 v94, 0, v89
	s_mov_b32 s1, 0
.LBB42_23:                              ; =>This Inner Loop Header: Depth=1
	scratch_load_b32 v95, v94, off
	ds_load_b32 v96, v93
	v_add_nc_u32_e32 v92, 1, v92
	v_add_nc_u32_e32 v93, 4, v93
	v_add_nc_u32_e32 v94, 4, v94
	s_delay_alu instid0(VALU_DEP_3)
	v_cmp_lt_u32_e32 vcc_lo, 2, v92
	s_or_b32 s1, vcc_lo, s1
	s_waitcnt vmcnt(0) lgkmcnt(0)
	v_fmac_f32_e32 v91, v95, v96
	s_and_not1_b32 exec_lo, exec_lo, s1
	s_cbranch_execnz .LBB42_23
; %bb.24:
	s_or_b32 exec_lo, exec_lo, s1
	v_mov_b32_e32 v92, 0
	ds_load_b32 v92, v92 offset:16
	s_waitcnt lgkmcnt(0)
	v_mul_f32_e32 v91, v91, v92
	scratch_store_b32 off, v91, off offset:16
.LBB42_25:
	s_or_b32 exec_lo, exec_lo, s0
	s_waitcnt_vscnt null, 0x0
	s_barrier
	buffer_gl0_inv
	scratch_load_b32 v91, off, off offset:20
	;; [unrolled: 39-line block ×21, first 2 shown]
	s_mov_b32 s0, exec_lo
	s_waitcnt vmcnt(0)
	ds_store_b32 v2, v91
	s_waitcnt lgkmcnt(0)
	s_barrier
	buffer_gl0_inv
	v_cmpx_gt_u32_e32 24, v0
	s_cbranch_execz .LBB42_105
; %bb.102:
	v_dual_mov_b32 v91, 0 :: v_dual_add_nc_u32 v92, -1, v0
	v_add_nc_u32_e32 v93, 0xb0, v89
	v_add_nc_u32_e32 v94, 0, v89
	s_mov_b32 s1, 0
.LBB42_103:                             ; =>This Inner Loop Header: Depth=1
	scratch_load_b32 v95, v94, off
	ds_load_b32 v96, v93
	v_add_nc_u32_e32 v92, 1, v92
	v_add_nc_u32_e32 v93, 4, v93
	v_add_nc_u32_e32 v94, 4, v94
	s_delay_alu instid0(VALU_DEP_3)
	v_cmp_lt_u32_e32 vcc_lo, 22, v92
	s_or_b32 s1, vcc_lo, s1
	s_waitcnt vmcnt(0) lgkmcnt(0)
	v_fmac_f32_e32 v91, v95, v96
	s_and_not1_b32 exec_lo, exec_lo, s1
	s_cbranch_execnz .LBB42_103
; %bb.104:
	s_or_b32 exec_lo, exec_lo, s1
	v_mov_b32_e32 v92, 0
	ds_load_b32 v92, v92 offset:96
	s_waitcnt lgkmcnt(0)
	v_mul_f32_e32 v91, v91, v92
	scratch_store_b32 off, v91, off offset:96
.LBB42_105:
	s_or_b32 exec_lo, exec_lo, s0
	s_waitcnt_vscnt null, 0x0
	s_barrier
	buffer_gl0_inv
	scratch_load_b32 v91, off, off offset:100
	s_mov_b32 s0, exec_lo
	s_waitcnt vmcnt(0)
	ds_store_b32 v2, v91
	s_waitcnt lgkmcnt(0)
	s_barrier
	buffer_gl0_inv
	v_cmpx_gt_u32_e32 25, v0
	s_cbranch_execz .LBB42_109
; %bb.106:
	v_dual_mov_b32 v91, 0 :: v_dual_add_nc_u32 v92, -1, v0
	v_add_nc_u32_e32 v93, 0xb0, v89
	v_add_nc_u32_e32 v94, 0, v89
	s_mov_b32 s1, 0
.LBB42_107:                             ; =>This Inner Loop Header: Depth=1
	scratch_load_b32 v95, v94, off
	ds_load_b32 v96, v93
	v_add_nc_u32_e32 v92, 1, v92
	v_add_nc_u32_e32 v93, 4, v93
	v_add_nc_u32_e32 v94, 4, v94
	s_delay_alu instid0(VALU_DEP_3)
	v_cmp_lt_u32_e32 vcc_lo, 23, v92
	s_or_b32 s1, vcc_lo, s1
	s_waitcnt vmcnt(0) lgkmcnt(0)
	v_fmac_f32_e32 v91, v95, v96
	s_and_not1_b32 exec_lo, exec_lo, s1
	s_cbranch_execnz .LBB42_107
; %bb.108:
	s_or_b32 exec_lo, exec_lo, s1
	v_mov_b32_e32 v92, 0
	ds_load_b32 v92, v92 offset:100
	s_waitcnt lgkmcnt(0)
	v_mul_f32_e32 v91, v91, v92
	scratch_store_b32 off, v91, off offset:100
.LBB42_109:
	s_or_b32 exec_lo, exec_lo, s0
	s_waitcnt_vscnt null, 0x0
	s_barrier
	buffer_gl0_inv
	scratch_load_b32 v91, off, off offset:104
	;; [unrolled: 39-line block ×17, first 2 shown]
	s_mov_b32 s0, exec_lo
	s_waitcnt vmcnt(0)
	ds_store_b32 v2, v91
	s_waitcnt lgkmcnt(0)
	s_barrier
	buffer_gl0_inv
	v_cmpx_gt_u32_e32 41, v0
	s_cbranch_execz .LBB42_173
; %bb.170:
	v_add_nc_u32_e32 v91, -1, v0
	v_add_nc_u32_e32 v92, 0xb0, v89
	v_add_nc_u32_e32 v93, 0, v89
	v_mov_b32_e32 v89, 0
	s_mov_b32 s1, 0
.LBB42_171:                             ; =>This Inner Loop Header: Depth=1
	scratch_load_b32 v94, v93, off
	ds_load_b32 v95, v92
	v_add_nc_u32_e32 v91, 1, v91
	v_add_nc_u32_e32 v92, 4, v92
	;; [unrolled: 1-line block ×3, first 2 shown]
	s_delay_alu instid0(VALU_DEP_3)
	v_cmp_lt_u32_e32 vcc_lo, 39, v91
	s_or_b32 s1, vcc_lo, s1
	s_waitcnt vmcnt(0) lgkmcnt(0)
	v_fmac_f32_e32 v89, v94, v95
	s_and_not1_b32 exec_lo, exec_lo, s1
	s_cbranch_execnz .LBB42_171
; %bb.172:
	s_or_b32 exec_lo, exec_lo, s1
	v_mov_b32_e32 v91, 0
	ds_load_b32 v91, v91 offset:164
	s_waitcnt lgkmcnt(0)
	v_mul_f32_e32 v89, v89, v91
	scratch_store_b32 off, v89, off offset:164
.LBB42_173:
	s_or_b32 exec_lo, exec_lo, s0
	s_waitcnt_vscnt null, 0x0
	s_barrier
	buffer_gl0_inv
	scratch_load_b32 v89, off, off offset:168
	s_mov_b32 s0, exec_lo
	s_waitcnt vmcnt(0)
	ds_store_b32 v2, v89
	s_waitcnt lgkmcnt(0)
	s_barrier
	buffer_gl0_inv
	v_cmpx_ne_u32_e32 42, v0
	s_cbranch_execz .LBB42_177
; %bb.174:
	v_mov_b32_e32 v89, 0
	s_mov_b32 s1, 0
.LBB42_175:                             ; =>This Inner Loop Header: Depth=1
	scratch_load_b32 v91, v1, off
	ds_load_b32 v92, v2
	v_add_nc_u32_e32 v90, 1, v90
	v_add_nc_u32_e32 v2, 4, v2
	;; [unrolled: 1-line block ×3, first 2 shown]
	s_waitcnt vmcnt(0) lgkmcnt(0)
	v_fmac_f32_e32 v89, v91, v92
	v_cmp_lt_u32_e32 vcc_lo, 40, v90
	s_or_b32 s1, vcc_lo, s1
	s_delay_alu instid0(SALU_CYCLE_1)
	s_and_not1_b32 exec_lo, exec_lo, s1
	s_cbranch_execnz .LBB42_175
; %bb.176:
	s_or_b32 exec_lo, exec_lo, s1
	v_mov_b32_e32 v1, 0
	ds_load_b32 v1, v1 offset:168
	s_waitcnt lgkmcnt(0)
	v_mul_f32_e32 v1, v89, v1
	scratch_store_b32 off, v1, off offset:168
.LBB42_177:
	s_or_b32 exec_lo, exec_lo, s0
	s_mov_b32 s1, -1
	s_waitcnt_vscnt null, 0x0
	s_barrier
	buffer_gl0_inv
.LBB42_178:
	s_and_b32 vcc_lo, exec_lo, s1
	s_cbranch_vccz .LBB42_180
; %bb.179:
	s_lshl_b64 s[0:1], s[14:15], 2
	v_mov_b32_e32 v1, 0
	s_add_u32 s0, s6, s0
	s_addc_u32 s1, s7, s1
	global_load_b32 v1, v1, s[0:1]
	s_waitcnt vmcnt(0)
	v_cmp_ne_u32_e32 vcc_lo, 0, v1
	s_cbranch_vccz .LBB42_181
.LBB42_180:
	s_endpgm
.LBB42_181:
	v_lshl_add_u32 v1, v0, 2, 0xb0
	s_mov_b32 s0, exec_lo
	v_cmpx_eq_u32_e32 42, v0
	s_cbranch_execz .LBB42_183
; %bb.182:
	scratch_load_b32 v2, off, off offset:164
	v_mov_b32_e32 v89, 0
	scratch_store_b32 off, v89, off offset:164
	s_waitcnt vmcnt(0)
	ds_store_b32 v1, v2
.LBB42_183:
	s_or_b32 exec_lo, exec_lo, s0
	s_waitcnt lgkmcnt(0)
	s_waitcnt_vscnt null, 0x0
	s_barrier
	buffer_gl0_inv
	scratch_load_b64 v[89:90], off, off offset:164
	v_mov_b32_e32 v2, 0
	s_mov_b32 s0, exec_lo
	ds_load_b32 v91, v2 offset:344
	s_waitcnt vmcnt(0) lgkmcnt(0)
	v_fma_f32 v90, v90, v91, 0
	s_delay_alu instid0(VALU_DEP_1)
	v_sub_f32_e32 v89, v89, v90
	scratch_store_b32 off, v89, off offset:164
	v_cmpx_lt_u32_e32 40, v0
	s_cbranch_execz .LBB42_185
; %bb.184:
	scratch_load_b32 v89, off, off offset:160
	scratch_store_b32 off, v2, off offset:160
	s_waitcnt vmcnt(0)
	ds_store_b32 v1, v89
.LBB42_185:
	s_or_b32 exec_lo, exec_lo, s0
	s_waitcnt lgkmcnt(0)
	s_waitcnt_vscnt null, 0x0
	s_barrier
	buffer_gl0_inv
	scratch_load_b96 v[89:91], off, off offset:160
	ds_load_2addr_b32 v[92:93], v2 offset0:85 offset1:86
	s_mov_b32 s0, exec_lo
	s_waitcnt vmcnt(0) lgkmcnt(0)
	v_fma_f32 v2, v90, v92, 0
	s_delay_alu instid0(VALU_DEP_1) | instskip(NEXT) | instid1(VALU_DEP_1)
	v_fmac_f32_e32 v2, v91, v93
	v_sub_f32_e32 v2, v89, v2
	scratch_store_b32 off, v2, off offset:160
	v_cmpx_lt_u32_e32 39, v0
	s_cbranch_execz .LBB42_187
; %bb.186:
	scratch_load_b32 v2, off, off offset:156
	v_mov_b32_e32 v89, 0
	scratch_store_b32 off, v89, off offset:156
	s_waitcnt vmcnt(0)
	ds_store_b32 v1, v2
.LBB42_187:
	s_or_b32 exec_lo, exec_lo, s0
	s_waitcnt lgkmcnt(0)
	s_waitcnt_vscnt null, 0x0
	s_barrier
	buffer_gl0_inv
	scratch_load_b128 v[89:92], off, off offset:156
	v_mov_b32_e32 v2, 0
	s_mov_b32 s0, exec_lo
	ds_load_b96 v[93:95], v2 offset:336
	s_waitcnt vmcnt(0) lgkmcnt(0)
	v_fma_f32 v90, v90, v93, 0
	s_delay_alu instid0(VALU_DEP_1) | instskip(NEXT) | instid1(VALU_DEP_1)
	v_fmac_f32_e32 v90, v91, v94
	v_fmac_f32_e32 v90, v92, v95
	s_delay_alu instid0(VALU_DEP_1)
	v_sub_f32_e32 v89, v89, v90
	scratch_store_b32 off, v89, off offset:156
	v_cmpx_lt_u32_e32 38, v0
	s_cbranch_execz .LBB42_189
; %bb.188:
	scratch_load_b32 v89, off, off offset:152
	scratch_store_b32 off, v2, off offset:152
	s_waitcnt vmcnt(0)
	ds_store_b32 v1, v89
.LBB42_189:
	s_or_b32 exec_lo, exec_lo, s0
	s_waitcnt lgkmcnt(0)
	s_waitcnt_vscnt null, 0x0
	s_barrier
	buffer_gl0_inv
	s_clause 0x1
	scratch_load_b128 v[89:92], off, off offset:152
	scratch_load_b32 v97, off, off offset:168
	ds_load_2addr_b32 v[93:94], v2 offset0:83 offset1:84
	ds_load_2addr_b32 v[95:96], v2 offset0:85 offset1:86
	s_mov_b32 s0, exec_lo
	s_waitcnt vmcnt(1) lgkmcnt(1)
	v_fma_f32 v2, v90, v93, 0
	s_delay_alu instid0(VALU_DEP_1) | instskip(SKIP_1) | instid1(VALU_DEP_1)
	v_fmac_f32_e32 v2, v91, v94
	s_waitcnt lgkmcnt(0)
	v_fmac_f32_e32 v2, v92, v95
	s_waitcnt vmcnt(0)
	s_delay_alu instid0(VALU_DEP_1) | instskip(NEXT) | instid1(VALU_DEP_1)
	v_fmac_f32_e32 v2, v97, v96
	v_sub_f32_e32 v2, v89, v2
	scratch_store_b32 off, v2, off offset:152
	v_cmpx_lt_u32_e32 37, v0
	s_cbranch_execz .LBB42_191
; %bb.190:
	scratch_load_b32 v2, off, off offset:148
	v_mov_b32_e32 v89, 0
	scratch_store_b32 off, v89, off offset:148
	s_waitcnt vmcnt(0)
	ds_store_b32 v1, v2
.LBB42_191:
	s_or_b32 exec_lo, exec_lo, s0
	s_waitcnt lgkmcnt(0)
	s_waitcnt_vscnt null, 0x0
	s_barrier
	buffer_gl0_inv
	s_clause 0x1
	scratch_load_b128 v[89:92], off, off offset:148
	scratch_load_b64 v[97:98], off, off offset:164
	v_mov_b32_e32 v2, 0
	ds_load_2addr_b64 v[93:96], v2 offset0:41 offset1:42
	ds_load_b32 v99, v2 offset:344
	s_mov_b32 s0, exec_lo
	s_waitcnt vmcnt(1) lgkmcnt(1)
	v_fma_f32 v90, v90, v93, 0
	s_delay_alu instid0(VALU_DEP_1) | instskip(NEXT) | instid1(VALU_DEP_1)
	v_fmac_f32_e32 v90, v91, v94
	v_fmac_f32_e32 v90, v92, v95
	s_waitcnt vmcnt(0)
	s_delay_alu instid0(VALU_DEP_1) | instskip(SKIP_1) | instid1(VALU_DEP_1)
	v_fmac_f32_e32 v90, v97, v96
	s_waitcnt lgkmcnt(0)
	v_fmac_f32_e32 v90, v98, v99
	s_delay_alu instid0(VALU_DEP_1)
	v_sub_f32_e32 v89, v89, v90
	scratch_store_b32 off, v89, off offset:148
	v_cmpx_lt_u32_e32 36, v0
	s_cbranch_execz .LBB42_193
; %bb.192:
	scratch_load_b32 v89, off, off offset:144
	scratch_store_b32 off, v2, off offset:144
	s_waitcnt vmcnt(0)
	ds_store_b32 v1, v89
.LBB42_193:
	s_or_b32 exec_lo, exec_lo, s0
	s_waitcnt lgkmcnt(0)
	s_waitcnt_vscnt null, 0x0
	s_barrier
	buffer_gl0_inv
	s_clause 0x1
	scratch_load_b128 v[89:92], off, off offset:144
	scratch_load_b96 v[93:95], off, off offset:160
	ds_load_2addr_b32 v[96:97], v2 offset0:81 offset1:82
	ds_load_2addr_b32 v[98:99], v2 offset0:83 offset1:84
	;; [unrolled: 1-line block ×3, first 2 shown]
	s_mov_b32 s0, exec_lo
	s_waitcnt vmcnt(1) lgkmcnt(2)
	v_fma_f32 v2, v90, v96, 0
	s_delay_alu instid0(VALU_DEP_1) | instskip(SKIP_1) | instid1(VALU_DEP_1)
	v_fmac_f32_e32 v2, v91, v97
	s_waitcnt lgkmcnt(1)
	v_fmac_f32_e32 v2, v92, v98
	s_waitcnt vmcnt(0)
	s_delay_alu instid0(VALU_DEP_1) | instskip(SKIP_1) | instid1(VALU_DEP_1)
	v_fmac_f32_e32 v2, v93, v99
	s_waitcnt lgkmcnt(0)
	v_fmac_f32_e32 v2, v94, v100
	s_delay_alu instid0(VALU_DEP_1) | instskip(NEXT) | instid1(VALU_DEP_1)
	v_fmac_f32_e32 v2, v95, v101
	v_sub_f32_e32 v2, v89, v2
	scratch_store_b32 off, v2, off offset:144
	v_cmpx_lt_u32_e32 35, v0
	s_cbranch_execz .LBB42_195
; %bb.194:
	scratch_load_b32 v2, off, off offset:140
	v_mov_b32_e32 v89, 0
	scratch_store_b32 off, v89, off offset:140
	s_waitcnt vmcnt(0)
	ds_store_b32 v1, v2
.LBB42_195:
	s_or_b32 exec_lo, exec_lo, s0
	s_waitcnt lgkmcnt(0)
	s_waitcnt_vscnt null, 0x0
	s_barrier
	buffer_gl0_inv
	s_clause 0x1
	scratch_load_b128 v[89:92], off, off offset:140
	scratch_load_b128 v[93:96], off, off offset:156
	v_mov_b32_e32 v2, 0
	ds_load_b128 v[97:100], v2 offset:320
	ds_load_b96 v[101:103], v2 offset:336
	s_mov_b32 s0, exec_lo
	s_waitcnt vmcnt(1) lgkmcnt(1)
	v_fma_f32 v90, v90, v97, 0
	s_delay_alu instid0(VALU_DEP_1) | instskip(NEXT) | instid1(VALU_DEP_1)
	v_fmac_f32_e32 v90, v91, v98
	v_fmac_f32_e32 v90, v92, v99
	s_waitcnt vmcnt(0)
	s_delay_alu instid0(VALU_DEP_1) | instskip(SKIP_1) | instid1(VALU_DEP_1)
	v_fmac_f32_e32 v90, v93, v100
	s_waitcnt lgkmcnt(0)
	v_fmac_f32_e32 v90, v94, v101
	s_delay_alu instid0(VALU_DEP_1) | instskip(NEXT) | instid1(VALU_DEP_1)
	v_fmac_f32_e32 v90, v95, v102
	v_fmac_f32_e32 v90, v96, v103
	s_delay_alu instid0(VALU_DEP_1)
	v_sub_f32_e32 v89, v89, v90
	scratch_store_b32 off, v89, off offset:140
	v_cmpx_lt_u32_e32 34, v0
	s_cbranch_execz .LBB42_197
; %bb.196:
	scratch_load_b32 v89, off, off offset:136
	scratch_store_b32 off, v2, off offset:136
	s_waitcnt vmcnt(0)
	ds_store_b32 v1, v89
.LBB42_197:
	s_or_b32 exec_lo, exec_lo, s0
	s_waitcnt lgkmcnt(0)
	s_waitcnt_vscnt null, 0x0
	s_barrier
	buffer_gl0_inv
	s_clause 0x2
	scratch_load_b128 v[89:92], off, off offset:136
	scratch_load_b128 v[93:96], off, off offset:152
	scratch_load_b32 v105, off, off offset:168
	ds_load_2addr_b32 v[97:98], v2 offset0:79 offset1:80
	ds_load_2addr_b32 v[99:100], v2 offset0:81 offset1:82
	;; [unrolled: 1-line block ×4, first 2 shown]
	s_mov_b32 s0, exec_lo
	s_waitcnt vmcnt(2) lgkmcnt(3)
	v_fma_f32 v2, v90, v97, 0
	s_delay_alu instid0(VALU_DEP_1) | instskip(SKIP_1) | instid1(VALU_DEP_1)
	v_fmac_f32_e32 v2, v91, v98
	s_waitcnt lgkmcnt(2)
	v_fmac_f32_e32 v2, v92, v99
	s_waitcnt vmcnt(1)
	s_delay_alu instid0(VALU_DEP_1) | instskip(SKIP_1) | instid1(VALU_DEP_1)
	v_fmac_f32_e32 v2, v93, v100
	s_waitcnt lgkmcnt(1)
	v_fmac_f32_e32 v2, v94, v101
	s_delay_alu instid0(VALU_DEP_1) | instskip(SKIP_1) | instid1(VALU_DEP_1)
	v_fmac_f32_e32 v2, v95, v102
	s_waitcnt lgkmcnt(0)
	v_fmac_f32_e32 v2, v96, v103
	s_waitcnt vmcnt(0)
	s_delay_alu instid0(VALU_DEP_1) | instskip(NEXT) | instid1(VALU_DEP_1)
	v_fmac_f32_e32 v2, v105, v104
	v_sub_f32_e32 v2, v89, v2
	scratch_store_b32 off, v2, off offset:136
	v_cmpx_lt_u32_e32 33, v0
	s_cbranch_execz .LBB42_199
; %bb.198:
	scratch_load_b32 v2, off, off offset:132
	v_mov_b32_e32 v89, 0
	scratch_store_b32 off, v89, off offset:132
	s_waitcnt vmcnt(0)
	ds_store_b32 v1, v2
.LBB42_199:
	s_or_b32 exec_lo, exec_lo, s0
	s_waitcnt lgkmcnt(0)
	s_waitcnt_vscnt null, 0x0
	s_barrier
	buffer_gl0_inv
	s_clause 0x2
	scratch_load_b128 v[89:92], off, off offset:132
	scratch_load_b128 v[93:96], off, off offset:148
	scratch_load_b64 v[105:106], off, off offset:164
	v_mov_b32_e32 v2, 0
	ds_load_2addr_b64 v[97:100], v2 offset0:39 offset1:40
	ds_load_2addr_b64 v[101:104], v2 offset0:41 offset1:42
	s_mov_b32 s0, exec_lo
	s_waitcnt vmcnt(2) lgkmcnt(1)
	v_fma_f32 v90, v90, v97, 0
	s_delay_alu instid0(VALU_DEP_1) | instskip(SKIP_3) | instid1(VALU_DEP_1)
	v_fmac_f32_e32 v90, v91, v98
	ds_load_b32 v91, v2 offset:344
	v_fmac_f32_e32 v90, v92, v99
	s_waitcnt vmcnt(1)
	v_fmac_f32_e32 v90, v93, v100
	s_waitcnt lgkmcnt(1)
	s_delay_alu instid0(VALU_DEP_1) | instskip(NEXT) | instid1(VALU_DEP_1)
	v_fmac_f32_e32 v90, v94, v101
	v_fmac_f32_e32 v90, v95, v102
	s_delay_alu instid0(VALU_DEP_1) | instskip(SKIP_1) | instid1(VALU_DEP_1)
	v_fmac_f32_e32 v90, v96, v103
	s_waitcnt vmcnt(0)
	v_fmac_f32_e32 v90, v105, v104
	s_waitcnt lgkmcnt(0)
	s_delay_alu instid0(VALU_DEP_1) | instskip(NEXT) | instid1(VALU_DEP_1)
	v_fmac_f32_e32 v90, v106, v91
	v_sub_f32_e32 v89, v89, v90
	scratch_store_b32 off, v89, off offset:132
	v_cmpx_lt_u32_e32 32, v0
	s_cbranch_execz .LBB42_201
; %bb.200:
	scratch_load_b32 v89, off, off offset:128
	scratch_store_b32 off, v2, off offset:128
	s_waitcnt vmcnt(0)
	ds_store_b32 v1, v89
.LBB42_201:
	s_or_b32 exec_lo, exec_lo, s0
	s_waitcnt lgkmcnt(0)
	s_waitcnt_vscnt null, 0x0
	s_barrier
	buffer_gl0_inv
	s_clause 0x2
	scratch_load_b128 v[89:92], off, off offset:128
	scratch_load_b128 v[93:96], off, off offset:144
	scratch_load_b96 v[97:99], off, off offset:160
	ds_load_2addr_b32 v[100:101], v2 offset0:77 offset1:78
	ds_load_2addr_b32 v[102:103], v2 offset0:79 offset1:80
	;; [unrolled: 1-line block ×4, first 2 shown]
	s_mov_b32 s0, exec_lo
	s_waitcnt vmcnt(2) lgkmcnt(3)
	v_fma_f32 v100, v90, v100, 0
	s_delay_alu instid0(VALU_DEP_1) | instskip(SKIP_4) | instid1(VALU_DEP_1)
	v_fmac_f32_e32 v100, v91, v101
	ds_load_2addr_b32 v[90:91], v2 offset0:85 offset1:86
	s_waitcnt lgkmcnt(3)
	v_fmac_f32_e32 v100, v92, v102
	s_waitcnt vmcnt(1)
	v_fmac_f32_e32 v100, v93, v103
	s_waitcnt lgkmcnt(2)
	s_delay_alu instid0(VALU_DEP_1) | instskip(NEXT) | instid1(VALU_DEP_1)
	v_fmac_f32_e32 v100, v94, v104
	v_fmac_f32_e32 v100, v95, v105
	s_waitcnt lgkmcnt(1)
	s_delay_alu instid0(VALU_DEP_1) | instskip(SKIP_1) | instid1(VALU_DEP_1)
	v_fmac_f32_e32 v100, v96, v106
	s_waitcnt vmcnt(0)
	v_fmac_f32_e32 v100, v97, v107
	s_waitcnt lgkmcnt(0)
	s_delay_alu instid0(VALU_DEP_1) | instskip(NEXT) | instid1(VALU_DEP_1)
	v_fmac_f32_e32 v100, v98, v90
	v_fmac_f32_e32 v100, v99, v91
	s_delay_alu instid0(VALU_DEP_1)
	v_sub_f32_e32 v2, v89, v100
	scratch_store_b32 off, v2, off offset:128
	v_cmpx_lt_u32_e32 31, v0
	s_cbranch_execz .LBB42_203
; %bb.202:
	scratch_load_b32 v2, off, off offset:124
	v_mov_b32_e32 v89, 0
	scratch_store_b32 off, v89, off offset:124
	s_waitcnt vmcnt(0)
	ds_store_b32 v1, v2
.LBB42_203:
	s_or_b32 exec_lo, exec_lo, s0
	s_waitcnt lgkmcnt(0)
	s_waitcnt_vscnt null, 0x0
	s_barrier
	buffer_gl0_inv
	s_clause 0x2
	scratch_load_b128 v[89:92], off, off offset:124
	scratch_load_b128 v[93:96], off, off offset:140
	;; [unrolled: 1-line block ×3, first 2 shown]
	v_mov_b32_e32 v2, 0
	ds_load_b128 v[101:104], v2 offset:304
	ds_load_b128 v[105:108], v2 offset:320
	s_mov_b32 s0, exec_lo
	s_waitcnt vmcnt(2) lgkmcnt(1)
	v_fma_f32 v101, v90, v101, 0
	s_delay_alu instid0(VALU_DEP_1) | instskip(NEXT) | instid1(VALU_DEP_1)
	v_fmac_f32_e32 v101, v91, v102
	v_fmac_f32_e32 v101, v92, v103
	ds_load_b96 v[90:92], v2 offset:336
	s_waitcnt vmcnt(1)
	v_fmac_f32_e32 v101, v93, v104
	s_waitcnt lgkmcnt(1)
	s_delay_alu instid0(VALU_DEP_1) | instskip(NEXT) | instid1(VALU_DEP_1)
	v_fmac_f32_e32 v101, v94, v105
	v_fmac_f32_e32 v101, v95, v106
	s_delay_alu instid0(VALU_DEP_1) | instskip(SKIP_1) | instid1(VALU_DEP_1)
	v_fmac_f32_e32 v101, v96, v107
	s_waitcnt vmcnt(0)
	v_fmac_f32_e32 v101, v97, v108
	s_waitcnt lgkmcnt(0)
	s_delay_alu instid0(VALU_DEP_1) | instskip(NEXT) | instid1(VALU_DEP_1)
	v_fmac_f32_e32 v101, v98, v90
	v_fmac_f32_e32 v101, v99, v91
	s_delay_alu instid0(VALU_DEP_1) | instskip(NEXT) | instid1(VALU_DEP_1)
	v_fmac_f32_e32 v101, v100, v92
	v_sub_f32_e32 v89, v89, v101
	scratch_store_b32 off, v89, off offset:124
	v_cmpx_lt_u32_e32 30, v0
	s_cbranch_execz .LBB42_205
; %bb.204:
	scratch_load_b32 v89, off, off offset:120
	scratch_store_b32 off, v2, off offset:120
	s_waitcnt vmcnt(0)
	ds_store_b32 v1, v89
.LBB42_205:
	s_or_b32 exec_lo, exec_lo, s0
	s_waitcnt lgkmcnt(0)
	s_waitcnt_vscnt null, 0x0
	s_barrier
	buffer_gl0_inv
	s_clause 0x3
	scratch_load_b128 v[89:92], off, off offset:120
	scratch_load_b128 v[93:96], off, off offset:136
	;; [unrolled: 1-line block ×3, first 2 shown]
	scratch_load_b32 v109, off, off offset:168
	ds_load_2addr_b32 v[101:102], v2 offset0:75 offset1:76
	ds_load_2addr_b32 v[103:104], v2 offset0:77 offset1:78
	;; [unrolled: 1-line block ×4, first 2 shown]
	s_mov_b32 s0, exec_lo
	s_waitcnt vmcnt(3) lgkmcnt(3)
	v_fma_f32 v101, v90, v101, 0
	s_delay_alu instid0(VALU_DEP_1) | instskip(SKIP_4) | instid1(VALU_DEP_1)
	v_fmac_f32_e32 v101, v91, v102
	ds_load_2addr_b32 v[90:91], v2 offset0:83 offset1:84
	s_waitcnt lgkmcnt(3)
	v_fmac_f32_e32 v101, v92, v103
	s_waitcnt vmcnt(2)
	v_fmac_f32_e32 v101, v93, v104
	ds_load_2addr_b32 v[92:93], v2 offset0:85 offset1:86
	s_waitcnt lgkmcnt(3)
	v_fmac_f32_e32 v101, v94, v105
	s_delay_alu instid0(VALU_DEP_1) | instskip(SKIP_1) | instid1(VALU_DEP_1)
	v_fmac_f32_e32 v101, v95, v106
	s_waitcnt lgkmcnt(2)
	v_fmac_f32_e32 v101, v96, v107
	s_waitcnt vmcnt(1)
	s_delay_alu instid0(VALU_DEP_1) | instskip(SKIP_1) | instid1(VALU_DEP_1)
	v_fmac_f32_e32 v101, v97, v108
	s_waitcnt lgkmcnt(1)
	v_fmac_f32_e32 v101, v98, v90
	s_delay_alu instid0(VALU_DEP_1) | instskip(SKIP_1) | instid1(VALU_DEP_1)
	v_fmac_f32_e32 v101, v99, v91
	s_waitcnt lgkmcnt(0)
	v_fmac_f32_e32 v101, v100, v92
	s_waitcnt vmcnt(0)
	s_delay_alu instid0(VALU_DEP_1) | instskip(NEXT) | instid1(VALU_DEP_1)
	v_fmac_f32_e32 v101, v109, v93
	v_sub_f32_e32 v2, v89, v101
	scratch_store_b32 off, v2, off offset:120
	v_cmpx_lt_u32_e32 29, v0
	s_cbranch_execz .LBB42_207
; %bb.206:
	scratch_load_b32 v2, off, off offset:116
	v_mov_b32_e32 v89, 0
	scratch_store_b32 off, v89, off offset:116
	s_waitcnt vmcnt(0)
	ds_store_b32 v1, v2
.LBB42_207:
	s_or_b32 exec_lo, exec_lo, s0
	s_waitcnt lgkmcnt(0)
	s_waitcnt_vscnt null, 0x0
	s_barrier
	buffer_gl0_inv
	s_clause 0x3
	scratch_load_b128 v[89:92], off, off offset:116
	scratch_load_b128 v[93:96], off, off offset:132
	scratch_load_b128 v[97:100], off, off offset:148
	scratch_load_b64 v[109:110], off, off offset:164
	v_mov_b32_e32 v2, 0
	ds_load_2addr_b64 v[101:104], v2 offset0:37 offset1:38
	ds_load_2addr_b64 v[105:108], v2 offset0:39 offset1:40
	s_mov_b32 s0, exec_lo
	s_waitcnt vmcnt(3) lgkmcnt(1)
	v_fma_f32 v101, v90, v101, 0
	s_delay_alu instid0(VALU_DEP_1) | instskip(NEXT) | instid1(VALU_DEP_1)
	v_fmac_f32_e32 v101, v91, v102
	v_fmac_f32_e32 v101, v92, v103
	s_waitcnt vmcnt(2)
	s_delay_alu instid0(VALU_DEP_1)
	v_fmac_f32_e32 v101, v93, v104
	ds_load_2addr_b64 v[90:93], v2 offset0:41 offset1:42
	s_waitcnt lgkmcnt(1)
	v_fmac_f32_e32 v101, v94, v105
	ds_load_b32 v94, v2 offset:344
	v_fmac_f32_e32 v101, v95, v106
	s_delay_alu instid0(VALU_DEP_1) | instskip(SKIP_1) | instid1(VALU_DEP_1)
	v_fmac_f32_e32 v101, v96, v107
	s_waitcnt vmcnt(1)
	v_fmac_f32_e32 v101, v97, v108
	s_waitcnt lgkmcnt(1)
	s_delay_alu instid0(VALU_DEP_1) | instskip(NEXT) | instid1(VALU_DEP_1)
	v_fmac_f32_e32 v101, v98, v90
	v_fmac_f32_e32 v101, v99, v91
	s_delay_alu instid0(VALU_DEP_1) | instskip(SKIP_1) | instid1(VALU_DEP_1)
	v_fmac_f32_e32 v101, v100, v92
	s_waitcnt vmcnt(0)
	v_fmac_f32_e32 v101, v109, v93
	s_waitcnt lgkmcnt(0)
	s_delay_alu instid0(VALU_DEP_1) | instskip(NEXT) | instid1(VALU_DEP_1)
	v_fmac_f32_e32 v101, v110, v94
	v_sub_f32_e32 v89, v89, v101
	scratch_store_b32 off, v89, off offset:116
	v_cmpx_lt_u32_e32 28, v0
	s_cbranch_execz .LBB42_209
; %bb.208:
	scratch_load_b32 v89, off, off offset:112
	scratch_store_b32 off, v2, off offset:112
	s_waitcnt vmcnt(0)
	ds_store_b32 v1, v89
.LBB42_209:
	s_or_b32 exec_lo, exec_lo, s0
	s_waitcnt lgkmcnt(0)
	s_waitcnt_vscnt null, 0x0
	s_barrier
	buffer_gl0_inv
	s_clause 0x3
	scratch_load_b128 v[89:92], off, off offset:112
	scratch_load_b128 v[93:96], off, off offset:128
	;; [unrolled: 1-line block ×3, first 2 shown]
	scratch_load_b96 v[101:103], off, off offset:160
	ds_load_2addr_b32 v[104:105], v2 offset0:73 offset1:74
	ds_load_2addr_b32 v[106:107], v2 offset0:75 offset1:76
	;; [unrolled: 1-line block ×4, first 2 shown]
	s_mov_b32 s0, exec_lo
	s_waitcnt vmcnt(3) lgkmcnt(3)
	v_fma_f32 v104, v90, v104, 0
	s_delay_alu instid0(VALU_DEP_1) | instskip(SKIP_4) | instid1(VALU_DEP_1)
	v_fmac_f32_e32 v104, v91, v105
	ds_load_2addr_b32 v[90:91], v2 offset0:81 offset1:82
	s_waitcnt lgkmcnt(3)
	v_fmac_f32_e32 v104, v92, v106
	s_waitcnt vmcnt(2)
	v_fmac_f32_e32 v104, v93, v107
	ds_load_2addr_b32 v[92:93], v2 offset0:83 offset1:84
	s_waitcnt lgkmcnt(3)
	v_fmac_f32_e32 v104, v94, v108
	s_delay_alu instid0(VALU_DEP_1) | instskip(SKIP_4) | instid1(VALU_DEP_1)
	v_fmac_f32_e32 v104, v95, v109
	ds_load_2addr_b32 v[94:95], v2 offset0:85 offset1:86
	s_waitcnt lgkmcnt(3)
	v_fmac_f32_e32 v104, v96, v110
	s_waitcnt vmcnt(1)
	v_fmac_f32_e32 v104, v97, v111
	s_waitcnt lgkmcnt(2)
	s_delay_alu instid0(VALU_DEP_1) | instskip(NEXT) | instid1(VALU_DEP_1)
	v_fmac_f32_e32 v104, v98, v90
	v_fmac_f32_e32 v104, v99, v91
	s_waitcnt lgkmcnt(1)
	s_delay_alu instid0(VALU_DEP_1) | instskip(SKIP_1) | instid1(VALU_DEP_1)
	v_fmac_f32_e32 v104, v100, v92
	s_waitcnt vmcnt(0)
	v_fmac_f32_e32 v104, v101, v93
	s_waitcnt lgkmcnt(0)
	s_delay_alu instid0(VALU_DEP_1) | instskip(NEXT) | instid1(VALU_DEP_1)
	v_fmac_f32_e32 v104, v102, v94
	v_fmac_f32_e32 v104, v103, v95
	s_delay_alu instid0(VALU_DEP_1)
	v_sub_f32_e32 v2, v89, v104
	scratch_store_b32 off, v2, off offset:112
	v_cmpx_lt_u32_e32 27, v0
	s_cbranch_execz .LBB42_211
; %bb.210:
	scratch_load_b32 v2, off, off offset:108
	v_mov_b32_e32 v89, 0
	scratch_store_b32 off, v89, off offset:108
	s_waitcnt vmcnt(0)
	ds_store_b32 v1, v2
.LBB42_211:
	s_or_b32 exec_lo, exec_lo, s0
	s_waitcnt lgkmcnt(0)
	s_waitcnt_vscnt null, 0x0
	s_barrier
	buffer_gl0_inv
	s_clause 0x3
	scratch_load_b128 v[89:92], off, off offset:108
	scratch_load_b128 v[93:96], off, off offset:124
	;; [unrolled: 1-line block ×4, first 2 shown]
	v_mov_b32_e32 v2, 0
	ds_load_b128 v[105:108], v2 offset:288
	ds_load_b128 v[109:112], v2 offset:304
	s_mov_b32 s0, exec_lo
	s_waitcnt vmcnt(3) lgkmcnt(1)
	v_fma_f32 v105, v90, v105, 0
	s_delay_alu instid0(VALU_DEP_1) | instskip(NEXT) | instid1(VALU_DEP_1)
	v_fmac_f32_e32 v105, v91, v106
	v_fmac_f32_e32 v105, v92, v107
	s_waitcnt vmcnt(2)
	s_delay_alu instid0(VALU_DEP_1) | instskip(SKIP_3) | instid1(VALU_DEP_1)
	v_fmac_f32_e32 v105, v93, v108
	ds_load_b128 v[90:93], v2 offset:320
	s_waitcnt lgkmcnt(1)
	v_fmac_f32_e32 v105, v94, v109
	v_fmac_f32_e32 v105, v95, v110
	s_delay_alu instid0(VALU_DEP_1) | instskip(SKIP_4) | instid1(VALU_DEP_1)
	v_fmac_f32_e32 v105, v96, v111
	ds_load_b96 v[94:96], v2 offset:336
	s_waitcnt vmcnt(1)
	v_fmac_f32_e32 v105, v97, v112
	s_waitcnt lgkmcnt(1)
	v_fmac_f32_e32 v105, v98, v90
	s_delay_alu instid0(VALU_DEP_1) | instskip(NEXT) | instid1(VALU_DEP_1)
	v_fmac_f32_e32 v105, v99, v91
	v_fmac_f32_e32 v105, v100, v92
	s_waitcnt vmcnt(0)
	s_delay_alu instid0(VALU_DEP_1) | instskip(SKIP_1) | instid1(VALU_DEP_1)
	v_fmac_f32_e32 v105, v101, v93
	s_waitcnt lgkmcnt(0)
	v_fmac_f32_e32 v105, v102, v94
	s_delay_alu instid0(VALU_DEP_1) | instskip(NEXT) | instid1(VALU_DEP_1)
	v_fmac_f32_e32 v105, v103, v95
	v_fmac_f32_e32 v105, v104, v96
	s_delay_alu instid0(VALU_DEP_1)
	v_sub_f32_e32 v89, v89, v105
	scratch_store_b32 off, v89, off offset:108
	v_cmpx_lt_u32_e32 26, v0
	s_cbranch_execz .LBB42_213
; %bb.212:
	scratch_load_b32 v89, off, off offset:104
	scratch_store_b32 off, v2, off offset:104
	s_waitcnt vmcnt(0)
	ds_store_b32 v1, v89
.LBB42_213:
	s_or_b32 exec_lo, exec_lo, s0
	s_waitcnt lgkmcnt(0)
	s_waitcnt_vscnt null, 0x0
	s_barrier
	buffer_gl0_inv
	s_clause 0x4
	scratch_load_b128 v[89:92], off, off offset:104
	scratch_load_b128 v[93:96], off, off offset:120
	;; [unrolled: 1-line block ×4, first 2 shown]
	scratch_load_b32 v113, off, off offset:168
	ds_load_2addr_b32 v[105:106], v2 offset0:71 offset1:72
	ds_load_2addr_b32 v[107:108], v2 offset0:73 offset1:74
	;; [unrolled: 1-line block ×4, first 2 shown]
	s_mov_b32 s0, exec_lo
	s_waitcnt vmcnt(4) lgkmcnt(3)
	v_fma_f32 v105, v90, v105, 0
	s_delay_alu instid0(VALU_DEP_1) | instskip(SKIP_4) | instid1(VALU_DEP_1)
	v_fmac_f32_e32 v105, v91, v106
	ds_load_2addr_b32 v[90:91], v2 offset0:79 offset1:80
	s_waitcnt lgkmcnt(3)
	v_fmac_f32_e32 v105, v92, v107
	s_waitcnt vmcnt(3)
	v_fmac_f32_e32 v105, v93, v108
	ds_load_2addr_b32 v[92:93], v2 offset0:81 offset1:82
	s_waitcnt lgkmcnt(3)
	v_fmac_f32_e32 v105, v94, v109
	s_delay_alu instid0(VALU_DEP_1) | instskip(SKIP_1) | instid1(VALU_DEP_1)
	v_fmac_f32_e32 v105, v95, v110
	s_waitcnt lgkmcnt(2)
	v_fmac_f32_e32 v105, v96, v111
	s_waitcnt vmcnt(2)
	s_delay_alu instid0(VALU_DEP_1) | instskip(SKIP_4) | instid1(VALU_DEP_1)
	v_fmac_f32_e32 v105, v97, v112
	ds_load_2addr_b32 v[94:95], v2 offset0:83 offset1:84
	ds_load_2addr_b32 v[96:97], v2 offset0:85 offset1:86
	s_waitcnt lgkmcnt(3)
	v_fmac_f32_e32 v105, v98, v90
	v_fmac_f32_e32 v105, v99, v91
	s_waitcnt lgkmcnt(2)
	s_delay_alu instid0(VALU_DEP_1) | instskip(SKIP_1) | instid1(VALU_DEP_1)
	v_fmac_f32_e32 v105, v100, v92
	s_waitcnt vmcnt(1)
	v_fmac_f32_e32 v105, v101, v93
	s_waitcnt lgkmcnt(1)
	s_delay_alu instid0(VALU_DEP_1) | instskip(NEXT) | instid1(VALU_DEP_1)
	v_fmac_f32_e32 v105, v102, v94
	v_fmac_f32_e32 v105, v103, v95
	s_waitcnt lgkmcnt(0)
	s_delay_alu instid0(VALU_DEP_1) | instskip(SKIP_1) | instid1(VALU_DEP_1)
	v_fmac_f32_e32 v105, v104, v96
	s_waitcnt vmcnt(0)
	v_fmac_f32_e32 v105, v113, v97
	s_delay_alu instid0(VALU_DEP_1)
	v_sub_f32_e32 v2, v89, v105
	scratch_store_b32 off, v2, off offset:104
	v_cmpx_lt_u32_e32 25, v0
	s_cbranch_execz .LBB42_215
; %bb.214:
	scratch_load_b32 v2, off, off offset:100
	v_mov_b32_e32 v89, 0
	scratch_store_b32 off, v89, off offset:100
	s_waitcnt vmcnt(0)
	ds_store_b32 v1, v2
.LBB42_215:
	s_or_b32 exec_lo, exec_lo, s0
	s_waitcnt lgkmcnt(0)
	s_waitcnt_vscnt null, 0x0
	s_barrier
	buffer_gl0_inv
	s_clause 0x4
	scratch_load_b128 v[89:92], off, off offset:100
	scratch_load_b128 v[93:96], off, off offset:116
	;; [unrolled: 1-line block ×4, first 2 shown]
	scratch_load_b64 v[113:114], off, off offset:164
	v_mov_b32_e32 v2, 0
	ds_load_2addr_b64 v[105:108], v2 offset0:35 offset1:36
	ds_load_2addr_b64 v[109:112], v2 offset0:37 offset1:38
	s_mov_b32 s0, exec_lo
	s_waitcnt vmcnt(4) lgkmcnt(1)
	v_fma_f32 v105, v90, v105, 0
	s_delay_alu instid0(VALU_DEP_1) | instskip(NEXT) | instid1(VALU_DEP_1)
	v_fmac_f32_e32 v105, v91, v106
	v_fmac_f32_e32 v105, v92, v107
	s_waitcnt vmcnt(3)
	s_delay_alu instid0(VALU_DEP_1) | instskip(SKIP_3) | instid1(VALU_DEP_1)
	v_fmac_f32_e32 v105, v93, v108
	ds_load_2addr_b64 v[90:93], v2 offset0:39 offset1:40
	s_waitcnt lgkmcnt(1)
	v_fmac_f32_e32 v105, v94, v109
	v_fmac_f32_e32 v105, v95, v110
	s_delay_alu instid0(VALU_DEP_1) | instskip(SKIP_1) | instid1(VALU_DEP_1)
	v_fmac_f32_e32 v105, v96, v111
	s_waitcnt vmcnt(2)
	v_fmac_f32_e32 v105, v97, v112
	ds_load_2addr_b64 v[94:97], v2 offset0:41 offset1:42
	s_waitcnt lgkmcnt(1)
	v_fmac_f32_e32 v105, v98, v90
	ds_load_b32 v90, v2 offset:344
	v_fmac_f32_e32 v105, v99, v91
	s_delay_alu instid0(VALU_DEP_1) | instskip(SKIP_1) | instid1(VALU_DEP_1)
	v_fmac_f32_e32 v105, v100, v92
	s_waitcnt vmcnt(1)
	v_fmac_f32_e32 v105, v101, v93
	s_waitcnt lgkmcnt(1)
	s_delay_alu instid0(VALU_DEP_1) | instskip(NEXT) | instid1(VALU_DEP_1)
	v_fmac_f32_e32 v105, v102, v94
	v_fmac_f32_e32 v105, v103, v95
	s_delay_alu instid0(VALU_DEP_1) | instskip(SKIP_1) | instid1(VALU_DEP_1)
	v_fmac_f32_e32 v105, v104, v96
	s_waitcnt vmcnt(0)
	v_fmac_f32_e32 v105, v113, v97
	s_waitcnt lgkmcnt(0)
	s_delay_alu instid0(VALU_DEP_1) | instskip(NEXT) | instid1(VALU_DEP_1)
	v_fmac_f32_e32 v105, v114, v90
	v_sub_f32_e32 v89, v89, v105
	scratch_store_b32 off, v89, off offset:100
	v_cmpx_lt_u32_e32 24, v0
	s_cbranch_execz .LBB42_217
; %bb.216:
	scratch_load_b32 v89, off, off offset:96
	scratch_store_b32 off, v2, off offset:96
	s_waitcnt vmcnt(0)
	ds_store_b32 v1, v89
.LBB42_217:
	s_or_b32 exec_lo, exec_lo, s0
	s_waitcnt lgkmcnt(0)
	s_waitcnt_vscnt null, 0x0
	s_barrier
	buffer_gl0_inv
	s_clause 0x4
	scratch_load_b128 v[89:92], off, off offset:96
	scratch_load_b128 v[93:96], off, off offset:112
	;; [unrolled: 1-line block ×4, first 2 shown]
	scratch_load_b96 v[105:107], off, off offset:160
	ds_load_2addr_b32 v[108:109], v2 offset0:69 offset1:70
	ds_load_2addr_b32 v[110:111], v2 offset0:71 offset1:72
	;; [unrolled: 1-line block ×4, first 2 shown]
	s_mov_b32 s0, exec_lo
	s_waitcnt vmcnt(4) lgkmcnt(3)
	v_fma_f32 v108, v90, v108, 0
	s_delay_alu instid0(VALU_DEP_1) | instskip(SKIP_4) | instid1(VALU_DEP_1)
	v_fmac_f32_e32 v108, v91, v109
	ds_load_2addr_b32 v[90:91], v2 offset0:77 offset1:78
	s_waitcnt lgkmcnt(3)
	v_fmac_f32_e32 v108, v92, v110
	s_waitcnt vmcnt(3)
	v_fmac_f32_e32 v108, v93, v111
	ds_load_2addr_b32 v[92:93], v2 offset0:79 offset1:80
	s_waitcnt lgkmcnt(3)
	v_fmac_f32_e32 v108, v94, v112
	s_delay_alu instid0(VALU_DEP_1) | instskip(SKIP_1) | instid1(VALU_DEP_1)
	v_fmac_f32_e32 v108, v95, v113
	s_waitcnt lgkmcnt(2)
	v_fmac_f32_e32 v108, v96, v114
	s_waitcnt vmcnt(2)
	s_delay_alu instid0(VALU_DEP_1) | instskip(SKIP_4) | instid1(VALU_DEP_1)
	v_fmac_f32_e32 v108, v97, v115
	ds_load_2addr_b32 v[94:95], v2 offset0:81 offset1:82
	ds_load_2addr_b32 v[96:97], v2 offset0:83 offset1:84
	s_waitcnt lgkmcnt(3)
	v_fmac_f32_e32 v108, v98, v90
	v_fmac_f32_e32 v108, v99, v91
	ds_load_2addr_b32 v[90:91], v2 offset0:85 offset1:86
	s_waitcnt lgkmcnt(3)
	v_fmac_f32_e32 v108, v100, v92
	s_waitcnt vmcnt(1)
	s_delay_alu instid0(VALU_DEP_1) | instskip(SKIP_1) | instid1(VALU_DEP_1)
	v_fmac_f32_e32 v108, v101, v93
	s_waitcnt lgkmcnt(2)
	v_fmac_f32_e32 v108, v102, v94
	s_delay_alu instid0(VALU_DEP_1) | instskip(SKIP_1) | instid1(VALU_DEP_1)
	v_fmac_f32_e32 v108, v103, v95
	s_waitcnt lgkmcnt(1)
	v_fmac_f32_e32 v108, v104, v96
	s_waitcnt vmcnt(0)
	s_delay_alu instid0(VALU_DEP_1) | instskip(SKIP_1) | instid1(VALU_DEP_1)
	v_fmac_f32_e32 v108, v105, v97
	s_waitcnt lgkmcnt(0)
	v_fmac_f32_e32 v108, v106, v90
	s_delay_alu instid0(VALU_DEP_1) | instskip(NEXT) | instid1(VALU_DEP_1)
	v_fmac_f32_e32 v108, v107, v91
	v_sub_f32_e32 v2, v89, v108
	scratch_store_b32 off, v2, off offset:96
	v_cmpx_lt_u32_e32 23, v0
	s_cbranch_execz .LBB42_219
; %bb.218:
	scratch_load_b32 v2, off, off offset:92
	v_mov_b32_e32 v89, 0
	scratch_store_b32 off, v89, off offset:92
	s_waitcnt vmcnt(0)
	ds_store_b32 v1, v2
.LBB42_219:
	s_or_b32 exec_lo, exec_lo, s0
	s_waitcnt lgkmcnt(0)
	s_waitcnt_vscnt null, 0x0
	s_barrier
	buffer_gl0_inv
	s_clause 0x4
	scratch_load_b128 v[89:92], off, off offset:92
	scratch_load_b128 v[93:96], off, off offset:108
	;; [unrolled: 1-line block ×5, first 2 shown]
	v_mov_b32_e32 v2, 0
	ds_load_b128 v[109:112], v2 offset:272
	ds_load_b128 v[113:116], v2 offset:288
	s_mov_b32 s0, exec_lo
	s_waitcnt vmcnt(4) lgkmcnt(1)
	v_fma_f32 v109, v90, v109, 0
	s_delay_alu instid0(VALU_DEP_1) | instskip(NEXT) | instid1(VALU_DEP_1)
	v_fmac_f32_e32 v109, v91, v110
	v_fmac_f32_e32 v109, v92, v111
	s_waitcnt vmcnt(3)
	s_delay_alu instid0(VALU_DEP_1) | instskip(SKIP_3) | instid1(VALU_DEP_1)
	v_fmac_f32_e32 v109, v93, v112
	ds_load_b128 v[90:93], v2 offset:304
	s_waitcnt lgkmcnt(1)
	v_fmac_f32_e32 v109, v94, v113
	v_fmac_f32_e32 v109, v95, v114
	s_delay_alu instid0(VALU_DEP_1) | instskip(SKIP_1) | instid1(VALU_DEP_1)
	v_fmac_f32_e32 v109, v96, v115
	s_waitcnt vmcnt(2)
	v_fmac_f32_e32 v109, v97, v116
	ds_load_b128 v[94:97], v2 offset:320
	s_waitcnt lgkmcnt(1)
	v_fmac_f32_e32 v109, v98, v90
	s_delay_alu instid0(VALU_DEP_1) | instskip(NEXT) | instid1(VALU_DEP_1)
	v_fmac_f32_e32 v109, v99, v91
	v_fmac_f32_e32 v109, v100, v92
	ds_load_b96 v[90:92], v2 offset:336
	s_waitcnt vmcnt(1)
	v_fmac_f32_e32 v109, v101, v93
	s_waitcnt lgkmcnt(1)
	s_delay_alu instid0(VALU_DEP_1) | instskip(NEXT) | instid1(VALU_DEP_1)
	v_fmac_f32_e32 v109, v102, v94
	v_fmac_f32_e32 v109, v103, v95
	s_delay_alu instid0(VALU_DEP_1) | instskip(SKIP_1) | instid1(VALU_DEP_1)
	v_fmac_f32_e32 v109, v104, v96
	s_waitcnt vmcnt(0)
	v_fmac_f32_e32 v109, v105, v97
	s_waitcnt lgkmcnt(0)
	s_delay_alu instid0(VALU_DEP_1) | instskip(NEXT) | instid1(VALU_DEP_1)
	v_fmac_f32_e32 v109, v106, v90
	v_fmac_f32_e32 v109, v107, v91
	s_delay_alu instid0(VALU_DEP_1) | instskip(NEXT) | instid1(VALU_DEP_1)
	v_fmac_f32_e32 v109, v108, v92
	v_sub_f32_e32 v89, v89, v109
	scratch_store_b32 off, v89, off offset:92
	v_cmpx_lt_u32_e32 22, v0
	s_cbranch_execz .LBB42_221
; %bb.220:
	scratch_load_b32 v89, off, off offset:88
	scratch_store_b32 off, v2, off offset:88
	s_waitcnt vmcnt(0)
	ds_store_b32 v1, v89
.LBB42_221:
	s_or_b32 exec_lo, exec_lo, s0
	s_waitcnt lgkmcnt(0)
	s_waitcnt_vscnt null, 0x0
	s_barrier
	buffer_gl0_inv
	s_clause 0x5
	scratch_load_b128 v[89:92], off, off offset:88
	scratch_load_b128 v[93:96], off, off offset:104
	;; [unrolled: 1-line block ×5, first 2 shown]
	scratch_load_b32 v117, off, off offset:168
	ds_load_2addr_b32 v[109:110], v2 offset0:67 offset1:68
	ds_load_2addr_b32 v[111:112], v2 offset0:69 offset1:70
	ds_load_2addr_b32 v[113:114], v2 offset0:71 offset1:72
	ds_load_2addr_b32 v[115:116], v2 offset0:73 offset1:74
	s_mov_b32 s0, exec_lo
	s_waitcnt vmcnt(5) lgkmcnt(3)
	v_fma_f32 v109, v90, v109, 0
	s_delay_alu instid0(VALU_DEP_1) | instskip(SKIP_4) | instid1(VALU_DEP_1)
	v_fmac_f32_e32 v109, v91, v110
	ds_load_2addr_b32 v[90:91], v2 offset0:75 offset1:76
	s_waitcnt lgkmcnt(3)
	v_fmac_f32_e32 v109, v92, v111
	s_waitcnt vmcnt(4)
	v_fmac_f32_e32 v109, v93, v112
	ds_load_2addr_b32 v[92:93], v2 offset0:77 offset1:78
	s_waitcnt lgkmcnt(3)
	v_fmac_f32_e32 v109, v94, v113
	s_delay_alu instid0(VALU_DEP_1) | instskip(SKIP_1) | instid1(VALU_DEP_1)
	v_fmac_f32_e32 v109, v95, v114
	s_waitcnt lgkmcnt(2)
	v_fmac_f32_e32 v109, v96, v115
	s_waitcnt vmcnt(3)
	s_delay_alu instid0(VALU_DEP_1) | instskip(SKIP_4) | instid1(VALU_DEP_1)
	v_fmac_f32_e32 v109, v97, v116
	ds_load_2addr_b32 v[94:95], v2 offset0:79 offset1:80
	ds_load_2addr_b32 v[96:97], v2 offset0:81 offset1:82
	s_waitcnt lgkmcnt(3)
	v_fmac_f32_e32 v109, v98, v90
	v_fmac_f32_e32 v109, v99, v91
	ds_load_2addr_b32 v[90:91], v2 offset0:83 offset1:84
	s_waitcnt lgkmcnt(3)
	v_fmac_f32_e32 v109, v100, v92
	s_waitcnt vmcnt(2)
	s_delay_alu instid0(VALU_DEP_1) | instskip(SKIP_3) | instid1(VALU_DEP_1)
	v_fmac_f32_e32 v109, v101, v93
	ds_load_2addr_b32 v[92:93], v2 offset0:85 offset1:86
	s_waitcnt lgkmcnt(3)
	v_fmac_f32_e32 v109, v102, v94
	v_fmac_f32_e32 v109, v103, v95
	s_waitcnt lgkmcnt(2)
	s_delay_alu instid0(VALU_DEP_1) | instskip(SKIP_1) | instid1(VALU_DEP_1)
	v_fmac_f32_e32 v109, v104, v96
	s_waitcnt vmcnt(1)
	v_fmac_f32_e32 v109, v105, v97
	s_waitcnt lgkmcnt(1)
	s_delay_alu instid0(VALU_DEP_1) | instskip(NEXT) | instid1(VALU_DEP_1)
	v_fmac_f32_e32 v109, v106, v90
	v_fmac_f32_e32 v109, v107, v91
	s_waitcnt lgkmcnt(0)
	s_delay_alu instid0(VALU_DEP_1) | instskip(SKIP_1) | instid1(VALU_DEP_1)
	v_fmac_f32_e32 v109, v108, v92
	s_waitcnt vmcnt(0)
	v_fmac_f32_e32 v109, v117, v93
	s_delay_alu instid0(VALU_DEP_1)
	v_sub_f32_e32 v2, v89, v109
	scratch_store_b32 off, v2, off offset:88
	v_cmpx_lt_u32_e32 21, v0
	s_cbranch_execz .LBB42_223
; %bb.222:
	scratch_load_b32 v2, off, off offset:84
	v_mov_b32_e32 v89, 0
	scratch_store_b32 off, v89, off offset:84
	s_waitcnt vmcnt(0)
	ds_store_b32 v1, v2
.LBB42_223:
	s_or_b32 exec_lo, exec_lo, s0
	s_waitcnt lgkmcnt(0)
	s_waitcnt_vscnt null, 0x0
	s_barrier
	buffer_gl0_inv
	s_clause 0x5
	scratch_load_b128 v[89:92], off, off offset:84
	scratch_load_b128 v[93:96], off, off offset:100
	;; [unrolled: 1-line block ×5, first 2 shown]
	scratch_load_b64 v[117:118], off, off offset:164
	v_mov_b32_e32 v2, 0
	ds_load_2addr_b64 v[109:112], v2 offset0:33 offset1:34
	ds_load_2addr_b64 v[113:116], v2 offset0:35 offset1:36
	s_mov_b32 s0, exec_lo
	s_waitcnt vmcnt(5) lgkmcnt(1)
	v_fma_f32 v109, v90, v109, 0
	s_delay_alu instid0(VALU_DEP_1) | instskip(NEXT) | instid1(VALU_DEP_1)
	v_fmac_f32_e32 v109, v91, v110
	v_fmac_f32_e32 v109, v92, v111
	s_waitcnt vmcnt(4)
	s_delay_alu instid0(VALU_DEP_1) | instskip(SKIP_3) | instid1(VALU_DEP_1)
	v_fmac_f32_e32 v109, v93, v112
	ds_load_2addr_b64 v[90:93], v2 offset0:37 offset1:38
	s_waitcnt lgkmcnt(1)
	v_fmac_f32_e32 v109, v94, v113
	v_fmac_f32_e32 v109, v95, v114
	s_delay_alu instid0(VALU_DEP_1) | instskip(SKIP_1) | instid1(VALU_DEP_1)
	v_fmac_f32_e32 v109, v96, v115
	s_waitcnt vmcnt(3)
	v_fmac_f32_e32 v109, v97, v116
	ds_load_2addr_b64 v[94:97], v2 offset0:39 offset1:40
	s_waitcnt lgkmcnt(1)
	v_fmac_f32_e32 v109, v98, v90
	s_delay_alu instid0(VALU_DEP_1) | instskip(NEXT) | instid1(VALU_DEP_1)
	v_fmac_f32_e32 v109, v99, v91
	v_fmac_f32_e32 v109, v100, v92
	s_waitcnt vmcnt(2)
	s_delay_alu instid0(VALU_DEP_1)
	v_fmac_f32_e32 v109, v101, v93
	ds_load_2addr_b64 v[90:93], v2 offset0:41 offset1:42
	s_waitcnt lgkmcnt(1)
	v_fmac_f32_e32 v109, v102, v94
	ds_load_b32 v94, v2 offset:344
	v_fmac_f32_e32 v109, v103, v95
	s_delay_alu instid0(VALU_DEP_1) | instskip(SKIP_1) | instid1(VALU_DEP_1)
	v_fmac_f32_e32 v109, v104, v96
	s_waitcnt vmcnt(1)
	v_fmac_f32_e32 v109, v105, v97
	s_waitcnt lgkmcnt(1)
	s_delay_alu instid0(VALU_DEP_1) | instskip(NEXT) | instid1(VALU_DEP_1)
	v_fmac_f32_e32 v109, v106, v90
	v_fmac_f32_e32 v109, v107, v91
	s_delay_alu instid0(VALU_DEP_1) | instskip(SKIP_1) | instid1(VALU_DEP_1)
	v_fmac_f32_e32 v109, v108, v92
	s_waitcnt vmcnt(0)
	v_fmac_f32_e32 v109, v117, v93
	s_waitcnt lgkmcnt(0)
	s_delay_alu instid0(VALU_DEP_1) | instskip(NEXT) | instid1(VALU_DEP_1)
	v_fmac_f32_e32 v109, v118, v94
	v_sub_f32_e32 v89, v89, v109
	scratch_store_b32 off, v89, off offset:84
	v_cmpx_lt_u32_e32 20, v0
	s_cbranch_execz .LBB42_225
; %bb.224:
	scratch_load_b32 v89, off, off offset:80
	scratch_store_b32 off, v2, off offset:80
	s_waitcnt vmcnt(0)
	ds_store_b32 v1, v89
.LBB42_225:
	s_or_b32 exec_lo, exec_lo, s0
	s_waitcnt lgkmcnt(0)
	s_waitcnt_vscnt null, 0x0
	s_barrier
	buffer_gl0_inv
	s_clause 0x5
	scratch_load_b128 v[89:92], off, off offset:80
	scratch_load_b128 v[93:96], off, off offset:96
	;; [unrolled: 1-line block ×5, first 2 shown]
	scratch_load_b96 v[109:111], off, off offset:160
	ds_load_2addr_b32 v[112:113], v2 offset0:65 offset1:66
	ds_load_2addr_b32 v[114:115], v2 offset0:67 offset1:68
	;; [unrolled: 1-line block ×3, first 2 shown]
	s_mov_b32 s0, exec_lo
	s_waitcnt vmcnt(5) lgkmcnt(2)
	v_fma_f32 v112, v90, v112, 0
	s_delay_alu instid0(VALU_DEP_1) | instskip(SKIP_4) | instid1(VALU_DEP_1)
	v_fmac_f32_e32 v112, v91, v113
	ds_load_2addr_b32 v[90:91], v2 offset0:71 offset1:72
	s_waitcnt lgkmcnt(2)
	v_fmac_f32_e32 v112, v92, v114
	s_waitcnt vmcnt(4)
	v_fmac_f32_e32 v112, v93, v115
	ds_load_2addr_b32 v[92:93], v2 offset0:73 offset1:74
	s_waitcnt lgkmcnt(2)
	v_fmac_f32_e32 v112, v94, v116
	s_delay_alu instid0(VALU_DEP_1) | instskip(SKIP_4) | instid1(VALU_DEP_1)
	v_fmac_f32_e32 v112, v95, v117
	ds_load_2addr_b32 v[94:95], v2 offset0:75 offset1:76
	s_waitcnt lgkmcnt(2)
	v_fmac_f32_e32 v112, v96, v90
	s_waitcnt vmcnt(3)
	v_fmac_f32_e32 v112, v97, v91
	ds_load_2addr_b32 v[90:91], v2 offset0:77 offset1:78
	s_waitcnt lgkmcnt(2)
	v_fmac_f32_e32 v112, v98, v92
	;; [unrolled: 10-line block ×4, first 2 shown]
	s_delay_alu instid0(VALU_DEP_1) | instskip(SKIP_1) | instid1(VALU_DEP_1)
	v_fmac_f32_e32 v112, v107, v95
	s_waitcnt lgkmcnt(1)
	v_fmac_f32_e32 v112, v108, v90
	s_waitcnt vmcnt(0)
	s_delay_alu instid0(VALU_DEP_1) | instskip(SKIP_1) | instid1(VALU_DEP_1)
	v_fmac_f32_e32 v112, v109, v91
	s_waitcnt lgkmcnt(0)
	v_fmac_f32_e32 v112, v110, v92
	s_delay_alu instid0(VALU_DEP_1) | instskip(NEXT) | instid1(VALU_DEP_1)
	v_fmac_f32_e32 v112, v111, v93
	v_sub_f32_e32 v2, v89, v112
	scratch_store_b32 off, v2, off offset:80
	v_cmpx_lt_u32_e32 19, v0
	s_cbranch_execz .LBB42_227
; %bb.226:
	scratch_load_b32 v2, off, off offset:76
	v_mov_b32_e32 v89, 0
	scratch_store_b32 off, v89, off offset:76
	s_waitcnt vmcnt(0)
	ds_store_b32 v1, v2
.LBB42_227:
	s_or_b32 exec_lo, exec_lo, s0
	s_waitcnt lgkmcnt(0)
	s_waitcnt_vscnt null, 0x0
	s_barrier
	buffer_gl0_inv
	s_clause 0x5
	scratch_load_b128 v[89:92], off, off offset:76
	scratch_load_b128 v[93:96], off, off offset:92
	;; [unrolled: 1-line block ×6, first 2 shown]
	v_mov_b32_e32 v2, 0
	ds_load_b128 v[113:116], v2 offset:256
	ds_load_b128 v[117:120], v2 offset:272
	s_mov_b32 s0, exec_lo
	s_waitcnt vmcnt(5) lgkmcnt(1)
	v_fma_f32 v113, v90, v113, 0
	s_delay_alu instid0(VALU_DEP_1) | instskip(NEXT) | instid1(VALU_DEP_1)
	v_fmac_f32_e32 v113, v91, v114
	v_fmac_f32_e32 v113, v92, v115
	s_waitcnt vmcnt(4)
	s_delay_alu instid0(VALU_DEP_1) | instskip(SKIP_3) | instid1(VALU_DEP_1)
	v_fmac_f32_e32 v113, v93, v116
	ds_load_b128 v[90:93], v2 offset:288
	s_waitcnt lgkmcnt(1)
	v_fmac_f32_e32 v113, v94, v117
	v_fmac_f32_e32 v113, v95, v118
	s_delay_alu instid0(VALU_DEP_1) | instskip(SKIP_1) | instid1(VALU_DEP_1)
	v_fmac_f32_e32 v113, v96, v119
	s_waitcnt vmcnt(3)
	v_fmac_f32_e32 v113, v97, v120
	ds_load_b128 v[94:97], v2 offset:304
	s_waitcnt lgkmcnt(1)
	v_fmac_f32_e32 v113, v98, v90
	s_delay_alu instid0(VALU_DEP_1) | instskip(NEXT) | instid1(VALU_DEP_1)
	v_fmac_f32_e32 v113, v99, v91
	v_fmac_f32_e32 v113, v100, v92
	s_waitcnt vmcnt(2)
	s_delay_alu instid0(VALU_DEP_1) | instskip(SKIP_3) | instid1(VALU_DEP_1)
	v_fmac_f32_e32 v113, v101, v93
	ds_load_b128 v[90:93], v2 offset:320
	s_waitcnt lgkmcnt(1)
	v_fmac_f32_e32 v113, v102, v94
	v_fmac_f32_e32 v113, v103, v95
	s_delay_alu instid0(VALU_DEP_1) | instskip(SKIP_4) | instid1(VALU_DEP_1)
	v_fmac_f32_e32 v113, v104, v96
	ds_load_b96 v[94:96], v2 offset:336
	s_waitcnt vmcnt(1)
	v_fmac_f32_e32 v113, v105, v97
	s_waitcnt lgkmcnt(1)
	v_fmac_f32_e32 v113, v106, v90
	s_delay_alu instid0(VALU_DEP_1) | instskip(NEXT) | instid1(VALU_DEP_1)
	v_fmac_f32_e32 v113, v107, v91
	v_fmac_f32_e32 v113, v108, v92
	s_waitcnt vmcnt(0)
	s_delay_alu instid0(VALU_DEP_1) | instskip(SKIP_1) | instid1(VALU_DEP_1)
	v_fmac_f32_e32 v113, v109, v93
	s_waitcnt lgkmcnt(0)
	v_fmac_f32_e32 v113, v110, v94
	s_delay_alu instid0(VALU_DEP_1) | instskip(NEXT) | instid1(VALU_DEP_1)
	v_fmac_f32_e32 v113, v111, v95
	v_fmac_f32_e32 v113, v112, v96
	s_delay_alu instid0(VALU_DEP_1)
	v_sub_f32_e32 v89, v89, v113
	scratch_store_b32 off, v89, off offset:76
	v_cmpx_lt_u32_e32 18, v0
	s_cbranch_execz .LBB42_229
; %bb.228:
	scratch_load_b32 v89, off, off offset:72
	scratch_store_b32 off, v2, off offset:72
	s_waitcnt vmcnt(0)
	ds_store_b32 v1, v89
.LBB42_229:
	s_or_b32 exec_lo, exec_lo, s0
	s_waitcnt lgkmcnt(0)
	s_waitcnt_vscnt null, 0x0
	s_barrier
	buffer_gl0_inv
	s_clause 0x6
	scratch_load_b128 v[89:92], off, off offset:72
	scratch_load_b128 v[93:96], off, off offset:88
	;; [unrolled: 1-line block ×6, first 2 shown]
	scratch_load_b32 v121, off, off offset:168
	ds_load_2addr_b32 v[113:114], v2 offset0:63 offset1:64
	ds_load_2addr_b32 v[115:116], v2 offset0:65 offset1:66
	;; [unrolled: 1-line block ×4, first 2 shown]
	s_mov_b32 s0, exec_lo
	s_waitcnt vmcnt(6) lgkmcnt(3)
	v_fma_f32 v113, v90, v113, 0
	s_delay_alu instid0(VALU_DEP_1) | instskip(SKIP_4) | instid1(VALU_DEP_1)
	v_fmac_f32_e32 v113, v91, v114
	ds_load_2addr_b32 v[90:91], v2 offset0:71 offset1:72
	s_waitcnt lgkmcnt(3)
	v_fmac_f32_e32 v113, v92, v115
	s_waitcnt vmcnt(5)
	v_fmac_f32_e32 v113, v93, v116
	ds_load_2addr_b32 v[92:93], v2 offset0:73 offset1:74
	s_waitcnt lgkmcnt(3)
	v_fmac_f32_e32 v113, v94, v117
	s_delay_alu instid0(VALU_DEP_1) | instskip(SKIP_1) | instid1(VALU_DEP_1)
	v_fmac_f32_e32 v113, v95, v118
	s_waitcnt lgkmcnt(2)
	v_fmac_f32_e32 v113, v96, v119
	s_waitcnt vmcnt(4)
	s_delay_alu instid0(VALU_DEP_1) | instskip(SKIP_4) | instid1(VALU_DEP_1)
	v_fmac_f32_e32 v113, v97, v120
	ds_load_2addr_b32 v[94:95], v2 offset0:75 offset1:76
	ds_load_2addr_b32 v[96:97], v2 offset0:77 offset1:78
	s_waitcnt lgkmcnt(3)
	v_fmac_f32_e32 v113, v98, v90
	v_fmac_f32_e32 v113, v99, v91
	ds_load_2addr_b32 v[90:91], v2 offset0:79 offset1:80
	s_waitcnt lgkmcnt(3)
	v_fmac_f32_e32 v113, v100, v92
	s_waitcnt vmcnt(3)
	s_delay_alu instid0(VALU_DEP_1) | instskip(SKIP_3) | instid1(VALU_DEP_1)
	v_fmac_f32_e32 v113, v101, v93
	ds_load_2addr_b32 v[92:93], v2 offset0:81 offset1:82
	s_waitcnt lgkmcnt(3)
	v_fmac_f32_e32 v113, v102, v94
	v_fmac_f32_e32 v113, v103, v95
	s_waitcnt lgkmcnt(2)
	s_delay_alu instid0(VALU_DEP_1) | instskip(SKIP_1) | instid1(VALU_DEP_1)
	v_fmac_f32_e32 v113, v104, v96
	s_waitcnt vmcnt(2)
	v_fmac_f32_e32 v113, v105, v97
	ds_load_2addr_b32 v[94:95], v2 offset0:83 offset1:84
	ds_load_2addr_b32 v[96:97], v2 offset0:85 offset1:86
	s_waitcnt lgkmcnt(3)
	v_fmac_f32_e32 v113, v106, v90
	s_delay_alu instid0(VALU_DEP_1) | instskip(SKIP_1) | instid1(VALU_DEP_1)
	v_fmac_f32_e32 v113, v107, v91
	s_waitcnt lgkmcnt(2)
	v_fmac_f32_e32 v113, v108, v92
	s_waitcnt vmcnt(1)
	s_delay_alu instid0(VALU_DEP_1) | instskip(SKIP_1) | instid1(VALU_DEP_1)
	v_fmac_f32_e32 v113, v109, v93
	s_waitcnt lgkmcnt(1)
	v_fmac_f32_e32 v113, v110, v94
	s_delay_alu instid0(VALU_DEP_1) | instskip(SKIP_1) | instid1(VALU_DEP_1)
	v_fmac_f32_e32 v113, v111, v95
	s_waitcnt lgkmcnt(0)
	v_fmac_f32_e32 v113, v112, v96
	s_waitcnt vmcnt(0)
	s_delay_alu instid0(VALU_DEP_1) | instskip(NEXT) | instid1(VALU_DEP_1)
	v_fmac_f32_e32 v113, v121, v97
	v_sub_f32_e32 v2, v89, v113
	scratch_store_b32 off, v2, off offset:72
	v_cmpx_lt_u32_e32 17, v0
	s_cbranch_execz .LBB42_231
; %bb.230:
	scratch_load_b32 v2, off, off offset:68
	v_mov_b32_e32 v89, 0
	scratch_store_b32 off, v89, off offset:68
	s_waitcnt vmcnt(0)
	ds_store_b32 v1, v2
.LBB42_231:
	s_or_b32 exec_lo, exec_lo, s0
	s_waitcnt lgkmcnt(0)
	s_waitcnt_vscnt null, 0x0
	s_barrier
	buffer_gl0_inv
	s_clause 0x6
	scratch_load_b128 v[89:92], off, off offset:68
	scratch_load_b128 v[93:96], off, off offset:84
	;; [unrolled: 1-line block ×6, first 2 shown]
	scratch_load_b64 v[121:122], off, off offset:164
	v_mov_b32_e32 v2, 0
	ds_load_2addr_b64 v[113:116], v2 offset0:31 offset1:32
	ds_load_2addr_b64 v[117:120], v2 offset0:33 offset1:34
	s_mov_b32 s0, exec_lo
	s_waitcnt vmcnt(6) lgkmcnt(1)
	v_fma_f32 v113, v90, v113, 0
	s_delay_alu instid0(VALU_DEP_1) | instskip(NEXT) | instid1(VALU_DEP_1)
	v_fmac_f32_e32 v113, v91, v114
	v_fmac_f32_e32 v113, v92, v115
	s_waitcnt vmcnt(5)
	s_delay_alu instid0(VALU_DEP_1) | instskip(SKIP_3) | instid1(VALU_DEP_1)
	v_fmac_f32_e32 v113, v93, v116
	ds_load_2addr_b64 v[90:93], v2 offset0:35 offset1:36
	s_waitcnt lgkmcnt(1)
	v_fmac_f32_e32 v113, v94, v117
	v_fmac_f32_e32 v113, v95, v118
	s_delay_alu instid0(VALU_DEP_1) | instskip(SKIP_1) | instid1(VALU_DEP_1)
	v_fmac_f32_e32 v113, v96, v119
	s_waitcnt vmcnt(4)
	v_fmac_f32_e32 v113, v97, v120
	ds_load_2addr_b64 v[94:97], v2 offset0:37 offset1:38
	s_waitcnt lgkmcnt(1)
	v_fmac_f32_e32 v113, v98, v90
	s_delay_alu instid0(VALU_DEP_1) | instskip(NEXT) | instid1(VALU_DEP_1)
	v_fmac_f32_e32 v113, v99, v91
	v_fmac_f32_e32 v113, v100, v92
	s_waitcnt vmcnt(3)
	s_delay_alu instid0(VALU_DEP_1) | instskip(SKIP_3) | instid1(VALU_DEP_1)
	v_fmac_f32_e32 v113, v101, v93
	ds_load_2addr_b64 v[90:93], v2 offset0:39 offset1:40
	s_waitcnt lgkmcnt(1)
	v_fmac_f32_e32 v113, v102, v94
	v_fmac_f32_e32 v113, v103, v95
	s_delay_alu instid0(VALU_DEP_1) | instskip(SKIP_1) | instid1(VALU_DEP_1)
	v_fmac_f32_e32 v113, v104, v96
	s_waitcnt vmcnt(2)
	v_fmac_f32_e32 v113, v105, v97
	ds_load_2addr_b64 v[94:97], v2 offset0:41 offset1:42
	s_waitcnt lgkmcnt(1)
	v_fmac_f32_e32 v113, v106, v90
	ds_load_b32 v90, v2 offset:344
	v_fmac_f32_e32 v113, v107, v91
	s_delay_alu instid0(VALU_DEP_1) | instskip(SKIP_1) | instid1(VALU_DEP_1)
	v_fmac_f32_e32 v113, v108, v92
	s_waitcnt vmcnt(1)
	v_fmac_f32_e32 v113, v109, v93
	s_waitcnt lgkmcnt(1)
	s_delay_alu instid0(VALU_DEP_1) | instskip(NEXT) | instid1(VALU_DEP_1)
	v_fmac_f32_e32 v113, v110, v94
	v_fmac_f32_e32 v113, v111, v95
	s_delay_alu instid0(VALU_DEP_1) | instskip(SKIP_1) | instid1(VALU_DEP_1)
	v_fmac_f32_e32 v113, v112, v96
	s_waitcnt vmcnt(0)
	v_fmac_f32_e32 v113, v121, v97
	s_waitcnt lgkmcnt(0)
	s_delay_alu instid0(VALU_DEP_1) | instskip(NEXT) | instid1(VALU_DEP_1)
	v_fmac_f32_e32 v113, v122, v90
	v_sub_f32_e32 v89, v89, v113
	scratch_store_b32 off, v89, off offset:68
	v_cmpx_lt_u32_e32 16, v0
	s_cbranch_execz .LBB42_233
; %bb.232:
	scratch_load_b32 v89, off, off offset:64
	scratch_store_b32 off, v2, off offset:64
	s_waitcnt vmcnt(0)
	ds_store_b32 v1, v89
.LBB42_233:
	s_or_b32 exec_lo, exec_lo, s0
	s_waitcnt lgkmcnt(0)
	s_waitcnt_vscnt null, 0x0
	s_barrier
	buffer_gl0_inv
	s_clause 0x6
	scratch_load_b128 v[89:92], off, off offset:64
	scratch_load_b128 v[93:96], off, off offset:80
	;; [unrolled: 1-line block ×6, first 2 shown]
	scratch_load_b96 v[113:115], off, off offset:160
	ds_load_2addr_b32 v[116:117], v2 offset0:61 offset1:62
	ds_load_2addr_b32 v[118:119], v2 offset0:63 offset1:64
	;; [unrolled: 1-line block ×4, first 2 shown]
	s_mov_b32 s0, exec_lo
	s_waitcnt vmcnt(6) lgkmcnt(3)
	v_fma_f32 v116, v90, v116, 0
	s_delay_alu instid0(VALU_DEP_1) | instskip(SKIP_4) | instid1(VALU_DEP_1)
	v_fmac_f32_e32 v116, v91, v117
	ds_load_2addr_b32 v[90:91], v2 offset0:69 offset1:70
	s_waitcnt lgkmcnt(3)
	v_fmac_f32_e32 v116, v92, v118
	s_waitcnt vmcnt(5)
	v_fmac_f32_e32 v116, v93, v119
	ds_load_2addr_b32 v[92:93], v2 offset0:71 offset1:72
	s_waitcnt lgkmcnt(3)
	v_fmac_f32_e32 v116, v94, v120
	s_delay_alu instid0(VALU_DEP_1) | instskip(SKIP_1) | instid1(VALU_DEP_1)
	v_fmac_f32_e32 v116, v95, v121
	s_waitcnt lgkmcnt(2)
	v_fmac_f32_e32 v116, v96, v122
	s_waitcnt vmcnt(4)
	s_delay_alu instid0(VALU_DEP_1) | instskip(SKIP_4) | instid1(VALU_DEP_1)
	v_fmac_f32_e32 v116, v97, v123
	ds_load_2addr_b32 v[94:95], v2 offset0:73 offset1:74
	ds_load_2addr_b32 v[96:97], v2 offset0:75 offset1:76
	s_waitcnt lgkmcnt(3)
	v_fmac_f32_e32 v116, v98, v90
	v_fmac_f32_e32 v116, v99, v91
	ds_load_2addr_b32 v[90:91], v2 offset0:77 offset1:78
	s_waitcnt lgkmcnt(3)
	v_fmac_f32_e32 v116, v100, v92
	s_waitcnt vmcnt(3)
	s_delay_alu instid0(VALU_DEP_1) | instskip(SKIP_3) | instid1(VALU_DEP_1)
	v_fmac_f32_e32 v116, v101, v93
	ds_load_2addr_b32 v[92:93], v2 offset0:79 offset1:80
	s_waitcnt lgkmcnt(3)
	v_fmac_f32_e32 v116, v102, v94
	v_fmac_f32_e32 v116, v103, v95
	s_waitcnt lgkmcnt(2)
	s_delay_alu instid0(VALU_DEP_1) | instskip(SKIP_1) | instid1(VALU_DEP_1)
	v_fmac_f32_e32 v116, v104, v96
	s_waitcnt vmcnt(2)
	v_fmac_f32_e32 v116, v105, v97
	ds_load_2addr_b32 v[94:95], v2 offset0:81 offset1:82
	ds_load_2addr_b32 v[96:97], v2 offset0:83 offset1:84
	s_waitcnt lgkmcnt(3)
	v_fmac_f32_e32 v116, v106, v90
	s_delay_alu instid0(VALU_DEP_1) | instskip(SKIP_4) | instid1(VALU_DEP_1)
	v_fmac_f32_e32 v116, v107, v91
	ds_load_2addr_b32 v[90:91], v2 offset0:85 offset1:86
	s_waitcnt lgkmcnt(3)
	v_fmac_f32_e32 v116, v108, v92
	s_waitcnt vmcnt(1)
	v_fmac_f32_e32 v116, v109, v93
	s_waitcnt lgkmcnt(2)
	s_delay_alu instid0(VALU_DEP_1) | instskip(NEXT) | instid1(VALU_DEP_1)
	v_fmac_f32_e32 v116, v110, v94
	v_fmac_f32_e32 v116, v111, v95
	s_waitcnt lgkmcnt(1)
	s_delay_alu instid0(VALU_DEP_1) | instskip(SKIP_1) | instid1(VALU_DEP_1)
	v_fmac_f32_e32 v116, v112, v96
	s_waitcnt vmcnt(0)
	v_fmac_f32_e32 v116, v113, v97
	s_waitcnt lgkmcnt(0)
	s_delay_alu instid0(VALU_DEP_1) | instskip(NEXT) | instid1(VALU_DEP_1)
	v_fmac_f32_e32 v116, v114, v90
	v_fmac_f32_e32 v116, v115, v91
	s_delay_alu instid0(VALU_DEP_1)
	v_sub_f32_e32 v2, v89, v116
	scratch_store_b32 off, v2, off offset:64
	v_cmpx_lt_u32_e32 15, v0
	s_cbranch_execz .LBB42_235
; %bb.234:
	scratch_load_b32 v2, off, off offset:60
	v_mov_b32_e32 v89, 0
	scratch_store_b32 off, v89, off offset:60
	s_waitcnt vmcnt(0)
	ds_store_b32 v1, v2
.LBB42_235:
	s_or_b32 exec_lo, exec_lo, s0
	s_waitcnt lgkmcnt(0)
	s_waitcnt_vscnt null, 0x0
	s_barrier
	buffer_gl0_inv
	s_clause 0x6
	scratch_load_b128 v[89:92], off, off offset:60
	scratch_load_b128 v[93:96], off, off offset:76
	;; [unrolled: 1-line block ×7, first 2 shown]
	v_mov_b32_e32 v2, 0
	ds_load_b128 v[117:120], v2 offset:240
	ds_load_b128 v[121:124], v2 offset:256
	s_mov_b32 s0, exec_lo
	s_waitcnt vmcnt(6) lgkmcnt(1)
	v_fma_f32 v117, v90, v117, 0
	s_delay_alu instid0(VALU_DEP_1) | instskip(NEXT) | instid1(VALU_DEP_1)
	v_fmac_f32_e32 v117, v91, v118
	v_fmac_f32_e32 v117, v92, v119
	s_waitcnt vmcnt(5)
	s_delay_alu instid0(VALU_DEP_1) | instskip(SKIP_3) | instid1(VALU_DEP_1)
	v_fmac_f32_e32 v117, v93, v120
	ds_load_b128 v[90:93], v2 offset:272
	s_waitcnt lgkmcnt(1)
	v_fmac_f32_e32 v117, v94, v121
	v_fmac_f32_e32 v117, v95, v122
	s_delay_alu instid0(VALU_DEP_1) | instskip(SKIP_1) | instid1(VALU_DEP_1)
	v_fmac_f32_e32 v117, v96, v123
	s_waitcnt vmcnt(4)
	v_fmac_f32_e32 v117, v97, v124
	ds_load_b128 v[94:97], v2 offset:288
	s_waitcnt lgkmcnt(1)
	v_fmac_f32_e32 v117, v98, v90
	s_delay_alu instid0(VALU_DEP_1) | instskip(NEXT) | instid1(VALU_DEP_1)
	v_fmac_f32_e32 v117, v99, v91
	v_fmac_f32_e32 v117, v100, v92
	s_waitcnt vmcnt(3)
	s_delay_alu instid0(VALU_DEP_1) | instskip(SKIP_3) | instid1(VALU_DEP_1)
	v_fmac_f32_e32 v117, v101, v93
	ds_load_b128 v[90:93], v2 offset:304
	s_waitcnt lgkmcnt(1)
	v_fmac_f32_e32 v117, v102, v94
	v_fmac_f32_e32 v117, v103, v95
	s_delay_alu instid0(VALU_DEP_1) | instskip(SKIP_1) | instid1(VALU_DEP_1)
	v_fmac_f32_e32 v117, v104, v96
	s_waitcnt vmcnt(2)
	v_fmac_f32_e32 v117, v105, v97
	ds_load_b128 v[94:97], v2 offset:320
	s_waitcnt lgkmcnt(1)
	v_fmac_f32_e32 v117, v106, v90
	s_delay_alu instid0(VALU_DEP_1) | instskip(NEXT) | instid1(VALU_DEP_1)
	v_fmac_f32_e32 v117, v107, v91
	v_fmac_f32_e32 v117, v108, v92
	ds_load_b96 v[90:92], v2 offset:336
	s_waitcnt vmcnt(1)
	v_fmac_f32_e32 v117, v109, v93
	s_waitcnt lgkmcnt(1)
	s_delay_alu instid0(VALU_DEP_1) | instskip(NEXT) | instid1(VALU_DEP_1)
	v_fmac_f32_e32 v117, v110, v94
	v_fmac_f32_e32 v117, v111, v95
	s_delay_alu instid0(VALU_DEP_1) | instskip(SKIP_1) | instid1(VALU_DEP_1)
	v_fmac_f32_e32 v117, v112, v96
	s_waitcnt vmcnt(0)
	v_fmac_f32_e32 v117, v113, v97
	s_waitcnt lgkmcnt(0)
	s_delay_alu instid0(VALU_DEP_1) | instskip(NEXT) | instid1(VALU_DEP_1)
	v_fmac_f32_e32 v117, v114, v90
	v_fmac_f32_e32 v117, v115, v91
	s_delay_alu instid0(VALU_DEP_1) | instskip(NEXT) | instid1(VALU_DEP_1)
	v_fmac_f32_e32 v117, v116, v92
	v_sub_f32_e32 v89, v89, v117
	scratch_store_b32 off, v89, off offset:60
	v_cmpx_lt_u32_e32 14, v0
	s_cbranch_execz .LBB42_237
; %bb.236:
	scratch_load_b32 v89, off, off offset:56
	scratch_store_b32 off, v2, off offset:56
	s_waitcnt vmcnt(0)
	ds_store_b32 v1, v89
.LBB42_237:
	s_or_b32 exec_lo, exec_lo, s0
	s_waitcnt lgkmcnt(0)
	s_waitcnt_vscnt null, 0x0
	s_barrier
	buffer_gl0_inv
	s_clause 0x7
	scratch_load_b128 v[89:92], off, off offset:56
	scratch_load_b128 v[93:96], off, off offset:72
	;; [unrolled: 1-line block ×7, first 2 shown]
	scratch_load_b32 v125, off, off offset:168
	ds_load_2addr_b32 v[117:118], v2 offset0:59 offset1:60
	ds_load_2addr_b32 v[119:120], v2 offset0:61 offset1:62
	;; [unrolled: 1-line block ×4, first 2 shown]
	s_mov_b32 s0, exec_lo
	s_waitcnt vmcnt(7) lgkmcnt(3)
	v_fma_f32 v117, v90, v117, 0
	s_delay_alu instid0(VALU_DEP_1) | instskip(SKIP_4) | instid1(VALU_DEP_1)
	v_fmac_f32_e32 v117, v91, v118
	ds_load_2addr_b32 v[90:91], v2 offset0:67 offset1:68
	s_waitcnt lgkmcnt(3)
	v_fmac_f32_e32 v117, v92, v119
	s_waitcnt vmcnt(6)
	v_fmac_f32_e32 v117, v93, v120
	ds_load_2addr_b32 v[92:93], v2 offset0:69 offset1:70
	s_waitcnt lgkmcnt(3)
	v_fmac_f32_e32 v117, v94, v121
	s_delay_alu instid0(VALU_DEP_1) | instskip(SKIP_1) | instid1(VALU_DEP_1)
	v_fmac_f32_e32 v117, v95, v122
	s_waitcnt lgkmcnt(2)
	v_fmac_f32_e32 v117, v96, v123
	s_waitcnt vmcnt(5)
	s_delay_alu instid0(VALU_DEP_1) | instskip(SKIP_4) | instid1(VALU_DEP_1)
	v_fmac_f32_e32 v117, v97, v124
	ds_load_2addr_b32 v[94:95], v2 offset0:71 offset1:72
	ds_load_2addr_b32 v[96:97], v2 offset0:73 offset1:74
	s_waitcnt lgkmcnt(3)
	v_fmac_f32_e32 v117, v98, v90
	v_fmac_f32_e32 v117, v99, v91
	ds_load_2addr_b32 v[90:91], v2 offset0:75 offset1:76
	s_waitcnt lgkmcnt(3)
	v_fmac_f32_e32 v117, v100, v92
	s_waitcnt vmcnt(4)
	s_delay_alu instid0(VALU_DEP_1) | instskip(SKIP_3) | instid1(VALU_DEP_1)
	v_fmac_f32_e32 v117, v101, v93
	ds_load_2addr_b32 v[92:93], v2 offset0:77 offset1:78
	s_waitcnt lgkmcnt(3)
	v_fmac_f32_e32 v117, v102, v94
	v_fmac_f32_e32 v117, v103, v95
	s_waitcnt lgkmcnt(2)
	s_delay_alu instid0(VALU_DEP_1) | instskip(SKIP_1) | instid1(VALU_DEP_1)
	v_fmac_f32_e32 v117, v104, v96
	s_waitcnt vmcnt(3)
	v_fmac_f32_e32 v117, v105, v97
	ds_load_2addr_b32 v[94:95], v2 offset0:79 offset1:80
	ds_load_2addr_b32 v[96:97], v2 offset0:81 offset1:82
	s_waitcnt lgkmcnt(3)
	v_fmac_f32_e32 v117, v106, v90
	s_delay_alu instid0(VALU_DEP_1) | instskip(SKIP_4) | instid1(VALU_DEP_1)
	v_fmac_f32_e32 v117, v107, v91
	ds_load_2addr_b32 v[90:91], v2 offset0:83 offset1:84
	s_waitcnt lgkmcnt(3)
	v_fmac_f32_e32 v117, v108, v92
	s_waitcnt vmcnt(2)
	v_fmac_f32_e32 v117, v109, v93
	ds_load_2addr_b32 v[92:93], v2 offset0:85 offset1:86
	s_waitcnt lgkmcnt(3)
	v_fmac_f32_e32 v117, v110, v94
	s_delay_alu instid0(VALU_DEP_1) | instskip(SKIP_1) | instid1(VALU_DEP_1)
	v_fmac_f32_e32 v117, v111, v95
	s_waitcnt lgkmcnt(2)
	v_fmac_f32_e32 v117, v112, v96
	s_waitcnt vmcnt(1)
	s_delay_alu instid0(VALU_DEP_1) | instskip(SKIP_1) | instid1(VALU_DEP_1)
	v_fmac_f32_e32 v117, v113, v97
	s_waitcnt lgkmcnt(1)
	v_fmac_f32_e32 v117, v114, v90
	s_delay_alu instid0(VALU_DEP_1) | instskip(SKIP_1) | instid1(VALU_DEP_1)
	v_fmac_f32_e32 v117, v115, v91
	s_waitcnt lgkmcnt(0)
	v_fmac_f32_e32 v117, v116, v92
	s_waitcnt vmcnt(0)
	s_delay_alu instid0(VALU_DEP_1) | instskip(NEXT) | instid1(VALU_DEP_1)
	v_fmac_f32_e32 v117, v125, v93
	v_sub_f32_e32 v2, v89, v117
	scratch_store_b32 off, v2, off offset:56
	v_cmpx_lt_u32_e32 13, v0
	s_cbranch_execz .LBB42_239
; %bb.238:
	scratch_load_b32 v2, off, off offset:52
	v_mov_b32_e32 v89, 0
	scratch_store_b32 off, v89, off offset:52
	s_waitcnt vmcnt(0)
	ds_store_b32 v1, v2
.LBB42_239:
	s_or_b32 exec_lo, exec_lo, s0
	s_waitcnt lgkmcnt(0)
	s_waitcnt_vscnt null, 0x0
	s_barrier
	buffer_gl0_inv
	s_clause 0x7
	scratch_load_b128 v[89:92], off, off offset:52
	scratch_load_b128 v[93:96], off, off offset:68
	;; [unrolled: 1-line block ×7, first 2 shown]
	scratch_load_b64 v[125:126], off, off offset:164
	v_mov_b32_e32 v2, 0
	ds_load_2addr_b64 v[117:120], v2 offset0:29 offset1:30
	ds_load_2addr_b64 v[121:124], v2 offset0:31 offset1:32
	s_mov_b32 s0, exec_lo
	s_waitcnt vmcnt(7) lgkmcnt(1)
	v_fma_f32 v117, v90, v117, 0
	s_delay_alu instid0(VALU_DEP_1) | instskip(NEXT) | instid1(VALU_DEP_1)
	v_fmac_f32_e32 v117, v91, v118
	v_fmac_f32_e32 v117, v92, v119
	s_waitcnt vmcnt(6)
	s_delay_alu instid0(VALU_DEP_1) | instskip(SKIP_3) | instid1(VALU_DEP_1)
	v_fmac_f32_e32 v117, v93, v120
	ds_load_2addr_b64 v[90:93], v2 offset0:33 offset1:34
	s_waitcnt lgkmcnt(1)
	v_fmac_f32_e32 v117, v94, v121
	v_fmac_f32_e32 v117, v95, v122
	s_delay_alu instid0(VALU_DEP_1) | instskip(SKIP_1) | instid1(VALU_DEP_1)
	v_fmac_f32_e32 v117, v96, v123
	s_waitcnt vmcnt(5)
	v_fmac_f32_e32 v117, v97, v124
	ds_load_2addr_b64 v[94:97], v2 offset0:35 offset1:36
	s_waitcnt lgkmcnt(1)
	v_fmac_f32_e32 v117, v98, v90
	s_delay_alu instid0(VALU_DEP_1) | instskip(NEXT) | instid1(VALU_DEP_1)
	v_fmac_f32_e32 v117, v99, v91
	v_fmac_f32_e32 v117, v100, v92
	s_waitcnt vmcnt(4)
	s_delay_alu instid0(VALU_DEP_1) | instskip(SKIP_3) | instid1(VALU_DEP_1)
	v_fmac_f32_e32 v117, v101, v93
	ds_load_2addr_b64 v[90:93], v2 offset0:37 offset1:38
	s_waitcnt lgkmcnt(1)
	v_fmac_f32_e32 v117, v102, v94
	v_fmac_f32_e32 v117, v103, v95
	s_delay_alu instid0(VALU_DEP_1) | instskip(SKIP_1) | instid1(VALU_DEP_1)
	v_fmac_f32_e32 v117, v104, v96
	s_waitcnt vmcnt(3)
	v_fmac_f32_e32 v117, v105, v97
	ds_load_2addr_b64 v[94:97], v2 offset0:39 offset1:40
	s_waitcnt lgkmcnt(1)
	v_fmac_f32_e32 v117, v106, v90
	s_delay_alu instid0(VALU_DEP_1) | instskip(NEXT) | instid1(VALU_DEP_1)
	v_fmac_f32_e32 v117, v107, v91
	v_fmac_f32_e32 v117, v108, v92
	s_waitcnt vmcnt(2)
	s_delay_alu instid0(VALU_DEP_1)
	v_fmac_f32_e32 v117, v109, v93
	ds_load_2addr_b64 v[90:93], v2 offset0:41 offset1:42
	s_waitcnt lgkmcnt(1)
	v_fmac_f32_e32 v117, v110, v94
	ds_load_b32 v94, v2 offset:344
	v_fmac_f32_e32 v117, v111, v95
	s_delay_alu instid0(VALU_DEP_1) | instskip(SKIP_1) | instid1(VALU_DEP_1)
	v_fmac_f32_e32 v117, v112, v96
	s_waitcnt vmcnt(1)
	v_fmac_f32_e32 v117, v113, v97
	s_waitcnt lgkmcnt(1)
	s_delay_alu instid0(VALU_DEP_1) | instskip(NEXT) | instid1(VALU_DEP_1)
	v_fmac_f32_e32 v117, v114, v90
	v_fmac_f32_e32 v117, v115, v91
	s_delay_alu instid0(VALU_DEP_1) | instskip(SKIP_1) | instid1(VALU_DEP_1)
	v_fmac_f32_e32 v117, v116, v92
	s_waitcnt vmcnt(0)
	v_fmac_f32_e32 v117, v125, v93
	s_waitcnt lgkmcnt(0)
	s_delay_alu instid0(VALU_DEP_1) | instskip(NEXT) | instid1(VALU_DEP_1)
	v_fmac_f32_e32 v117, v126, v94
	v_sub_f32_e32 v89, v89, v117
	scratch_store_b32 off, v89, off offset:52
	v_cmpx_lt_u32_e32 12, v0
	s_cbranch_execz .LBB42_241
; %bb.240:
	scratch_load_b32 v89, off, off offset:48
	scratch_store_b32 off, v2, off offset:48
	s_waitcnt vmcnt(0)
	ds_store_b32 v1, v89
.LBB42_241:
	s_or_b32 exec_lo, exec_lo, s0
	s_waitcnt lgkmcnt(0)
	s_waitcnt_vscnt null, 0x0
	s_barrier
	buffer_gl0_inv
	s_clause 0x7
	scratch_load_b128 v[89:92], off, off offset:48
	scratch_load_b128 v[93:96], off, off offset:64
	;; [unrolled: 1-line block ×7, first 2 shown]
	scratch_load_b96 v[117:119], off, off offset:160
	ds_load_2addr_b32 v[120:121], v2 offset0:57 offset1:58
	ds_load_2addr_b32 v[122:123], v2 offset0:59 offset1:60
	;; [unrolled: 1-line block ×4, first 2 shown]
	s_mov_b32 s0, exec_lo
	s_waitcnt vmcnt(7) lgkmcnt(3)
	v_fma_f32 v120, v90, v120, 0
	s_delay_alu instid0(VALU_DEP_1) | instskip(SKIP_4) | instid1(VALU_DEP_1)
	v_fmac_f32_e32 v120, v91, v121
	ds_load_2addr_b32 v[90:91], v2 offset0:65 offset1:66
	s_waitcnt lgkmcnt(3)
	v_fmac_f32_e32 v120, v92, v122
	s_waitcnt vmcnt(6)
	v_fmac_f32_e32 v120, v93, v123
	ds_load_2addr_b32 v[92:93], v2 offset0:67 offset1:68
	s_waitcnt lgkmcnt(3)
	v_fmac_f32_e32 v120, v94, v124
	s_delay_alu instid0(VALU_DEP_1) | instskip(SKIP_1) | instid1(VALU_DEP_1)
	v_fmac_f32_e32 v120, v95, v125
	s_waitcnt lgkmcnt(2)
	v_fmac_f32_e32 v120, v96, v126
	s_waitcnt vmcnt(5)
	s_delay_alu instid0(VALU_DEP_1) | instskip(SKIP_4) | instid1(VALU_DEP_1)
	v_fmac_f32_e32 v120, v97, v127
	ds_load_2addr_b32 v[94:95], v2 offset0:69 offset1:70
	ds_load_2addr_b32 v[96:97], v2 offset0:71 offset1:72
	s_waitcnt lgkmcnt(3)
	v_fmac_f32_e32 v120, v98, v90
	v_fmac_f32_e32 v120, v99, v91
	ds_load_2addr_b32 v[90:91], v2 offset0:73 offset1:74
	s_waitcnt lgkmcnt(3)
	v_fmac_f32_e32 v120, v100, v92
	s_waitcnt vmcnt(4)
	s_delay_alu instid0(VALU_DEP_1) | instskip(SKIP_3) | instid1(VALU_DEP_1)
	v_fmac_f32_e32 v120, v101, v93
	ds_load_2addr_b32 v[92:93], v2 offset0:75 offset1:76
	s_waitcnt lgkmcnt(3)
	v_fmac_f32_e32 v120, v102, v94
	v_fmac_f32_e32 v120, v103, v95
	s_waitcnt lgkmcnt(2)
	s_delay_alu instid0(VALU_DEP_1) | instskip(SKIP_1) | instid1(VALU_DEP_1)
	v_fmac_f32_e32 v120, v104, v96
	s_waitcnt vmcnt(3)
	v_fmac_f32_e32 v120, v105, v97
	ds_load_2addr_b32 v[94:95], v2 offset0:77 offset1:78
	ds_load_2addr_b32 v[96:97], v2 offset0:79 offset1:80
	s_waitcnt lgkmcnt(3)
	v_fmac_f32_e32 v120, v106, v90
	s_delay_alu instid0(VALU_DEP_1) | instskip(SKIP_4) | instid1(VALU_DEP_1)
	v_fmac_f32_e32 v120, v107, v91
	ds_load_2addr_b32 v[90:91], v2 offset0:81 offset1:82
	s_waitcnt lgkmcnt(3)
	v_fmac_f32_e32 v120, v108, v92
	s_waitcnt vmcnt(2)
	v_fmac_f32_e32 v120, v109, v93
	ds_load_2addr_b32 v[92:93], v2 offset0:83 offset1:84
	s_waitcnt lgkmcnt(3)
	v_fmac_f32_e32 v120, v110, v94
	s_delay_alu instid0(VALU_DEP_1) | instskip(SKIP_4) | instid1(VALU_DEP_1)
	v_fmac_f32_e32 v120, v111, v95
	ds_load_2addr_b32 v[94:95], v2 offset0:85 offset1:86
	s_waitcnt lgkmcnt(3)
	v_fmac_f32_e32 v120, v112, v96
	s_waitcnt vmcnt(1)
	v_fmac_f32_e32 v120, v113, v97
	s_waitcnt lgkmcnt(2)
	s_delay_alu instid0(VALU_DEP_1) | instskip(NEXT) | instid1(VALU_DEP_1)
	v_fmac_f32_e32 v120, v114, v90
	v_fmac_f32_e32 v120, v115, v91
	s_waitcnt lgkmcnt(1)
	s_delay_alu instid0(VALU_DEP_1) | instskip(SKIP_1) | instid1(VALU_DEP_1)
	v_fmac_f32_e32 v120, v116, v92
	s_waitcnt vmcnt(0)
	v_fmac_f32_e32 v120, v117, v93
	s_waitcnt lgkmcnt(0)
	s_delay_alu instid0(VALU_DEP_1) | instskip(NEXT) | instid1(VALU_DEP_1)
	v_fmac_f32_e32 v120, v118, v94
	v_fmac_f32_e32 v120, v119, v95
	s_delay_alu instid0(VALU_DEP_1)
	v_sub_f32_e32 v2, v89, v120
	scratch_store_b32 off, v2, off offset:48
	v_cmpx_lt_u32_e32 11, v0
	s_cbranch_execz .LBB42_243
; %bb.242:
	scratch_load_b32 v2, off, off offset:44
	v_mov_b32_e32 v89, 0
	scratch_store_b32 off, v89, off offset:44
	s_waitcnt vmcnt(0)
	ds_store_b32 v1, v2
.LBB42_243:
	s_or_b32 exec_lo, exec_lo, s0
	s_waitcnt lgkmcnt(0)
	s_waitcnt_vscnt null, 0x0
	s_barrier
	buffer_gl0_inv
	s_clause 0x7
	scratch_load_b128 v[89:92], off, off offset:44
	scratch_load_b128 v[93:96], off, off offset:60
	;; [unrolled: 1-line block ×8, first 2 shown]
	v_mov_b32_e32 v2, 0
	ds_load_b128 v[121:124], v2 offset:224
	ds_load_b128 v[125:128], v2 offset:240
	s_mov_b32 s0, exec_lo
	s_waitcnt vmcnt(7) lgkmcnt(1)
	v_fma_f32 v121, v90, v121, 0
	s_delay_alu instid0(VALU_DEP_1) | instskip(NEXT) | instid1(VALU_DEP_1)
	v_fmac_f32_e32 v121, v91, v122
	v_fmac_f32_e32 v121, v92, v123
	s_waitcnt vmcnt(6)
	s_delay_alu instid0(VALU_DEP_1) | instskip(SKIP_3) | instid1(VALU_DEP_1)
	v_fmac_f32_e32 v121, v93, v124
	ds_load_b128 v[90:93], v2 offset:256
	s_waitcnt lgkmcnt(1)
	v_fmac_f32_e32 v121, v94, v125
	v_fmac_f32_e32 v121, v95, v126
	s_delay_alu instid0(VALU_DEP_1) | instskip(SKIP_1) | instid1(VALU_DEP_1)
	v_fmac_f32_e32 v121, v96, v127
	s_waitcnt vmcnt(5)
	v_fmac_f32_e32 v121, v97, v128
	ds_load_b128 v[94:97], v2 offset:272
	s_waitcnt lgkmcnt(1)
	v_fmac_f32_e32 v121, v98, v90
	s_delay_alu instid0(VALU_DEP_1) | instskip(NEXT) | instid1(VALU_DEP_1)
	v_fmac_f32_e32 v121, v99, v91
	v_fmac_f32_e32 v121, v100, v92
	s_waitcnt vmcnt(4)
	s_delay_alu instid0(VALU_DEP_1) | instskip(SKIP_3) | instid1(VALU_DEP_1)
	v_fmac_f32_e32 v121, v101, v93
	ds_load_b128 v[90:93], v2 offset:288
	s_waitcnt lgkmcnt(1)
	v_fmac_f32_e32 v121, v102, v94
	v_fmac_f32_e32 v121, v103, v95
	s_delay_alu instid0(VALU_DEP_1) | instskip(SKIP_1) | instid1(VALU_DEP_1)
	v_fmac_f32_e32 v121, v104, v96
	s_waitcnt vmcnt(3)
	v_fmac_f32_e32 v121, v105, v97
	ds_load_b128 v[94:97], v2 offset:304
	s_waitcnt lgkmcnt(1)
	v_fmac_f32_e32 v121, v106, v90
	s_delay_alu instid0(VALU_DEP_1) | instskip(NEXT) | instid1(VALU_DEP_1)
	v_fmac_f32_e32 v121, v107, v91
	v_fmac_f32_e32 v121, v108, v92
	s_waitcnt vmcnt(2)
	s_delay_alu instid0(VALU_DEP_1) | instskip(SKIP_3) | instid1(VALU_DEP_1)
	v_fmac_f32_e32 v121, v109, v93
	ds_load_b128 v[90:93], v2 offset:320
	s_waitcnt lgkmcnt(1)
	v_fmac_f32_e32 v121, v110, v94
	v_fmac_f32_e32 v121, v111, v95
	s_delay_alu instid0(VALU_DEP_1) | instskip(SKIP_4) | instid1(VALU_DEP_1)
	v_fmac_f32_e32 v121, v112, v96
	ds_load_b96 v[94:96], v2 offset:336
	s_waitcnt vmcnt(1)
	v_fmac_f32_e32 v121, v113, v97
	s_waitcnt lgkmcnt(1)
	v_fmac_f32_e32 v121, v114, v90
	s_delay_alu instid0(VALU_DEP_1) | instskip(NEXT) | instid1(VALU_DEP_1)
	v_fmac_f32_e32 v121, v115, v91
	v_fmac_f32_e32 v121, v116, v92
	s_waitcnt vmcnt(0)
	s_delay_alu instid0(VALU_DEP_1) | instskip(SKIP_1) | instid1(VALU_DEP_1)
	v_fmac_f32_e32 v121, v117, v93
	s_waitcnt lgkmcnt(0)
	v_fmac_f32_e32 v121, v118, v94
	s_delay_alu instid0(VALU_DEP_1) | instskip(NEXT) | instid1(VALU_DEP_1)
	v_fmac_f32_e32 v121, v119, v95
	v_fmac_f32_e32 v121, v120, v96
	s_delay_alu instid0(VALU_DEP_1)
	v_sub_f32_e32 v89, v89, v121
	scratch_store_b32 off, v89, off offset:44
	v_cmpx_lt_u32_e32 10, v0
	s_cbranch_execz .LBB42_245
; %bb.244:
	scratch_load_b32 v89, off, off offset:40
	scratch_store_b32 off, v2, off offset:40
	s_waitcnt vmcnt(0)
	ds_store_b32 v1, v89
.LBB42_245:
	s_or_b32 exec_lo, exec_lo, s0
	s_waitcnt lgkmcnt(0)
	s_waitcnt_vscnt null, 0x0
	s_barrier
	buffer_gl0_inv
	s_clause 0x8
	scratch_load_b128 v[89:92], off, off offset:40
	scratch_load_b128 v[93:96], off, off offset:56
	;; [unrolled: 1-line block ×8, first 2 shown]
	scratch_load_b32 v129, off, off offset:168
	ds_load_2addr_b32 v[121:122], v2 offset0:55 offset1:56
	ds_load_2addr_b32 v[123:124], v2 offset0:57 offset1:58
	;; [unrolled: 1-line block ×4, first 2 shown]
	s_mov_b32 s0, exec_lo
	s_waitcnt vmcnt(8) lgkmcnt(3)
	v_fma_f32 v121, v90, v121, 0
	s_delay_alu instid0(VALU_DEP_1) | instskip(SKIP_4) | instid1(VALU_DEP_1)
	v_fmac_f32_e32 v121, v91, v122
	ds_load_2addr_b32 v[90:91], v2 offset0:63 offset1:64
	s_waitcnt lgkmcnt(3)
	v_fmac_f32_e32 v121, v92, v123
	s_waitcnt vmcnt(7)
	v_fmac_f32_e32 v121, v93, v124
	ds_load_2addr_b32 v[92:93], v2 offset0:65 offset1:66
	s_waitcnt lgkmcnt(3)
	v_fmac_f32_e32 v121, v94, v125
	s_delay_alu instid0(VALU_DEP_1) | instskip(SKIP_1) | instid1(VALU_DEP_1)
	v_fmac_f32_e32 v121, v95, v126
	s_waitcnt lgkmcnt(2)
	v_fmac_f32_e32 v121, v96, v127
	s_waitcnt vmcnt(6)
	s_delay_alu instid0(VALU_DEP_1) | instskip(SKIP_4) | instid1(VALU_DEP_1)
	v_fmac_f32_e32 v121, v97, v128
	ds_load_2addr_b32 v[94:95], v2 offset0:67 offset1:68
	ds_load_2addr_b32 v[96:97], v2 offset0:69 offset1:70
	s_waitcnt lgkmcnt(3)
	v_fmac_f32_e32 v121, v98, v90
	v_fmac_f32_e32 v121, v99, v91
	ds_load_2addr_b32 v[90:91], v2 offset0:71 offset1:72
	s_waitcnt lgkmcnt(3)
	v_fmac_f32_e32 v121, v100, v92
	s_waitcnt vmcnt(5)
	s_delay_alu instid0(VALU_DEP_1) | instskip(SKIP_3) | instid1(VALU_DEP_1)
	v_fmac_f32_e32 v121, v101, v93
	ds_load_2addr_b32 v[92:93], v2 offset0:73 offset1:74
	s_waitcnt lgkmcnt(3)
	v_fmac_f32_e32 v121, v102, v94
	v_fmac_f32_e32 v121, v103, v95
	s_waitcnt lgkmcnt(2)
	s_delay_alu instid0(VALU_DEP_1) | instskip(SKIP_1) | instid1(VALU_DEP_1)
	v_fmac_f32_e32 v121, v104, v96
	s_waitcnt vmcnt(4)
	v_fmac_f32_e32 v121, v105, v97
	ds_load_2addr_b32 v[94:95], v2 offset0:75 offset1:76
	ds_load_2addr_b32 v[96:97], v2 offset0:77 offset1:78
	s_waitcnt lgkmcnt(3)
	v_fmac_f32_e32 v121, v106, v90
	s_delay_alu instid0(VALU_DEP_1) | instskip(SKIP_4) | instid1(VALU_DEP_1)
	v_fmac_f32_e32 v121, v107, v91
	ds_load_2addr_b32 v[90:91], v2 offset0:79 offset1:80
	s_waitcnt lgkmcnt(3)
	v_fmac_f32_e32 v121, v108, v92
	s_waitcnt vmcnt(3)
	v_fmac_f32_e32 v121, v109, v93
	ds_load_2addr_b32 v[92:93], v2 offset0:81 offset1:82
	s_waitcnt lgkmcnt(3)
	v_fmac_f32_e32 v121, v110, v94
	s_delay_alu instid0(VALU_DEP_1) | instskip(SKIP_1) | instid1(VALU_DEP_1)
	v_fmac_f32_e32 v121, v111, v95
	s_waitcnt lgkmcnt(2)
	v_fmac_f32_e32 v121, v112, v96
	s_waitcnt vmcnt(2)
	s_delay_alu instid0(VALU_DEP_1) | instskip(SKIP_4) | instid1(VALU_DEP_1)
	v_fmac_f32_e32 v121, v113, v97
	ds_load_2addr_b32 v[94:95], v2 offset0:83 offset1:84
	ds_load_2addr_b32 v[96:97], v2 offset0:85 offset1:86
	s_waitcnt lgkmcnt(3)
	v_fmac_f32_e32 v121, v114, v90
	v_fmac_f32_e32 v121, v115, v91
	s_waitcnt lgkmcnt(2)
	s_delay_alu instid0(VALU_DEP_1) | instskip(SKIP_1) | instid1(VALU_DEP_1)
	v_fmac_f32_e32 v121, v116, v92
	s_waitcnt vmcnt(1)
	v_fmac_f32_e32 v121, v117, v93
	s_waitcnt lgkmcnt(1)
	s_delay_alu instid0(VALU_DEP_1) | instskip(NEXT) | instid1(VALU_DEP_1)
	v_fmac_f32_e32 v121, v118, v94
	v_fmac_f32_e32 v121, v119, v95
	s_waitcnt lgkmcnt(0)
	s_delay_alu instid0(VALU_DEP_1) | instskip(SKIP_1) | instid1(VALU_DEP_1)
	v_fmac_f32_e32 v121, v120, v96
	s_waitcnt vmcnt(0)
	v_fmac_f32_e32 v121, v129, v97
	s_delay_alu instid0(VALU_DEP_1)
	v_sub_f32_e32 v2, v89, v121
	scratch_store_b32 off, v2, off offset:40
	v_cmpx_lt_u32_e32 9, v0
	s_cbranch_execz .LBB42_247
; %bb.246:
	scratch_load_b32 v2, off, off offset:36
	v_mov_b32_e32 v89, 0
	scratch_store_b32 off, v89, off offset:36
	s_waitcnt vmcnt(0)
	ds_store_b32 v1, v2
.LBB42_247:
	s_or_b32 exec_lo, exec_lo, s0
	s_waitcnt lgkmcnt(0)
	s_waitcnt_vscnt null, 0x0
	s_barrier
	buffer_gl0_inv
	s_clause 0x8
	scratch_load_b128 v[89:92], off, off offset:36
	scratch_load_b128 v[93:96], off, off offset:52
	;; [unrolled: 1-line block ×8, first 2 shown]
	scratch_load_b64 v[129:130], off, off offset:164
	v_mov_b32_e32 v2, 0
	ds_load_2addr_b64 v[121:124], v2 offset0:27 offset1:28
	ds_load_2addr_b64 v[125:128], v2 offset0:29 offset1:30
	s_mov_b32 s0, exec_lo
	s_waitcnt vmcnt(8) lgkmcnt(1)
	v_fma_f32 v121, v90, v121, 0
	s_delay_alu instid0(VALU_DEP_1) | instskip(NEXT) | instid1(VALU_DEP_1)
	v_fmac_f32_e32 v121, v91, v122
	v_fmac_f32_e32 v121, v92, v123
	s_waitcnt vmcnt(7)
	s_delay_alu instid0(VALU_DEP_1) | instskip(SKIP_3) | instid1(VALU_DEP_1)
	v_fmac_f32_e32 v121, v93, v124
	ds_load_2addr_b64 v[90:93], v2 offset0:31 offset1:32
	s_waitcnt lgkmcnt(1)
	v_fmac_f32_e32 v121, v94, v125
	v_fmac_f32_e32 v121, v95, v126
	s_delay_alu instid0(VALU_DEP_1) | instskip(SKIP_1) | instid1(VALU_DEP_1)
	v_fmac_f32_e32 v121, v96, v127
	s_waitcnt vmcnt(6)
	v_fmac_f32_e32 v121, v97, v128
	ds_load_2addr_b64 v[94:97], v2 offset0:33 offset1:34
	s_waitcnt lgkmcnt(1)
	v_fmac_f32_e32 v121, v98, v90
	s_delay_alu instid0(VALU_DEP_1) | instskip(NEXT) | instid1(VALU_DEP_1)
	v_fmac_f32_e32 v121, v99, v91
	v_fmac_f32_e32 v121, v100, v92
	s_waitcnt vmcnt(5)
	s_delay_alu instid0(VALU_DEP_1) | instskip(SKIP_3) | instid1(VALU_DEP_1)
	v_fmac_f32_e32 v121, v101, v93
	ds_load_2addr_b64 v[90:93], v2 offset0:35 offset1:36
	s_waitcnt lgkmcnt(1)
	v_fmac_f32_e32 v121, v102, v94
	v_fmac_f32_e32 v121, v103, v95
	s_delay_alu instid0(VALU_DEP_1) | instskip(SKIP_1) | instid1(VALU_DEP_1)
	v_fmac_f32_e32 v121, v104, v96
	s_waitcnt vmcnt(4)
	v_fmac_f32_e32 v121, v105, v97
	ds_load_2addr_b64 v[94:97], v2 offset0:37 offset1:38
	s_waitcnt lgkmcnt(1)
	v_fmac_f32_e32 v121, v106, v90
	;; [unrolled: 17-line block ×3, first 2 shown]
	ds_load_b32 v90, v2 offset:344
	v_fmac_f32_e32 v121, v115, v91
	s_delay_alu instid0(VALU_DEP_1) | instskip(SKIP_1) | instid1(VALU_DEP_1)
	v_fmac_f32_e32 v121, v116, v92
	s_waitcnt vmcnt(1)
	v_fmac_f32_e32 v121, v117, v93
	s_waitcnt lgkmcnt(1)
	s_delay_alu instid0(VALU_DEP_1) | instskip(NEXT) | instid1(VALU_DEP_1)
	v_fmac_f32_e32 v121, v118, v94
	v_fmac_f32_e32 v121, v119, v95
	s_delay_alu instid0(VALU_DEP_1) | instskip(SKIP_1) | instid1(VALU_DEP_1)
	v_fmac_f32_e32 v121, v120, v96
	s_waitcnt vmcnt(0)
	v_fmac_f32_e32 v121, v129, v97
	s_waitcnt lgkmcnt(0)
	s_delay_alu instid0(VALU_DEP_1) | instskip(NEXT) | instid1(VALU_DEP_1)
	v_fmac_f32_e32 v121, v130, v90
	v_sub_f32_e32 v89, v89, v121
	scratch_store_b32 off, v89, off offset:36
	v_cmpx_lt_u32_e32 8, v0
	s_cbranch_execz .LBB42_249
; %bb.248:
	scratch_load_b32 v89, off, off offset:32
	scratch_store_b32 off, v2, off offset:32
	s_waitcnt vmcnt(0)
	ds_store_b32 v1, v89
.LBB42_249:
	s_or_b32 exec_lo, exec_lo, s0
	s_waitcnt lgkmcnt(0)
	s_waitcnt_vscnt null, 0x0
	s_barrier
	buffer_gl0_inv
	s_clause 0x8
	scratch_load_b128 v[89:92], off, off offset:32
	scratch_load_b128 v[93:96], off, off offset:48
	;; [unrolled: 1-line block ×8, first 2 shown]
	scratch_load_b96 v[121:123], off, off offset:160
	ds_load_2addr_b32 v[124:125], v2 offset0:53 offset1:54
	ds_load_2addr_b32 v[126:127], v2 offset0:55 offset1:56
	;; [unrolled: 1-line block ×4, first 2 shown]
	s_mov_b32 s0, exec_lo
	s_waitcnt vmcnt(8) lgkmcnt(3)
	v_fma_f32 v124, v90, v124, 0
	s_delay_alu instid0(VALU_DEP_1) | instskip(SKIP_4) | instid1(VALU_DEP_1)
	v_fmac_f32_e32 v124, v91, v125
	ds_load_2addr_b32 v[90:91], v2 offset0:61 offset1:62
	s_waitcnt lgkmcnt(3)
	v_fmac_f32_e32 v124, v92, v126
	s_waitcnt vmcnt(7)
	v_fmac_f32_e32 v124, v93, v127
	ds_load_2addr_b32 v[92:93], v2 offset0:63 offset1:64
	s_waitcnt lgkmcnt(3)
	v_fmac_f32_e32 v124, v94, v128
	s_delay_alu instid0(VALU_DEP_1) | instskip(SKIP_1) | instid1(VALU_DEP_1)
	v_fmac_f32_e32 v124, v95, v129
	s_waitcnt lgkmcnt(2)
	v_fmac_f32_e32 v124, v96, v130
	s_waitcnt vmcnt(6)
	s_delay_alu instid0(VALU_DEP_1) | instskip(SKIP_4) | instid1(VALU_DEP_1)
	v_fmac_f32_e32 v124, v97, v131
	ds_load_2addr_b32 v[94:95], v2 offset0:65 offset1:66
	ds_load_2addr_b32 v[96:97], v2 offset0:67 offset1:68
	s_waitcnt lgkmcnt(3)
	v_fmac_f32_e32 v124, v98, v90
	v_fmac_f32_e32 v124, v99, v91
	ds_load_2addr_b32 v[90:91], v2 offset0:69 offset1:70
	s_waitcnt lgkmcnt(3)
	v_fmac_f32_e32 v124, v100, v92
	s_waitcnt vmcnt(5)
	s_delay_alu instid0(VALU_DEP_1) | instskip(SKIP_3) | instid1(VALU_DEP_1)
	v_fmac_f32_e32 v124, v101, v93
	ds_load_2addr_b32 v[92:93], v2 offset0:71 offset1:72
	s_waitcnt lgkmcnt(3)
	v_fmac_f32_e32 v124, v102, v94
	v_fmac_f32_e32 v124, v103, v95
	s_waitcnt lgkmcnt(2)
	s_delay_alu instid0(VALU_DEP_1) | instskip(SKIP_1) | instid1(VALU_DEP_1)
	v_fmac_f32_e32 v124, v104, v96
	s_waitcnt vmcnt(4)
	v_fmac_f32_e32 v124, v105, v97
	ds_load_2addr_b32 v[94:95], v2 offset0:73 offset1:74
	ds_load_2addr_b32 v[96:97], v2 offset0:75 offset1:76
	s_waitcnt lgkmcnt(3)
	v_fmac_f32_e32 v124, v106, v90
	s_delay_alu instid0(VALU_DEP_1) | instskip(SKIP_4) | instid1(VALU_DEP_1)
	v_fmac_f32_e32 v124, v107, v91
	ds_load_2addr_b32 v[90:91], v2 offset0:77 offset1:78
	s_waitcnt lgkmcnt(3)
	v_fmac_f32_e32 v124, v108, v92
	s_waitcnt vmcnt(3)
	v_fmac_f32_e32 v124, v109, v93
	ds_load_2addr_b32 v[92:93], v2 offset0:79 offset1:80
	s_waitcnt lgkmcnt(3)
	v_fmac_f32_e32 v124, v110, v94
	s_delay_alu instid0(VALU_DEP_1) | instskip(SKIP_1) | instid1(VALU_DEP_1)
	v_fmac_f32_e32 v124, v111, v95
	s_waitcnt lgkmcnt(2)
	v_fmac_f32_e32 v124, v112, v96
	s_waitcnt vmcnt(2)
	s_delay_alu instid0(VALU_DEP_1) | instskip(SKIP_4) | instid1(VALU_DEP_1)
	v_fmac_f32_e32 v124, v113, v97
	ds_load_2addr_b32 v[94:95], v2 offset0:81 offset1:82
	ds_load_2addr_b32 v[96:97], v2 offset0:83 offset1:84
	s_waitcnt lgkmcnt(3)
	v_fmac_f32_e32 v124, v114, v90
	v_fmac_f32_e32 v124, v115, v91
	ds_load_2addr_b32 v[90:91], v2 offset0:85 offset1:86
	s_waitcnt lgkmcnt(3)
	v_fmac_f32_e32 v124, v116, v92
	s_waitcnt vmcnt(1)
	s_delay_alu instid0(VALU_DEP_1) | instskip(SKIP_1) | instid1(VALU_DEP_1)
	v_fmac_f32_e32 v124, v117, v93
	s_waitcnt lgkmcnt(2)
	v_fmac_f32_e32 v124, v118, v94
	s_delay_alu instid0(VALU_DEP_1) | instskip(SKIP_1) | instid1(VALU_DEP_1)
	v_fmac_f32_e32 v124, v119, v95
	s_waitcnt lgkmcnt(1)
	v_fmac_f32_e32 v124, v120, v96
	s_waitcnt vmcnt(0)
	s_delay_alu instid0(VALU_DEP_1) | instskip(SKIP_1) | instid1(VALU_DEP_1)
	v_fmac_f32_e32 v124, v121, v97
	s_waitcnt lgkmcnt(0)
	v_fmac_f32_e32 v124, v122, v90
	s_delay_alu instid0(VALU_DEP_1) | instskip(NEXT) | instid1(VALU_DEP_1)
	v_fmac_f32_e32 v124, v123, v91
	v_sub_f32_e32 v2, v89, v124
	scratch_store_b32 off, v2, off offset:32
	v_cmpx_lt_u32_e32 7, v0
	s_cbranch_execz .LBB42_251
; %bb.250:
	scratch_load_b32 v2, off, off offset:28
	v_mov_b32_e32 v89, 0
	scratch_store_b32 off, v89, off offset:28
	s_waitcnt vmcnt(0)
	ds_store_b32 v1, v2
.LBB42_251:
	s_or_b32 exec_lo, exec_lo, s0
	s_waitcnt lgkmcnt(0)
	s_waitcnt_vscnt null, 0x0
	s_barrier
	buffer_gl0_inv
	s_clause 0x8
	scratch_load_b128 v[89:92], off, off offset:28
	scratch_load_b128 v[93:96], off, off offset:44
	scratch_load_b128 v[97:100], off, off offset:60
	scratch_load_b128 v[101:104], off, off offset:76
	scratch_load_b128 v[105:108], off, off offset:92
	scratch_load_b128 v[109:112], off, off offset:108
	scratch_load_b128 v[113:116], off, off offset:124
	scratch_load_b128 v[117:120], off, off offset:140
	scratch_load_b128 v[121:124], off, off offset:156
	v_mov_b32_e32 v2, 0
	ds_load_b128 v[125:128], v2 offset:208
	ds_load_b128 v[129:132], v2 offset:224
	s_mov_b32 s0, exec_lo
	s_waitcnt vmcnt(8) lgkmcnt(1)
	v_fma_f32 v125, v90, v125, 0
	s_delay_alu instid0(VALU_DEP_1) | instskip(NEXT) | instid1(VALU_DEP_1)
	v_fmac_f32_e32 v125, v91, v126
	v_fmac_f32_e32 v125, v92, v127
	s_waitcnt vmcnt(7)
	s_delay_alu instid0(VALU_DEP_1) | instskip(SKIP_3) | instid1(VALU_DEP_1)
	v_fmac_f32_e32 v125, v93, v128
	ds_load_b128 v[90:93], v2 offset:240
	s_waitcnt lgkmcnt(1)
	v_fmac_f32_e32 v125, v94, v129
	v_fmac_f32_e32 v125, v95, v130
	s_delay_alu instid0(VALU_DEP_1) | instskip(SKIP_1) | instid1(VALU_DEP_1)
	v_fmac_f32_e32 v125, v96, v131
	s_waitcnt vmcnt(6)
	v_fmac_f32_e32 v125, v97, v132
	ds_load_b128 v[94:97], v2 offset:256
	s_waitcnt lgkmcnt(1)
	v_fmac_f32_e32 v125, v98, v90
	s_delay_alu instid0(VALU_DEP_1) | instskip(NEXT) | instid1(VALU_DEP_1)
	v_fmac_f32_e32 v125, v99, v91
	v_fmac_f32_e32 v125, v100, v92
	s_waitcnt vmcnt(5)
	s_delay_alu instid0(VALU_DEP_1) | instskip(SKIP_3) | instid1(VALU_DEP_1)
	v_fmac_f32_e32 v125, v101, v93
	ds_load_b128 v[90:93], v2 offset:272
	s_waitcnt lgkmcnt(1)
	v_fmac_f32_e32 v125, v102, v94
	v_fmac_f32_e32 v125, v103, v95
	s_delay_alu instid0(VALU_DEP_1) | instskip(SKIP_1) | instid1(VALU_DEP_1)
	v_fmac_f32_e32 v125, v104, v96
	s_waitcnt vmcnt(4)
	v_fmac_f32_e32 v125, v105, v97
	ds_load_b128 v[94:97], v2 offset:288
	s_waitcnt lgkmcnt(1)
	v_fmac_f32_e32 v125, v106, v90
	;; [unrolled: 17-line block ×3, first 2 shown]
	s_delay_alu instid0(VALU_DEP_1) | instskip(NEXT) | instid1(VALU_DEP_1)
	v_fmac_f32_e32 v125, v115, v91
	v_fmac_f32_e32 v125, v116, v92
	ds_load_b96 v[90:92], v2 offset:336
	s_waitcnt vmcnt(1)
	v_fmac_f32_e32 v125, v117, v93
	s_waitcnt lgkmcnt(1)
	s_delay_alu instid0(VALU_DEP_1) | instskip(NEXT) | instid1(VALU_DEP_1)
	v_fmac_f32_e32 v125, v118, v94
	v_fmac_f32_e32 v125, v119, v95
	s_delay_alu instid0(VALU_DEP_1) | instskip(SKIP_1) | instid1(VALU_DEP_1)
	v_fmac_f32_e32 v125, v120, v96
	s_waitcnt vmcnt(0)
	v_fmac_f32_e32 v125, v121, v97
	s_waitcnt lgkmcnt(0)
	s_delay_alu instid0(VALU_DEP_1) | instskip(NEXT) | instid1(VALU_DEP_1)
	v_fmac_f32_e32 v125, v122, v90
	v_fmac_f32_e32 v125, v123, v91
	s_delay_alu instid0(VALU_DEP_1) | instskip(NEXT) | instid1(VALU_DEP_1)
	v_fmac_f32_e32 v125, v124, v92
	v_sub_f32_e32 v89, v89, v125
	scratch_store_b32 off, v89, off offset:28
	v_cmpx_lt_u32_e32 6, v0
	s_cbranch_execz .LBB42_253
; %bb.252:
	scratch_load_b32 v89, off, off offset:24
	scratch_store_b32 off, v2, off offset:24
	s_waitcnt vmcnt(0)
	ds_store_b32 v1, v89
.LBB42_253:
	s_or_b32 exec_lo, exec_lo, s0
	s_waitcnt lgkmcnt(0)
	s_waitcnt_vscnt null, 0x0
	s_barrier
	buffer_gl0_inv
	s_clause 0x9
	scratch_load_b128 v[89:92], off, off offset:24
	scratch_load_b128 v[93:96], off, off offset:40
	;; [unrolled: 1-line block ×9, first 2 shown]
	scratch_load_b32 v133, off, off offset:168
	ds_load_2addr_b32 v[125:126], v2 offset0:51 offset1:52
	ds_load_2addr_b32 v[127:128], v2 offset0:53 offset1:54
	;; [unrolled: 1-line block ×4, first 2 shown]
	s_mov_b32 s0, exec_lo
	s_waitcnt vmcnt(9) lgkmcnt(3)
	v_fma_f32 v125, v90, v125, 0
	s_delay_alu instid0(VALU_DEP_1) | instskip(SKIP_4) | instid1(VALU_DEP_1)
	v_fmac_f32_e32 v125, v91, v126
	ds_load_2addr_b32 v[90:91], v2 offset0:59 offset1:60
	s_waitcnt lgkmcnt(3)
	v_fmac_f32_e32 v125, v92, v127
	s_waitcnt vmcnt(8)
	v_fmac_f32_e32 v125, v93, v128
	ds_load_2addr_b32 v[92:93], v2 offset0:61 offset1:62
	s_waitcnt lgkmcnt(3)
	v_fmac_f32_e32 v125, v94, v129
	s_delay_alu instid0(VALU_DEP_1) | instskip(SKIP_1) | instid1(VALU_DEP_1)
	v_fmac_f32_e32 v125, v95, v130
	s_waitcnt lgkmcnt(2)
	v_fmac_f32_e32 v125, v96, v131
	s_waitcnt vmcnt(7)
	s_delay_alu instid0(VALU_DEP_1) | instskip(SKIP_4) | instid1(VALU_DEP_1)
	v_fmac_f32_e32 v125, v97, v132
	ds_load_2addr_b32 v[94:95], v2 offset0:63 offset1:64
	ds_load_2addr_b32 v[96:97], v2 offset0:65 offset1:66
	s_waitcnt lgkmcnt(3)
	v_fmac_f32_e32 v125, v98, v90
	v_fmac_f32_e32 v125, v99, v91
	ds_load_2addr_b32 v[90:91], v2 offset0:67 offset1:68
	s_waitcnt lgkmcnt(3)
	v_fmac_f32_e32 v125, v100, v92
	s_waitcnt vmcnt(6)
	s_delay_alu instid0(VALU_DEP_1) | instskip(SKIP_3) | instid1(VALU_DEP_1)
	v_fmac_f32_e32 v125, v101, v93
	ds_load_2addr_b32 v[92:93], v2 offset0:69 offset1:70
	s_waitcnt lgkmcnt(3)
	v_fmac_f32_e32 v125, v102, v94
	v_fmac_f32_e32 v125, v103, v95
	s_waitcnt lgkmcnt(2)
	s_delay_alu instid0(VALU_DEP_1) | instskip(SKIP_1) | instid1(VALU_DEP_1)
	v_fmac_f32_e32 v125, v104, v96
	s_waitcnt vmcnt(5)
	v_fmac_f32_e32 v125, v105, v97
	ds_load_2addr_b32 v[94:95], v2 offset0:71 offset1:72
	ds_load_2addr_b32 v[96:97], v2 offset0:73 offset1:74
	s_waitcnt lgkmcnt(3)
	v_fmac_f32_e32 v125, v106, v90
	s_delay_alu instid0(VALU_DEP_1) | instskip(SKIP_4) | instid1(VALU_DEP_1)
	v_fmac_f32_e32 v125, v107, v91
	ds_load_2addr_b32 v[90:91], v2 offset0:75 offset1:76
	s_waitcnt lgkmcnt(3)
	v_fmac_f32_e32 v125, v108, v92
	s_waitcnt vmcnt(4)
	v_fmac_f32_e32 v125, v109, v93
	ds_load_2addr_b32 v[92:93], v2 offset0:77 offset1:78
	s_waitcnt lgkmcnt(3)
	v_fmac_f32_e32 v125, v110, v94
	s_delay_alu instid0(VALU_DEP_1) | instskip(SKIP_1) | instid1(VALU_DEP_1)
	v_fmac_f32_e32 v125, v111, v95
	s_waitcnt lgkmcnt(2)
	v_fmac_f32_e32 v125, v112, v96
	s_waitcnt vmcnt(3)
	s_delay_alu instid0(VALU_DEP_1) | instskip(SKIP_4) | instid1(VALU_DEP_1)
	v_fmac_f32_e32 v125, v113, v97
	ds_load_2addr_b32 v[94:95], v2 offset0:79 offset1:80
	ds_load_2addr_b32 v[96:97], v2 offset0:81 offset1:82
	s_waitcnt lgkmcnt(3)
	v_fmac_f32_e32 v125, v114, v90
	v_fmac_f32_e32 v125, v115, v91
	ds_load_2addr_b32 v[90:91], v2 offset0:83 offset1:84
	s_waitcnt lgkmcnt(3)
	v_fmac_f32_e32 v125, v116, v92
	s_waitcnt vmcnt(2)
	s_delay_alu instid0(VALU_DEP_1) | instskip(SKIP_3) | instid1(VALU_DEP_1)
	v_fmac_f32_e32 v125, v117, v93
	ds_load_2addr_b32 v[92:93], v2 offset0:85 offset1:86
	s_waitcnt lgkmcnt(3)
	v_fmac_f32_e32 v125, v118, v94
	v_fmac_f32_e32 v125, v119, v95
	s_waitcnt lgkmcnt(2)
	s_delay_alu instid0(VALU_DEP_1) | instskip(SKIP_1) | instid1(VALU_DEP_1)
	v_fmac_f32_e32 v125, v120, v96
	s_waitcnt vmcnt(1)
	v_fmac_f32_e32 v125, v121, v97
	s_waitcnt lgkmcnt(1)
	s_delay_alu instid0(VALU_DEP_1) | instskip(NEXT) | instid1(VALU_DEP_1)
	v_fmac_f32_e32 v125, v122, v90
	v_fmac_f32_e32 v125, v123, v91
	s_waitcnt lgkmcnt(0)
	s_delay_alu instid0(VALU_DEP_1) | instskip(SKIP_1) | instid1(VALU_DEP_1)
	v_fmac_f32_e32 v125, v124, v92
	s_waitcnt vmcnt(0)
	v_fmac_f32_e32 v125, v133, v93
	s_delay_alu instid0(VALU_DEP_1)
	v_sub_f32_e32 v2, v89, v125
	scratch_store_b32 off, v2, off offset:24
	v_cmpx_lt_u32_e32 5, v0
	s_cbranch_execz .LBB42_255
; %bb.254:
	scratch_load_b32 v2, off, off offset:20
	v_mov_b32_e32 v89, 0
	scratch_store_b32 off, v89, off offset:20
	s_waitcnt vmcnt(0)
	ds_store_b32 v1, v2
.LBB42_255:
	s_or_b32 exec_lo, exec_lo, s0
	s_waitcnt lgkmcnt(0)
	s_waitcnt_vscnt null, 0x0
	s_barrier
	buffer_gl0_inv
	s_clause 0x9
	scratch_load_b128 v[89:92], off, off offset:20
	scratch_load_b128 v[93:96], off, off offset:36
	;; [unrolled: 1-line block ×9, first 2 shown]
	scratch_load_b64 v[133:134], off, off offset:164
	v_mov_b32_e32 v2, 0
	ds_load_2addr_b64 v[125:128], v2 offset0:25 offset1:26
	ds_load_2addr_b64 v[129:132], v2 offset0:27 offset1:28
	s_mov_b32 s0, exec_lo
	s_waitcnt vmcnt(9) lgkmcnt(1)
	v_fma_f32 v125, v90, v125, 0
	s_delay_alu instid0(VALU_DEP_1) | instskip(NEXT) | instid1(VALU_DEP_1)
	v_fmac_f32_e32 v125, v91, v126
	v_fmac_f32_e32 v125, v92, v127
	s_waitcnt vmcnt(8)
	s_delay_alu instid0(VALU_DEP_1) | instskip(SKIP_3) | instid1(VALU_DEP_1)
	v_fmac_f32_e32 v125, v93, v128
	ds_load_2addr_b64 v[90:93], v2 offset0:29 offset1:30
	s_waitcnt lgkmcnt(1)
	v_fmac_f32_e32 v125, v94, v129
	v_fmac_f32_e32 v125, v95, v130
	s_delay_alu instid0(VALU_DEP_1) | instskip(SKIP_1) | instid1(VALU_DEP_1)
	v_fmac_f32_e32 v125, v96, v131
	s_waitcnt vmcnt(7)
	v_fmac_f32_e32 v125, v97, v132
	ds_load_2addr_b64 v[94:97], v2 offset0:31 offset1:32
	s_waitcnt lgkmcnt(1)
	v_fmac_f32_e32 v125, v98, v90
	s_delay_alu instid0(VALU_DEP_1) | instskip(NEXT) | instid1(VALU_DEP_1)
	v_fmac_f32_e32 v125, v99, v91
	v_fmac_f32_e32 v125, v100, v92
	s_waitcnt vmcnt(6)
	s_delay_alu instid0(VALU_DEP_1) | instskip(SKIP_3) | instid1(VALU_DEP_1)
	v_fmac_f32_e32 v125, v101, v93
	ds_load_2addr_b64 v[90:93], v2 offset0:33 offset1:34
	s_waitcnt lgkmcnt(1)
	v_fmac_f32_e32 v125, v102, v94
	v_fmac_f32_e32 v125, v103, v95
	s_delay_alu instid0(VALU_DEP_1) | instskip(SKIP_1) | instid1(VALU_DEP_1)
	v_fmac_f32_e32 v125, v104, v96
	s_waitcnt vmcnt(5)
	v_fmac_f32_e32 v125, v105, v97
	ds_load_2addr_b64 v[94:97], v2 offset0:35 offset1:36
	s_waitcnt lgkmcnt(1)
	v_fmac_f32_e32 v125, v106, v90
	;; [unrolled: 17-line block ×3, first 2 shown]
	s_delay_alu instid0(VALU_DEP_1) | instskip(NEXT) | instid1(VALU_DEP_1)
	v_fmac_f32_e32 v125, v115, v91
	v_fmac_f32_e32 v125, v116, v92
	s_waitcnt vmcnt(2)
	s_delay_alu instid0(VALU_DEP_1)
	v_fmac_f32_e32 v125, v117, v93
	ds_load_2addr_b64 v[90:93], v2 offset0:41 offset1:42
	s_waitcnt lgkmcnt(1)
	v_fmac_f32_e32 v125, v118, v94
	ds_load_b32 v94, v2 offset:344
	v_fmac_f32_e32 v125, v119, v95
	s_delay_alu instid0(VALU_DEP_1) | instskip(SKIP_1) | instid1(VALU_DEP_1)
	v_fmac_f32_e32 v125, v120, v96
	s_waitcnt vmcnt(1)
	v_fmac_f32_e32 v125, v121, v97
	s_waitcnt lgkmcnt(1)
	s_delay_alu instid0(VALU_DEP_1) | instskip(NEXT) | instid1(VALU_DEP_1)
	v_fmac_f32_e32 v125, v122, v90
	v_fmac_f32_e32 v125, v123, v91
	s_delay_alu instid0(VALU_DEP_1) | instskip(SKIP_1) | instid1(VALU_DEP_1)
	v_fmac_f32_e32 v125, v124, v92
	s_waitcnt vmcnt(0)
	v_fmac_f32_e32 v125, v133, v93
	s_waitcnt lgkmcnt(0)
	s_delay_alu instid0(VALU_DEP_1) | instskip(NEXT) | instid1(VALU_DEP_1)
	v_fmac_f32_e32 v125, v134, v94
	v_sub_f32_e32 v89, v89, v125
	scratch_store_b32 off, v89, off offset:20
	v_cmpx_lt_u32_e32 4, v0
	s_cbranch_execz .LBB42_257
; %bb.256:
	scratch_load_b32 v89, off, off offset:16
	scratch_store_b32 off, v2, off offset:16
	s_waitcnt vmcnt(0)
	ds_store_b32 v1, v89
.LBB42_257:
	s_or_b32 exec_lo, exec_lo, s0
	s_waitcnt lgkmcnt(0)
	s_waitcnt_vscnt null, 0x0
	s_barrier
	buffer_gl0_inv
	s_clause 0x9
	scratch_load_b128 v[89:92], off, off offset:16
	scratch_load_b128 v[93:96], off, off offset:32
	;; [unrolled: 1-line block ×9, first 2 shown]
	scratch_load_b96 v[125:127], off, off offset:160
	ds_load_2addr_b32 v[128:129], v2 offset0:49 offset1:50
	ds_load_2addr_b32 v[130:131], v2 offset0:51 offset1:52
	;; [unrolled: 1-line block ×4, first 2 shown]
	s_mov_b32 s0, exec_lo
	s_waitcnt vmcnt(9) lgkmcnt(3)
	v_fma_f32 v128, v90, v128, 0
	s_delay_alu instid0(VALU_DEP_1) | instskip(SKIP_4) | instid1(VALU_DEP_1)
	v_fmac_f32_e32 v128, v91, v129
	ds_load_2addr_b32 v[90:91], v2 offset0:57 offset1:58
	s_waitcnt lgkmcnt(3)
	v_fmac_f32_e32 v128, v92, v130
	s_waitcnt vmcnt(8)
	v_fmac_f32_e32 v128, v93, v131
	ds_load_2addr_b32 v[92:93], v2 offset0:59 offset1:60
	s_waitcnt lgkmcnt(3)
	v_fmac_f32_e32 v128, v94, v132
	s_delay_alu instid0(VALU_DEP_1) | instskip(SKIP_1) | instid1(VALU_DEP_1)
	v_fmac_f32_e32 v128, v95, v133
	s_waitcnt lgkmcnt(2)
	v_fmac_f32_e32 v128, v96, v134
	s_waitcnt vmcnt(7)
	s_delay_alu instid0(VALU_DEP_1) | instskip(SKIP_4) | instid1(VALU_DEP_1)
	v_fmac_f32_e32 v128, v97, v135
	ds_load_2addr_b32 v[94:95], v2 offset0:61 offset1:62
	ds_load_2addr_b32 v[96:97], v2 offset0:63 offset1:64
	s_waitcnt lgkmcnt(3)
	v_fmac_f32_e32 v128, v98, v90
	v_fmac_f32_e32 v128, v99, v91
	ds_load_2addr_b32 v[90:91], v2 offset0:65 offset1:66
	s_waitcnt lgkmcnt(3)
	v_fmac_f32_e32 v128, v100, v92
	s_waitcnt vmcnt(6)
	s_delay_alu instid0(VALU_DEP_1) | instskip(SKIP_3) | instid1(VALU_DEP_1)
	v_fmac_f32_e32 v128, v101, v93
	ds_load_2addr_b32 v[92:93], v2 offset0:67 offset1:68
	s_waitcnt lgkmcnt(3)
	v_fmac_f32_e32 v128, v102, v94
	v_fmac_f32_e32 v128, v103, v95
	s_waitcnt lgkmcnt(2)
	s_delay_alu instid0(VALU_DEP_1) | instskip(SKIP_1) | instid1(VALU_DEP_1)
	v_fmac_f32_e32 v128, v104, v96
	s_waitcnt vmcnt(5)
	v_fmac_f32_e32 v128, v105, v97
	ds_load_2addr_b32 v[94:95], v2 offset0:69 offset1:70
	ds_load_2addr_b32 v[96:97], v2 offset0:71 offset1:72
	s_waitcnt lgkmcnt(3)
	v_fmac_f32_e32 v128, v106, v90
	s_delay_alu instid0(VALU_DEP_1) | instskip(SKIP_4) | instid1(VALU_DEP_1)
	v_fmac_f32_e32 v128, v107, v91
	ds_load_2addr_b32 v[90:91], v2 offset0:73 offset1:74
	s_waitcnt lgkmcnt(3)
	v_fmac_f32_e32 v128, v108, v92
	s_waitcnt vmcnt(4)
	v_fmac_f32_e32 v128, v109, v93
	ds_load_2addr_b32 v[92:93], v2 offset0:75 offset1:76
	s_waitcnt lgkmcnt(3)
	v_fmac_f32_e32 v128, v110, v94
	s_delay_alu instid0(VALU_DEP_1) | instskip(SKIP_1) | instid1(VALU_DEP_1)
	v_fmac_f32_e32 v128, v111, v95
	s_waitcnt lgkmcnt(2)
	v_fmac_f32_e32 v128, v112, v96
	s_waitcnt vmcnt(3)
	s_delay_alu instid0(VALU_DEP_1) | instskip(SKIP_4) | instid1(VALU_DEP_1)
	v_fmac_f32_e32 v128, v113, v97
	ds_load_2addr_b32 v[94:95], v2 offset0:77 offset1:78
	ds_load_2addr_b32 v[96:97], v2 offset0:79 offset1:80
	s_waitcnt lgkmcnt(3)
	v_fmac_f32_e32 v128, v114, v90
	v_fmac_f32_e32 v128, v115, v91
	ds_load_2addr_b32 v[90:91], v2 offset0:81 offset1:82
	s_waitcnt lgkmcnt(3)
	v_fmac_f32_e32 v128, v116, v92
	s_waitcnt vmcnt(2)
	s_delay_alu instid0(VALU_DEP_1) | instskip(SKIP_3) | instid1(VALU_DEP_1)
	v_fmac_f32_e32 v128, v117, v93
	ds_load_2addr_b32 v[92:93], v2 offset0:83 offset1:84
	s_waitcnt lgkmcnt(3)
	v_fmac_f32_e32 v128, v118, v94
	v_fmac_f32_e32 v128, v119, v95
	ds_load_2addr_b32 v[94:95], v2 offset0:85 offset1:86
	s_waitcnt lgkmcnt(3)
	v_fmac_f32_e32 v128, v120, v96
	s_waitcnt vmcnt(1)
	s_delay_alu instid0(VALU_DEP_1) | instskip(SKIP_1) | instid1(VALU_DEP_1)
	v_fmac_f32_e32 v128, v121, v97
	s_waitcnt lgkmcnt(2)
	v_fmac_f32_e32 v128, v122, v90
	s_delay_alu instid0(VALU_DEP_1) | instskip(SKIP_1) | instid1(VALU_DEP_1)
	v_fmac_f32_e32 v128, v123, v91
	s_waitcnt lgkmcnt(1)
	v_fmac_f32_e32 v128, v124, v92
	s_waitcnt vmcnt(0)
	s_delay_alu instid0(VALU_DEP_1) | instskip(SKIP_1) | instid1(VALU_DEP_1)
	v_fmac_f32_e32 v128, v125, v93
	s_waitcnt lgkmcnt(0)
	v_fmac_f32_e32 v128, v126, v94
	s_delay_alu instid0(VALU_DEP_1) | instskip(NEXT) | instid1(VALU_DEP_1)
	v_fmac_f32_e32 v128, v127, v95
	v_sub_f32_e32 v2, v89, v128
	scratch_store_b32 off, v2, off offset:16
	v_cmpx_lt_u32_e32 3, v0
	s_cbranch_execz .LBB42_259
; %bb.258:
	scratch_load_b32 v2, off, off offset:12
	v_mov_b32_e32 v89, 0
	scratch_store_b32 off, v89, off offset:12
	s_waitcnt vmcnt(0)
	ds_store_b32 v1, v2
.LBB42_259:
	s_or_b32 exec_lo, exec_lo, s0
	s_waitcnt lgkmcnt(0)
	s_waitcnt_vscnt null, 0x0
	s_barrier
	buffer_gl0_inv
	s_clause 0x9
	scratch_load_b128 v[89:92], off, off offset:12
	scratch_load_b128 v[93:96], off, off offset:28
	;; [unrolled: 1-line block ×10, first 2 shown]
	v_mov_b32_e32 v2, 0
	ds_load_b128 v[129:132], v2 offset:192
	ds_load_b128 v[133:136], v2 offset:208
	s_mov_b32 s0, exec_lo
	s_waitcnt vmcnt(9) lgkmcnt(1)
	v_fma_f32 v129, v90, v129, 0
	s_delay_alu instid0(VALU_DEP_1) | instskip(NEXT) | instid1(VALU_DEP_1)
	v_fmac_f32_e32 v129, v91, v130
	v_fmac_f32_e32 v129, v92, v131
	s_waitcnt vmcnt(8)
	s_delay_alu instid0(VALU_DEP_1) | instskip(SKIP_3) | instid1(VALU_DEP_1)
	v_fmac_f32_e32 v129, v93, v132
	ds_load_b128 v[90:93], v2 offset:224
	s_waitcnt lgkmcnt(1)
	v_fmac_f32_e32 v129, v94, v133
	v_fmac_f32_e32 v129, v95, v134
	s_delay_alu instid0(VALU_DEP_1) | instskip(SKIP_1) | instid1(VALU_DEP_1)
	v_fmac_f32_e32 v129, v96, v135
	s_waitcnt vmcnt(7)
	v_fmac_f32_e32 v129, v97, v136
	ds_load_b128 v[94:97], v2 offset:240
	s_waitcnt lgkmcnt(1)
	v_fmac_f32_e32 v129, v98, v90
	s_delay_alu instid0(VALU_DEP_1) | instskip(NEXT) | instid1(VALU_DEP_1)
	v_fmac_f32_e32 v129, v99, v91
	v_fmac_f32_e32 v129, v100, v92
	s_waitcnt vmcnt(6)
	s_delay_alu instid0(VALU_DEP_1) | instskip(SKIP_3) | instid1(VALU_DEP_1)
	v_fmac_f32_e32 v129, v101, v93
	ds_load_b128 v[90:93], v2 offset:256
	s_waitcnt lgkmcnt(1)
	v_fmac_f32_e32 v129, v102, v94
	v_fmac_f32_e32 v129, v103, v95
	s_delay_alu instid0(VALU_DEP_1) | instskip(SKIP_1) | instid1(VALU_DEP_1)
	v_fmac_f32_e32 v129, v104, v96
	s_waitcnt vmcnt(5)
	v_fmac_f32_e32 v129, v105, v97
	ds_load_b128 v[94:97], v2 offset:272
	s_waitcnt lgkmcnt(1)
	v_fmac_f32_e32 v129, v106, v90
	;; [unrolled: 17-line block ×3, first 2 shown]
	s_delay_alu instid0(VALU_DEP_1) | instskip(NEXT) | instid1(VALU_DEP_1)
	v_fmac_f32_e32 v129, v115, v91
	v_fmac_f32_e32 v129, v116, v92
	s_waitcnt vmcnt(2)
	s_delay_alu instid0(VALU_DEP_1) | instskip(SKIP_3) | instid1(VALU_DEP_1)
	v_fmac_f32_e32 v129, v117, v93
	ds_load_b128 v[90:93], v2 offset:320
	s_waitcnt lgkmcnt(1)
	v_fmac_f32_e32 v129, v118, v94
	v_fmac_f32_e32 v129, v119, v95
	s_delay_alu instid0(VALU_DEP_1) | instskip(SKIP_4) | instid1(VALU_DEP_1)
	v_fmac_f32_e32 v129, v120, v96
	ds_load_b96 v[94:96], v2 offset:336
	s_waitcnt vmcnt(1)
	v_fmac_f32_e32 v129, v121, v97
	s_waitcnt lgkmcnt(1)
	v_fmac_f32_e32 v129, v122, v90
	s_delay_alu instid0(VALU_DEP_1) | instskip(NEXT) | instid1(VALU_DEP_1)
	v_fmac_f32_e32 v129, v123, v91
	v_fmac_f32_e32 v129, v124, v92
	s_waitcnt vmcnt(0)
	s_delay_alu instid0(VALU_DEP_1) | instskip(SKIP_1) | instid1(VALU_DEP_1)
	v_fmac_f32_e32 v129, v125, v93
	s_waitcnt lgkmcnt(0)
	v_fmac_f32_e32 v129, v126, v94
	s_delay_alu instid0(VALU_DEP_1) | instskip(NEXT) | instid1(VALU_DEP_1)
	v_fmac_f32_e32 v129, v127, v95
	v_fmac_f32_e32 v129, v128, v96
	s_delay_alu instid0(VALU_DEP_1)
	v_sub_f32_e32 v89, v89, v129
	scratch_store_b32 off, v89, off offset:12
	v_cmpx_lt_u32_e32 2, v0
	s_cbranch_execz .LBB42_261
; %bb.260:
	scratch_load_b32 v89, off, off offset:8
	scratch_store_b32 off, v2, off offset:8
	s_waitcnt vmcnt(0)
	ds_store_b32 v1, v89
.LBB42_261:
	s_or_b32 exec_lo, exec_lo, s0
	s_waitcnt lgkmcnt(0)
	s_waitcnt_vscnt null, 0x0
	s_barrier
	buffer_gl0_inv
	s_clause 0xa
	scratch_load_b128 v[89:92], off, off offset:8
	scratch_load_b128 v[93:96], off, off offset:24
	;; [unrolled: 1-line block ×10, first 2 shown]
	scratch_load_b32 v137, off, off offset:168
	ds_load_2addr_b32 v[129:130], v2 offset0:47 offset1:48
	ds_load_2addr_b32 v[131:132], v2 offset0:49 offset1:50
	;; [unrolled: 1-line block ×4, first 2 shown]
	s_mov_b32 s0, exec_lo
	s_waitcnt vmcnt(10) lgkmcnt(3)
	v_fma_f32 v129, v90, v129, 0
	s_delay_alu instid0(VALU_DEP_1) | instskip(SKIP_4) | instid1(VALU_DEP_1)
	v_fmac_f32_e32 v129, v91, v130
	ds_load_2addr_b32 v[90:91], v2 offset0:55 offset1:56
	s_waitcnt lgkmcnt(3)
	v_fmac_f32_e32 v129, v92, v131
	s_waitcnt vmcnt(9)
	v_fmac_f32_e32 v129, v93, v132
	ds_load_2addr_b32 v[92:93], v2 offset0:57 offset1:58
	s_waitcnt lgkmcnt(3)
	v_fmac_f32_e32 v129, v94, v133
	s_delay_alu instid0(VALU_DEP_1) | instskip(SKIP_1) | instid1(VALU_DEP_1)
	v_fmac_f32_e32 v129, v95, v134
	s_waitcnt lgkmcnt(2)
	v_fmac_f32_e32 v129, v96, v135
	s_waitcnt vmcnt(8)
	s_delay_alu instid0(VALU_DEP_1) | instskip(SKIP_4) | instid1(VALU_DEP_1)
	v_fmac_f32_e32 v129, v97, v136
	ds_load_2addr_b32 v[94:95], v2 offset0:59 offset1:60
	ds_load_2addr_b32 v[96:97], v2 offset0:61 offset1:62
	s_waitcnt lgkmcnt(3)
	v_fmac_f32_e32 v129, v98, v90
	v_fmac_f32_e32 v129, v99, v91
	ds_load_2addr_b32 v[90:91], v2 offset0:63 offset1:64
	s_waitcnt lgkmcnt(3)
	v_fmac_f32_e32 v129, v100, v92
	s_waitcnt vmcnt(7)
	s_delay_alu instid0(VALU_DEP_1) | instskip(SKIP_3) | instid1(VALU_DEP_1)
	v_fmac_f32_e32 v129, v101, v93
	ds_load_2addr_b32 v[92:93], v2 offset0:65 offset1:66
	s_waitcnt lgkmcnt(3)
	v_fmac_f32_e32 v129, v102, v94
	v_fmac_f32_e32 v129, v103, v95
	s_waitcnt lgkmcnt(2)
	s_delay_alu instid0(VALU_DEP_1) | instskip(SKIP_1) | instid1(VALU_DEP_1)
	v_fmac_f32_e32 v129, v104, v96
	s_waitcnt vmcnt(6)
	v_fmac_f32_e32 v129, v105, v97
	ds_load_2addr_b32 v[94:95], v2 offset0:67 offset1:68
	ds_load_2addr_b32 v[96:97], v2 offset0:69 offset1:70
	s_waitcnt lgkmcnt(3)
	v_fmac_f32_e32 v129, v106, v90
	s_delay_alu instid0(VALU_DEP_1) | instskip(SKIP_4) | instid1(VALU_DEP_1)
	v_fmac_f32_e32 v129, v107, v91
	ds_load_2addr_b32 v[90:91], v2 offset0:71 offset1:72
	s_waitcnt lgkmcnt(3)
	v_fmac_f32_e32 v129, v108, v92
	s_waitcnt vmcnt(5)
	v_fmac_f32_e32 v129, v109, v93
	ds_load_2addr_b32 v[92:93], v2 offset0:73 offset1:74
	s_waitcnt lgkmcnt(3)
	v_fmac_f32_e32 v129, v110, v94
	s_delay_alu instid0(VALU_DEP_1) | instskip(SKIP_1) | instid1(VALU_DEP_1)
	v_fmac_f32_e32 v129, v111, v95
	s_waitcnt lgkmcnt(2)
	v_fmac_f32_e32 v129, v112, v96
	s_waitcnt vmcnt(4)
	s_delay_alu instid0(VALU_DEP_1) | instskip(SKIP_4) | instid1(VALU_DEP_1)
	v_fmac_f32_e32 v129, v113, v97
	ds_load_2addr_b32 v[94:95], v2 offset0:75 offset1:76
	ds_load_2addr_b32 v[96:97], v2 offset0:77 offset1:78
	s_waitcnt lgkmcnt(3)
	v_fmac_f32_e32 v129, v114, v90
	v_fmac_f32_e32 v129, v115, v91
	ds_load_2addr_b32 v[90:91], v2 offset0:79 offset1:80
	s_waitcnt lgkmcnt(3)
	v_fmac_f32_e32 v129, v116, v92
	s_waitcnt vmcnt(3)
	s_delay_alu instid0(VALU_DEP_1) | instskip(SKIP_3) | instid1(VALU_DEP_1)
	v_fmac_f32_e32 v129, v117, v93
	ds_load_2addr_b32 v[92:93], v2 offset0:81 offset1:82
	s_waitcnt lgkmcnt(3)
	v_fmac_f32_e32 v129, v118, v94
	v_fmac_f32_e32 v129, v119, v95
	s_waitcnt lgkmcnt(2)
	s_delay_alu instid0(VALU_DEP_1) | instskip(SKIP_1) | instid1(VALU_DEP_1)
	v_fmac_f32_e32 v129, v120, v96
	s_waitcnt vmcnt(2)
	v_fmac_f32_e32 v129, v121, v97
	ds_load_2addr_b32 v[94:95], v2 offset0:83 offset1:84
	ds_load_2addr_b32 v[96:97], v2 offset0:85 offset1:86
	s_waitcnt lgkmcnt(3)
	v_fmac_f32_e32 v129, v122, v90
	s_delay_alu instid0(VALU_DEP_1) | instskip(SKIP_1) | instid1(VALU_DEP_1)
	v_fmac_f32_e32 v129, v123, v91
	s_waitcnt lgkmcnt(2)
	v_fmac_f32_e32 v129, v124, v92
	s_waitcnt vmcnt(1)
	s_delay_alu instid0(VALU_DEP_1) | instskip(SKIP_1) | instid1(VALU_DEP_1)
	v_fmac_f32_e32 v129, v125, v93
	s_waitcnt lgkmcnt(1)
	v_fmac_f32_e32 v129, v126, v94
	s_delay_alu instid0(VALU_DEP_1) | instskip(SKIP_1) | instid1(VALU_DEP_1)
	v_fmac_f32_e32 v129, v127, v95
	s_waitcnt lgkmcnt(0)
	v_fmac_f32_e32 v129, v128, v96
	s_waitcnt vmcnt(0)
	s_delay_alu instid0(VALU_DEP_1) | instskip(NEXT) | instid1(VALU_DEP_1)
	v_fmac_f32_e32 v129, v137, v97
	v_sub_f32_e32 v2, v89, v129
	scratch_store_b32 off, v2, off offset:8
	v_cmpx_lt_u32_e32 1, v0
	s_cbranch_execz .LBB42_263
; %bb.262:
	scratch_load_b32 v2, off, off offset:4
	v_mov_b32_e32 v89, 0
	scratch_store_b32 off, v89, off offset:4
	s_waitcnt vmcnt(0)
	ds_store_b32 v1, v2
.LBB42_263:
	s_or_b32 exec_lo, exec_lo, s0
	s_waitcnt lgkmcnt(0)
	s_waitcnt_vscnt null, 0x0
	s_barrier
	buffer_gl0_inv
	s_clause 0xa
	scratch_load_b128 v[90:93], off, off offset:4
	scratch_load_b128 v[94:97], off, off offset:20
	scratch_load_b128 v[98:101], off, off offset:36
	scratch_load_b128 v[102:105], off, off offset:52
	scratch_load_b128 v[106:109], off, off offset:68
	scratch_load_b128 v[110:113], off, off offset:84
	scratch_load_b128 v[114:117], off, off offset:100
	scratch_load_b128 v[118:121], off, off offset:116
	scratch_load_b128 v[122:125], off, off offset:132
	scratch_load_b128 v[126:129], off, off offset:148
	scratch_load_b64 v[138:139], off, off offset:164
	v_mov_b32_e32 v89, 0
	ds_load_2addr_b64 v[130:133], v89 offset0:23 offset1:24
	ds_load_2addr_b64 v[134:137], v89 offset0:25 offset1:26
	s_mov_b32 s0, exec_lo
	s_waitcnt vmcnt(10) lgkmcnt(1)
	v_fma_f32 v2, v91, v130, 0
	s_delay_alu instid0(VALU_DEP_1) | instskip(NEXT) | instid1(VALU_DEP_1)
	v_fmac_f32_e32 v2, v92, v131
	v_fmac_f32_e32 v2, v93, v132
	s_waitcnt vmcnt(9)
	s_delay_alu instid0(VALU_DEP_1) | instskip(SKIP_3) | instid1(VALU_DEP_1)
	v_fmac_f32_e32 v2, v94, v133
	ds_load_2addr_b64 v[91:94], v89 offset0:27 offset1:28
	s_waitcnt lgkmcnt(1)
	v_fmac_f32_e32 v2, v95, v134
	v_fmac_f32_e32 v2, v96, v135
	s_delay_alu instid0(VALU_DEP_1) | instskip(SKIP_1) | instid1(VALU_DEP_1)
	v_fmac_f32_e32 v2, v97, v136
	s_waitcnt vmcnt(8)
	v_fmac_f32_e32 v2, v98, v137
	ds_load_2addr_b64 v[95:98], v89 offset0:29 offset1:30
	s_waitcnt lgkmcnt(1)
	v_fmac_f32_e32 v2, v99, v91
	s_delay_alu instid0(VALU_DEP_1) | instskip(NEXT) | instid1(VALU_DEP_1)
	v_fmac_f32_e32 v2, v100, v92
	v_fmac_f32_e32 v2, v101, v93
	s_waitcnt vmcnt(7)
	s_delay_alu instid0(VALU_DEP_1) | instskip(SKIP_3) | instid1(VALU_DEP_1)
	v_fmac_f32_e32 v2, v102, v94
	ds_load_2addr_b64 v[91:94], v89 offset0:31 offset1:32
	s_waitcnt lgkmcnt(1)
	v_fmac_f32_e32 v2, v103, v95
	v_fmac_f32_e32 v2, v104, v96
	s_delay_alu instid0(VALU_DEP_1) | instskip(SKIP_1) | instid1(VALU_DEP_1)
	v_fmac_f32_e32 v2, v105, v97
	s_waitcnt vmcnt(6)
	v_fmac_f32_e32 v2, v106, v98
	ds_load_2addr_b64 v[95:98], v89 offset0:33 offset1:34
	s_waitcnt lgkmcnt(1)
	v_fmac_f32_e32 v2, v107, v91
	;; [unrolled: 17-line block ×4, first 2 shown]
	ds_load_b32 v91, v89 offset:344
	v_fmac_f32_e32 v2, v124, v92
	s_delay_alu instid0(VALU_DEP_1) | instskip(SKIP_1) | instid1(VALU_DEP_1)
	v_fmac_f32_e32 v2, v125, v93
	s_waitcnt vmcnt(1)
	v_fmac_f32_e32 v2, v126, v94
	s_waitcnt lgkmcnt(1)
	s_delay_alu instid0(VALU_DEP_1) | instskip(NEXT) | instid1(VALU_DEP_1)
	v_fmac_f32_e32 v2, v127, v95
	v_fmac_f32_e32 v2, v128, v96
	s_delay_alu instid0(VALU_DEP_1) | instskip(SKIP_1) | instid1(VALU_DEP_1)
	v_fmac_f32_e32 v2, v129, v97
	s_waitcnt vmcnt(0)
	v_fmac_f32_e32 v2, v138, v98
	s_waitcnt lgkmcnt(0)
	s_delay_alu instid0(VALU_DEP_1) | instskip(NEXT) | instid1(VALU_DEP_1)
	v_fmac_f32_e32 v2, v139, v91
	v_sub_f32_e32 v2, v90, v2
	scratch_store_b32 off, v2, off offset:4
	v_cmpx_ne_u32_e32 0, v0
	s_cbranch_execz .LBB42_265
; %bb.264:
	scratch_load_b32 v0, off, off
	scratch_store_b32 off, v89, off
	s_waitcnt vmcnt(0)
	ds_store_b32 v1, v0
.LBB42_265:
	s_or_b32 exec_lo, exec_lo, s0
	s_waitcnt lgkmcnt(0)
	s_waitcnt_vscnt null, 0x0
	s_barrier
	buffer_gl0_inv
	s_clause 0xa
	scratch_load_b128 v[90:93], off, off
	scratch_load_b128 v[94:97], off, off offset:16
	scratch_load_b128 v[98:101], off, off offset:32
	;; [unrolled: 1-line block ×9, first 2 shown]
	scratch_load_b96 v[0:2], off, off offset:160
	ds_load_2addr_b32 v[130:131], v89 offset0:45 offset1:46
	ds_load_2addr_b32 v[132:133], v89 offset0:47 offset1:48
	;; [unrolled: 1-line block ×4, first 2 shown]
	s_and_b32 vcc_lo, exec_lo, s16
	s_waitcnt vmcnt(10) lgkmcnt(3)
	v_fma_f32 v130, v91, v130, 0
	s_delay_alu instid0(VALU_DEP_1) | instskip(SKIP_4) | instid1(VALU_DEP_1)
	v_fmac_f32_e32 v130, v92, v131
	ds_load_2addr_b32 v[91:92], v89 offset0:53 offset1:54
	s_waitcnt lgkmcnt(3)
	v_fmac_f32_e32 v130, v93, v132
	s_waitcnt vmcnt(9)
	v_fmac_f32_e32 v130, v94, v133
	ds_load_2addr_b32 v[93:94], v89 offset0:55 offset1:56
	s_waitcnt lgkmcnt(3)
	v_fmac_f32_e32 v130, v95, v134
	s_delay_alu instid0(VALU_DEP_1) | instskip(SKIP_1) | instid1(VALU_DEP_1)
	v_fmac_f32_e32 v130, v96, v135
	s_waitcnt lgkmcnt(2)
	v_fmac_f32_e32 v130, v97, v136
	s_waitcnt vmcnt(8)
	s_delay_alu instid0(VALU_DEP_1) | instskip(SKIP_4) | instid1(VALU_DEP_1)
	v_fmac_f32_e32 v130, v98, v137
	ds_load_2addr_b32 v[95:96], v89 offset0:57 offset1:58
	ds_load_2addr_b32 v[97:98], v89 offset0:59 offset1:60
	s_waitcnt lgkmcnt(3)
	v_fmac_f32_e32 v130, v99, v91
	v_fmac_f32_e32 v130, v100, v92
	ds_load_2addr_b32 v[91:92], v89 offset0:61 offset1:62
	s_waitcnt lgkmcnt(3)
	v_fmac_f32_e32 v130, v101, v93
	s_waitcnt vmcnt(7)
	s_delay_alu instid0(VALU_DEP_1) | instskip(SKIP_3) | instid1(VALU_DEP_1)
	v_fmac_f32_e32 v130, v102, v94
	ds_load_2addr_b32 v[93:94], v89 offset0:63 offset1:64
	s_waitcnt lgkmcnt(3)
	v_fmac_f32_e32 v130, v103, v95
	v_fmac_f32_e32 v130, v104, v96
	s_waitcnt lgkmcnt(2)
	s_delay_alu instid0(VALU_DEP_1) | instskip(SKIP_1) | instid1(VALU_DEP_1)
	v_fmac_f32_e32 v130, v105, v97
	s_waitcnt vmcnt(6)
	v_fmac_f32_e32 v130, v106, v98
	ds_load_2addr_b32 v[95:96], v89 offset0:65 offset1:66
	ds_load_2addr_b32 v[97:98], v89 offset0:67 offset1:68
	s_waitcnt lgkmcnt(3)
	v_fmac_f32_e32 v130, v107, v91
	s_delay_alu instid0(VALU_DEP_1) | instskip(SKIP_4) | instid1(VALU_DEP_1)
	v_fmac_f32_e32 v130, v108, v92
	ds_load_2addr_b32 v[91:92], v89 offset0:69 offset1:70
	s_waitcnt lgkmcnt(3)
	v_fmac_f32_e32 v130, v109, v93
	s_waitcnt vmcnt(5)
	v_fmac_f32_e32 v130, v110, v94
	ds_load_2addr_b32 v[93:94], v89 offset0:71 offset1:72
	s_waitcnt lgkmcnt(3)
	v_fmac_f32_e32 v130, v111, v95
	s_delay_alu instid0(VALU_DEP_1) | instskip(SKIP_1) | instid1(VALU_DEP_1)
	v_fmac_f32_e32 v130, v112, v96
	s_waitcnt lgkmcnt(2)
	v_fmac_f32_e32 v130, v113, v97
	s_waitcnt vmcnt(4)
	s_delay_alu instid0(VALU_DEP_1) | instskip(SKIP_4) | instid1(VALU_DEP_1)
	v_fmac_f32_e32 v130, v114, v98
	ds_load_2addr_b32 v[95:96], v89 offset0:73 offset1:74
	ds_load_2addr_b32 v[97:98], v89 offset0:75 offset1:76
	s_waitcnt lgkmcnt(3)
	v_fmac_f32_e32 v130, v115, v91
	v_fmac_f32_e32 v130, v116, v92
	ds_load_2addr_b32 v[91:92], v89 offset0:77 offset1:78
	s_waitcnt lgkmcnt(3)
	v_fmac_f32_e32 v130, v117, v93
	s_waitcnt vmcnt(3)
	s_delay_alu instid0(VALU_DEP_1) | instskip(SKIP_3) | instid1(VALU_DEP_1)
	v_fmac_f32_e32 v130, v118, v94
	ds_load_2addr_b32 v[93:94], v89 offset0:79 offset1:80
	s_waitcnt lgkmcnt(3)
	v_fmac_f32_e32 v130, v119, v95
	v_fmac_f32_e32 v130, v120, v96
	s_waitcnt lgkmcnt(2)
	s_delay_alu instid0(VALU_DEP_1) | instskip(SKIP_1) | instid1(VALU_DEP_1)
	v_fmac_f32_e32 v130, v121, v97
	s_waitcnt vmcnt(2)
	v_fmac_f32_e32 v130, v122, v98
	ds_load_2addr_b32 v[95:96], v89 offset0:81 offset1:82
	ds_load_2addr_b32 v[97:98], v89 offset0:83 offset1:84
	s_waitcnt lgkmcnt(3)
	v_fmac_f32_e32 v130, v123, v91
	s_delay_alu instid0(VALU_DEP_1) | instskip(SKIP_4) | instid1(VALU_DEP_1)
	v_fmac_f32_e32 v130, v124, v92
	ds_load_2addr_b32 v[91:92], v89 offset0:85 offset1:86
	s_waitcnt lgkmcnt(3)
	v_fmac_f32_e32 v130, v125, v93
	s_waitcnt vmcnt(1)
	v_fmac_f32_e32 v130, v126, v94
	s_waitcnt lgkmcnt(2)
	s_delay_alu instid0(VALU_DEP_1) | instskip(NEXT) | instid1(VALU_DEP_1)
	v_fmac_f32_e32 v130, v127, v95
	v_fmac_f32_e32 v130, v128, v96
	s_waitcnt lgkmcnt(1)
	s_delay_alu instid0(VALU_DEP_1) | instskip(SKIP_1) | instid1(VALU_DEP_1)
	v_fmac_f32_e32 v130, v129, v97
	s_waitcnt vmcnt(0)
	v_fmac_f32_e32 v130, v0, v98
	s_waitcnt lgkmcnt(0)
	s_delay_alu instid0(VALU_DEP_1) | instskip(NEXT) | instid1(VALU_DEP_1)
	v_fmac_f32_e32 v130, v1, v91
	v_fmac_f32_e32 v130, v2, v92
	s_delay_alu instid0(VALU_DEP_1)
	v_sub_f32_e32 v0, v90, v130
	scratch_store_b32 off, v0, off
	s_cbranch_vccz .LBB42_351
; %bb.266:
	v_dual_mov_b32 v90, s13 :: v_dual_mov_b32 v89, s12
	s_mov_b32 s0, exec_lo
	flat_load_b32 v0, v[89:90] offset:164
	s_waitcnt vmcnt(0) lgkmcnt(0)
	v_cmpx_ne_u32_e32 42, v0
	s_cbranch_execz .LBB42_268
; %bb.267:
	v_lshl_add_u32 v0, v0, 2, 0
	scratch_load_b32 v2, v0, off offset:-4
	s_waitcnt vmcnt(0)
	scratch_store_b32 off, v2, off offset:164
	scratch_store_b32 v0, v1, off offset:-4
.LBB42_268:
	s_or_b32 exec_lo, exec_lo, s0
	v_dual_mov_b32 v0, s12 :: v_dual_mov_b32 v1, s13
	s_mov_b32 s0, exec_lo
	flat_load_b32 v0, v[0:1] offset:160
	s_waitcnt vmcnt(0) lgkmcnt(0)
	v_cmpx_ne_u32_e32 41, v0
	s_cbranch_execz .LBB42_270
; %bb.269:
	v_lshl_add_u32 v0, v0, 2, 0
	scratch_load_b32 v1, v0, off offset:-4
	scratch_load_b32 v2, off, off offset:160
	s_waitcnt vmcnt(1)
	scratch_store_b32 off, v1, off offset:160
	s_waitcnt vmcnt(0)
	scratch_store_b32 v0, v2, off offset:-4
.LBB42_270:
	s_or_b32 exec_lo, exec_lo, s0
	v_dual_mov_b32 v0, s12 :: v_dual_mov_b32 v1, s13
	s_mov_b32 s0, exec_lo
	flat_load_b32 v0, v[0:1] offset:156
	s_waitcnt vmcnt(0) lgkmcnt(0)
	v_cmpx_ne_u32_e32 40, v0
	s_cbranch_execz .LBB42_272
; %bb.271:
	v_lshl_add_u32 v0, v0, 2, 0
	scratch_load_b32 v1, v0, off offset:-4
	scratch_load_b32 v2, off, off offset:156
	s_waitcnt vmcnt(1)
	scratch_store_b32 off, v1, off offset:156
	s_waitcnt vmcnt(0)
	scratch_store_b32 v0, v2, off offset:-4
.LBB42_272:
	;; [unrolled: 16-line block ×40, first 2 shown]
	s_or_b32 exec_lo, exec_lo, s0
	v_dual_mov_b32 v0, s12 :: v_dual_mov_b32 v1, s13
	s_mov_b32 s0, exec_lo
	flat_load_b32 v1, v[0:1]
	scratch_load_b32 v0, off, off
	s_waitcnt vmcnt(1) lgkmcnt(0)
	v_cmpx_ne_u32_e32 1, v1
	s_cbranch_execz .LBB42_350
; %bb.349:
	v_lshl_add_u32 v1, v1, 2, 0
	scratch_load_b32 v2, v1, off offset:-4
	s_waitcnt vmcnt(0)
	scratch_store_b32 off, v2, off
	scratch_store_b32 v1, v0, off offset:-4
	scratch_load_b32 v0, off, off
.LBB42_350:
	s_or_b32 exec_lo, exec_lo, s0
.LBB42_351:
	s_clause 0xa
	scratch_load_b128 v[89:92], off, off offset:4
	scratch_load_b128 v[93:96], off, off offset:20
	scratch_load_b128 v[97:100], off, off offset:36
	scratch_load_b128 v[101:104], off, off offset:52
	scratch_load_b128 v[105:108], off, off offset:68
	scratch_load_b128 v[109:112], off, off offset:84
	scratch_load_b128 v[113:116], off, off offset:100
	scratch_load_b128 v[117:120], off, off offset:116
	scratch_load_b128 v[121:124], off, off offset:132
	scratch_load_b128 v[125:128], off, off offset:148
	scratch_load_b64 v[1:2], off, off offset:164
	s_waitcnt vmcnt(11)
	global_store_b32 v[3:4], v0, off
	s_waitcnt vmcnt(10)
	s_clause 0x3
	global_store_b32 v[5:6], v89, off
	global_store_b32 v[7:8], v90, off
	global_store_b32 v[9:10], v91, off
	global_store_b32 v[11:12], v92, off
	s_waitcnt vmcnt(9)
	s_clause 0x3
	global_store_b32 v[13:14], v93, off
	global_store_b32 v[15:16], v94, off
	global_store_b32 v[17:18], v95, off
	global_store_b32 v[19:20], v96, off
	s_waitcnt vmcnt(8)
	s_clause 0x3
	global_store_b32 v[21:22], v97, off
	global_store_b32 v[23:24], v98, off
	global_store_b32 v[25:26], v99, off
	global_store_b32 v[27:28], v100, off
	s_waitcnt vmcnt(7)
	s_clause 0x3
	global_store_b32 v[29:30], v101, off
	global_store_b32 v[31:32], v102, off
	global_store_b32 v[33:34], v103, off
	global_store_b32 v[35:36], v104, off
	s_waitcnt vmcnt(6)
	s_clause 0x3
	global_store_b32 v[37:38], v105, off
	global_store_b32 v[39:40], v106, off
	global_store_b32 v[41:42], v107, off
	global_store_b32 v[43:44], v108, off
	s_waitcnt vmcnt(5)
	s_clause 0x3
	global_store_b32 v[45:46], v109, off
	global_store_b32 v[47:48], v110, off
	global_store_b32 v[51:52], v111, off
	global_store_b32 v[53:54], v112, off
	s_waitcnt vmcnt(4)
	s_clause 0x3
	global_store_b32 v[55:56], v113, off
	global_store_b32 v[57:58], v114, off
	global_store_b32 v[59:60], v115, off
	global_store_b32 v[61:62], v116, off
	s_waitcnt vmcnt(3)
	s_clause 0x3
	global_store_b32 v[63:64], v117, off
	global_store_b32 v[65:66], v118, off
	global_store_b32 v[67:68], v119, off
	global_store_b32 v[69:70], v120, off
	s_waitcnt vmcnt(2)
	s_clause 0x3
	global_store_b32 v[71:72], v121, off
	global_store_b32 v[73:74], v122, off
	global_store_b32 v[75:76], v123, off
	global_store_b32 v[77:78], v124, off
	s_waitcnt vmcnt(1)
	s_clause 0x3
	global_store_b32 v[79:80], v125, off
	global_store_b32 v[81:82], v126, off
	global_store_b32 v[83:84], v127, off
	global_store_b32 v[85:86], v128, off
	s_waitcnt vmcnt(0)
	s_clause 0x1
	global_store_b32 v[87:88], v1, off
	global_store_b32 v[49:50], v2, off
	s_endpgm
	.section	.rodata,"a",@progbits
	.p2align	6, 0x0
	.amdhsa_kernel _ZN9rocsolver6v33100L18getri_kernel_smallILi43EfPfEEvT1_iilPiilS4_bb
		.amdhsa_group_segment_fixed_size 348
		.amdhsa_private_segment_fixed_size 176
		.amdhsa_kernarg_size 60
		.amdhsa_user_sgpr_count 15
		.amdhsa_user_sgpr_dispatch_ptr 0
		.amdhsa_user_sgpr_queue_ptr 0
		.amdhsa_user_sgpr_kernarg_segment_ptr 1
		.amdhsa_user_sgpr_dispatch_id 0
		.amdhsa_user_sgpr_private_segment_size 0
		.amdhsa_wavefront_size32 1
		.amdhsa_uses_dynamic_stack 0
		.amdhsa_enable_private_segment 1
		.amdhsa_system_sgpr_workgroup_id_x 1
		.amdhsa_system_sgpr_workgroup_id_y 0
		.amdhsa_system_sgpr_workgroup_id_z 0
		.amdhsa_system_sgpr_workgroup_info 0
		.amdhsa_system_vgpr_workitem_id 0
		.amdhsa_next_free_vgpr 140
		.amdhsa_next_free_sgpr 18
		.amdhsa_reserve_vcc 1
		.amdhsa_float_round_mode_32 0
		.amdhsa_float_round_mode_16_64 0
		.amdhsa_float_denorm_mode_32 3
		.amdhsa_float_denorm_mode_16_64 3
		.amdhsa_dx10_clamp 1
		.amdhsa_ieee_mode 1
		.amdhsa_fp16_overflow 0
		.amdhsa_workgroup_processor_mode 1
		.amdhsa_memory_ordered 1
		.amdhsa_forward_progress 0
		.amdhsa_shared_vgpr_count 0
		.amdhsa_exception_fp_ieee_invalid_op 0
		.amdhsa_exception_fp_denorm_src 0
		.amdhsa_exception_fp_ieee_div_zero 0
		.amdhsa_exception_fp_ieee_overflow 0
		.amdhsa_exception_fp_ieee_underflow 0
		.amdhsa_exception_fp_ieee_inexact 0
		.amdhsa_exception_int_div_zero 0
	.end_amdhsa_kernel
	.section	.text._ZN9rocsolver6v33100L18getri_kernel_smallILi43EfPfEEvT1_iilPiilS4_bb,"axG",@progbits,_ZN9rocsolver6v33100L18getri_kernel_smallILi43EfPfEEvT1_iilPiilS4_bb,comdat
.Lfunc_end42:
	.size	_ZN9rocsolver6v33100L18getri_kernel_smallILi43EfPfEEvT1_iilPiilS4_bb, .Lfunc_end42-_ZN9rocsolver6v33100L18getri_kernel_smallILi43EfPfEEvT1_iilPiilS4_bb
                                        ; -- End function
	.section	.AMDGPU.csdata,"",@progbits
; Kernel info:
; codeLenInByte = 29840
; NumSgprs: 20
; NumVgprs: 140
; ScratchSize: 176
; MemoryBound: 0
; FloatMode: 240
; IeeeMode: 1
; LDSByteSize: 348 bytes/workgroup (compile time only)
; SGPRBlocks: 2
; VGPRBlocks: 17
; NumSGPRsForWavesPerEU: 20
; NumVGPRsForWavesPerEU: 140
; Occupancy: 10
; WaveLimiterHint : 1
; COMPUTE_PGM_RSRC2:SCRATCH_EN: 1
; COMPUTE_PGM_RSRC2:USER_SGPR: 15
; COMPUTE_PGM_RSRC2:TRAP_HANDLER: 0
; COMPUTE_PGM_RSRC2:TGID_X_EN: 1
; COMPUTE_PGM_RSRC2:TGID_Y_EN: 0
; COMPUTE_PGM_RSRC2:TGID_Z_EN: 0
; COMPUTE_PGM_RSRC2:TIDIG_COMP_CNT: 0
	.section	.text._ZN9rocsolver6v33100L18getri_kernel_smallILi44EfPfEEvT1_iilPiilS4_bb,"axG",@progbits,_ZN9rocsolver6v33100L18getri_kernel_smallILi44EfPfEEvT1_iilPiilS4_bb,comdat
	.globl	_ZN9rocsolver6v33100L18getri_kernel_smallILi44EfPfEEvT1_iilPiilS4_bb ; -- Begin function _ZN9rocsolver6v33100L18getri_kernel_smallILi44EfPfEEvT1_iilPiilS4_bb
	.p2align	8
	.type	_ZN9rocsolver6v33100L18getri_kernel_smallILi44EfPfEEvT1_iilPiilS4_bb,@function
_ZN9rocsolver6v33100L18getri_kernel_smallILi44EfPfEEvT1_iilPiilS4_bb: ; @_ZN9rocsolver6v33100L18getri_kernel_smallILi44EfPfEEvT1_iilPiilS4_bb
; %bb.0:
	s_mov_b32 s2, exec_lo
	v_cmpx_gt_u32_e32 44, v0
	s_cbranch_execz .LBB43_184
; %bb.1:
	s_clause 0x2
	s_load_b32 s17, s[0:1], 0x38
	s_load_b128 s[8:11], s[0:1], 0x10
	s_load_b128 s[4:7], s[0:1], 0x28
	s_mov_b32 s14, s15
                                        ; implicit-def: $sgpr12_sgpr13
	s_waitcnt lgkmcnt(0)
	s_bitcmp1_b32 s17, 8
	s_cselect_b32 s16, -1, 0
	s_bfe_u32 s2, s17, 0x10008
	s_ashr_i32 s15, s15, 31
	s_cmp_eq_u32 s2, 0
	s_cbranch_scc1 .LBB43_3
; %bb.2:
	s_load_b32 s2, s[0:1], 0x20
	s_mul_i32 s3, s14, s5
	s_mul_hi_u32 s5, s14, s4
	s_mul_i32 s12, s15, s4
	s_add_i32 s3, s5, s3
	s_mul_i32 s4, s14, s4
	s_add_i32 s5, s3, s12
	s_delay_alu instid0(SALU_CYCLE_1)
	s_lshl_b64 s[4:5], s[4:5], 2
	s_waitcnt lgkmcnt(0)
	s_ashr_i32 s3, s2, 31
	s_add_u32 s4, s10, s4
	s_addc_u32 s5, s11, s5
	s_lshl_b64 s[2:3], s[2:3], 2
	s_delay_alu instid0(SALU_CYCLE_1)
	s_add_u32 s12, s4, s2
	s_addc_u32 s13, s5, s3
.LBB43_3:
	s_load_b128 s[0:3], s[0:1], 0x0
	s_mul_i32 s4, s14, s9
	s_mul_hi_u32 s5, s14, s8
	s_mul_i32 s9, s15, s8
	s_add_i32 s5, s5, s4
	s_mul_i32 s4, s14, s8
	s_add_i32 s5, s5, s9
	v_lshlrev_b32_e32 v3, 2, v0
	s_lshl_b64 s[4:5], s[4:5], 2
	s_waitcnt lgkmcnt(0)
	v_add3_u32 v1, s3, s3, v0
	s_ashr_i32 s9, s2, 31
	s_mov_b32 s8, s2
	s_add_u32 s2, s0, s4
	s_addc_u32 s4, s1, s5
	v_add_nc_u32_e32 v8, s3, v1
	s_lshl_b64 s[0:1], s[8:9], 2
	v_ashrrev_i32_e32 v2, 31, v1
	s_add_u32 s0, s2, s0
	s_addc_u32 s1, s4, s1
	v_add_nc_u32_e32 v10, s3, v8
	v_add_co_u32 v4, s2, s0, v3
	s_mov_b32 s10, s3
	s_ashr_i32 s11, s3, 31
	s_delay_alu instid0(VALU_DEP_2) | instskip(SKIP_3) | instid1(VALU_DEP_4)
	v_add_nc_u32_e32 v12, s3, v10
	v_add_co_ci_u32_e64 v5, null, s1, 0, s2
	v_lshlrev_b64 v[1:2], 2, v[1:2]
	v_ashrrev_i32_e32 v9, 31, v8
	v_add_nc_u32_e32 v14, s3, v12
	s_lshl_b64 s[4:5], s[10:11], 2
	v_ashrrev_i32_e32 v11, 31, v10
	v_add_co_u32 v6, vcc_lo, v4, s4
	s_delay_alu instid0(VALU_DEP_3) | instskip(SKIP_3) | instid1(VALU_DEP_4)
	v_add_nc_u32_e32 v16, s3, v14
	v_add_co_ci_u32_e32 v7, vcc_lo, s5, v5, vcc_lo
	v_lshlrev_b64 v[41:42], 2, v[8:9]
	v_add_co_u32 v8, vcc_lo, s0, v1
	v_add_nc_u32_e32 v18, s3, v16
	v_add_co_ci_u32_e32 v9, vcc_lo, s1, v2, vcc_lo
	v_lshlrev_b64 v[1:2], 2, v[10:11]
	v_ashrrev_i32_e32 v13, 31, v12
	s_delay_alu instid0(VALU_DEP_4) | instskip(SKIP_3) | instid1(VALU_DEP_4)
	v_add_nc_u32_e32 v20, s3, v18
	v_add_co_u32 v10, vcc_lo, s0, v41
	v_ashrrev_i32_e32 v15, 31, v14
	v_add_co_ci_u32_e32 v11, vcc_lo, s1, v42, vcc_lo
	v_add_nc_u32_e32 v22, s3, v20
	v_lshlrev_b64 v[41:42], 2, v[12:13]
	v_add_co_u32 v12, vcc_lo, s0, v1
	v_add_co_ci_u32_e32 v13, vcc_lo, s1, v2, vcc_lo
	s_delay_alu instid0(VALU_DEP_4) | instskip(SKIP_3) | instid1(VALU_DEP_4)
	v_add_nc_u32_e32 v24, s3, v22
	v_lshlrev_b64 v[1:2], 2, v[14:15]
	v_ashrrev_i32_e32 v17, 31, v16
	v_add_co_u32 v14, vcc_lo, s0, v41
	v_add_nc_u32_e32 v26, s3, v24
	v_ashrrev_i32_e32 v19, 31, v18
	v_add_co_ci_u32_e32 v15, vcc_lo, s1, v42, vcc_lo
	v_lshlrev_b64 v[41:42], 2, v[16:17]
	s_delay_alu instid0(VALU_DEP_4) | instskip(SKIP_2) | instid1(VALU_DEP_3)
	v_add_nc_u32_e32 v28, s3, v26
	v_add_co_u32 v16, vcc_lo, s0, v1
	v_add_co_ci_u32_e32 v17, vcc_lo, s1, v2, vcc_lo
	v_add_nc_u32_e32 v30, s3, v28
	v_lshlrev_b64 v[1:2], 2, v[18:19]
	v_ashrrev_i32_e32 v21, 31, v20
	v_add_co_u32 v18, vcc_lo, s0, v41
	s_delay_alu instid0(VALU_DEP_4) | instskip(SKIP_3) | instid1(VALU_DEP_4)
	v_add_nc_u32_e32 v32, s3, v30
	v_ashrrev_i32_e32 v23, 31, v22
	v_add_co_ci_u32_e32 v19, vcc_lo, s1, v42, vcc_lo
	v_lshlrev_b64 v[41:42], 2, v[20:21]
	v_add_nc_u32_e32 v34, s3, v32
	v_add_co_u32 v20, vcc_lo, s0, v1
	v_add_co_ci_u32_e32 v21, vcc_lo, s1, v2, vcc_lo
	s_delay_alu instid0(VALU_DEP_3) | instskip(SKIP_3) | instid1(VALU_DEP_4)
	v_add_nc_u32_e32 v36, s3, v34
	v_lshlrev_b64 v[1:2], 2, v[22:23]
	v_ashrrev_i32_e32 v25, 31, v24
	v_add_co_u32 v22, vcc_lo, s0, v41
	v_add_nc_u32_e32 v38, s3, v36
	v_ashrrev_i32_e32 v27, 31, v26
	v_add_co_ci_u32_e32 v23, vcc_lo, s1, v42, vcc_lo
	v_lshlrev_b64 v[41:42], 2, v[24:25]
	s_delay_alu instid0(VALU_DEP_4) | instskip(SKIP_2) | instid1(VALU_DEP_3)
	v_add_nc_u32_e32 v40, s3, v38
	v_add_co_u32 v24, vcc_lo, s0, v1
	v_add_co_ci_u32_e32 v25, vcc_lo, s1, v2, vcc_lo
	v_add_nc_u32_e32 v43, s3, v40
	v_lshlrev_b64 v[1:2], 2, v[26:27]
	v_ashrrev_i32_e32 v29, 31, v28
	v_add_co_u32 v26, vcc_lo, s0, v41
	s_delay_alu instid0(VALU_DEP_4) | instskip(SKIP_3) | instid1(VALU_DEP_4)
	v_add_nc_u32_e32 v45, s3, v43
	v_ashrrev_i32_e32 v31, 31, v30
	v_add_co_ci_u32_e32 v27, vcc_lo, s1, v42, vcc_lo
	v_lshlrev_b64 v[41:42], 2, v[28:29]
	v_add_nc_u32_e32 v47, s3, v45
	v_add_co_u32 v28, vcc_lo, s0, v1
	v_add_co_ci_u32_e32 v29, vcc_lo, s1, v2, vcc_lo
	s_delay_alu instid0(VALU_DEP_3) | instskip(SKIP_3) | instid1(VALU_DEP_4)
	;; [unrolled: 25-line block ×3, first 2 shown]
	v_add_nc_u32_e32 v62, s3, v60
	v_lshlrev_b64 v[1:2], 2, v[38:39]
	v_ashrrev_i32_e32 v41, 31, v40
	v_add_co_u32 v38, vcc_lo, s0, v52
	v_add_nc_u32_e32 v64, s3, v62
	v_ashrrev_i32_e32 v44, 31, v43
	v_add_co_ci_u32_e32 v39, vcc_lo, s1, v53, vcc_lo
	v_lshlrev_b64 v[52:53], 2, v[40:41]
	s_delay_alu instid0(VALU_DEP_4) | instskip(SKIP_2) | instid1(VALU_DEP_3)
	v_add_nc_u32_e32 v66, s3, v64
	v_add_co_u32 v40, vcc_lo, s0, v1
	v_add_co_ci_u32_e32 v41, vcc_lo, s1, v2, vcc_lo
	v_add_nc_u32_e32 v68, s3, v66
	v_lshlrev_b64 v[1:2], 2, v[43:44]
	v_ashrrev_i32_e32 v46, 31, v45
	v_add_co_u32 v42, vcc_lo, s0, v52
	s_delay_alu instid0(VALU_DEP_4) | instskip(SKIP_3) | instid1(VALU_DEP_4)
	v_add_nc_u32_e32 v72, s3, v68
	v_ashrrev_i32_e32 v48, 31, v47
	v_add_co_ci_u32_e32 v43, vcc_lo, s1, v53, vcc_lo
	v_lshlrev_b64 v[52:53], 2, v[45:46]
	v_add_nc_u32_e32 v74, s3, v72
	v_add_co_u32 v44, vcc_lo, s0, v1
	v_ashrrev_i32_e32 v50, 31, v49
	v_add_co_ci_u32_e32 v45, vcc_lo, s1, v2, vcc_lo
	s_delay_alu instid0(VALU_DEP_4) | instskip(SKIP_3) | instid1(VALU_DEP_4)
	v_add_nc_u32_e32 v76, s3, v74
	v_lshlrev_b64 v[1:2], 2, v[47:48]
	v_add_co_u32 v46, vcc_lo, s0, v52
	v_lshlrev_b64 v[69:70], 2, v[49:50]
	v_add_nc_u32_e32 v78, s3, v76
	v_ashrrev_i32_e32 v52, 31, v51
	v_add_co_ci_u32_e32 v47, vcc_lo, s1, v53, vcc_lo
	v_add_co_u32 v48, vcc_lo, s0, v1
	s_delay_alu instid0(VALU_DEP_4) | instskip(SKIP_3) | instid1(VALU_DEP_4)
	v_add_nc_u32_e32 v80, s3, v78
	v_add_co_ci_u32_e32 v49, vcc_lo, s1, v2, vcc_lo
	v_lshlrev_b64 v[1:2], 2, v[51:52]
	v_ashrrev_i32_e32 v55, 31, v54
	v_add_nc_u32_e32 v82, s3, v80
	v_add_co_u32 v52, vcc_lo, s0, v69
	v_ashrrev_i32_e32 v57, 31, v56
	v_add_co_ci_u32_e32 v53, vcc_lo, s1, v70, vcc_lo
	s_delay_alu instid0(VALU_DEP_4) | instskip(SKIP_3) | instid1(VALU_DEP_4)
	v_add_nc_u32_e32 v84, s3, v82
	v_lshlrev_b64 v[69:70], 2, v[54:55]
	v_add_co_u32 v54, vcc_lo, s0, v1
	v_add_co_ci_u32_e32 v55, vcc_lo, s1, v2, vcc_lo
	v_add_nc_u32_e32 v86, s3, v84
	v_lshlrev_b64 v[1:2], 2, v[56:57]
	v_ashrrev_i32_e32 v59, 31, v58
	v_ashrrev_i32_e32 v61, 31, v60
	;; [unrolled: 1-line block ×3, first 2 shown]
	v_add_nc_u32_e32 v88, s3, v86
	v_ashrrev_i32_e32 v65, 31, v64
	v_ashrrev_i32_e32 v67, 31, v66
	;; [unrolled: 1-line block ×4, first 2 shown]
	v_add_nc_u32_e32 v90, s3, v88
	v_ashrrev_i32_e32 v77, 31, v76
	v_ashrrev_i32_e32 v79, 31, v78
	;; [unrolled: 1-line block ×3, first 2 shown]
	v_lshlrev_b64 v[74:75], 2, v[74:75]
	v_add_nc_u32_e32 v50, s3, v90
	v_ashrrev_i32_e32 v83, 31, v82
	v_lshlrev_b64 v[78:79], 2, v[78:79]
	v_ashrrev_i32_e32 v85, 31, v84
	v_ashrrev_i32_e32 v87, 31, v86
	v_ashrrev_i32_e32 v51, 31, v50
	v_lshlrev_b64 v[82:83], 2, v[82:83]
	v_ashrrev_i32_e32 v89, 31, v88
	v_ashrrev_i32_e32 v91, 31, v90
	v_lshlrev_b64 v[86:87], 2, v[86:87]
	v_lshlrev_b64 v[50:51], 2, v[50:51]
	s_clause 0x8
	global_load_b32 v92, v3, s[0:1]
	global_load_b32 v93, v[6:7], off
	global_load_b32 v94, v[8:9], off
	;; [unrolled: 1-line block ×8, first 2 shown]
	v_lshlrev_b64 v[90:91], 2, v[90:91]
	s_clause 0xf
	global_load_b32 v101, v[22:23], off
	global_load_b32 v102, v[24:25], off
	;; [unrolled: 1-line block ×16, first 2 shown]
	v_add_co_u32 v50, vcc_lo, s0, v50
	v_add_co_ci_u32_e32 v51, vcc_lo, s1, v51, vcc_lo
	v_add_co_u32 v56, vcc_lo, s0, v69
	v_add_co_ci_u32_e32 v57, vcc_lo, s1, v70, vcc_lo
	v_lshlrev_b64 v[69:70], 2, v[58:59]
	v_add_co_u32 v58, vcc_lo, s0, v1
	v_add_co_ci_u32_e32 v59, vcc_lo, s1, v2, vcc_lo
	v_lshlrev_b64 v[1:2], 2, v[60:61]
	s_delay_alu instid0(VALU_DEP_4) | instskip(SKIP_2) | instid1(VALU_DEP_4)
	v_add_co_u32 v60, vcc_lo, s0, v69
	v_add_co_ci_u32_e32 v61, vcc_lo, s1, v70, vcc_lo
	v_lshlrev_b64 v[69:70], 2, v[62:63]
	v_add_co_u32 v62, vcc_lo, s0, v1
	v_add_co_ci_u32_e32 v63, vcc_lo, s1, v2, vcc_lo
	v_lshlrev_b64 v[1:2], 2, v[64:65]
	s_delay_alu instid0(VALU_DEP_4)
	v_add_co_u32 v64, vcc_lo, s0, v69
	v_ashrrev_i32_e32 v69, 31, v68
	v_add_co_ci_u32_e32 v65, vcc_lo, s1, v70, vcc_lo
	v_lshlrev_b64 v[70:71], 2, v[66:67]
	v_add_co_u32 v66, vcc_lo, s0, v1
	v_add_co_ci_u32_e32 v67, vcc_lo, s1, v2, vcc_lo
	v_lshlrev_b64 v[1:2], 2, v[68:69]
	s_delay_alu instid0(VALU_DEP_4) | instskip(SKIP_2) | instid1(VALU_DEP_3)
	v_add_co_u32 v68, vcc_lo, s0, v70
	v_add_co_ci_u32_e32 v69, vcc_lo, s1, v71, vcc_lo
	s_bitcmp0_b32 s17, 0
	v_add_co_u32 v70, vcc_lo, s0, v1
	s_delay_alu instid0(VALU_DEP_4)
	v_add_co_ci_u32_e32 v71, vcc_lo, s1, v2, vcc_lo
	v_lshlrev_b64 v[1:2], 2, v[72:73]
	s_clause 0x7
	global_load_b32 v117, v[56:57], off
	global_load_b32 v118, v[58:59], off
	;; [unrolled: 1-line block ×8, first 2 shown]
	v_add_co_u32 v72, vcc_lo, s0, v1
	v_add_co_ci_u32_e32 v73, vcc_lo, s1, v2, vcc_lo
	v_lshlrev_b64 v[1:2], 2, v[76:77]
	v_add_co_u32 v74, vcc_lo, s0, v74
	v_add_co_ci_u32_e32 v75, vcc_lo, s1, v75, vcc_lo
	s_delay_alu instid0(VALU_DEP_3) | instskip(NEXT) | instid1(VALU_DEP_4)
	v_add_co_u32 v76, vcc_lo, s0, v1
	v_add_co_ci_u32_e32 v77, vcc_lo, s1, v2, vcc_lo
	v_lshlrev_b64 v[1:2], 2, v[80:81]
	v_add_co_u32 v78, vcc_lo, s0, v78
	v_add_co_ci_u32_e32 v79, vcc_lo, s1, v79, vcc_lo
	s_delay_alu instid0(VALU_DEP_3) | instskip(NEXT) | instid1(VALU_DEP_4)
	v_add_co_u32 v80, vcc_lo, s0, v1
	v_add_co_ci_u32_e32 v81, vcc_lo, s1, v2, vcc_lo
	v_lshlrev_b64 v[1:2], 2, v[84:85]
	v_add_co_u32 v82, vcc_lo, s0, v82
	v_add_co_ci_u32_e32 v83, vcc_lo, s1, v83, vcc_lo
	s_delay_alu instid0(VALU_DEP_3) | instskip(NEXT) | instid1(VALU_DEP_4)
	v_add_co_u32 v84, vcc_lo, s0, v1
	v_add_co_ci_u32_e32 v85, vcc_lo, s1, v2, vcc_lo
	v_lshlrev_b64 v[1:2], 2, v[88:89]
	v_add_co_u32 v86, vcc_lo, s0, v86
	v_add_co_ci_u32_e32 v87, vcc_lo, s1, v87, vcc_lo
	s_delay_alu instid0(VALU_DEP_3) | instskip(NEXT) | instid1(VALU_DEP_4)
	v_add_co_u32 v88, vcc_lo, s0, v1
	v_add_co_ci_u32_e32 v89, vcc_lo, s1, v2, vcc_lo
	v_add_co_u32 v90, vcc_lo, s0, v90
	v_add_co_ci_u32_e32 v91, vcc_lo, s1, v91, vcc_lo
	s_clause 0xa
	global_load_b32 v125, v[72:73], off
	global_load_b32 v126, v[74:75], off
	;; [unrolled: 1-line block ×11, first 2 shown]
	s_mov_b32 s1, -1
	s_waitcnt vmcnt(40)
	scratch_store_b128 off, v[92:95], off
	s_waitcnt vmcnt(36)
	scratch_store_b128 off, v[96:99], off offset:16
	s_waitcnt vmcnt(32)
	scratch_store_b128 off, v[100:103], off offset:32
	;; [unrolled: 2-line block ×10, first 2 shown]
	s_cbranch_scc1 .LBB43_182
; %bb.4:
	v_cmp_eq_u32_e64 s0, 0, v0
	s_delay_alu instid0(VALU_DEP_1)
	s_and_saveexec_b32 s1, s0
	s_cbranch_execz .LBB43_6
; %bb.5:
	v_mov_b32_e32 v1, 0
	ds_store_b32 v1, v1 offset:352
.LBB43_6:
	s_or_b32 exec_lo, exec_lo, s1
	s_waitcnt lgkmcnt(0)
	s_waitcnt_vscnt null, 0x0
	s_barrier
	buffer_gl0_inv
	scratch_load_b32 v1, v3, off
	s_mov_b32 s2, exec_lo
	s_waitcnt vmcnt(0)
	v_cmpx_eq_f32_e32 0, v1
	s_cbranch_execz .LBB43_10
; %bb.7:
	v_mov_b32_e32 v1, 0
	s_mov_b32 s3, 0
	ds_load_b32 v2, v1 offset:352
	s_waitcnt lgkmcnt(0)
	v_readfirstlane_b32 s1, v2
	v_add_nc_u32_e32 v2, 1, v0
	s_delay_alu instid0(VALU_DEP_2) | instskip(NEXT) | instid1(VALU_DEP_1)
	s_cmp_eq_u32 s1, 0
	v_cmp_gt_i32_e32 vcc_lo, s1, v2
	s_cselect_b32 s4, -1, 0
	s_delay_alu instid0(SALU_CYCLE_1) | instskip(NEXT) | instid1(SALU_CYCLE_1)
	s_or_b32 s4, s4, vcc_lo
	s_and_b32 exec_lo, exec_lo, s4
	s_cbranch_execz .LBB43_10
; %bb.8:
	v_mov_b32_e32 v92, s1
.LBB43_9:                               ; =>This Inner Loop Header: Depth=1
	ds_cmpstore_rtn_b32 v92, v1, v2, v92 offset:352
	s_waitcnt lgkmcnt(0)
	v_cmp_ne_u32_e32 vcc_lo, 0, v92
	v_cmp_le_i32_e64 s1, v92, v2
	s_delay_alu instid0(VALU_DEP_1) | instskip(NEXT) | instid1(SALU_CYCLE_1)
	s_and_b32 s1, vcc_lo, s1
	s_and_b32 s1, exec_lo, s1
	s_delay_alu instid0(SALU_CYCLE_1) | instskip(NEXT) | instid1(SALU_CYCLE_1)
	s_or_b32 s3, s1, s3
	s_and_not1_b32 exec_lo, exec_lo, s3
	s_cbranch_execnz .LBB43_9
.LBB43_10:
	s_or_b32 exec_lo, exec_lo, s2
	v_mov_b32_e32 v1, 0
	s_barrier
	buffer_gl0_inv
	ds_load_b32 v2, v1 offset:352
	s_and_saveexec_b32 s1, s0
	s_cbranch_execz .LBB43_12
; %bb.11:
	s_lshl_b64 s[2:3], s[14:15], 2
	s_delay_alu instid0(SALU_CYCLE_1)
	s_add_u32 s2, s6, s2
	s_addc_u32 s3, s7, s3
	s_waitcnt lgkmcnt(0)
	global_store_b32 v1, v2, s[2:3]
.LBB43_12:
	s_or_b32 exec_lo, exec_lo, s1
	s_waitcnt lgkmcnt(0)
	v_cmp_ne_u32_e32 vcc_lo, 0, v2
	s_mov_b32 s1, 0
	s_cbranch_vccnz .LBB43_182
; %bb.13:
	v_add_nc_u32_e32 v1, 0, v3
	scratch_load_b32 v2, v1, off
	s_waitcnt vmcnt(0)
	v_div_scale_f32 v92, null, v2, v2, 1.0
	v_div_scale_f32 v95, vcc_lo, 1.0, v2, 1.0
	s_delay_alu instid0(VALU_DEP_2) | instskip(SKIP_2) | instid1(VALU_DEP_1)
	v_rcp_f32_e32 v93, v92
	s_waitcnt_depctr 0xfff
	v_fma_f32 v94, -v92, v93, 1.0
	v_fmac_f32_e32 v93, v94, v93
	s_delay_alu instid0(VALU_DEP_1) | instskip(NEXT) | instid1(VALU_DEP_1)
	v_mul_f32_e32 v94, v95, v93
	v_fma_f32 v96, -v92, v94, v95
	s_delay_alu instid0(VALU_DEP_1) | instskip(NEXT) | instid1(VALU_DEP_1)
	v_fmac_f32_e32 v94, v96, v93
	v_fma_f32 v92, -v92, v94, v95
	s_delay_alu instid0(VALU_DEP_1) | instskip(NEXT) | instid1(VALU_DEP_1)
	v_div_fmas_f32 v92, v92, v93, v94
	v_div_fixup_f32 v2, v92, v2, 1.0
	scratch_store_b32 v1, v2, off
	scratch_load_b32 v92, off, off offset:4
	v_xor_b32_e32 v93, 0x80000000, v2
	v_add_nc_u32_e32 v2, 0xb0, v3
	s_waitcnt vmcnt(0)
	ds_store_2addr_b32 v3, v93, v92 offset1:44
	s_waitcnt lgkmcnt(0)
	s_waitcnt_vscnt null, 0x0
	s_barrier
	buffer_gl0_inv
	s_and_saveexec_b32 s1, s0
	s_cbranch_execz .LBB43_15
; %bb.14:
	scratch_load_b32 v92, v1, off
	ds_load_b32 v93, v2
	v_mov_b32_e32 v94, 0
	ds_load_b32 v94, v94 offset:4
	s_waitcnt vmcnt(0) lgkmcnt(1)
	v_fma_f32 v92, v92, v93, 0
	s_waitcnt lgkmcnt(0)
	s_delay_alu instid0(VALU_DEP_1)
	v_mul_f32_e32 v92, v92, v94
	scratch_store_b32 off, v92, off offset:4
.LBB43_15:
	s_or_b32 exec_lo, exec_lo, s1
	s_waitcnt_vscnt null, 0x0
	s_barrier
	buffer_gl0_inv
	scratch_load_b32 v92, off, off offset:8
	s_mov_b32 s1, exec_lo
	s_waitcnt vmcnt(0)
	ds_store_b32 v2, v92
	s_waitcnt lgkmcnt(0)
	s_barrier
	buffer_gl0_inv
	v_cmpx_gt_u32_e32 2, v0
	s_cbranch_execz .LBB43_17
; %bb.16:
	scratch_load_b32 v94, v1, off
	scratch_load_b32 v95, off, off offset:4
	ds_load_b32 v96, v2
	v_mov_b32_e32 v92, 0
	ds_load_2addr_b32 v[92:93], v92 offset0:2 offset1:45
	s_waitcnt vmcnt(1) lgkmcnt(1)
	v_fma_f32 v94, v94, v96, 0
	s_waitcnt vmcnt(0) lgkmcnt(0)
	s_delay_alu instid0(VALU_DEP_1) | instskip(NEXT) | instid1(VALU_DEP_1)
	v_fma_f32 v93, v95, v93, v94
	v_cndmask_b32_e64 v93, v94, v93, s0
	s_delay_alu instid0(VALU_DEP_1)
	v_mul_f32_e32 v92, v93, v92
	scratch_store_b32 off, v92, off offset:8
.LBB43_17:
	s_or_b32 exec_lo, exec_lo, s1
	s_waitcnt_vscnt null, 0x0
	s_barrier
	buffer_gl0_inv
	scratch_load_b32 v93, off, off offset:12
	v_add_nc_u32_e32 v92, -1, v0
	s_mov_b32 s0, exec_lo
	s_waitcnt vmcnt(0)
	ds_store_b32 v2, v93
	s_waitcnt lgkmcnt(0)
	s_barrier
	buffer_gl0_inv
	v_cmpx_gt_u32_e32 3, v0
	s_cbranch_execz .LBB43_21
; %bb.18:
	v_dual_mov_b32 v93, 0 :: v_dual_add_nc_u32 v94, -1, v0
	v_add_nc_u32_e32 v95, 0xb0, v3
	v_add_nc_u32_e32 v96, 0, v3
	s_mov_b32 s1, 0
.LBB43_19:                              ; =>This Inner Loop Header: Depth=1
	scratch_load_b32 v97, v96, off
	ds_load_b32 v98, v95
	v_add_nc_u32_e32 v94, 1, v94
	v_add_nc_u32_e32 v95, 4, v95
	v_add_nc_u32_e32 v96, 4, v96
	s_delay_alu instid0(VALU_DEP_3)
	v_cmp_lt_u32_e32 vcc_lo, 1, v94
	s_or_b32 s1, vcc_lo, s1
	s_waitcnt vmcnt(0) lgkmcnt(0)
	v_fmac_f32_e32 v93, v97, v98
	s_and_not1_b32 exec_lo, exec_lo, s1
	s_cbranch_execnz .LBB43_19
; %bb.20:
	s_or_b32 exec_lo, exec_lo, s1
	v_mov_b32_e32 v94, 0
	ds_load_b32 v94, v94 offset:12
	s_waitcnt lgkmcnt(0)
	v_mul_f32_e32 v93, v93, v94
	scratch_store_b32 off, v93, off offset:12
.LBB43_21:
	s_or_b32 exec_lo, exec_lo, s0
	s_waitcnt_vscnt null, 0x0
	s_barrier
	buffer_gl0_inv
	scratch_load_b32 v93, off, off offset:16
	s_mov_b32 s0, exec_lo
	s_waitcnt vmcnt(0)
	ds_store_b32 v2, v93
	s_waitcnt lgkmcnt(0)
	s_barrier
	buffer_gl0_inv
	v_cmpx_gt_u32_e32 4, v0
	s_cbranch_execz .LBB43_25
; %bb.22:
	v_dual_mov_b32 v93, 0 :: v_dual_add_nc_u32 v94, -1, v0
	v_add_nc_u32_e32 v95, 0xb0, v3
	v_add_nc_u32_e32 v96, 0, v3
	s_mov_b32 s1, 0
.LBB43_23:                              ; =>This Inner Loop Header: Depth=1
	scratch_load_b32 v97, v96, off
	ds_load_b32 v98, v95
	v_add_nc_u32_e32 v94, 1, v94
	v_add_nc_u32_e32 v95, 4, v95
	v_add_nc_u32_e32 v96, 4, v96
	s_delay_alu instid0(VALU_DEP_3)
	v_cmp_lt_u32_e32 vcc_lo, 2, v94
	s_or_b32 s1, vcc_lo, s1
	s_waitcnt vmcnt(0) lgkmcnt(0)
	v_fmac_f32_e32 v93, v97, v98
	s_and_not1_b32 exec_lo, exec_lo, s1
	s_cbranch_execnz .LBB43_23
; %bb.24:
	s_or_b32 exec_lo, exec_lo, s1
	v_mov_b32_e32 v94, 0
	ds_load_b32 v94, v94 offset:16
	s_waitcnt lgkmcnt(0)
	v_mul_f32_e32 v93, v93, v94
	scratch_store_b32 off, v93, off offset:16
.LBB43_25:
	s_or_b32 exec_lo, exec_lo, s0
	s_waitcnt_vscnt null, 0x0
	s_barrier
	buffer_gl0_inv
	scratch_load_b32 v93, off, off offset:20
	;; [unrolled: 39-line block ×21, first 2 shown]
	s_mov_b32 s0, exec_lo
	s_waitcnt vmcnt(0)
	ds_store_b32 v2, v93
	s_waitcnt lgkmcnt(0)
	s_barrier
	buffer_gl0_inv
	v_cmpx_gt_u32_e32 24, v0
	s_cbranch_execz .LBB43_105
; %bb.102:
	v_dual_mov_b32 v93, 0 :: v_dual_add_nc_u32 v94, -1, v0
	v_add_nc_u32_e32 v95, 0xb0, v3
	v_add_nc_u32_e32 v96, 0, v3
	s_mov_b32 s1, 0
.LBB43_103:                             ; =>This Inner Loop Header: Depth=1
	scratch_load_b32 v97, v96, off
	ds_load_b32 v98, v95
	v_add_nc_u32_e32 v94, 1, v94
	v_add_nc_u32_e32 v95, 4, v95
	v_add_nc_u32_e32 v96, 4, v96
	s_delay_alu instid0(VALU_DEP_3)
	v_cmp_lt_u32_e32 vcc_lo, 22, v94
	s_or_b32 s1, vcc_lo, s1
	s_waitcnt vmcnt(0) lgkmcnt(0)
	v_fmac_f32_e32 v93, v97, v98
	s_and_not1_b32 exec_lo, exec_lo, s1
	s_cbranch_execnz .LBB43_103
; %bb.104:
	s_or_b32 exec_lo, exec_lo, s1
	v_mov_b32_e32 v94, 0
	ds_load_b32 v94, v94 offset:96
	s_waitcnt lgkmcnt(0)
	v_mul_f32_e32 v93, v93, v94
	scratch_store_b32 off, v93, off offset:96
.LBB43_105:
	s_or_b32 exec_lo, exec_lo, s0
	s_waitcnt_vscnt null, 0x0
	s_barrier
	buffer_gl0_inv
	scratch_load_b32 v93, off, off offset:100
	s_mov_b32 s0, exec_lo
	s_waitcnt vmcnt(0)
	ds_store_b32 v2, v93
	s_waitcnt lgkmcnt(0)
	s_barrier
	buffer_gl0_inv
	v_cmpx_gt_u32_e32 25, v0
	s_cbranch_execz .LBB43_109
; %bb.106:
	v_dual_mov_b32 v93, 0 :: v_dual_add_nc_u32 v94, -1, v0
	v_add_nc_u32_e32 v95, 0xb0, v3
	v_add_nc_u32_e32 v96, 0, v3
	s_mov_b32 s1, 0
.LBB43_107:                             ; =>This Inner Loop Header: Depth=1
	scratch_load_b32 v97, v96, off
	ds_load_b32 v98, v95
	v_add_nc_u32_e32 v94, 1, v94
	v_add_nc_u32_e32 v95, 4, v95
	v_add_nc_u32_e32 v96, 4, v96
	s_delay_alu instid0(VALU_DEP_3)
	v_cmp_lt_u32_e32 vcc_lo, 23, v94
	s_or_b32 s1, vcc_lo, s1
	s_waitcnt vmcnt(0) lgkmcnt(0)
	v_fmac_f32_e32 v93, v97, v98
	s_and_not1_b32 exec_lo, exec_lo, s1
	s_cbranch_execnz .LBB43_107
; %bb.108:
	s_or_b32 exec_lo, exec_lo, s1
	v_mov_b32_e32 v94, 0
	ds_load_b32 v94, v94 offset:100
	s_waitcnt lgkmcnt(0)
	v_mul_f32_e32 v93, v93, v94
	scratch_store_b32 off, v93, off offset:100
.LBB43_109:
	s_or_b32 exec_lo, exec_lo, s0
	s_waitcnt_vscnt null, 0x0
	s_barrier
	buffer_gl0_inv
	scratch_load_b32 v93, off, off offset:104
	;; [unrolled: 39-line block ×18, first 2 shown]
	s_mov_b32 s0, exec_lo
	s_waitcnt vmcnt(0)
	ds_store_b32 v2, v93
	s_waitcnt lgkmcnt(0)
	s_barrier
	buffer_gl0_inv
	v_cmpx_gt_u32_e32 42, v0
	s_cbranch_execz .LBB43_177
; %bb.174:
	v_add_nc_u32_e32 v93, -1, v0
	v_add_nc_u32_e32 v94, 0xb0, v3
	v_add_nc_u32_e32 v95, 0, v3
	v_mov_b32_e32 v3, 0
	s_mov_b32 s1, 0
.LBB43_175:                             ; =>This Inner Loop Header: Depth=1
	scratch_load_b32 v96, v95, off
	ds_load_b32 v97, v94
	v_add_nc_u32_e32 v93, 1, v93
	v_add_nc_u32_e32 v94, 4, v94
	;; [unrolled: 1-line block ×3, first 2 shown]
	s_delay_alu instid0(VALU_DEP_3)
	v_cmp_lt_u32_e32 vcc_lo, 40, v93
	s_or_b32 s1, vcc_lo, s1
	s_waitcnt vmcnt(0) lgkmcnt(0)
	v_fmac_f32_e32 v3, v96, v97
	s_and_not1_b32 exec_lo, exec_lo, s1
	s_cbranch_execnz .LBB43_175
; %bb.176:
	s_or_b32 exec_lo, exec_lo, s1
	v_mov_b32_e32 v93, 0
	ds_load_b32 v93, v93 offset:168
	s_waitcnt lgkmcnt(0)
	v_mul_f32_e32 v3, v3, v93
	scratch_store_b32 off, v3, off offset:168
.LBB43_177:
	s_or_b32 exec_lo, exec_lo, s0
	s_waitcnt_vscnt null, 0x0
	s_barrier
	buffer_gl0_inv
	scratch_load_b32 v3, off, off offset:172
	s_mov_b32 s0, exec_lo
	s_waitcnt vmcnt(0)
	ds_store_b32 v2, v3
	s_waitcnt lgkmcnt(0)
	s_barrier
	buffer_gl0_inv
	v_cmpx_ne_u32_e32 43, v0
	s_cbranch_execz .LBB43_181
; %bb.178:
	v_mov_b32_e32 v3, 0
	s_mov_b32 s1, 0
.LBB43_179:                             ; =>This Inner Loop Header: Depth=1
	scratch_load_b32 v93, v1, off
	ds_load_b32 v94, v2
	v_add_nc_u32_e32 v92, 1, v92
	v_add_nc_u32_e32 v2, 4, v2
	;; [unrolled: 1-line block ×3, first 2 shown]
	s_waitcnt vmcnt(0) lgkmcnt(0)
	v_fmac_f32_e32 v3, v93, v94
	v_cmp_lt_u32_e32 vcc_lo, 41, v92
	s_or_b32 s1, vcc_lo, s1
	s_delay_alu instid0(SALU_CYCLE_1)
	s_and_not1_b32 exec_lo, exec_lo, s1
	s_cbranch_execnz .LBB43_179
; %bb.180:
	s_or_b32 exec_lo, exec_lo, s1
	v_mov_b32_e32 v1, 0
	ds_load_b32 v1, v1 offset:172
	s_waitcnt lgkmcnt(0)
	v_mul_f32_e32 v1, v3, v1
	scratch_store_b32 off, v1, off offset:172
.LBB43_181:
	s_or_b32 exec_lo, exec_lo, s0
	s_mov_b32 s1, -1
	s_waitcnt_vscnt null, 0x0
	s_barrier
	buffer_gl0_inv
.LBB43_182:
	s_and_b32 vcc_lo, exec_lo, s1
	s_cbranch_vccz .LBB43_184
; %bb.183:
	s_lshl_b64 s[0:1], s[14:15], 2
	v_mov_b32_e32 v1, 0
	s_add_u32 s0, s6, s0
	s_addc_u32 s1, s7, s1
	global_load_b32 v1, v1, s[0:1]
	s_waitcnt vmcnt(0)
	v_cmp_ne_u32_e32 vcc_lo, 0, v1
	s_cbranch_vccz .LBB43_185
.LBB43_184:
	s_endpgm
.LBB43_185:
	v_lshl_add_u32 v1, v0, 2, 0xb0
	s_mov_b32 s0, exec_lo
	v_cmpx_eq_u32_e32 43, v0
	s_cbranch_execz .LBB43_187
; %bb.186:
	scratch_load_b32 v2, off, off offset:168
	v_mov_b32_e32 v3, 0
	scratch_store_b32 off, v3, off offset:168
	s_waitcnt vmcnt(0)
	ds_store_b32 v1, v2
.LBB43_187:
	s_or_b32 exec_lo, exec_lo, s0
	s_waitcnt lgkmcnt(0)
	s_waitcnt_vscnt null, 0x0
	s_barrier
	buffer_gl0_inv
	scratch_load_b64 v[92:93], off, off offset:168
	v_mov_b32_e32 v2, 0
	s_mov_b32 s0, exec_lo
	ds_load_b32 v3, v2 offset:348
	s_waitcnt vmcnt(0) lgkmcnt(0)
	v_fma_f32 v3, v93, v3, 0
	s_delay_alu instid0(VALU_DEP_1)
	v_sub_f32_e32 v3, v92, v3
	scratch_store_b32 off, v3, off offset:168
	v_cmpx_lt_u32_e32 41, v0
	s_cbranch_execz .LBB43_189
; %bb.188:
	scratch_load_b32 v3, off, off offset:164
	scratch_store_b32 off, v2, off offset:164
	s_waitcnt vmcnt(0)
	ds_store_b32 v1, v3
.LBB43_189:
	s_or_b32 exec_lo, exec_lo, s0
	s_waitcnt lgkmcnt(0)
	s_waitcnt_vscnt null, 0x0
	s_barrier
	buffer_gl0_inv
	scratch_load_b96 v[92:94], off, off offset:164
	ds_load_b64 v[2:3], v2 offset:344
	s_mov_b32 s0, exec_lo
	s_waitcnt vmcnt(0) lgkmcnt(0)
	v_fma_f32 v2, v93, v2, 0
	s_delay_alu instid0(VALU_DEP_1) | instskip(NEXT) | instid1(VALU_DEP_1)
	v_fmac_f32_e32 v2, v94, v3
	v_sub_f32_e32 v2, v92, v2
	scratch_store_b32 off, v2, off offset:164
	v_cmpx_lt_u32_e32 40, v0
	s_cbranch_execz .LBB43_191
; %bb.190:
	scratch_load_b32 v2, off, off offset:160
	v_mov_b32_e32 v3, 0
	scratch_store_b32 off, v3, off offset:160
	s_waitcnt vmcnt(0)
	ds_store_b32 v1, v2
.LBB43_191:
	s_or_b32 exec_lo, exec_lo, s0
	s_waitcnt lgkmcnt(0)
	s_waitcnt_vscnt null, 0x0
	s_barrier
	buffer_gl0_inv
	scratch_load_b128 v[92:95], off, off offset:160
	v_mov_b32_e32 v2, 0
	ds_load_2addr_b32 v[96:97], v2 offset0:85 offset1:86
	ds_load_b32 v3, v2 offset:348
	s_mov_b32 s0, exec_lo
	s_waitcnt vmcnt(0) lgkmcnt(1)
	v_fma_f32 v93, v93, v96, 0
	s_delay_alu instid0(VALU_DEP_1) | instskip(SKIP_1) | instid1(VALU_DEP_1)
	v_fmac_f32_e32 v93, v94, v97
	s_waitcnt lgkmcnt(0)
	v_fmac_f32_e32 v93, v95, v3
	s_delay_alu instid0(VALU_DEP_1)
	v_sub_f32_e32 v3, v92, v93
	scratch_store_b32 off, v3, off offset:160
	v_cmpx_lt_u32_e32 39, v0
	s_cbranch_execz .LBB43_193
; %bb.192:
	scratch_load_b32 v3, off, off offset:156
	scratch_store_b32 off, v2, off offset:156
	s_waitcnt vmcnt(0)
	ds_store_b32 v1, v3
.LBB43_193:
	s_or_b32 exec_lo, exec_lo, s0
	s_waitcnt lgkmcnt(0)
	s_waitcnt_vscnt null, 0x0
	s_barrier
	buffer_gl0_inv
	s_clause 0x1
	scratch_load_b128 v[92:95], off, off offset:156
	scratch_load_b32 v3, off, off offset:172
	ds_load_b128 v[96:99], v2 offset:336
	s_mov_b32 s0, exec_lo
	s_waitcnt vmcnt(1) lgkmcnt(0)
	v_fma_f32 v2, v93, v96, 0
	s_delay_alu instid0(VALU_DEP_1) | instskip(NEXT) | instid1(VALU_DEP_1)
	v_fmac_f32_e32 v2, v94, v97
	v_fmac_f32_e32 v2, v95, v98
	s_waitcnt vmcnt(0)
	s_delay_alu instid0(VALU_DEP_1) | instskip(NEXT) | instid1(VALU_DEP_1)
	v_fmac_f32_e32 v2, v3, v99
	v_sub_f32_e32 v2, v92, v2
	scratch_store_b32 off, v2, off offset:156
	v_cmpx_lt_u32_e32 38, v0
	s_cbranch_execz .LBB43_195
; %bb.194:
	scratch_load_b32 v2, off, off offset:152
	v_mov_b32_e32 v3, 0
	scratch_store_b32 off, v3, off offset:152
	s_waitcnt vmcnt(0)
	ds_store_b32 v1, v2
.LBB43_195:
	s_or_b32 exec_lo, exec_lo, s0
	s_waitcnt lgkmcnt(0)
	s_waitcnt_vscnt null, 0x0
	s_barrier
	buffer_gl0_inv
	s_clause 0x1
	scratch_load_b128 v[92:95], off, off offset:152
	scratch_load_b64 v[96:97], off, off offset:168
	v_mov_b32_e32 v2, 0
	ds_load_2addr_b32 v[98:99], v2 offset0:83 offset1:84
	ds_load_2addr_b32 v[100:101], v2 offset0:85 offset1:86
	ds_load_b32 v3, v2 offset:348
	s_mov_b32 s0, exec_lo
	s_waitcnt vmcnt(1) lgkmcnt(2)
	v_fma_f32 v93, v93, v98, 0
	s_delay_alu instid0(VALU_DEP_1) | instskip(SKIP_1) | instid1(VALU_DEP_1)
	v_fmac_f32_e32 v93, v94, v99
	s_waitcnt lgkmcnt(1)
	v_fmac_f32_e32 v93, v95, v100
	s_waitcnt vmcnt(0)
	s_delay_alu instid0(VALU_DEP_1) | instskip(SKIP_1) | instid1(VALU_DEP_1)
	v_fmac_f32_e32 v93, v96, v101
	s_waitcnt lgkmcnt(0)
	v_fmac_f32_e32 v93, v97, v3
	s_delay_alu instid0(VALU_DEP_1)
	v_sub_f32_e32 v3, v92, v93
	scratch_store_b32 off, v3, off offset:152
	v_cmpx_lt_u32_e32 37, v0
	s_cbranch_execz .LBB43_197
; %bb.196:
	scratch_load_b32 v3, off, off offset:148
	scratch_store_b32 off, v2, off offset:148
	s_waitcnt vmcnt(0)
	ds_store_b32 v1, v3
.LBB43_197:
	s_or_b32 exec_lo, exec_lo, s0
	s_waitcnt lgkmcnt(0)
	s_waitcnt_vscnt null, 0x0
	s_barrier
	buffer_gl0_inv
	s_clause 0x1
	scratch_load_b128 v[92:95], off, off offset:148
	scratch_load_b96 v[100:102], off, off offset:164
	ds_load_2addr_b64 v[96:99], v2 offset0:41 offset1:42
	ds_load_b64 v[2:3], v2 offset:344
	s_mov_b32 s0, exec_lo
	s_waitcnt vmcnt(1) lgkmcnt(1)
	v_fma_f32 v93, v93, v96, 0
	s_delay_alu instid0(VALU_DEP_1) | instskip(NEXT) | instid1(VALU_DEP_1)
	v_fmac_f32_e32 v93, v94, v97
	v_fmac_f32_e32 v93, v95, v98
	s_waitcnt vmcnt(0)
	s_delay_alu instid0(VALU_DEP_1) | instskip(SKIP_1) | instid1(VALU_DEP_1)
	v_fmac_f32_e32 v93, v100, v99
	s_waitcnt lgkmcnt(0)
	v_fmac_f32_e32 v93, v101, v2
	s_delay_alu instid0(VALU_DEP_1) | instskip(NEXT) | instid1(VALU_DEP_1)
	v_fmac_f32_e32 v93, v102, v3
	v_sub_f32_e32 v2, v92, v93
	scratch_store_b32 off, v2, off offset:148
	v_cmpx_lt_u32_e32 36, v0
	s_cbranch_execz .LBB43_199
; %bb.198:
	scratch_load_b32 v2, off, off offset:144
	v_mov_b32_e32 v3, 0
	scratch_store_b32 off, v3, off offset:144
	s_waitcnt vmcnt(0)
	ds_store_b32 v1, v2
.LBB43_199:
	s_or_b32 exec_lo, exec_lo, s0
	s_waitcnt lgkmcnt(0)
	s_waitcnt_vscnt null, 0x0
	s_barrier
	buffer_gl0_inv
	s_clause 0x1
	scratch_load_b128 v[92:95], off, off offset:144
	scratch_load_b128 v[96:99], off, off offset:160
	v_mov_b32_e32 v2, 0
	ds_load_2addr_b32 v[100:101], v2 offset0:81 offset1:82
	ds_load_2addr_b32 v[102:103], v2 offset0:83 offset1:84
	;; [unrolled: 1-line block ×3, first 2 shown]
	ds_load_b32 v3, v2 offset:348
	s_mov_b32 s0, exec_lo
	s_waitcnt vmcnt(1) lgkmcnt(3)
	v_fma_f32 v93, v93, v100, 0
	s_delay_alu instid0(VALU_DEP_1) | instskip(SKIP_1) | instid1(VALU_DEP_1)
	v_fmac_f32_e32 v93, v94, v101
	s_waitcnt lgkmcnt(2)
	v_fmac_f32_e32 v93, v95, v102
	s_waitcnt vmcnt(0)
	s_delay_alu instid0(VALU_DEP_1) | instskip(SKIP_1) | instid1(VALU_DEP_1)
	v_fmac_f32_e32 v93, v96, v103
	s_waitcnt lgkmcnt(1)
	v_fmac_f32_e32 v93, v97, v104
	s_delay_alu instid0(VALU_DEP_1) | instskip(SKIP_1) | instid1(VALU_DEP_1)
	v_fmac_f32_e32 v93, v98, v105
	s_waitcnt lgkmcnt(0)
	v_fmac_f32_e32 v93, v99, v3
	s_delay_alu instid0(VALU_DEP_1)
	v_sub_f32_e32 v3, v92, v93
	scratch_store_b32 off, v3, off offset:144
	v_cmpx_lt_u32_e32 35, v0
	s_cbranch_execz .LBB43_201
; %bb.200:
	scratch_load_b32 v3, off, off offset:140
	scratch_store_b32 off, v2, off offset:140
	s_waitcnt vmcnt(0)
	ds_store_b32 v1, v3
.LBB43_201:
	s_or_b32 exec_lo, exec_lo, s0
	s_waitcnt lgkmcnt(0)
	s_waitcnt_vscnt null, 0x0
	s_barrier
	buffer_gl0_inv
	s_clause 0x2
	scratch_load_b128 v[92:95], off, off offset:140
	scratch_load_b128 v[96:99], off, off offset:156
	scratch_load_b32 v3, off, off offset:172
	ds_load_b128 v[100:103], v2 offset:320
	ds_load_b128 v[104:107], v2 offset:336
	s_mov_b32 s0, exec_lo
	s_waitcnt vmcnt(2) lgkmcnt(1)
	v_fma_f32 v2, v93, v100, 0
	s_delay_alu instid0(VALU_DEP_1) | instskip(NEXT) | instid1(VALU_DEP_1)
	v_fmac_f32_e32 v2, v94, v101
	v_fmac_f32_e32 v2, v95, v102
	s_waitcnt vmcnt(1)
	s_delay_alu instid0(VALU_DEP_1) | instskip(SKIP_1) | instid1(VALU_DEP_1)
	v_fmac_f32_e32 v2, v96, v103
	s_waitcnt lgkmcnt(0)
	v_fmac_f32_e32 v2, v97, v104
	s_delay_alu instid0(VALU_DEP_1) | instskip(NEXT) | instid1(VALU_DEP_1)
	v_fmac_f32_e32 v2, v98, v105
	v_fmac_f32_e32 v2, v99, v106
	s_waitcnt vmcnt(0)
	s_delay_alu instid0(VALU_DEP_1) | instskip(NEXT) | instid1(VALU_DEP_1)
	v_fmac_f32_e32 v2, v3, v107
	v_sub_f32_e32 v2, v92, v2
	scratch_store_b32 off, v2, off offset:140
	v_cmpx_lt_u32_e32 34, v0
	s_cbranch_execz .LBB43_203
; %bb.202:
	scratch_load_b32 v2, off, off offset:136
	v_mov_b32_e32 v3, 0
	scratch_store_b32 off, v3, off offset:136
	s_waitcnt vmcnt(0)
	ds_store_b32 v1, v2
.LBB43_203:
	s_or_b32 exec_lo, exec_lo, s0
	s_waitcnt lgkmcnt(0)
	s_waitcnt_vscnt null, 0x0
	s_barrier
	buffer_gl0_inv
	s_clause 0x2
	scratch_load_b128 v[92:95], off, off offset:136
	scratch_load_b128 v[96:99], off, off offset:152
	scratch_load_b64 v[100:101], off, off offset:168
	v_mov_b32_e32 v2, 0
	ds_load_2addr_b32 v[102:103], v2 offset0:79 offset1:80
	ds_load_2addr_b32 v[104:105], v2 offset0:81 offset1:82
	ds_load_2addr_b32 v[106:107], v2 offset0:83 offset1:84
	ds_load_2addr_b32 v[108:109], v2 offset0:85 offset1:86
	s_mov_b32 s0, exec_lo
	s_waitcnt vmcnt(2) lgkmcnt(3)
	v_fma_f32 v3, v93, v102, 0
	s_delay_alu instid0(VALU_DEP_1) | instskip(SKIP_4) | instid1(VALU_DEP_1)
	v_fmac_f32_e32 v3, v94, v103
	ds_load_b32 v93, v2 offset:348
	s_waitcnt lgkmcnt(3)
	v_fmac_f32_e32 v3, v95, v104
	s_waitcnt vmcnt(1)
	v_fmac_f32_e32 v3, v96, v105
	s_waitcnt lgkmcnt(2)
	s_delay_alu instid0(VALU_DEP_1) | instskip(NEXT) | instid1(VALU_DEP_1)
	v_fmac_f32_e32 v3, v97, v106
	v_fmac_f32_e32 v3, v98, v107
	s_waitcnt lgkmcnt(1)
	s_delay_alu instid0(VALU_DEP_1) | instskip(SKIP_1) | instid1(VALU_DEP_1)
	v_fmac_f32_e32 v3, v99, v108
	s_waitcnt vmcnt(0)
	v_fmac_f32_e32 v3, v100, v109
	s_waitcnt lgkmcnt(0)
	s_delay_alu instid0(VALU_DEP_1) | instskip(NEXT) | instid1(VALU_DEP_1)
	v_fmac_f32_e32 v3, v101, v93
	v_sub_f32_e32 v3, v92, v3
	scratch_store_b32 off, v3, off offset:136
	v_cmpx_lt_u32_e32 33, v0
	s_cbranch_execz .LBB43_205
; %bb.204:
	scratch_load_b32 v3, off, off offset:132
	scratch_store_b32 off, v2, off offset:132
	s_waitcnt vmcnt(0)
	ds_store_b32 v1, v3
.LBB43_205:
	s_or_b32 exec_lo, exec_lo, s0
	s_waitcnt lgkmcnt(0)
	s_waitcnt_vscnt null, 0x0
	s_barrier
	buffer_gl0_inv
	s_clause 0x2
	scratch_load_b128 v[92:95], off, off offset:132
	scratch_load_b128 v[96:99], off, off offset:148
	scratch_load_b96 v[108:110], off, off offset:164
	ds_load_2addr_b64 v[100:103], v2 offset0:39 offset1:40
	ds_load_2addr_b64 v[104:107], v2 offset0:41 offset1:42
	ds_load_b64 v[2:3], v2 offset:344
	s_mov_b32 s0, exec_lo
	s_waitcnt vmcnt(2) lgkmcnt(2)
	v_fma_f32 v93, v93, v100, 0
	s_delay_alu instid0(VALU_DEP_1) | instskip(NEXT) | instid1(VALU_DEP_1)
	v_fmac_f32_e32 v93, v94, v101
	v_fmac_f32_e32 v93, v95, v102
	s_waitcnt vmcnt(1)
	s_delay_alu instid0(VALU_DEP_1) | instskip(SKIP_1) | instid1(VALU_DEP_1)
	v_fmac_f32_e32 v93, v96, v103
	s_waitcnt lgkmcnt(1)
	v_fmac_f32_e32 v93, v97, v104
	s_delay_alu instid0(VALU_DEP_1) | instskip(NEXT) | instid1(VALU_DEP_1)
	v_fmac_f32_e32 v93, v98, v105
	v_fmac_f32_e32 v93, v99, v106
	s_waitcnt vmcnt(0)
	s_delay_alu instid0(VALU_DEP_1) | instskip(SKIP_1) | instid1(VALU_DEP_1)
	v_fmac_f32_e32 v93, v108, v107
	s_waitcnt lgkmcnt(0)
	v_fmac_f32_e32 v93, v109, v2
	s_delay_alu instid0(VALU_DEP_1) | instskip(NEXT) | instid1(VALU_DEP_1)
	v_fmac_f32_e32 v93, v110, v3
	v_sub_f32_e32 v2, v92, v93
	scratch_store_b32 off, v2, off offset:132
	v_cmpx_lt_u32_e32 32, v0
	s_cbranch_execz .LBB43_207
; %bb.206:
	scratch_load_b32 v2, off, off offset:128
	v_mov_b32_e32 v3, 0
	scratch_store_b32 off, v3, off offset:128
	s_waitcnt vmcnt(0)
	ds_store_b32 v1, v2
.LBB43_207:
	s_or_b32 exec_lo, exec_lo, s0
	s_waitcnt lgkmcnt(0)
	s_waitcnt_vscnt null, 0x0
	s_barrier
	buffer_gl0_inv
	s_clause 0x2
	scratch_load_b128 v[92:95], off, off offset:128
	scratch_load_b128 v[96:99], off, off offset:144
	;; [unrolled: 1-line block ×3, first 2 shown]
	v_mov_b32_e32 v2, 0
	ds_load_2addr_b32 v[104:105], v2 offset0:77 offset1:78
	ds_load_2addr_b32 v[106:107], v2 offset0:79 offset1:80
	;; [unrolled: 1-line block ×4, first 2 shown]
	s_mov_b32 s0, exec_lo
	s_waitcnt vmcnt(2) lgkmcnt(3)
	v_fma_f32 v3, v93, v104, 0
	s_delay_alu instid0(VALU_DEP_1)
	v_fmac_f32_e32 v3, v94, v105
	ds_load_2addr_b32 v[93:94], v2 offset0:85 offset1:86
	s_waitcnt lgkmcnt(3)
	v_fmac_f32_e32 v3, v95, v106
	ds_load_b32 v95, v2 offset:348
	s_waitcnt vmcnt(1)
	v_fmac_f32_e32 v3, v96, v107
	s_waitcnt lgkmcnt(3)
	s_delay_alu instid0(VALU_DEP_1) | instskip(NEXT) | instid1(VALU_DEP_1)
	v_fmac_f32_e32 v3, v97, v108
	v_fmac_f32_e32 v3, v98, v109
	s_waitcnt lgkmcnt(2)
	s_delay_alu instid0(VALU_DEP_1) | instskip(SKIP_1) | instid1(VALU_DEP_1)
	v_fmac_f32_e32 v3, v99, v110
	s_waitcnt vmcnt(0)
	v_fmac_f32_e32 v3, v100, v111
	s_waitcnt lgkmcnt(1)
	s_delay_alu instid0(VALU_DEP_1) | instskip(NEXT) | instid1(VALU_DEP_1)
	v_fmac_f32_e32 v3, v101, v93
	v_fmac_f32_e32 v3, v102, v94
	s_waitcnt lgkmcnt(0)
	s_delay_alu instid0(VALU_DEP_1) | instskip(NEXT) | instid1(VALU_DEP_1)
	v_fmac_f32_e32 v3, v103, v95
	v_sub_f32_e32 v3, v92, v3
	scratch_store_b32 off, v3, off offset:128
	v_cmpx_lt_u32_e32 31, v0
	s_cbranch_execz .LBB43_209
; %bb.208:
	scratch_load_b32 v3, off, off offset:124
	scratch_store_b32 off, v2, off offset:124
	s_waitcnt vmcnt(0)
	ds_store_b32 v1, v3
.LBB43_209:
	s_or_b32 exec_lo, exec_lo, s0
	s_waitcnt lgkmcnt(0)
	s_waitcnt_vscnt null, 0x0
	s_barrier
	buffer_gl0_inv
	s_clause 0x3
	scratch_load_b128 v[92:95], off, off offset:124
	scratch_load_b128 v[96:99], off, off offset:140
	;; [unrolled: 1-line block ×3, first 2 shown]
	scratch_load_b32 v3, off, off offset:172
	ds_load_b128 v[104:107], v2 offset:304
	ds_load_b128 v[108:111], v2 offset:320
	s_mov_b32 s0, exec_lo
	s_waitcnt vmcnt(3) lgkmcnt(1)
	v_fma_f32 v104, v93, v104, 0
	s_delay_alu instid0(VALU_DEP_1) | instskip(NEXT) | instid1(VALU_DEP_1)
	v_fmac_f32_e32 v104, v94, v105
	v_fmac_f32_e32 v104, v95, v106
	s_waitcnt vmcnt(2)
	s_delay_alu instid0(VALU_DEP_1) | instskip(SKIP_3) | instid1(VALU_DEP_1)
	v_fmac_f32_e32 v104, v96, v107
	ds_load_b128 v[93:96], v2 offset:336
	s_waitcnt lgkmcnt(1)
	v_fmac_f32_e32 v104, v97, v108
	v_fmac_f32_e32 v104, v98, v109
	s_delay_alu instid0(VALU_DEP_1) | instskip(SKIP_1) | instid1(VALU_DEP_1)
	v_fmac_f32_e32 v104, v99, v110
	s_waitcnt vmcnt(1)
	v_fmac_f32_e32 v104, v100, v111
	s_waitcnt lgkmcnt(0)
	s_delay_alu instid0(VALU_DEP_1) | instskip(NEXT) | instid1(VALU_DEP_1)
	v_fmac_f32_e32 v104, v101, v93
	v_fmac_f32_e32 v104, v102, v94
	s_delay_alu instid0(VALU_DEP_1) | instskip(SKIP_1) | instid1(VALU_DEP_1)
	v_fmac_f32_e32 v104, v103, v95
	s_waitcnt vmcnt(0)
	v_fmac_f32_e32 v104, v3, v96
	s_delay_alu instid0(VALU_DEP_1)
	v_sub_f32_e32 v2, v92, v104
	scratch_store_b32 off, v2, off offset:124
	v_cmpx_lt_u32_e32 30, v0
	s_cbranch_execz .LBB43_211
; %bb.210:
	scratch_load_b32 v2, off, off offset:120
	v_mov_b32_e32 v3, 0
	scratch_store_b32 off, v3, off offset:120
	s_waitcnt vmcnt(0)
	ds_store_b32 v1, v2
.LBB43_211:
	s_or_b32 exec_lo, exec_lo, s0
	s_waitcnt lgkmcnt(0)
	s_waitcnt_vscnt null, 0x0
	s_barrier
	buffer_gl0_inv
	s_clause 0x3
	scratch_load_b128 v[92:95], off, off offset:120
	scratch_load_b128 v[96:99], off, off offset:136
	;; [unrolled: 1-line block ×3, first 2 shown]
	scratch_load_b64 v[104:105], off, off offset:168
	v_mov_b32_e32 v2, 0
	ds_load_2addr_b32 v[106:107], v2 offset0:75 offset1:76
	ds_load_2addr_b32 v[108:109], v2 offset0:77 offset1:78
	;; [unrolled: 1-line block ×4, first 2 shown]
	s_mov_b32 s0, exec_lo
	s_waitcnt vmcnt(3) lgkmcnt(3)
	v_fma_f32 v3, v93, v106, 0
	s_delay_alu instid0(VALU_DEP_1) | instskip(SKIP_4) | instid1(VALU_DEP_1)
	v_fmac_f32_e32 v3, v94, v107
	ds_load_2addr_b32 v[93:94], v2 offset0:83 offset1:84
	s_waitcnt lgkmcnt(3)
	v_fmac_f32_e32 v3, v95, v108
	s_waitcnt vmcnt(2)
	v_fmac_f32_e32 v3, v96, v109
	ds_load_2addr_b32 v[95:96], v2 offset0:85 offset1:86
	s_waitcnt lgkmcnt(3)
	v_fmac_f32_e32 v3, v97, v110
	ds_load_b32 v97, v2 offset:348
	v_fmac_f32_e32 v3, v98, v111
	s_waitcnt lgkmcnt(3)
	s_delay_alu instid0(VALU_DEP_1) | instskip(SKIP_1) | instid1(VALU_DEP_1)
	v_fmac_f32_e32 v3, v99, v112
	s_waitcnt vmcnt(1)
	v_fmac_f32_e32 v3, v100, v113
	s_waitcnt lgkmcnt(2)
	s_delay_alu instid0(VALU_DEP_1) | instskip(NEXT) | instid1(VALU_DEP_1)
	v_fmac_f32_e32 v3, v101, v93
	v_fmac_f32_e32 v3, v102, v94
	s_waitcnt lgkmcnt(1)
	s_delay_alu instid0(VALU_DEP_1) | instskip(SKIP_1) | instid1(VALU_DEP_1)
	v_fmac_f32_e32 v3, v103, v95
	s_waitcnt vmcnt(0)
	v_fmac_f32_e32 v3, v104, v96
	s_waitcnt lgkmcnt(0)
	s_delay_alu instid0(VALU_DEP_1) | instskip(NEXT) | instid1(VALU_DEP_1)
	v_fmac_f32_e32 v3, v105, v97
	v_sub_f32_e32 v3, v92, v3
	scratch_store_b32 off, v3, off offset:120
	v_cmpx_lt_u32_e32 29, v0
	s_cbranch_execz .LBB43_213
; %bb.212:
	scratch_load_b32 v3, off, off offset:116
	scratch_store_b32 off, v2, off offset:116
	s_waitcnt vmcnt(0)
	ds_store_b32 v1, v3
.LBB43_213:
	s_or_b32 exec_lo, exec_lo, s0
	s_waitcnt lgkmcnt(0)
	s_waitcnt_vscnt null, 0x0
	s_barrier
	buffer_gl0_inv
	s_clause 0x3
	scratch_load_b128 v[92:95], off, off offset:116
	scratch_load_b128 v[96:99], off, off offset:132
	;; [unrolled: 1-line block ×3, first 2 shown]
	scratch_load_b96 v[112:114], off, off offset:164
	ds_load_2addr_b64 v[104:107], v2 offset0:37 offset1:38
	ds_load_2addr_b64 v[108:111], v2 offset0:39 offset1:40
	s_mov_b32 s0, exec_lo
	s_waitcnt vmcnt(3) lgkmcnt(1)
	v_fma_f32 v104, v93, v104, 0
	s_delay_alu instid0(VALU_DEP_1) | instskip(NEXT) | instid1(VALU_DEP_1)
	v_fmac_f32_e32 v104, v94, v105
	v_fmac_f32_e32 v104, v95, v106
	s_waitcnt vmcnt(2)
	s_delay_alu instid0(VALU_DEP_1) | instskip(SKIP_4) | instid1(VALU_DEP_1)
	v_fmac_f32_e32 v104, v96, v107
	ds_load_2addr_b64 v[93:96], v2 offset0:41 offset1:42
	ds_load_b64 v[2:3], v2 offset:344
	s_waitcnt lgkmcnt(2)
	v_fmac_f32_e32 v104, v97, v108
	v_fmac_f32_e32 v104, v98, v109
	s_delay_alu instid0(VALU_DEP_1) | instskip(SKIP_1) | instid1(VALU_DEP_1)
	v_fmac_f32_e32 v104, v99, v110
	s_waitcnt vmcnt(1)
	v_fmac_f32_e32 v104, v100, v111
	s_waitcnt lgkmcnt(1)
	s_delay_alu instid0(VALU_DEP_1) | instskip(NEXT) | instid1(VALU_DEP_1)
	v_fmac_f32_e32 v104, v101, v93
	v_fmac_f32_e32 v104, v102, v94
	s_delay_alu instid0(VALU_DEP_1) | instskip(SKIP_1) | instid1(VALU_DEP_1)
	v_fmac_f32_e32 v104, v103, v95
	s_waitcnt vmcnt(0)
	v_fmac_f32_e32 v104, v112, v96
	s_waitcnt lgkmcnt(0)
	s_delay_alu instid0(VALU_DEP_1) | instskip(NEXT) | instid1(VALU_DEP_1)
	v_fmac_f32_e32 v104, v113, v2
	v_fmac_f32_e32 v104, v114, v3
	s_delay_alu instid0(VALU_DEP_1)
	v_sub_f32_e32 v2, v92, v104
	scratch_store_b32 off, v2, off offset:116
	v_cmpx_lt_u32_e32 28, v0
	s_cbranch_execz .LBB43_215
; %bb.214:
	scratch_load_b32 v2, off, off offset:112
	v_mov_b32_e32 v3, 0
	scratch_store_b32 off, v3, off offset:112
	s_waitcnt vmcnt(0)
	ds_store_b32 v1, v2
.LBB43_215:
	s_or_b32 exec_lo, exec_lo, s0
	s_waitcnt lgkmcnt(0)
	s_waitcnt_vscnt null, 0x0
	s_barrier
	buffer_gl0_inv
	s_clause 0x3
	scratch_load_b128 v[92:95], off, off offset:112
	scratch_load_b128 v[96:99], off, off offset:128
	;; [unrolled: 1-line block ×4, first 2 shown]
	v_mov_b32_e32 v2, 0
	ds_load_2addr_b32 v[108:109], v2 offset0:73 offset1:74
	ds_load_2addr_b32 v[110:111], v2 offset0:75 offset1:76
	;; [unrolled: 1-line block ×4, first 2 shown]
	s_mov_b32 s0, exec_lo
	s_waitcnt vmcnt(3) lgkmcnt(3)
	v_fma_f32 v3, v93, v108, 0
	s_delay_alu instid0(VALU_DEP_1) | instskip(SKIP_4) | instid1(VALU_DEP_1)
	v_fmac_f32_e32 v3, v94, v109
	ds_load_2addr_b32 v[93:94], v2 offset0:81 offset1:82
	s_waitcnt lgkmcnt(3)
	v_fmac_f32_e32 v3, v95, v110
	s_waitcnt vmcnt(2)
	v_fmac_f32_e32 v3, v96, v111
	ds_load_2addr_b32 v[95:96], v2 offset0:83 offset1:84
	s_waitcnt lgkmcnt(3)
	v_fmac_f32_e32 v3, v97, v112
	s_delay_alu instid0(VALU_DEP_1) | instskip(SKIP_1) | instid1(VALU_DEP_1)
	v_fmac_f32_e32 v3, v98, v113
	s_waitcnt lgkmcnt(2)
	v_fmac_f32_e32 v3, v99, v114
	ds_load_2addr_b32 v[97:98], v2 offset0:85 offset1:86
	ds_load_b32 v99, v2 offset:348
	s_waitcnt vmcnt(1)
	v_fmac_f32_e32 v3, v100, v115
	s_waitcnt lgkmcnt(3)
	s_delay_alu instid0(VALU_DEP_1) | instskip(NEXT) | instid1(VALU_DEP_1)
	v_fmac_f32_e32 v3, v101, v93
	v_fmac_f32_e32 v3, v102, v94
	s_waitcnt lgkmcnt(2)
	s_delay_alu instid0(VALU_DEP_1) | instskip(SKIP_1) | instid1(VALU_DEP_1)
	v_fmac_f32_e32 v3, v103, v95
	s_waitcnt vmcnt(0)
	v_fmac_f32_e32 v3, v104, v96
	s_waitcnt lgkmcnt(1)
	s_delay_alu instid0(VALU_DEP_1) | instskip(NEXT) | instid1(VALU_DEP_1)
	v_fmac_f32_e32 v3, v105, v97
	v_fmac_f32_e32 v3, v106, v98
	s_waitcnt lgkmcnt(0)
	s_delay_alu instid0(VALU_DEP_1) | instskip(NEXT) | instid1(VALU_DEP_1)
	v_fmac_f32_e32 v3, v107, v99
	v_sub_f32_e32 v3, v92, v3
	scratch_store_b32 off, v3, off offset:112
	v_cmpx_lt_u32_e32 27, v0
	s_cbranch_execz .LBB43_217
; %bb.216:
	scratch_load_b32 v3, off, off offset:108
	scratch_store_b32 off, v2, off offset:108
	s_waitcnt vmcnt(0)
	ds_store_b32 v1, v3
.LBB43_217:
	s_or_b32 exec_lo, exec_lo, s0
	s_waitcnt lgkmcnt(0)
	s_waitcnt_vscnt null, 0x0
	s_barrier
	buffer_gl0_inv
	s_clause 0x4
	scratch_load_b128 v[92:95], off, off offset:108
	scratch_load_b128 v[96:99], off, off offset:124
	;; [unrolled: 1-line block ×4, first 2 shown]
	scratch_load_b32 v3, off, off offset:172
	ds_load_b128 v[108:111], v2 offset:288
	ds_load_b128 v[112:115], v2 offset:304
	s_mov_b32 s0, exec_lo
	s_waitcnt vmcnt(4) lgkmcnt(1)
	v_fma_f32 v108, v93, v108, 0
	s_delay_alu instid0(VALU_DEP_1) | instskip(NEXT) | instid1(VALU_DEP_1)
	v_fmac_f32_e32 v108, v94, v109
	v_fmac_f32_e32 v108, v95, v110
	s_waitcnt vmcnt(3)
	s_delay_alu instid0(VALU_DEP_1) | instskip(SKIP_3) | instid1(VALU_DEP_1)
	v_fmac_f32_e32 v108, v96, v111
	ds_load_b128 v[93:96], v2 offset:320
	s_waitcnt lgkmcnt(1)
	v_fmac_f32_e32 v108, v97, v112
	v_fmac_f32_e32 v108, v98, v113
	s_delay_alu instid0(VALU_DEP_1) | instskip(SKIP_1) | instid1(VALU_DEP_1)
	v_fmac_f32_e32 v108, v99, v114
	s_waitcnt vmcnt(2)
	v_fmac_f32_e32 v108, v100, v115
	ds_load_b128 v[97:100], v2 offset:336
	s_waitcnt lgkmcnt(1)
	v_fmac_f32_e32 v108, v101, v93
	s_delay_alu instid0(VALU_DEP_1) | instskip(NEXT) | instid1(VALU_DEP_1)
	v_fmac_f32_e32 v108, v102, v94
	v_fmac_f32_e32 v108, v103, v95
	s_waitcnt vmcnt(1)
	s_delay_alu instid0(VALU_DEP_1) | instskip(SKIP_1) | instid1(VALU_DEP_1)
	v_fmac_f32_e32 v108, v104, v96
	s_waitcnt lgkmcnt(0)
	v_fmac_f32_e32 v108, v105, v97
	s_delay_alu instid0(VALU_DEP_1) | instskip(NEXT) | instid1(VALU_DEP_1)
	v_fmac_f32_e32 v108, v106, v98
	v_fmac_f32_e32 v108, v107, v99
	s_waitcnt vmcnt(0)
	s_delay_alu instid0(VALU_DEP_1) | instskip(NEXT) | instid1(VALU_DEP_1)
	v_fmac_f32_e32 v108, v3, v100
	v_sub_f32_e32 v2, v92, v108
	scratch_store_b32 off, v2, off offset:108
	v_cmpx_lt_u32_e32 26, v0
	s_cbranch_execz .LBB43_219
; %bb.218:
	scratch_load_b32 v2, off, off offset:104
	v_mov_b32_e32 v3, 0
	scratch_store_b32 off, v3, off offset:104
	s_waitcnt vmcnt(0)
	ds_store_b32 v1, v2
.LBB43_219:
	s_or_b32 exec_lo, exec_lo, s0
	s_waitcnt lgkmcnt(0)
	s_waitcnt_vscnt null, 0x0
	s_barrier
	buffer_gl0_inv
	s_clause 0x4
	scratch_load_b128 v[92:95], off, off offset:104
	scratch_load_b128 v[96:99], off, off offset:120
	;; [unrolled: 1-line block ×4, first 2 shown]
	scratch_load_b64 v[108:109], off, off offset:168
	v_mov_b32_e32 v2, 0
	ds_load_2addr_b32 v[110:111], v2 offset0:71 offset1:72
	ds_load_2addr_b32 v[112:113], v2 offset0:73 offset1:74
	;; [unrolled: 1-line block ×4, first 2 shown]
	s_mov_b32 s0, exec_lo
	s_waitcnt vmcnt(4) lgkmcnt(3)
	v_fma_f32 v3, v93, v110, 0
	s_delay_alu instid0(VALU_DEP_1) | instskip(SKIP_4) | instid1(VALU_DEP_1)
	v_fmac_f32_e32 v3, v94, v111
	ds_load_2addr_b32 v[93:94], v2 offset0:79 offset1:80
	s_waitcnt lgkmcnt(3)
	v_fmac_f32_e32 v3, v95, v112
	s_waitcnt vmcnt(3)
	v_fmac_f32_e32 v3, v96, v113
	ds_load_2addr_b32 v[95:96], v2 offset0:81 offset1:82
	s_waitcnt lgkmcnt(3)
	v_fmac_f32_e32 v3, v97, v114
	s_delay_alu instid0(VALU_DEP_1) | instskip(SKIP_1) | instid1(VALU_DEP_1)
	v_fmac_f32_e32 v3, v98, v115
	s_waitcnt lgkmcnt(2)
	v_fmac_f32_e32 v3, v99, v116
	s_waitcnt vmcnt(2)
	s_delay_alu instid0(VALU_DEP_1)
	v_fmac_f32_e32 v3, v100, v117
	ds_load_2addr_b32 v[97:98], v2 offset0:83 offset1:84
	ds_load_2addr_b32 v[99:100], v2 offset0:85 offset1:86
	s_waitcnt lgkmcnt(3)
	v_fmac_f32_e32 v3, v101, v93
	ds_load_b32 v93, v2 offset:348
	v_fmac_f32_e32 v3, v102, v94
	s_waitcnt lgkmcnt(3)
	s_delay_alu instid0(VALU_DEP_1) | instskip(SKIP_1) | instid1(VALU_DEP_1)
	v_fmac_f32_e32 v3, v103, v95
	s_waitcnt vmcnt(1)
	v_fmac_f32_e32 v3, v104, v96
	s_waitcnt lgkmcnt(2)
	s_delay_alu instid0(VALU_DEP_1) | instskip(NEXT) | instid1(VALU_DEP_1)
	v_fmac_f32_e32 v3, v105, v97
	v_fmac_f32_e32 v3, v106, v98
	s_waitcnt lgkmcnt(1)
	s_delay_alu instid0(VALU_DEP_1) | instskip(SKIP_1) | instid1(VALU_DEP_1)
	v_fmac_f32_e32 v3, v107, v99
	s_waitcnt vmcnt(0)
	v_fmac_f32_e32 v3, v108, v100
	s_waitcnt lgkmcnt(0)
	s_delay_alu instid0(VALU_DEP_1) | instskip(NEXT) | instid1(VALU_DEP_1)
	v_fmac_f32_e32 v3, v109, v93
	v_sub_f32_e32 v3, v92, v3
	scratch_store_b32 off, v3, off offset:104
	v_cmpx_lt_u32_e32 25, v0
	s_cbranch_execz .LBB43_221
; %bb.220:
	scratch_load_b32 v3, off, off offset:100
	scratch_store_b32 off, v2, off offset:100
	s_waitcnt vmcnt(0)
	ds_store_b32 v1, v3
.LBB43_221:
	s_or_b32 exec_lo, exec_lo, s0
	s_waitcnt lgkmcnt(0)
	s_waitcnt_vscnt null, 0x0
	s_barrier
	buffer_gl0_inv
	s_clause 0x4
	scratch_load_b128 v[92:95], off, off offset:100
	scratch_load_b128 v[96:99], off, off offset:116
	scratch_load_b128 v[100:103], off, off offset:132
	scratch_load_b128 v[104:107], off, off offset:148
	scratch_load_b96 v[116:118], off, off offset:164
	ds_load_2addr_b64 v[108:111], v2 offset0:35 offset1:36
	ds_load_2addr_b64 v[112:115], v2 offset0:37 offset1:38
	s_mov_b32 s0, exec_lo
	s_waitcnt vmcnt(4) lgkmcnt(1)
	v_fma_f32 v108, v93, v108, 0
	s_delay_alu instid0(VALU_DEP_1) | instskip(NEXT) | instid1(VALU_DEP_1)
	v_fmac_f32_e32 v108, v94, v109
	v_fmac_f32_e32 v108, v95, v110
	s_waitcnt vmcnt(3)
	s_delay_alu instid0(VALU_DEP_1) | instskip(SKIP_3) | instid1(VALU_DEP_1)
	v_fmac_f32_e32 v108, v96, v111
	ds_load_2addr_b64 v[93:96], v2 offset0:39 offset1:40
	s_waitcnt lgkmcnt(1)
	v_fmac_f32_e32 v108, v97, v112
	v_fmac_f32_e32 v108, v98, v113
	s_delay_alu instid0(VALU_DEP_1) | instskip(SKIP_1) | instid1(VALU_DEP_1)
	v_fmac_f32_e32 v108, v99, v114
	s_waitcnt vmcnt(2)
	v_fmac_f32_e32 v108, v100, v115
	ds_load_2addr_b64 v[97:100], v2 offset0:41 offset1:42
	ds_load_b64 v[2:3], v2 offset:344
	s_waitcnt lgkmcnt(2)
	v_fmac_f32_e32 v108, v101, v93
	s_delay_alu instid0(VALU_DEP_1) | instskip(NEXT) | instid1(VALU_DEP_1)
	v_fmac_f32_e32 v108, v102, v94
	v_fmac_f32_e32 v108, v103, v95
	s_waitcnt vmcnt(1)
	s_delay_alu instid0(VALU_DEP_1) | instskip(SKIP_1) | instid1(VALU_DEP_1)
	v_fmac_f32_e32 v108, v104, v96
	s_waitcnt lgkmcnt(1)
	v_fmac_f32_e32 v108, v105, v97
	s_delay_alu instid0(VALU_DEP_1) | instskip(NEXT) | instid1(VALU_DEP_1)
	v_fmac_f32_e32 v108, v106, v98
	v_fmac_f32_e32 v108, v107, v99
	s_waitcnt vmcnt(0)
	s_delay_alu instid0(VALU_DEP_1) | instskip(SKIP_1) | instid1(VALU_DEP_1)
	v_fmac_f32_e32 v108, v116, v100
	s_waitcnt lgkmcnt(0)
	v_fmac_f32_e32 v108, v117, v2
	s_delay_alu instid0(VALU_DEP_1) | instskip(NEXT) | instid1(VALU_DEP_1)
	v_fmac_f32_e32 v108, v118, v3
	v_sub_f32_e32 v2, v92, v108
	scratch_store_b32 off, v2, off offset:100
	v_cmpx_lt_u32_e32 24, v0
	s_cbranch_execz .LBB43_223
; %bb.222:
	scratch_load_b32 v2, off, off offset:96
	v_mov_b32_e32 v3, 0
	scratch_store_b32 off, v3, off offset:96
	s_waitcnt vmcnt(0)
	ds_store_b32 v1, v2
.LBB43_223:
	s_or_b32 exec_lo, exec_lo, s0
	s_waitcnt lgkmcnt(0)
	s_waitcnt_vscnt null, 0x0
	s_barrier
	buffer_gl0_inv
	s_clause 0x4
	scratch_load_b128 v[92:95], off, off offset:96
	scratch_load_b128 v[96:99], off, off offset:112
	;; [unrolled: 1-line block ×5, first 2 shown]
	v_mov_b32_e32 v2, 0
	ds_load_2addr_b32 v[112:113], v2 offset0:69 offset1:70
	ds_load_2addr_b32 v[114:115], v2 offset0:71 offset1:72
	;; [unrolled: 1-line block ×4, first 2 shown]
	s_mov_b32 s0, exec_lo
	s_waitcnt vmcnt(4) lgkmcnt(3)
	v_fma_f32 v3, v93, v112, 0
	s_delay_alu instid0(VALU_DEP_1) | instskip(SKIP_4) | instid1(VALU_DEP_1)
	v_fmac_f32_e32 v3, v94, v113
	ds_load_2addr_b32 v[93:94], v2 offset0:77 offset1:78
	s_waitcnt lgkmcnt(3)
	v_fmac_f32_e32 v3, v95, v114
	s_waitcnt vmcnt(3)
	v_fmac_f32_e32 v3, v96, v115
	ds_load_2addr_b32 v[95:96], v2 offset0:79 offset1:80
	s_waitcnt lgkmcnt(3)
	v_fmac_f32_e32 v3, v97, v116
	s_delay_alu instid0(VALU_DEP_1) | instskip(SKIP_1) | instid1(VALU_DEP_1)
	v_fmac_f32_e32 v3, v98, v117
	s_waitcnt lgkmcnt(2)
	v_fmac_f32_e32 v3, v99, v118
	s_waitcnt vmcnt(2)
	s_delay_alu instid0(VALU_DEP_1) | instskip(SKIP_4) | instid1(VALU_DEP_1)
	v_fmac_f32_e32 v3, v100, v119
	ds_load_2addr_b32 v[97:98], v2 offset0:81 offset1:82
	ds_load_2addr_b32 v[99:100], v2 offset0:83 offset1:84
	s_waitcnt lgkmcnt(3)
	v_fmac_f32_e32 v3, v101, v93
	v_fmac_f32_e32 v3, v102, v94
	ds_load_2addr_b32 v[93:94], v2 offset0:85 offset1:86
	s_waitcnt lgkmcnt(3)
	v_fmac_f32_e32 v3, v103, v95
	ds_load_b32 v95, v2 offset:348
	s_waitcnt vmcnt(1)
	v_fmac_f32_e32 v3, v104, v96
	s_waitcnt lgkmcnt(3)
	s_delay_alu instid0(VALU_DEP_1) | instskip(NEXT) | instid1(VALU_DEP_1)
	v_fmac_f32_e32 v3, v105, v97
	v_fmac_f32_e32 v3, v106, v98
	s_waitcnt lgkmcnt(2)
	s_delay_alu instid0(VALU_DEP_1) | instskip(SKIP_1) | instid1(VALU_DEP_1)
	v_fmac_f32_e32 v3, v107, v99
	s_waitcnt vmcnt(0)
	v_fmac_f32_e32 v3, v108, v100
	s_waitcnt lgkmcnt(1)
	s_delay_alu instid0(VALU_DEP_1) | instskip(NEXT) | instid1(VALU_DEP_1)
	v_fmac_f32_e32 v3, v109, v93
	v_fmac_f32_e32 v3, v110, v94
	s_waitcnt lgkmcnt(0)
	s_delay_alu instid0(VALU_DEP_1) | instskip(NEXT) | instid1(VALU_DEP_1)
	v_fmac_f32_e32 v3, v111, v95
	v_sub_f32_e32 v3, v92, v3
	scratch_store_b32 off, v3, off offset:96
	v_cmpx_lt_u32_e32 23, v0
	s_cbranch_execz .LBB43_225
; %bb.224:
	scratch_load_b32 v3, off, off offset:92
	scratch_store_b32 off, v2, off offset:92
	s_waitcnt vmcnt(0)
	ds_store_b32 v1, v3
.LBB43_225:
	s_or_b32 exec_lo, exec_lo, s0
	s_waitcnt lgkmcnt(0)
	s_waitcnt_vscnt null, 0x0
	s_barrier
	buffer_gl0_inv
	s_clause 0x5
	scratch_load_b128 v[92:95], off, off offset:92
	scratch_load_b128 v[96:99], off, off offset:108
	;; [unrolled: 1-line block ×5, first 2 shown]
	scratch_load_b32 v3, off, off offset:172
	ds_load_b128 v[112:115], v2 offset:272
	ds_load_b128 v[116:119], v2 offset:288
	s_mov_b32 s0, exec_lo
	s_waitcnt vmcnt(5) lgkmcnt(1)
	v_fma_f32 v112, v93, v112, 0
	s_delay_alu instid0(VALU_DEP_1) | instskip(NEXT) | instid1(VALU_DEP_1)
	v_fmac_f32_e32 v112, v94, v113
	v_fmac_f32_e32 v112, v95, v114
	s_waitcnt vmcnt(4)
	s_delay_alu instid0(VALU_DEP_1) | instskip(SKIP_3) | instid1(VALU_DEP_1)
	v_fmac_f32_e32 v112, v96, v115
	ds_load_b128 v[93:96], v2 offset:304
	s_waitcnt lgkmcnt(1)
	v_fmac_f32_e32 v112, v97, v116
	v_fmac_f32_e32 v112, v98, v117
	s_delay_alu instid0(VALU_DEP_1) | instskip(SKIP_1) | instid1(VALU_DEP_1)
	v_fmac_f32_e32 v112, v99, v118
	s_waitcnt vmcnt(3)
	v_fmac_f32_e32 v112, v100, v119
	ds_load_b128 v[97:100], v2 offset:320
	s_waitcnt lgkmcnt(1)
	v_fmac_f32_e32 v112, v101, v93
	s_delay_alu instid0(VALU_DEP_1) | instskip(NEXT) | instid1(VALU_DEP_1)
	v_fmac_f32_e32 v112, v102, v94
	v_fmac_f32_e32 v112, v103, v95
	s_waitcnt vmcnt(2)
	s_delay_alu instid0(VALU_DEP_1) | instskip(SKIP_3) | instid1(VALU_DEP_1)
	v_fmac_f32_e32 v112, v104, v96
	ds_load_b128 v[93:96], v2 offset:336
	s_waitcnt lgkmcnt(1)
	v_fmac_f32_e32 v112, v105, v97
	v_fmac_f32_e32 v112, v106, v98
	s_delay_alu instid0(VALU_DEP_1) | instskip(SKIP_1) | instid1(VALU_DEP_1)
	v_fmac_f32_e32 v112, v107, v99
	s_waitcnt vmcnt(1)
	v_fmac_f32_e32 v112, v108, v100
	s_waitcnt lgkmcnt(0)
	s_delay_alu instid0(VALU_DEP_1) | instskip(NEXT) | instid1(VALU_DEP_1)
	v_fmac_f32_e32 v112, v109, v93
	v_fmac_f32_e32 v112, v110, v94
	s_delay_alu instid0(VALU_DEP_1) | instskip(SKIP_1) | instid1(VALU_DEP_1)
	v_fmac_f32_e32 v112, v111, v95
	s_waitcnt vmcnt(0)
	v_fmac_f32_e32 v112, v3, v96
	s_delay_alu instid0(VALU_DEP_1)
	v_sub_f32_e32 v2, v92, v112
	scratch_store_b32 off, v2, off offset:92
	v_cmpx_lt_u32_e32 22, v0
	s_cbranch_execz .LBB43_227
; %bb.226:
	scratch_load_b32 v2, off, off offset:88
	v_mov_b32_e32 v3, 0
	scratch_store_b32 off, v3, off offset:88
	s_waitcnt vmcnt(0)
	ds_store_b32 v1, v2
.LBB43_227:
	s_or_b32 exec_lo, exec_lo, s0
	s_waitcnt lgkmcnt(0)
	s_waitcnt_vscnt null, 0x0
	s_barrier
	buffer_gl0_inv
	s_clause 0x5
	scratch_load_b128 v[92:95], off, off offset:88
	scratch_load_b128 v[96:99], off, off offset:104
	;; [unrolled: 1-line block ×5, first 2 shown]
	scratch_load_b64 v[112:113], off, off offset:168
	v_mov_b32_e32 v2, 0
	ds_load_2addr_b32 v[114:115], v2 offset0:67 offset1:68
	ds_load_2addr_b32 v[116:117], v2 offset0:69 offset1:70
	ds_load_2addr_b32 v[118:119], v2 offset0:71 offset1:72
	ds_load_2addr_b32 v[120:121], v2 offset0:73 offset1:74
	s_mov_b32 s0, exec_lo
	s_waitcnt vmcnt(5) lgkmcnt(3)
	v_fma_f32 v3, v93, v114, 0
	s_delay_alu instid0(VALU_DEP_1) | instskip(SKIP_4) | instid1(VALU_DEP_1)
	v_fmac_f32_e32 v3, v94, v115
	ds_load_2addr_b32 v[93:94], v2 offset0:75 offset1:76
	s_waitcnt lgkmcnt(3)
	v_fmac_f32_e32 v3, v95, v116
	s_waitcnt vmcnt(4)
	v_fmac_f32_e32 v3, v96, v117
	ds_load_2addr_b32 v[95:96], v2 offset0:77 offset1:78
	s_waitcnt lgkmcnt(3)
	v_fmac_f32_e32 v3, v97, v118
	s_delay_alu instid0(VALU_DEP_1) | instskip(SKIP_1) | instid1(VALU_DEP_1)
	v_fmac_f32_e32 v3, v98, v119
	s_waitcnt lgkmcnt(2)
	v_fmac_f32_e32 v3, v99, v120
	s_waitcnt vmcnt(3)
	s_delay_alu instid0(VALU_DEP_1) | instskip(SKIP_4) | instid1(VALU_DEP_1)
	v_fmac_f32_e32 v3, v100, v121
	ds_load_2addr_b32 v[97:98], v2 offset0:79 offset1:80
	ds_load_2addr_b32 v[99:100], v2 offset0:81 offset1:82
	s_waitcnt lgkmcnt(3)
	v_fmac_f32_e32 v3, v101, v93
	v_fmac_f32_e32 v3, v102, v94
	ds_load_2addr_b32 v[93:94], v2 offset0:83 offset1:84
	s_waitcnt lgkmcnt(3)
	v_fmac_f32_e32 v3, v103, v95
	s_waitcnt vmcnt(2)
	s_delay_alu instid0(VALU_DEP_1)
	v_fmac_f32_e32 v3, v104, v96
	ds_load_2addr_b32 v[95:96], v2 offset0:85 offset1:86
	s_waitcnt lgkmcnt(3)
	v_fmac_f32_e32 v3, v105, v97
	ds_load_b32 v97, v2 offset:348
	v_fmac_f32_e32 v3, v106, v98
	s_waitcnt lgkmcnt(3)
	s_delay_alu instid0(VALU_DEP_1) | instskip(SKIP_1) | instid1(VALU_DEP_1)
	v_fmac_f32_e32 v3, v107, v99
	s_waitcnt vmcnt(1)
	v_fmac_f32_e32 v3, v108, v100
	s_waitcnt lgkmcnt(2)
	s_delay_alu instid0(VALU_DEP_1) | instskip(NEXT) | instid1(VALU_DEP_1)
	v_fmac_f32_e32 v3, v109, v93
	v_fmac_f32_e32 v3, v110, v94
	s_waitcnt lgkmcnt(1)
	s_delay_alu instid0(VALU_DEP_1) | instskip(SKIP_1) | instid1(VALU_DEP_1)
	v_fmac_f32_e32 v3, v111, v95
	s_waitcnt vmcnt(0)
	v_fmac_f32_e32 v3, v112, v96
	s_waitcnt lgkmcnt(0)
	s_delay_alu instid0(VALU_DEP_1) | instskip(NEXT) | instid1(VALU_DEP_1)
	v_fmac_f32_e32 v3, v113, v97
	v_sub_f32_e32 v3, v92, v3
	scratch_store_b32 off, v3, off offset:88
	v_cmpx_lt_u32_e32 21, v0
	s_cbranch_execz .LBB43_229
; %bb.228:
	scratch_load_b32 v3, off, off offset:84
	scratch_store_b32 off, v2, off offset:84
	s_waitcnt vmcnt(0)
	ds_store_b32 v1, v3
.LBB43_229:
	s_or_b32 exec_lo, exec_lo, s0
	s_waitcnt lgkmcnt(0)
	s_waitcnt_vscnt null, 0x0
	s_barrier
	buffer_gl0_inv
	s_clause 0x5
	scratch_load_b128 v[92:95], off, off offset:84
	scratch_load_b128 v[96:99], off, off offset:100
	;; [unrolled: 1-line block ×5, first 2 shown]
	scratch_load_b96 v[120:122], off, off offset:164
	ds_load_2addr_b64 v[112:115], v2 offset0:33 offset1:34
	ds_load_2addr_b64 v[116:119], v2 offset0:35 offset1:36
	s_mov_b32 s0, exec_lo
	s_waitcnt vmcnt(5) lgkmcnt(1)
	v_fma_f32 v112, v93, v112, 0
	s_delay_alu instid0(VALU_DEP_1) | instskip(NEXT) | instid1(VALU_DEP_1)
	v_fmac_f32_e32 v112, v94, v113
	v_fmac_f32_e32 v112, v95, v114
	s_waitcnt vmcnt(4)
	s_delay_alu instid0(VALU_DEP_1) | instskip(SKIP_3) | instid1(VALU_DEP_1)
	v_fmac_f32_e32 v112, v96, v115
	ds_load_2addr_b64 v[93:96], v2 offset0:37 offset1:38
	s_waitcnt lgkmcnt(1)
	v_fmac_f32_e32 v112, v97, v116
	v_fmac_f32_e32 v112, v98, v117
	s_delay_alu instid0(VALU_DEP_1) | instskip(SKIP_1) | instid1(VALU_DEP_1)
	v_fmac_f32_e32 v112, v99, v118
	s_waitcnt vmcnt(3)
	v_fmac_f32_e32 v112, v100, v119
	ds_load_2addr_b64 v[97:100], v2 offset0:39 offset1:40
	s_waitcnt lgkmcnt(1)
	v_fmac_f32_e32 v112, v101, v93
	s_delay_alu instid0(VALU_DEP_1) | instskip(NEXT) | instid1(VALU_DEP_1)
	v_fmac_f32_e32 v112, v102, v94
	v_fmac_f32_e32 v112, v103, v95
	s_waitcnt vmcnt(2)
	s_delay_alu instid0(VALU_DEP_1) | instskip(SKIP_4) | instid1(VALU_DEP_1)
	v_fmac_f32_e32 v112, v104, v96
	ds_load_2addr_b64 v[93:96], v2 offset0:41 offset1:42
	ds_load_b64 v[2:3], v2 offset:344
	s_waitcnt lgkmcnt(2)
	v_fmac_f32_e32 v112, v105, v97
	v_fmac_f32_e32 v112, v106, v98
	s_delay_alu instid0(VALU_DEP_1) | instskip(SKIP_1) | instid1(VALU_DEP_1)
	v_fmac_f32_e32 v112, v107, v99
	s_waitcnt vmcnt(1)
	v_fmac_f32_e32 v112, v108, v100
	s_waitcnt lgkmcnt(1)
	s_delay_alu instid0(VALU_DEP_1) | instskip(NEXT) | instid1(VALU_DEP_1)
	v_fmac_f32_e32 v112, v109, v93
	v_fmac_f32_e32 v112, v110, v94
	s_delay_alu instid0(VALU_DEP_1) | instskip(SKIP_1) | instid1(VALU_DEP_1)
	v_fmac_f32_e32 v112, v111, v95
	s_waitcnt vmcnt(0)
	v_fmac_f32_e32 v112, v120, v96
	s_waitcnt lgkmcnt(0)
	s_delay_alu instid0(VALU_DEP_1) | instskip(NEXT) | instid1(VALU_DEP_1)
	v_fmac_f32_e32 v112, v121, v2
	v_fmac_f32_e32 v112, v122, v3
	s_delay_alu instid0(VALU_DEP_1)
	v_sub_f32_e32 v2, v92, v112
	scratch_store_b32 off, v2, off offset:84
	v_cmpx_lt_u32_e32 20, v0
	s_cbranch_execz .LBB43_231
; %bb.230:
	scratch_load_b32 v2, off, off offset:80
	v_mov_b32_e32 v3, 0
	scratch_store_b32 off, v3, off offset:80
	s_waitcnt vmcnt(0)
	ds_store_b32 v1, v2
.LBB43_231:
	s_or_b32 exec_lo, exec_lo, s0
	s_waitcnt lgkmcnt(0)
	s_waitcnt_vscnt null, 0x0
	s_barrier
	buffer_gl0_inv
	s_clause 0x5
	scratch_load_b128 v[92:95], off, off offset:80
	scratch_load_b128 v[96:99], off, off offset:96
	;; [unrolled: 1-line block ×6, first 2 shown]
	v_mov_b32_e32 v2, 0
	ds_load_2addr_b32 v[116:117], v2 offset0:65 offset1:66
	ds_load_2addr_b32 v[118:119], v2 offset0:67 offset1:68
	;; [unrolled: 1-line block ×4, first 2 shown]
	s_mov_b32 s0, exec_lo
	s_waitcnt vmcnt(5) lgkmcnt(3)
	v_fma_f32 v3, v93, v116, 0
	s_delay_alu instid0(VALU_DEP_1) | instskip(SKIP_4) | instid1(VALU_DEP_1)
	v_fmac_f32_e32 v3, v94, v117
	ds_load_2addr_b32 v[93:94], v2 offset0:73 offset1:74
	s_waitcnt lgkmcnt(3)
	v_fmac_f32_e32 v3, v95, v118
	s_waitcnt vmcnt(4)
	v_fmac_f32_e32 v3, v96, v119
	ds_load_2addr_b32 v[95:96], v2 offset0:75 offset1:76
	s_waitcnt lgkmcnt(3)
	v_fmac_f32_e32 v3, v97, v120
	s_delay_alu instid0(VALU_DEP_1) | instskip(SKIP_1) | instid1(VALU_DEP_1)
	v_fmac_f32_e32 v3, v98, v121
	s_waitcnt lgkmcnt(2)
	v_fmac_f32_e32 v3, v99, v122
	s_waitcnt vmcnt(3)
	s_delay_alu instid0(VALU_DEP_1) | instskip(SKIP_4) | instid1(VALU_DEP_1)
	v_fmac_f32_e32 v3, v100, v123
	ds_load_2addr_b32 v[97:98], v2 offset0:77 offset1:78
	ds_load_2addr_b32 v[99:100], v2 offset0:79 offset1:80
	s_waitcnt lgkmcnt(3)
	v_fmac_f32_e32 v3, v101, v93
	v_fmac_f32_e32 v3, v102, v94
	ds_load_2addr_b32 v[93:94], v2 offset0:81 offset1:82
	s_waitcnt lgkmcnt(3)
	v_fmac_f32_e32 v3, v103, v95
	s_waitcnt vmcnt(2)
	s_delay_alu instid0(VALU_DEP_1) | instskip(SKIP_3) | instid1(VALU_DEP_1)
	v_fmac_f32_e32 v3, v104, v96
	ds_load_2addr_b32 v[95:96], v2 offset0:83 offset1:84
	s_waitcnt lgkmcnt(3)
	v_fmac_f32_e32 v3, v105, v97
	v_fmac_f32_e32 v3, v106, v98
	s_waitcnt lgkmcnt(2)
	s_delay_alu instid0(VALU_DEP_1)
	v_fmac_f32_e32 v3, v107, v99
	ds_load_2addr_b32 v[97:98], v2 offset0:85 offset1:86
	ds_load_b32 v99, v2 offset:348
	s_waitcnt vmcnt(1)
	v_fmac_f32_e32 v3, v108, v100
	s_waitcnt lgkmcnt(3)
	s_delay_alu instid0(VALU_DEP_1) | instskip(NEXT) | instid1(VALU_DEP_1)
	v_fmac_f32_e32 v3, v109, v93
	v_fmac_f32_e32 v3, v110, v94
	s_waitcnt lgkmcnt(2)
	s_delay_alu instid0(VALU_DEP_1) | instskip(SKIP_1) | instid1(VALU_DEP_1)
	v_fmac_f32_e32 v3, v111, v95
	s_waitcnt vmcnt(0)
	v_fmac_f32_e32 v3, v112, v96
	s_waitcnt lgkmcnt(1)
	s_delay_alu instid0(VALU_DEP_1) | instskip(NEXT) | instid1(VALU_DEP_1)
	v_fmac_f32_e32 v3, v113, v97
	v_fmac_f32_e32 v3, v114, v98
	s_waitcnt lgkmcnt(0)
	s_delay_alu instid0(VALU_DEP_1) | instskip(NEXT) | instid1(VALU_DEP_1)
	v_fmac_f32_e32 v3, v115, v99
	v_sub_f32_e32 v3, v92, v3
	scratch_store_b32 off, v3, off offset:80
	v_cmpx_lt_u32_e32 19, v0
	s_cbranch_execz .LBB43_233
; %bb.232:
	scratch_load_b32 v3, off, off offset:76
	scratch_store_b32 off, v2, off offset:76
	s_waitcnt vmcnt(0)
	ds_store_b32 v1, v3
.LBB43_233:
	s_or_b32 exec_lo, exec_lo, s0
	s_waitcnt lgkmcnt(0)
	s_waitcnt_vscnt null, 0x0
	s_barrier
	buffer_gl0_inv
	s_clause 0x6
	scratch_load_b128 v[92:95], off, off offset:76
	scratch_load_b128 v[96:99], off, off offset:92
	;; [unrolled: 1-line block ×6, first 2 shown]
	scratch_load_b32 v3, off, off offset:172
	ds_load_b128 v[116:119], v2 offset:256
	ds_load_b128 v[120:123], v2 offset:272
	s_mov_b32 s0, exec_lo
	s_waitcnt vmcnt(6) lgkmcnt(1)
	v_fma_f32 v116, v93, v116, 0
	s_delay_alu instid0(VALU_DEP_1) | instskip(NEXT) | instid1(VALU_DEP_1)
	v_fmac_f32_e32 v116, v94, v117
	v_fmac_f32_e32 v116, v95, v118
	s_waitcnt vmcnt(5)
	s_delay_alu instid0(VALU_DEP_1) | instskip(SKIP_3) | instid1(VALU_DEP_1)
	v_fmac_f32_e32 v116, v96, v119
	ds_load_b128 v[93:96], v2 offset:288
	s_waitcnt lgkmcnt(1)
	v_fmac_f32_e32 v116, v97, v120
	v_fmac_f32_e32 v116, v98, v121
	s_delay_alu instid0(VALU_DEP_1) | instskip(SKIP_1) | instid1(VALU_DEP_1)
	v_fmac_f32_e32 v116, v99, v122
	s_waitcnt vmcnt(4)
	v_fmac_f32_e32 v116, v100, v123
	ds_load_b128 v[97:100], v2 offset:304
	s_waitcnt lgkmcnt(1)
	v_fmac_f32_e32 v116, v101, v93
	s_delay_alu instid0(VALU_DEP_1) | instskip(NEXT) | instid1(VALU_DEP_1)
	v_fmac_f32_e32 v116, v102, v94
	v_fmac_f32_e32 v116, v103, v95
	s_waitcnt vmcnt(3)
	s_delay_alu instid0(VALU_DEP_1) | instskip(SKIP_3) | instid1(VALU_DEP_1)
	v_fmac_f32_e32 v116, v104, v96
	ds_load_b128 v[93:96], v2 offset:320
	s_waitcnt lgkmcnt(1)
	v_fmac_f32_e32 v116, v105, v97
	v_fmac_f32_e32 v116, v106, v98
	s_delay_alu instid0(VALU_DEP_1) | instskip(SKIP_1) | instid1(VALU_DEP_1)
	v_fmac_f32_e32 v116, v107, v99
	s_waitcnt vmcnt(2)
	v_fmac_f32_e32 v116, v108, v100
	ds_load_b128 v[97:100], v2 offset:336
	s_waitcnt lgkmcnt(1)
	v_fmac_f32_e32 v116, v109, v93
	s_delay_alu instid0(VALU_DEP_1) | instskip(NEXT) | instid1(VALU_DEP_1)
	v_fmac_f32_e32 v116, v110, v94
	v_fmac_f32_e32 v116, v111, v95
	s_waitcnt vmcnt(1)
	s_delay_alu instid0(VALU_DEP_1) | instskip(SKIP_1) | instid1(VALU_DEP_1)
	v_fmac_f32_e32 v116, v112, v96
	s_waitcnt lgkmcnt(0)
	v_fmac_f32_e32 v116, v113, v97
	s_delay_alu instid0(VALU_DEP_1) | instskip(NEXT) | instid1(VALU_DEP_1)
	v_fmac_f32_e32 v116, v114, v98
	v_fmac_f32_e32 v116, v115, v99
	s_waitcnt vmcnt(0)
	s_delay_alu instid0(VALU_DEP_1) | instskip(NEXT) | instid1(VALU_DEP_1)
	v_fmac_f32_e32 v116, v3, v100
	v_sub_f32_e32 v2, v92, v116
	scratch_store_b32 off, v2, off offset:76
	v_cmpx_lt_u32_e32 18, v0
	s_cbranch_execz .LBB43_235
; %bb.234:
	scratch_load_b32 v2, off, off offset:72
	v_mov_b32_e32 v3, 0
	scratch_store_b32 off, v3, off offset:72
	s_waitcnt vmcnt(0)
	ds_store_b32 v1, v2
.LBB43_235:
	s_or_b32 exec_lo, exec_lo, s0
	s_waitcnt lgkmcnt(0)
	s_waitcnt_vscnt null, 0x0
	s_barrier
	buffer_gl0_inv
	s_clause 0x6
	scratch_load_b128 v[92:95], off, off offset:72
	scratch_load_b128 v[96:99], off, off offset:88
	;; [unrolled: 1-line block ×6, first 2 shown]
	scratch_load_b64 v[116:117], off, off offset:168
	v_mov_b32_e32 v2, 0
	ds_load_2addr_b32 v[118:119], v2 offset0:63 offset1:64
	ds_load_2addr_b32 v[120:121], v2 offset0:65 offset1:66
	;; [unrolled: 1-line block ×4, first 2 shown]
	s_mov_b32 s0, exec_lo
	s_waitcnt vmcnt(6) lgkmcnt(3)
	v_fma_f32 v3, v93, v118, 0
	s_delay_alu instid0(VALU_DEP_1) | instskip(SKIP_4) | instid1(VALU_DEP_1)
	v_fmac_f32_e32 v3, v94, v119
	ds_load_2addr_b32 v[93:94], v2 offset0:71 offset1:72
	s_waitcnt lgkmcnt(3)
	v_fmac_f32_e32 v3, v95, v120
	s_waitcnt vmcnt(5)
	v_fmac_f32_e32 v3, v96, v121
	ds_load_2addr_b32 v[95:96], v2 offset0:73 offset1:74
	s_waitcnt lgkmcnt(3)
	v_fmac_f32_e32 v3, v97, v122
	s_delay_alu instid0(VALU_DEP_1) | instskip(SKIP_1) | instid1(VALU_DEP_1)
	v_fmac_f32_e32 v3, v98, v123
	s_waitcnt lgkmcnt(2)
	v_fmac_f32_e32 v3, v99, v124
	s_waitcnt vmcnt(4)
	s_delay_alu instid0(VALU_DEP_1) | instskip(SKIP_4) | instid1(VALU_DEP_1)
	v_fmac_f32_e32 v3, v100, v125
	ds_load_2addr_b32 v[97:98], v2 offset0:75 offset1:76
	ds_load_2addr_b32 v[99:100], v2 offset0:77 offset1:78
	s_waitcnt lgkmcnt(3)
	v_fmac_f32_e32 v3, v101, v93
	v_fmac_f32_e32 v3, v102, v94
	ds_load_2addr_b32 v[93:94], v2 offset0:79 offset1:80
	s_waitcnt lgkmcnt(3)
	v_fmac_f32_e32 v3, v103, v95
	s_waitcnt vmcnt(3)
	s_delay_alu instid0(VALU_DEP_1) | instskip(SKIP_3) | instid1(VALU_DEP_1)
	v_fmac_f32_e32 v3, v104, v96
	ds_load_2addr_b32 v[95:96], v2 offset0:81 offset1:82
	s_waitcnt lgkmcnt(3)
	v_fmac_f32_e32 v3, v105, v97
	v_fmac_f32_e32 v3, v106, v98
	s_waitcnt lgkmcnt(2)
	s_delay_alu instid0(VALU_DEP_1) | instskip(SKIP_1) | instid1(VALU_DEP_1)
	v_fmac_f32_e32 v3, v107, v99
	s_waitcnt vmcnt(2)
	v_fmac_f32_e32 v3, v108, v100
	ds_load_2addr_b32 v[97:98], v2 offset0:83 offset1:84
	ds_load_2addr_b32 v[99:100], v2 offset0:85 offset1:86
	s_waitcnt lgkmcnt(3)
	v_fmac_f32_e32 v3, v109, v93
	ds_load_b32 v93, v2 offset:348
	v_fmac_f32_e32 v3, v110, v94
	s_waitcnt lgkmcnt(3)
	s_delay_alu instid0(VALU_DEP_1) | instskip(SKIP_1) | instid1(VALU_DEP_1)
	v_fmac_f32_e32 v3, v111, v95
	s_waitcnt vmcnt(1)
	v_fmac_f32_e32 v3, v112, v96
	s_waitcnt lgkmcnt(2)
	s_delay_alu instid0(VALU_DEP_1) | instskip(NEXT) | instid1(VALU_DEP_1)
	v_fmac_f32_e32 v3, v113, v97
	v_fmac_f32_e32 v3, v114, v98
	s_waitcnt lgkmcnt(1)
	s_delay_alu instid0(VALU_DEP_1) | instskip(SKIP_1) | instid1(VALU_DEP_1)
	v_fmac_f32_e32 v3, v115, v99
	s_waitcnt vmcnt(0)
	v_fmac_f32_e32 v3, v116, v100
	s_waitcnt lgkmcnt(0)
	s_delay_alu instid0(VALU_DEP_1) | instskip(NEXT) | instid1(VALU_DEP_1)
	v_fmac_f32_e32 v3, v117, v93
	v_sub_f32_e32 v3, v92, v3
	scratch_store_b32 off, v3, off offset:72
	v_cmpx_lt_u32_e32 17, v0
	s_cbranch_execz .LBB43_237
; %bb.236:
	scratch_load_b32 v3, off, off offset:68
	scratch_store_b32 off, v2, off offset:68
	s_waitcnt vmcnt(0)
	ds_store_b32 v1, v3
.LBB43_237:
	s_or_b32 exec_lo, exec_lo, s0
	s_waitcnt lgkmcnt(0)
	s_waitcnt_vscnt null, 0x0
	s_barrier
	buffer_gl0_inv
	s_clause 0x6
	scratch_load_b128 v[92:95], off, off offset:68
	scratch_load_b128 v[96:99], off, off offset:84
	;; [unrolled: 1-line block ×6, first 2 shown]
	scratch_load_b96 v[124:126], off, off offset:164
	ds_load_2addr_b64 v[116:119], v2 offset0:31 offset1:32
	ds_load_2addr_b64 v[120:123], v2 offset0:33 offset1:34
	s_mov_b32 s0, exec_lo
	s_waitcnt vmcnt(6) lgkmcnt(1)
	v_fma_f32 v116, v93, v116, 0
	s_delay_alu instid0(VALU_DEP_1) | instskip(NEXT) | instid1(VALU_DEP_1)
	v_fmac_f32_e32 v116, v94, v117
	v_fmac_f32_e32 v116, v95, v118
	s_waitcnt vmcnt(5)
	s_delay_alu instid0(VALU_DEP_1) | instskip(SKIP_3) | instid1(VALU_DEP_1)
	v_fmac_f32_e32 v116, v96, v119
	ds_load_2addr_b64 v[93:96], v2 offset0:35 offset1:36
	s_waitcnt lgkmcnt(1)
	v_fmac_f32_e32 v116, v97, v120
	v_fmac_f32_e32 v116, v98, v121
	s_delay_alu instid0(VALU_DEP_1) | instskip(SKIP_1) | instid1(VALU_DEP_1)
	v_fmac_f32_e32 v116, v99, v122
	s_waitcnt vmcnt(4)
	v_fmac_f32_e32 v116, v100, v123
	ds_load_2addr_b64 v[97:100], v2 offset0:37 offset1:38
	s_waitcnt lgkmcnt(1)
	v_fmac_f32_e32 v116, v101, v93
	s_delay_alu instid0(VALU_DEP_1) | instskip(NEXT) | instid1(VALU_DEP_1)
	v_fmac_f32_e32 v116, v102, v94
	v_fmac_f32_e32 v116, v103, v95
	s_waitcnt vmcnt(3)
	s_delay_alu instid0(VALU_DEP_1) | instskip(SKIP_3) | instid1(VALU_DEP_1)
	v_fmac_f32_e32 v116, v104, v96
	ds_load_2addr_b64 v[93:96], v2 offset0:39 offset1:40
	s_waitcnt lgkmcnt(1)
	v_fmac_f32_e32 v116, v105, v97
	v_fmac_f32_e32 v116, v106, v98
	s_delay_alu instid0(VALU_DEP_1) | instskip(SKIP_1) | instid1(VALU_DEP_1)
	v_fmac_f32_e32 v116, v107, v99
	s_waitcnt vmcnt(2)
	v_fmac_f32_e32 v116, v108, v100
	ds_load_2addr_b64 v[97:100], v2 offset0:41 offset1:42
	ds_load_b64 v[2:3], v2 offset:344
	s_waitcnt lgkmcnt(2)
	v_fmac_f32_e32 v116, v109, v93
	s_delay_alu instid0(VALU_DEP_1) | instskip(NEXT) | instid1(VALU_DEP_1)
	v_fmac_f32_e32 v116, v110, v94
	v_fmac_f32_e32 v116, v111, v95
	s_waitcnt vmcnt(1)
	s_delay_alu instid0(VALU_DEP_1) | instskip(SKIP_1) | instid1(VALU_DEP_1)
	v_fmac_f32_e32 v116, v112, v96
	s_waitcnt lgkmcnt(1)
	v_fmac_f32_e32 v116, v113, v97
	s_delay_alu instid0(VALU_DEP_1) | instskip(NEXT) | instid1(VALU_DEP_1)
	v_fmac_f32_e32 v116, v114, v98
	v_fmac_f32_e32 v116, v115, v99
	s_waitcnt vmcnt(0)
	s_delay_alu instid0(VALU_DEP_1) | instskip(SKIP_1) | instid1(VALU_DEP_1)
	v_fmac_f32_e32 v116, v124, v100
	s_waitcnt lgkmcnt(0)
	v_fmac_f32_e32 v116, v125, v2
	s_delay_alu instid0(VALU_DEP_1) | instskip(NEXT) | instid1(VALU_DEP_1)
	v_fmac_f32_e32 v116, v126, v3
	v_sub_f32_e32 v2, v92, v116
	scratch_store_b32 off, v2, off offset:68
	v_cmpx_lt_u32_e32 16, v0
	s_cbranch_execz .LBB43_239
; %bb.238:
	scratch_load_b32 v2, off, off offset:64
	v_mov_b32_e32 v3, 0
	scratch_store_b32 off, v3, off offset:64
	s_waitcnt vmcnt(0)
	ds_store_b32 v1, v2
.LBB43_239:
	s_or_b32 exec_lo, exec_lo, s0
	s_waitcnt lgkmcnt(0)
	s_waitcnt_vscnt null, 0x0
	s_barrier
	buffer_gl0_inv
	s_clause 0x6
	scratch_load_b128 v[92:95], off, off offset:64
	scratch_load_b128 v[96:99], off, off offset:80
	;; [unrolled: 1-line block ×7, first 2 shown]
	v_mov_b32_e32 v2, 0
	ds_load_2addr_b32 v[120:121], v2 offset0:61 offset1:62
	ds_load_2addr_b32 v[122:123], v2 offset0:63 offset1:64
	;; [unrolled: 1-line block ×4, first 2 shown]
	s_mov_b32 s0, exec_lo
	s_waitcnt vmcnt(6) lgkmcnt(3)
	v_fma_f32 v3, v93, v120, 0
	s_delay_alu instid0(VALU_DEP_1) | instskip(SKIP_4) | instid1(VALU_DEP_1)
	v_fmac_f32_e32 v3, v94, v121
	ds_load_2addr_b32 v[93:94], v2 offset0:69 offset1:70
	s_waitcnt lgkmcnt(3)
	v_fmac_f32_e32 v3, v95, v122
	s_waitcnt vmcnt(5)
	v_fmac_f32_e32 v3, v96, v123
	ds_load_2addr_b32 v[95:96], v2 offset0:71 offset1:72
	s_waitcnt lgkmcnt(3)
	v_fmac_f32_e32 v3, v97, v124
	s_delay_alu instid0(VALU_DEP_1) | instskip(SKIP_1) | instid1(VALU_DEP_1)
	v_fmac_f32_e32 v3, v98, v125
	s_waitcnt lgkmcnt(2)
	v_fmac_f32_e32 v3, v99, v126
	s_waitcnt vmcnt(4)
	s_delay_alu instid0(VALU_DEP_1) | instskip(SKIP_4) | instid1(VALU_DEP_1)
	v_fmac_f32_e32 v3, v100, v127
	ds_load_2addr_b32 v[97:98], v2 offset0:73 offset1:74
	ds_load_2addr_b32 v[99:100], v2 offset0:75 offset1:76
	s_waitcnt lgkmcnt(3)
	v_fmac_f32_e32 v3, v101, v93
	v_fmac_f32_e32 v3, v102, v94
	ds_load_2addr_b32 v[93:94], v2 offset0:77 offset1:78
	s_waitcnt lgkmcnt(3)
	v_fmac_f32_e32 v3, v103, v95
	s_waitcnt vmcnt(3)
	s_delay_alu instid0(VALU_DEP_1) | instskip(SKIP_3) | instid1(VALU_DEP_1)
	v_fmac_f32_e32 v3, v104, v96
	ds_load_2addr_b32 v[95:96], v2 offset0:79 offset1:80
	s_waitcnt lgkmcnt(3)
	v_fmac_f32_e32 v3, v105, v97
	v_fmac_f32_e32 v3, v106, v98
	s_waitcnt lgkmcnt(2)
	s_delay_alu instid0(VALU_DEP_1) | instskip(SKIP_1) | instid1(VALU_DEP_1)
	v_fmac_f32_e32 v3, v107, v99
	s_waitcnt vmcnt(2)
	v_fmac_f32_e32 v3, v108, v100
	ds_load_2addr_b32 v[97:98], v2 offset0:81 offset1:82
	ds_load_2addr_b32 v[99:100], v2 offset0:83 offset1:84
	s_waitcnt lgkmcnt(3)
	v_fmac_f32_e32 v3, v109, v93
	s_delay_alu instid0(VALU_DEP_1)
	v_fmac_f32_e32 v3, v110, v94
	ds_load_2addr_b32 v[93:94], v2 offset0:85 offset1:86
	s_waitcnt lgkmcnt(3)
	v_fmac_f32_e32 v3, v111, v95
	ds_load_b32 v95, v2 offset:348
	s_waitcnt vmcnt(1)
	v_fmac_f32_e32 v3, v112, v96
	s_waitcnt lgkmcnt(3)
	s_delay_alu instid0(VALU_DEP_1) | instskip(NEXT) | instid1(VALU_DEP_1)
	v_fmac_f32_e32 v3, v113, v97
	v_fmac_f32_e32 v3, v114, v98
	s_waitcnt lgkmcnt(2)
	s_delay_alu instid0(VALU_DEP_1) | instskip(SKIP_1) | instid1(VALU_DEP_1)
	v_fmac_f32_e32 v3, v115, v99
	s_waitcnt vmcnt(0)
	v_fmac_f32_e32 v3, v116, v100
	s_waitcnt lgkmcnt(1)
	s_delay_alu instid0(VALU_DEP_1) | instskip(NEXT) | instid1(VALU_DEP_1)
	v_fmac_f32_e32 v3, v117, v93
	v_fmac_f32_e32 v3, v118, v94
	s_waitcnt lgkmcnt(0)
	s_delay_alu instid0(VALU_DEP_1) | instskip(NEXT) | instid1(VALU_DEP_1)
	v_fmac_f32_e32 v3, v119, v95
	v_sub_f32_e32 v3, v92, v3
	scratch_store_b32 off, v3, off offset:64
	v_cmpx_lt_u32_e32 15, v0
	s_cbranch_execz .LBB43_241
; %bb.240:
	scratch_load_b32 v3, off, off offset:60
	scratch_store_b32 off, v2, off offset:60
	s_waitcnt vmcnt(0)
	ds_store_b32 v1, v3
.LBB43_241:
	s_or_b32 exec_lo, exec_lo, s0
	s_waitcnt lgkmcnt(0)
	s_waitcnt_vscnt null, 0x0
	s_barrier
	buffer_gl0_inv
	s_clause 0x7
	scratch_load_b128 v[92:95], off, off offset:60
	scratch_load_b128 v[96:99], off, off offset:76
	;; [unrolled: 1-line block ×7, first 2 shown]
	scratch_load_b32 v3, off, off offset:172
	ds_load_b128 v[120:123], v2 offset:240
	ds_load_b128 v[124:127], v2 offset:256
	s_mov_b32 s0, exec_lo
	s_waitcnt vmcnt(7) lgkmcnt(1)
	v_fma_f32 v120, v93, v120, 0
	s_delay_alu instid0(VALU_DEP_1) | instskip(NEXT) | instid1(VALU_DEP_1)
	v_fmac_f32_e32 v120, v94, v121
	v_fmac_f32_e32 v120, v95, v122
	s_waitcnt vmcnt(6)
	s_delay_alu instid0(VALU_DEP_1) | instskip(SKIP_3) | instid1(VALU_DEP_1)
	v_fmac_f32_e32 v120, v96, v123
	ds_load_b128 v[93:96], v2 offset:272
	s_waitcnt lgkmcnt(1)
	v_fmac_f32_e32 v120, v97, v124
	v_fmac_f32_e32 v120, v98, v125
	s_delay_alu instid0(VALU_DEP_1) | instskip(SKIP_1) | instid1(VALU_DEP_1)
	v_fmac_f32_e32 v120, v99, v126
	s_waitcnt vmcnt(5)
	v_fmac_f32_e32 v120, v100, v127
	ds_load_b128 v[97:100], v2 offset:288
	s_waitcnt lgkmcnt(1)
	v_fmac_f32_e32 v120, v101, v93
	s_delay_alu instid0(VALU_DEP_1) | instskip(NEXT) | instid1(VALU_DEP_1)
	v_fmac_f32_e32 v120, v102, v94
	v_fmac_f32_e32 v120, v103, v95
	s_waitcnt vmcnt(4)
	s_delay_alu instid0(VALU_DEP_1) | instskip(SKIP_3) | instid1(VALU_DEP_1)
	v_fmac_f32_e32 v120, v104, v96
	ds_load_b128 v[93:96], v2 offset:304
	s_waitcnt lgkmcnt(1)
	v_fmac_f32_e32 v120, v105, v97
	v_fmac_f32_e32 v120, v106, v98
	s_delay_alu instid0(VALU_DEP_1) | instskip(SKIP_1) | instid1(VALU_DEP_1)
	v_fmac_f32_e32 v120, v107, v99
	s_waitcnt vmcnt(3)
	v_fmac_f32_e32 v120, v108, v100
	ds_load_b128 v[97:100], v2 offset:320
	s_waitcnt lgkmcnt(1)
	v_fmac_f32_e32 v120, v109, v93
	s_delay_alu instid0(VALU_DEP_1) | instskip(NEXT) | instid1(VALU_DEP_1)
	v_fmac_f32_e32 v120, v110, v94
	v_fmac_f32_e32 v120, v111, v95
	s_waitcnt vmcnt(2)
	s_delay_alu instid0(VALU_DEP_1) | instskip(SKIP_3) | instid1(VALU_DEP_1)
	v_fmac_f32_e32 v120, v112, v96
	ds_load_b128 v[93:96], v2 offset:336
	s_waitcnt lgkmcnt(1)
	v_fmac_f32_e32 v120, v113, v97
	v_fmac_f32_e32 v120, v114, v98
	s_delay_alu instid0(VALU_DEP_1) | instskip(SKIP_1) | instid1(VALU_DEP_1)
	v_fmac_f32_e32 v120, v115, v99
	s_waitcnt vmcnt(1)
	v_fmac_f32_e32 v120, v116, v100
	s_waitcnt lgkmcnt(0)
	s_delay_alu instid0(VALU_DEP_1) | instskip(NEXT) | instid1(VALU_DEP_1)
	v_fmac_f32_e32 v120, v117, v93
	v_fmac_f32_e32 v120, v118, v94
	s_delay_alu instid0(VALU_DEP_1) | instskip(SKIP_1) | instid1(VALU_DEP_1)
	v_fmac_f32_e32 v120, v119, v95
	s_waitcnt vmcnt(0)
	v_fmac_f32_e32 v120, v3, v96
	s_delay_alu instid0(VALU_DEP_1)
	v_sub_f32_e32 v2, v92, v120
	scratch_store_b32 off, v2, off offset:60
	v_cmpx_lt_u32_e32 14, v0
	s_cbranch_execz .LBB43_243
; %bb.242:
	scratch_load_b32 v2, off, off offset:56
	v_mov_b32_e32 v3, 0
	scratch_store_b32 off, v3, off offset:56
	s_waitcnt vmcnt(0)
	ds_store_b32 v1, v2
.LBB43_243:
	s_or_b32 exec_lo, exec_lo, s0
	s_waitcnt lgkmcnt(0)
	s_waitcnt_vscnt null, 0x0
	s_barrier
	buffer_gl0_inv
	s_clause 0x7
	scratch_load_b128 v[92:95], off, off offset:56
	scratch_load_b128 v[96:99], off, off offset:72
	scratch_load_b128 v[100:103], off, off offset:88
	scratch_load_b128 v[104:107], off, off offset:104
	scratch_load_b128 v[108:111], off, off offset:120
	scratch_load_b128 v[112:115], off, off offset:136
	scratch_load_b128 v[116:119], off, off offset:152
	scratch_load_b64 v[120:121], off, off offset:168
	v_mov_b32_e32 v2, 0
	ds_load_2addr_b32 v[122:123], v2 offset0:59 offset1:60
	ds_load_2addr_b32 v[124:125], v2 offset0:61 offset1:62
	ds_load_2addr_b32 v[126:127], v2 offset0:63 offset1:64
	ds_load_2addr_b32 v[128:129], v2 offset0:65 offset1:66
	s_mov_b32 s0, exec_lo
	s_waitcnt vmcnt(7) lgkmcnt(3)
	v_fma_f32 v3, v93, v122, 0
	s_delay_alu instid0(VALU_DEP_1) | instskip(SKIP_4) | instid1(VALU_DEP_1)
	v_fmac_f32_e32 v3, v94, v123
	ds_load_2addr_b32 v[93:94], v2 offset0:67 offset1:68
	s_waitcnt lgkmcnt(3)
	v_fmac_f32_e32 v3, v95, v124
	s_waitcnt vmcnt(6)
	v_fmac_f32_e32 v3, v96, v125
	ds_load_2addr_b32 v[95:96], v2 offset0:69 offset1:70
	s_waitcnt lgkmcnt(3)
	v_fmac_f32_e32 v3, v97, v126
	s_delay_alu instid0(VALU_DEP_1) | instskip(SKIP_1) | instid1(VALU_DEP_1)
	v_fmac_f32_e32 v3, v98, v127
	s_waitcnt lgkmcnt(2)
	v_fmac_f32_e32 v3, v99, v128
	s_waitcnt vmcnt(5)
	s_delay_alu instid0(VALU_DEP_1) | instskip(SKIP_4) | instid1(VALU_DEP_1)
	v_fmac_f32_e32 v3, v100, v129
	ds_load_2addr_b32 v[97:98], v2 offset0:71 offset1:72
	ds_load_2addr_b32 v[99:100], v2 offset0:73 offset1:74
	s_waitcnt lgkmcnt(3)
	v_fmac_f32_e32 v3, v101, v93
	v_fmac_f32_e32 v3, v102, v94
	ds_load_2addr_b32 v[93:94], v2 offset0:75 offset1:76
	s_waitcnt lgkmcnt(3)
	v_fmac_f32_e32 v3, v103, v95
	s_waitcnt vmcnt(4)
	s_delay_alu instid0(VALU_DEP_1) | instskip(SKIP_3) | instid1(VALU_DEP_1)
	v_fmac_f32_e32 v3, v104, v96
	ds_load_2addr_b32 v[95:96], v2 offset0:77 offset1:78
	s_waitcnt lgkmcnt(3)
	v_fmac_f32_e32 v3, v105, v97
	v_fmac_f32_e32 v3, v106, v98
	s_waitcnt lgkmcnt(2)
	s_delay_alu instid0(VALU_DEP_1) | instskip(SKIP_1) | instid1(VALU_DEP_1)
	v_fmac_f32_e32 v3, v107, v99
	s_waitcnt vmcnt(3)
	v_fmac_f32_e32 v3, v108, v100
	ds_load_2addr_b32 v[97:98], v2 offset0:79 offset1:80
	ds_load_2addr_b32 v[99:100], v2 offset0:81 offset1:82
	s_waitcnt lgkmcnt(3)
	v_fmac_f32_e32 v3, v109, v93
	s_delay_alu instid0(VALU_DEP_1) | instskip(SKIP_4) | instid1(VALU_DEP_1)
	v_fmac_f32_e32 v3, v110, v94
	ds_load_2addr_b32 v[93:94], v2 offset0:83 offset1:84
	s_waitcnt lgkmcnt(3)
	v_fmac_f32_e32 v3, v111, v95
	s_waitcnt vmcnt(2)
	v_fmac_f32_e32 v3, v112, v96
	ds_load_2addr_b32 v[95:96], v2 offset0:85 offset1:86
	s_waitcnt lgkmcnt(3)
	v_fmac_f32_e32 v3, v113, v97
	ds_load_b32 v97, v2 offset:348
	v_fmac_f32_e32 v3, v114, v98
	s_waitcnt lgkmcnt(3)
	s_delay_alu instid0(VALU_DEP_1) | instskip(SKIP_1) | instid1(VALU_DEP_1)
	v_fmac_f32_e32 v3, v115, v99
	s_waitcnt vmcnt(1)
	v_fmac_f32_e32 v3, v116, v100
	s_waitcnt lgkmcnt(2)
	s_delay_alu instid0(VALU_DEP_1) | instskip(NEXT) | instid1(VALU_DEP_1)
	v_fmac_f32_e32 v3, v117, v93
	v_fmac_f32_e32 v3, v118, v94
	s_waitcnt lgkmcnt(1)
	s_delay_alu instid0(VALU_DEP_1) | instskip(SKIP_1) | instid1(VALU_DEP_1)
	v_fmac_f32_e32 v3, v119, v95
	s_waitcnt vmcnt(0)
	v_fmac_f32_e32 v3, v120, v96
	s_waitcnt lgkmcnt(0)
	s_delay_alu instid0(VALU_DEP_1) | instskip(NEXT) | instid1(VALU_DEP_1)
	v_fmac_f32_e32 v3, v121, v97
	v_sub_f32_e32 v3, v92, v3
	scratch_store_b32 off, v3, off offset:56
	v_cmpx_lt_u32_e32 13, v0
	s_cbranch_execz .LBB43_245
; %bb.244:
	scratch_load_b32 v3, off, off offset:52
	scratch_store_b32 off, v2, off offset:52
	s_waitcnt vmcnt(0)
	ds_store_b32 v1, v3
.LBB43_245:
	s_or_b32 exec_lo, exec_lo, s0
	s_waitcnt lgkmcnt(0)
	s_waitcnt_vscnt null, 0x0
	s_barrier
	buffer_gl0_inv
	s_clause 0x7
	scratch_load_b128 v[92:95], off, off offset:52
	scratch_load_b128 v[96:99], off, off offset:68
	scratch_load_b128 v[100:103], off, off offset:84
	scratch_load_b128 v[104:107], off, off offset:100
	scratch_load_b128 v[108:111], off, off offset:116
	scratch_load_b128 v[112:115], off, off offset:132
	scratch_load_b128 v[116:119], off, off offset:148
	scratch_load_b96 v[128:130], off, off offset:164
	ds_load_2addr_b64 v[120:123], v2 offset0:29 offset1:30
	ds_load_2addr_b64 v[124:127], v2 offset0:31 offset1:32
	s_mov_b32 s0, exec_lo
	s_waitcnt vmcnt(7) lgkmcnt(1)
	v_fma_f32 v120, v93, v120, 0
	s_delay_alu instid0(VALU_DEP_1) | instskip(NEXT) | instid1(VALU_DEP_1)
	v_fmac_f32_e32 v120, v94, v121
	v_fmac_f32_e32 v120, v95, v122
	s_waitcnt vmcnt(6)
	s_delay_alu instid0(VALU_DEP_1) | instskip(SKIP_3) | instid1(VALU_DEP_1)
	v_fmac_f32_e32 v120, v96, v123
	ds_load_2addr_b64 v[93:96], v2 offset0:33 offset1:34
	s_waitcnt lgkmcnt(1)
	v_fmac_f32_e32 v120, v97, v124
	v_fmac_f32_e32 v120, v98, v125
	s_delay_alu instid0(VALU_DEP_1) | instskip(SKIP_1) | instid1(VALU_DEP_1)
	v_fmac_f32_e32 v120, v99, v126
	s_waitcnt vmcnt(5)
	v_fmac_f32_e32 v120, v100, v127
	ds_load_2addr_b64 v[97:100], v2 offset0:35 offset1:36
	s_waitcnt lgkmcnt(1)
	v_fmac_f32_e32 v120, v101, v93
	s_delay_alu instid0(VALU_DEP_1) | instskip(NEXT) | instid1(VALU_DEP_1)
	v_fmac_f32_e32 v120, v102, v94
	v_fmac_f32_e32 v120, v103, v95
	s_waitcnt vmcnt(4)
	s_delay_alu instid0(VALU_DEP_1) | instskip(SKIP_3) | instid1(VALU_DEP_1)
	v_fmac_f32_e32 v120, v104, v96
	ds_load_2addr_b64 v[93:96], v2 offset0:37 offset1:38
	s_waitcnt lgkmcnt(1)
	v_fmac_f32_e32 v120, v105, v97
	v_fmac_f32_e32 v120, v106, v98
	s_delay_alu instid0(VALU_DEP_1) | instskip(SKIP_1) | instid1(VALU_DEP_1)
	v_fmac_f32_e32 v120, v107, v99
	s_waitcnt vmcnt(3)
	v_fmac_f32_e32 v120, v108, v100
	ds_load_2addr_b64 v[97:100], v2 offset0:39 offset1:40
	s_waitcnt lgkmcnt(1)
	v_fmac_f32_e32 v120, v109, v93
	s_delay_alu instid0(VALU_DEP_1) | instskip(NEXT) | instid1(VALU_DEP_1)
	v_fmac_f32_e32 v120, v110, v94
	v_fmac_f32_e32 v120, v111, v95
	s_waitcnt vmcnt(2)
	s_delay_alu instid0(VALU_DEP_1) | instskip(SKIP_4) | instid1(VALU_DEP_1)
	v_fmac_f32_e32 v120, v112, v96
	ds_load_2addr_b64 v[93:96], v2 offset0:41 offset1:42
	ds_load_b64 v[2:3], v2 offset:344
	s_waitcnt lgkmcnt(2)
	v_fmac_f32_e32 v120, v113, v97
	v_fmac_f32_e32 v120, v114, v98
	s_delay_alu instid0(VALU_DEP_1) | instskip(SKIP_1) | instid1(VALU_DEP_1)
	v_fmac_f32_e32 v120, v115, v99
	s_waitcnt vmcnt(1)
	v_fmac_f32_e32 v120, v116, v100
	s_waitcnt lgkmcnt(1)
	s_delay_alu instid0(VALU_DEP_1) | instskip(NEXT) | instid1(VALU_DEP_1)
	v_fmac_f32_e32 v120, v117, v93
	v_fmac_f32_e32 v120, v118, v94
	s_delay_alu instid0(VALU_DEP_1) | instskip(SKIP_1) | instid1(VALU_DEP_1)
	v_fmac_f32_e32 v120, v119, v95
	s_waitcnt vmcnt(0)
	v_fmac_f32_e32 v120, v128, v96
	s_waitcnt lgkmcnt(0)
	s_delay_alu instid0(VALU_DEP_1) | instskip(NEXT) | instid1(VALU_DEP_1)
	v_fmac_f32_e32 v120, v129, v2
	v_fmac_f32_e32 v120, v130, v3
	s_delay_alu instid0(VALU_DEP_1)
	v_sub_f32_e32 v2, v92, v120
	scratch_store_b32 off, v2, off offset:52
	v_cmpx_lt_u32_e32 12, v0
	s_cbranch_execz .LBB43_247
; %bb.246:
	scratch_load_b32 v2, off, off offset:48
	v_mov_b32_e32 v3, 0
	scratch_store_b32 off, v3, off offset:48
	s_waitcnt vmcnt(0)
	ds_store_b32 v1, v2
.LBB43_247:
	s_or_b32 exec_lo, exec_lo, s0
	s_waitcnt lgkmcnt(0)
	s_waitcnt_vscnt null, 0x0
	s_barrier
	buffer_gl0_inv
	s_clause 0x7
	scratch_load_b128 v[92:95], off, off offset:48
	scratch_load_b128 v[96:99], off, off offset:64
	;; [unrolled: 1-line block ×8, first 2 shown]
	v_mov_b32_e32 v2, 0
	ds_load_2addr_b32 v[124:125], v2 offset0:57 offset1:58
	ds_load_2addr_b32 v[126:127], v2 offset0:59 offset1:60
	;; [unrolled: 1-line block ×4, first 2 shown]
	s_mov_b32 s0, exec_lo
	s_waitcnt vmcnt(7) lgkmcnt(3)
	v_fma_f32 v3, v93, v124, 0
	s_delay_alu instid0(VALU_DEP_1) | instskip(SKIP_4) | instid1(VALU_DEP_1)
	v_fmac_f32_e32 v3, v94, v125
	ds_load_2addr_b32 v[93:94], v2 offset0:65 offset1:66
	s_waitcnt lgkmcnt(3)
	v_fmac_f32_e32 v3, v95, v126
	s_waitcnt vmcnt(6)
	v_fmac_f32_e32 v3, v96, v127
	ds_load_2addr_b32 v[95:96], v2 offset0:67 offset1:68
	s_waitcnt lgkmcnt(3)
	v_fmac_f32_e32 v3, v97, v128
	s_delay_alu instid0(VALU_DEP_1) | instskip(SKIP_1) | instid1(VALU_DEP_1)
	v_fmac_f32_e32 v3, v98, v129
	s_waitcnt lgkmcnt(2)
	v_fmac_f32_e32 v3, v99, v130
	s_waitcnt vmcnt(5)
	s_delay_alu instid0(VALU_DEP_1) | instskip(SKIP_4) | instid1(VALU_DEP_1)
	v_fmac_f32_e32 v3, v100, v131
	ds_load_2addr_b32 v[97:98], v2 offset0:69 offset1:70
	ds_load_2addr_b32 v[99:100], v2 offset0:71 offset1:72
	s_waitcnt lgkmcnt(3)
	v_fmac_f32_e32 v3, v101, v93
	v_fmac_f32_e32 v3, v102, v94
	ds_load_2addr_b32 v[93:94], v2 offset0:73 offset1:74
	s_waitcnt lgkmcnt(3)
	v_fmac_f32_e32 v3, v103, v95
	s_waitcnt vmcnt(4)
	s_delay_alu instid0(VALU_DEP_1) | instskip(SKIP_3) | instid1(VALU_DEP_1)
	v_fmac_f32_e32 v3, v104, v96
	ds_load_2addr_b32 v[95:96], v2 offset0:75 offset1:76
	s_waitcnt lgkmcnt(3)
	v_fmac_f32_e32 v3, v105, v97
	v_fmac_f32_e32 v3, v106, v98
	s_waitcnt lgkmcnt(2)
	s_delay_alu instid0(VALU_DEP_1) | instskip(SKIP_1) | instid1(VALU_DEP_1)
	v_fmac_f32_e32 v3, v107, v99
	s_waitcnt vmcnt(3)
	v_fmac_f32_e32 v3, v108, v100
	ds_load_2addr_b32 v[97:98], v2 offset0:77 offset1:78
	ds_load_2addr_b32 v[99:100], v2 offset0:79 offset1:80
	s_waitcnt lgkmcnt(3)
	v_fmac_f32_e32 v3, v109, v93
	s_delay_alu instid0(VALU_DEP_1) | instskip(SKIP_4) | instid1(VALU_DEP_1)
	v_fmac_f32_e32 v3, v110, v94
	ds_load_2addr_b32 v[93:94], v2 offset0:81 offset1:82
	s_waitcnt lgkmcnt(3)
	v_fmac_f32_e32 v3, v111, v95
	s_waitcnt vmcnt(2)
	v_fmac_f32_e32 v3, v112, v96
	ds_load_2addr_b32 v[95:96], v2 offset0:83 offset1:84
	s_waitcnt lgkmcnt(3)
	v_fmac_f32_e32 v3, v113, v97
	s_delay_alu instid0(VALU_DEP_1) | instskip(SKIP_1) | instid1(VALU_DEP_1)
	v_fmac_f32_e32 v3, v114, v98
	s_waitcnt lgkmcnt(2)
	v_fmac_f32_e32 v3, v115, v99
	ds_load_2addr_b32 v[97:98], v2 offset0:85 offset1:86
	ds_load_b32 v99, v2 offset:348
	s_waitcnt vmcnt(1)
	v_fmac_f32_e32 v3, v116, v100
	s_waitcnt lgkmcnt(3)
	s_delay_alu instid0(VALU_DEP_1) | instskip(NEXT) | instid1(VALU_DEP_1)
	v_fmac_f32_e32 v3, v117, v93
	v_fmac_f32_e32 v3, v118, v94
	s_waitcnt lgkmcnt(2)
	s_delay_alu instid0(VALU_DEP_1) | instskip(SKIP_1) | instid1(VALU_DEP_1)
	v_fmac_f32_e32 v3, v119, v95
	s_waitcnt vmcnt(0)
	v_fmac_f32_e32 v3, v120, v96
	s_waitcnt lgkmcnt(1)
	s_delay_alu instid0(VALU_DEP_1) | instskip(NEXT) | instid1(VALU_DEP_1)
	v_fmac_f32_e32 v3, v121, v97
	v_fmac_f32_e32 v3, v122, v98
	s_waitcnt lgkmcnt(0)
	s_delay_alu instid0(VALU_DEP_1) | instskip(NEXT) | instid1(VALU_DEP_1)
	v_fmac_f32_e32 v3, v123, v99
	v_sub_f32_e32 v3, v92, v3
	scratch_store_b32 off, v3, off offset:48
	v_cmpx_lt_u32_e32 11, v0
	s_cbranch_execz .LBB43_249
; %bb.248:
	scratch_load_b32 v3, off, off offset:44
	scratch_store_b32 off, v2, off offset:44
	s_waitcnt vmcnt(0)
	ds_store_b32 v1, v3
.LBB43_249:
	s_or_b32 exec_lo, exec_lo, s0
	s_waitcnt lgkmcnt(0)
	s_waitcnt_vscnt null, 0x0
	s_barrier
	buffer_gl0_inv
	s_clause 0x8
	scratch_load_b128 v[92:95], off, off offset:44
	scratch_load_b128 v[96:99], off, off offset:60
	;; [unrolled: 1-line block ×8, first 2 shown]
	scratch_load_b32 v3, off, off offset:172
	ds_load_b128 v[124:127], v2 offset:224
	ds_load_b128 v[128:131], v2 offset:240
	s_mov_b32 s0, exec_lo
	s_waitcnt vmcnt(8) lgkmcnt(1)
	v_fma_f32 v124, v93, v124, 0
	s_delay_alu instid0(VALU_DEP_1) | instskip(NEXT) | instid1(VALU_DEP_1)
	v_fmac_f32_e32 v124, v94, v125
	v_fmac_f32_e32 v124, v95, v126
	s_waitcnt vmcnt(7)
	s_delay_alu instid0(VALU_DEP_1) | instskip(SKIP_3) | instid1(VALU_DEP_1)
	v_fmac_f32_e32 v124, v96, v127
	ds_load_b128 v[93:96], v2 offset:256
	s_waitcnt lgkmcnt(1)
	v_fmac_f32_e32 v124, v97, v128
	v_fmac_f32_e32 v124, v98, v129
	s_delay_alu instid0(VALU_DEP_1) | instskip(SKIP_1) | instid1(VALU_DEP_1)
	v_fmac_f32_e32 v124, v99, v130
	s_waitcnt vmcnt(6)
	v_fmac_f32_e32 v124, v100, v131
	ds_load_b128 v[97:100], v2 offset:272
	s_waitcnt lgkmcnt(1)
	v_fmac_f32_e32 v124, v101, v93
	s_delay_alu instid0(VALU_DEP_1) | instskip(NEXT) | instid1(VALU_DEP_1)
	v_fmac_f32_e32 v124, v102, v94
	v_fmac_f32_e32 v124, v103, v95
	s_waitcnt vmcnt(5)
	s_delay_alu instid0(VALU_DEP_1) | instskip(SKIP_3) | instid1(VALU_DEP_1)
	v_fmac_f32_e32 v124, v104, v96
	ds_load_b128 v[93:96], v2 offset:288
	s_waitcnt lgkmcnt(1)
	v_fmac_f32_e32 v124, v105, v97
	v_fmac_f32_e32 v124, v106, v98
	s_delay_alu instid0(VALU_DEP_1) | instskip(SKIP_1) | instid1(VALU_DEP_1)
	v_fmac_f32_e32 v124, v107, v99
	s_waitcnt vmcnt(4)
	v_fmac_f32_e32 v124, v108, v100
	ds_load_b128 v[97:100], v2 offset:304
	s_waitcnt lgkmcnt(1)
	v_fmac_f32_e32 v124, v109, v93
	;; [unrolled: 17-line block ×3, first 2 shown]
	s_delay_alu instid0(VALU_DEP_1) | instskip(NEXT) | instid1(VALU_DEP_1)
	v_fmac_f32_e32 v124, v118, v94
	v_fmac_f32_e32 v124, v119, v95
	s_waitcnt vmcnt(1)
	s_delay_alu instid0(VALU_DEP_1) | instskip(SKIP_1) | instid1(VALU_DEP_1)
	v_fmac_f32_e32 v124, v120, v96
	s_waitcnt lgkmcnt(0)
	v_fmac_f32_e32 v124, v121, v97
	s_delay_alu instid0(VALU_DEP_1) | instskip(NEXT) | instid1(VALU_DEP_1)
	v_fmac_f32_e32 v124, v122, v98
	v_fmac_f32_e32 v124, v123, v99
	s_waitcnt vmcnt(0)
	s_delay_alu instid0(VALU_DEP_1) | instskip(NEXT) | instid1(VALU_DEP_1)
	v_fmac_f32_e32 v124, v3, v100
	v_sub_f32_e32 v2, v92, v124
	scratch_store_b32 off, v2, off offset:44
	v_cmpx_lt_u32_e32 10, v0
	s_cbranch_execz .LBB43_251
; %bb.250:
	scratch_load_b32 v2, off, off offset:40
	v_mov_b32_e32 v3, 0
	scratch_store_b32 off, v3, off offset:40
	s_waitcnt vmcnt(0)
	ds_store_b32 v1, v2
.LBB43_251:
	s_or_b32 exec_lo, exec_lo, s0
	s_waitcnt lgkmcnt(0)
	s_waitcnt_vscnt null, 0x0
	s_barrier
	buffer_gl0_inv
	s_clause 0x8
	scratch_load_b128 v[92:95], off, off offset:40
	scratch_load_b128 v[96:99], off, off offset:56
	;; [unrolled: 1-line block ×8, first 2 shown]
	scratch_load_b64 v[124:125], off, off offset:168
	v_mov_b32_e32 v2, 0
	ds_load_2addr_b32 v[126:127], v2 offset0:55 offset1:56
	ds_load_2addr_b32 v[128:129], v2 offset0:57 offset1:58
	;; [unrolled: 1-line block ×4, first 2 shown]
	s_mov_b32 s0, exec_lo
	s_waitcnt vmcnt(8) lgkmcnt(3)
	v_fma_f32 v3, v93, v126, 0
	s_delay_alu instid0(VALU_DEP_1) | instskip(SKIP_4) | instid1(VALU_DEP_1)
	v_fmac_f32_e32 v3, v94, v127
	ds_load_2addr_b32 v[93:94], v2 offset0:63 offset1:64
	s_waitcnt lgkmcnt(3)
	v_fmac_f32_e32 v3, v95, v128
	s_waitcnt vmcnt(7)
	v_fmac_f32_e32 v3, v96, v129
	ds_load_2addr_b32 v[95:96], v2 offset0:65 offset1:66
	s_waitcnt lgkmcnt(3)
	v_fmac_f32_e32 v3, v97, v130
	s_delay_alu instid0(VALU_DEP_1) | instskip(SKIP_1) | instid1(VALU_DEP_1)
	v_fmac_f32_e32 v3, v98, v131
	s_waitcnt lgkmcnt(2)
	v_fmac_f32_e32 v3, v99, v132
	s_waitcnt vmcnt(6)
	s_delay_alu instid0(VALU_DEP_1) | instskip(SKIP_4) | instid1(VALU_DEP_1)
	v_fmac_f32_e32 v3, v100, v133
	ds_load_2addr_b32 v[97:98], v2 offset0:67 offset1:68
	ds_load_2addr_b32 v[99:100], v2 offset0:69 offset1:70
	s_waitcnt lgkmcnt(3)
	v_fmac_f32_e32 v3, v101, v93
	v_fmac_f32_e32 v3, v102, v94
	ds_load_2addr_b32 v[93:94], v2 offset0:71 offset1:72
	s_waitcnt lgkmcnt(3)
	v_fmac_f32_e32 v3, v103, v95
	s_waitcnt vmcnt(5)
	s_delay_alu instid0(VALU_DEP_1) | instskip(SKIP_3) | instid1(VALU_DEP_1)
	v_fmac_f32_e32 v3, v104, v96
	ds_load_2addr_b32 v[95:96], v2 offset0:73 offset1:74
	s_waitcnt lgkmcnt(3)
	v_fmac_f32_e32 v3, v105, v97
	v_fmac_f32_e32 v3, v106, v98
	s_waitcnt lgkmcnt(2)
	s_delay_alu instid0(VALU_DEP_1) | instskip(SKIP_1) | instid1(VALU_DEP_1)
	v_fmac_f32_e32 v3, v107, v99
	s_waitcnt vmcnt(4)
	v_fmac_f32_e32 v3, v108, v100
	ds_load_2addr_b32 v[97:98], v2 offset0:75 offset1:76
	ds_load_2addr_b32 v[99:100], v2 offset0:77 offset1:78
	s_waitcnt lgkmcnt(3)
	v_fmac_f32_e32 v3, v109, v93
	s_delay_alu instid0(VALU_DEP_1) | instskip(SKIP_4) | instid1(VALU_DEP_1)
	v_fmac_f32_e32 v3, v110, v94
	ds_load_2addr_b32 v[93:94], v2 offset0:79 offset1:80
	s_waitcnt lgkmcnt(3)
	v_fmac_f32_e32 v3, v111, v95
	s_waitcnt vmcnt(3)
	v_fmac_f32_e32 v3, v112, v96
	ds_load_2addr_b32 v[95:96], v2 offset0:81 offset1:82
	s_waitcnt lgkmcnt(3)
	v_fmac_f32_e32 v3, v113, v97
	s_delay_alu instid0(VALU_DEP_1) | instskip(SKIP_1) | instid1(VALU_DEP_1)
	v_fmac_f32_e32 v3, v114, v98
	s_waitcnt lgkmcnt(2)
	v_fmac_f32_e32 v3, v115, v99
	s_waitcnt vmcnt(2)
	s_delay_alu instid0(VALU_DEP_1)
	v_fmac_f32_e32 v3, v116, v100
	ds_load_2addr_b32 v[97:98], v2 offset0:83 offset1:84
	ds_load_2addr_b32 v[99:100], v2 offset0:85 offset1:86
	s_waitcnt lgkmcnt(3)
	v_fmac_f32_e32 v3, v117, v93
	ds_load_b32 v93, v2 offset:348
	v_fmac_f32_e32 v3, v118, v94
	s_waitcnt lgkmcnt(3)
	s_delay_alu instid0(VALU_DEP_1) | instskip(SKIP_1) | instid1(VALU_DEP_1)
	v_fmac_f32_e32 v3, v119, v95
	s_waitcnt vmcnt(1)
	v_fmac_f32_e32 v3, v120, v96
	s_waitcnt lgkmcnt(2)
	s_delay_alu instid0(VALU_DEP_1) | instskip(NEXT) | instid1(VALU_DEP_1)
	v_fmac_f32_e32 v3, v121, v97
	v_fmac_f32_e32 v3, v122, v98
	s_waitcnt lgkmcnt(1)
	s_delay_alu instid0(VALU_DEP_1) | instskip(SKIP_1) | instid1(VALU_DEP_1)
	v_fmac_f32_e32 v3, v123, v99
	s_waitcnt vmcnt(0)
	v_fmac_f32_e32 v3, v124, v100
	s_waitcnt lgkmcnt(0)
	s_delay_alu instid0(VALU_DEP_1) | instskip(NEXT) | instid1(VALU_DEP_1)
	v_fmac_f32_e32 v3, v125, v93
	v_sub_f32_e32 v3, v92, v3
	scratch_store_b32 off, v3, off offset:40
	v_cmpx_lt_u32_e32 9, v0
	s_cbranch_execz .LBB43_253
; %bb.252:
	scratch_load_b32 v3, off, off offset:36
	scratch_store_b32 off, v2, off offset:36
	s_waitcnt vmcnt(0)
	ds_store_b32 v1, v3
.LBB43_253:
	s_or_b32 exec_lo, exec_lo, s0
	s_waitcnt lgkmcnt(0)
	s_waitcnt_vscnt null, 0x0
	s_barrier
	buffer_gl0_inv
	s_clause 0x8
	scratch_load_b128 v[92:95], off, off offset:36
	scratch_load_b128 v[96:99], off, off offset:52
	;; [unrolled: 1-line block ×8, first 2 shown]
	scratch_load_b96 v[132:134], off, off offset:164
	ds_load_2addr_b64 v[124:127], v2 offset0:27 offset1:28
	ds_load_2addr_b64 v[128:131], v2 offset0:29 offset1:30
	s_mov_b32 s0, exec_lo
	s_waitcnt vmcnt(8) lgkmcnt(1)
	v_fma_f32 v124, v93, v124, 0
	s_delay_alu instid0(VALU_DEP_1) | instskip(NEXT) | instid1(VALU_DEP_1)
	v_fmac_f32_e32 v124, v94, v125
	v_fmac_f32_e32 v124, v95, v126
	s_waitcnt vmcnt(7)
	s_delay_alu instid0(VALU_DEP_1) | instskip(SKIP_3) | instid1(VALU_DEP_1)
	v_fmac_f32_e32 v124, v96, v127
	ds_load_2addr_b64 v[93:96], v2 offset0:31 offset1:32
	s_waitcnt lgkmcnt(1)
	v_fmac_f32_e32 v124, v97, v128
	v_fmac_f32_e32 v124, v98, v129
	s_delay_alu instid0(VALU_DEP_1) | instskip(SKIP_1) | instid1(VALU_DEP_1)
	v_fmac_f32_e32 v124, v99, v130
	s_waitcnt vmcnt(6)
	v_fmac_f32_e32 v124, v100, v131
	ds_load_2addr_b64 v[97:100], v2 offset0:33 offset1:34
	s_waitcnt lgkmcnt(1)
	v_fmac_f32_e32 v124, v101, v93
	s_delay_alu instid0(VALU_DEP_1) | instskip(NEXT) | instid1(VALU_DEP_1)
	v_fmac_f32_e32 v124, v102, v94
	v_fmac_f32_e32 v124, v103, v95
	s_waitcnt vmcnt(5)
	s_delay_alu instid0(VALU_DEP_1) | instskip(SKIP_3) | instid1(VALU_DEP_1)
	v_fmac_f32_e32 v124, v104, v96
	ds_load_2addr_b64 v[93:96], v2 offset0:35 offset1:36
	s_waitcnt lgkmcnt(1)
	v_fmac_f32_e32 v124, v105, v97
	v_fmac_f32_e32 v124, v106, v98
	s_delay_alu instid0(VALU_DEP_1) | instskip(SKIP_1) | instid1(VALU_DEP_1)
	v_fmac_f32_e32 v124, v107, v99
	s_waitcnt vmcnt(4)
	v_fmac_f32_e32 v124, v108, v100
	ds_load_2addr_b64 v[97:100], v2 offset0:37 offset1:38
	s_waitcnt lgkmcnt(1)
	v_fmac_f32_e32 v124, v109, v93
	s_delay_alu instid0(VALU_DEP_1) | instskip(NEXT) | instid1(VALU_DEP_1)
	v_fmac_f32_e32 v124, v110, v94
	v_fmac_f32_e32 v124, v111, v95
	s_waitcnt vmcnt(3)
	s_delay_alu instid0(VALU_DEP_1) | instskip(SKIP_3) | instid1(VALU_DEP_1)
	v_fmac_f32_e32 v124, v112, v96
	ds_load_2addr_b64 v[93:96], v2 offset0:39 offset1:40
	s_waitcnt lgkmcnt(1)
	v_fmac_f32_e32 v124, v113, v97
	v_fmac_f32_e32 v124, v114, v98
	s_delay_alu instid0(VALU_DEP_1) | instskip(SKIP_1) | instid1(VALU_DEP_1)
	v_fmac_f32_e32 v124, v115, v99
	s_waitcnt vmcnt(2)
	v_fmac_f32_e32 v124, v116, v100
	ds_load_2addr_b64 v[97:100], v2 offset0:41 offset1:42
	ds_load_b64 v[2:3], v2 offset:344
	s_waitcnt lgkmcnt(2)
	v_fmac_f32_e32 v124, v117, v93
	s_delay_alu instid0(VALU_DEP_1) | instskip(NEXT) | instid1(VALU_DEP_1)
	v_fmac_f32_e32 v124, v118, v94
	v_fmac_f32_e32 v124, v119, v95
	s_waitcnt vmcnt(1)
	s_delay_alu instid0(VALU_DEP_1) | instskip(SKIP_1) | instid1(VALU_DEP_1)
	v_fmac_f32_e32 v124, v120, v96
	s_waitcnt lgkmcnt(1)
	v_fmac_f32_e32 v124, v121, v97
	s_delay_alu instid0(VALU_DEP_1) | instskip(NEXT) | instid1(VALU_DEP_1)
	v_fmac_f32_e32 v124, v122, v98
	v_fmac_f32_e32 v124, v123, v99
	s_waitcnt vmcnt(0)
	s_delay_alu instid0(VALU_DEP_1) | instskip(SKIP_1) | instid1(VALU_DEP_1)
	v_fmac_f32_e32 v124, v132, v100
	s_waitcnt lgkmcnt(0)
	v_fmac_f32_e32 v124, v133, v2
	s_delay_alu instid0(VALU_DEP_1) | instskip(NEXT) | instid1(VALU_DEP_1)
	v_fmac_f32_e32 v124, v134, v3
	v_sub_f32_e32 v2, v92, v124
	scratch_store_b32 off, v2, off offset:36
	v_cmpx_lt_u32_e32 8, v0
	s_cbranch_execz .LBB43_255
; %bb.254:
	scratch_load_b32 v2, off, off offset:32
	v_mov_b32_e32 v3, 0
	scratch_store_b32 off, v3, off offset:32
	s_waitcnt vmcnt(0)
	ds_store_b32 v1, v2
.LBB43_255:
	s_or_b32 exec_lo, exec_lo, s0
	s_waitcnt lgkmcnt(0)
	s_waitcnt_vscnt null, 0x0
	s_barrier
	buffer_gl0_inv
	s_clause 0x8
	scratch_load_b128 v[92:95], off, off offset:32
	scratch_load_b128 v[96:99], off, off offset:48
	;; [unrolled: 1-line block ×9, first 2 shown]
	v_mov_b32_e32 v2, 0
	ds_load_2addr_b32 v[128:129], v2 offset0:53 offset1:54
	ds_load_2addr_b32 v[130:131], v2 offset0:55 offset1:56
	;; [unrolled: 1-line block ×4, first 2 shown]
	s_mov_b32 s0, exec_lo
	s_waitcnt vmcnt(8) lgkmcnt(3)
	v_fma_f32 v3, v93, v128, 0
	s_delay_alu instid0(VALU_DEP_1) | instskip(SKIP_4) | instid1(VALU_DEP_1)
	v_fmac_f32_e32 v3, v94, v129
	ds_load_2addr_b32 v[93:94], v2 offset0:61 offset1:62
	s_waitcnt lgkmcnt(3)
	v_fmac_f32_e32 v3, v95, v130
	s_waitcnt vmcnt(7)
	v_fmac_f32_e32 v3, v96, v131
	ds_load_2addr_b32 v[95:96], v2 offset0:63 offset1:64
	s_waitcnt lgkmcnt(3)
	v_fmac_f32_e32 v3, v97, v132
	s_delay_alu instid0(VALU_DEP_1) | instskip(SKIP_1) | instid1(VALU_DEP_1)
	v_fmac_f32_e32 v3, v98, v133
	s_waitcnt lgkmcnt(2)
	v_fmac_f32_e32 v3, v99, v134
	s_waitcnt vmcnt(6)
	s_delay_alu instid0(VALU_DEP_1) | instskip(SKIP_4) | instid1(VALU_DEP_1)
	v_fmac_f32_e32 v3, v100, v135
	ds_load_2addr_b32 v[97:98], v2 offset0:65 offset1:66
	ds_load_2addr_b32 v[99:100], v2 offset0:67 offset1:68
	s_waitcnt lgkmcnt(3)
	v_fmac_f32_e32 v3, v101, v93
	v_fmac_f32_e32 v3, v102, v94
	ds_load_2addr_b32 v[93:94], v2 offset0:69 offset1:70
	s_waitcnt lgkmcnt(3)
	v_fmac_f32_e32 v3, v103, v95
	s_waitcnt vmcnt(5)
	s_delay_alu instid0(VALU_DEP_1) | instskip(SKIP_3) | instid1(VALU_DEP_1)
	v_fmac_f32_e32 v3, v104, v96
	ds_load_2addr_b32 v[95:96], v2 offset0:71 offset1:72
	s_waitcnt lgkmcnt(3)
	v_fmac_f32_e32 v3, v105, v97
	v_fmac_f32_e32 v3, v106, v98
	s_waitcnt lgkmcnt(2)
	s_delay_alu instid0(VALU_DEP_1) | instskip(SKIP_1) | instid1(VALU_DEP_1)
	v_fmac_f32_e32 v3, v107, v99
	s_waitcnt vmcnt(4)
	v_fmac_f32_e32 v3, v108, v100
	ds_load_2addr_b32 v[97:98], v2 offset0:73 offset1:74
	ds_load_2addr_b32 v[99:100], v2 offset0:75 offset1:76
	s_waitcnt lgkmcnt(3)
	v_fmac_f32_e32 v3, v109, v93
	s_delay_alu instid0(VALU_DEP_1) | instskip(SKIP_4) | instid1(VALU_DEP_1)
	v_fmac_f32_e32 v3, v110, v94
	ds_load_2addr_b32 v[93:94], v2 offset0:77 offset1:78
	s_waitcnt lgkmcnt(3)
	v_fmac_f32_e32 v3, v111, v95
	s_waitcnt vmcnt(3)
	v_fmac_f32_e32 v3, v112, v96
	ds_load_2addr_b32 v[95:96], v2 offset0:79 offset1:80
	s_waitcnt lgkmcnt(3)
	v_fmac_f32_e32 v3, v113, v97
	s_delay_alu instid0(VALU_DEP_1) | instskip(SKIP_1) | instid1(VALU_DEP_1)
	v_fmac_f32_e32 v3, v114, v98
	s_waitcnt lgkmcnt(2)
	v_fmac_f32_e32 v3, v115, v99
	s_waitcnt vmcnt(2)
	s_delay_alu instid0(VALU_DEP_1) | instskip(SKIP_4) | instid1(VALU_DEP_1)
	v_fmac_f32_e32 v3, v116, v100
	ds_load_2addr_b32 v[97:98], v2 offset0:81 offset1:82
	ds_load_2addr_b32 v[99:100], v2 offset0:83 offset1:84
	s_waitcnt lgkmcnt(3)
	v_fmac_f32_e32 v3, v117, v93
	v_fmac_f32_e32 v3, v118, v94
	ds_load_2addr_b32 v[93:94], v2 offset0:85 offset1:86
	s_waitcnt lgkmcnt(3)
	v_fmac_f32_e32 v3, v119, v95
	ds_load_b32 v95, v2 offset:348
	s_waitcnt vmcnt(1)
	v_fmac_f32_e32 v3, v120, v96
	s_waitcnt lgkmcnt(3)
	s_delay_alu instid0(VALU_DEP_1) | instskip(NEXT) | instid1(VALU_DEP_1)
	v_fmac_f32_e32 v3, v121, v97
	v_fmac_f32_e32 v3, v122, v98
	s_waitcnt lgkmcnt(2)
	s_delay_alu instid0(VALU_DEP_1) | instskip(SKIP_1) | instid1(VALU_DEP_1)
	v_fmac_f32_e32 v3, v123, v99
	s_waitcnt vmcnt(0)
	v_fmac_f32_e32 v3, v124, v100
	s_waitcnt lgkmcnt(1)
	s_delay_alu instid0(VALU_DEP_1) | instskip(NEXT) | instid1(VALU_DEP_1)
	v_fmac_f32_e32 v3, v125, v93
	v_fmac_f32_e32 v3, v126, v94
	s_waitcnt lgkmcnt(0)
	s_delay_alu instid0(VALU_DEP_1) | instskip(NEXT) | instid1(VALU_DEP_1)
	v_fmac_f32_e32 v3, v127, v95
	v_sub_f32_e32 v3, v92, v3
	scratch_store_b32 off, v3, off offset:32
	v_cmpx_lt_u32_e32 7, v0
	s_cbranch_execz .LBB43_257
; %bb.256:
	scratch_load_b32 v3, off, off offset:28
	scratch_store_b32 off, v2, off offset:28
	s_waitcnt vmcnt(0)
	ds_store_b32 v1, v3
.LBB43_257:
	s_or_b32 exec_lo, exec_lo, s0
	s_waitcnt lgkmcnt(0)
	s_waitcnt_vscnt null, 0x0
	s_barrier
	buffer_gl0_inv
	s_clause 0x9
	scratch_load_b128 v[92:95], off, off offset:28
	scratch_load_b128 v[96:99], off, off offset:44
	;; [unrolled: 1-line block ×9, first 2 shown]
	scratch_load_b32 v3, off, off offset:172
	ds_load_b128 v[128:131], v2 offset:208
	ds_load_b128 v[132:135], v2 offset:224
	s_mov_b32 s0, exec_lo
	s_waitcnt vmcnt(9) lgkmcnt(1)
	v_fma_f32 v128, v93, v128, 0
	s_delay_alu instid0(VALU_DEP_1) | instskip(NEXT) | instid1(VALU_DEP_1)
	v_fmac_f32_e32 v128, v94, v129
	v_fmac_f32_e32 v128, v95, v130
	s_waitcnt vmcnt(8)
	s_delay_alu instid0(VALU_DEP_1) | instskip(SKIP_3) | instid1(VALU_DEP_1)
	v_fmac_f32_e32 v128, v96, v131
	ds_load_b128 v[93:96], v2 offset:240
	s_waitcnt lgkmcnt(1)
	v_fmac_f32_e32 v128, v97, v132
	v_fmac_f32_e32 v128, v98, v133
	s_delay_alu instid0(VALU_DEP_1) | instskip(SKIP_1) | instid1(VALU_DEP_1)
	v_fmac_f32_e32 v128, v99, v134
	s_waitcnt vmcnt(7)
	v_fmac_f32_e32 v128, v100, v135
	ds_load_b128 v[97:100], v2 offset:256
	s_waitcnt lgkmcnt(1)
	v_fmac_f32_e32 v128, v101, v93
	s_delay_alu instid0(VALU_DEP_1) | instskip(NEXT) | instid1(VALU_DEP_1)
	v_fmac_f32_e32 v128, v102, v94
	v_fmac_f32_e32 v128, v103, v95
	s_waitcnt vmcnt(6)
	s_delay_alu instid0(VALU_DEP_1) | instskip(SKIP_3) | instid1(VALU_DEP_1)
	v_fmac_f32_e32 v128, v104, v96
	ds_load_b128 v[93:96], v2 offset:272
	s_waitcnt lgkmcnt(1)
	v_fmac_f32_e32 v128, v105, v97
	v_fmac_f32_e32 v128, v106, v98
	s_delay_alu instid0(VALU_DEP_1) | instskip(SKIP_1) | instid1(VALU_DEP_1)
	v_fmac_f32_e32 v128, v107, v99
	s_waitcnt vmcnt(5)
	v_fmac_f32_e32 v128, v108, v100
	ds_load_b128 v[97:100], v2 offset:288
	s_waitcnt lgkmcnt(1)
	v_fmac_f32_e32 v128, v109, v93
	s_delay_alu instid0(VALU_DEP_1) | instskip(NEXT) | instid1(VALU_DEP_1)
	v_fmac_f32_e32 v128, v110, v94
	v_fmac_f32_e32 v128, v111, v95
	s_waitcnt vmcnt(4)
	s_delay_alu instid0(VALU_DEP_1) | instskip(SKIP_3) | instid1(VALU_DEP_1)
	v_fmac_f32_e32 v128, v112, v96
	ds_load_b128 v[93:96], v2 offset:304
	s_waitcnt lgkmcnt(1)
	v_fmac_f32_e32 v128, v113, v97
	v_fmac_f32_e32 v128, v114, v98
	s_delay_alu instid0(VALU_DEP_1) | instskip(SKIP_1) | instid1(VALU_DEP_1)
	v_fmac_f32_e32 v128, v115, v99
	s_waitcnt vmcnt(3)
	v_fmac_f32_e32 v128, v116, v100
	ds_load_b128 v[97:100], v2 offset:320
	s_waitcnt lgkmcnt(1)
	v_fmac_f32_e32 v128, v117, v93
	s_delay_alu instid0(VALU_DEP_1) | instskip(NEXT) | instid1(VALU_DEP_1)
	v_fmac_f32_e32 v128, v118, v94
	v_fmac_f32_e32 v128, v119, v95
	s_waitcnt vmcnt(2)
	s_delay_alu instid0(VALU_DEP_1) | instskip(SKIP_3) | instid1(VALU_DEP_1)
	v_fmac_f32_e32 v128, v120, v96
	ds_load_b128 v[93:96], v2 offset:336
	s_waitcnt lgkmcnt(1)
	v_fmac_f32_e32 v128, v121, v97
	v_fmac_f32_e32 v128, v122, v98
	s_delay_alu instid0(VALU_DEP_1) | instskip(SKIP_1) | instid1(VALU_DEP_1)
	v_fmac_f32_e32 v128, v123, v99
	s_waitcnt vmcnt(1)
	v_fmac_f32_e32 v128, v124, v100
	s_waitcnt lgkmcnt(0)
	s_delay_alu instid0(VALU_DEP_1) | instskip(NEXT) | instid1(VALU_DEP_1)
	v_fmac_f32_e32 v128, v125, v93
	v_fmac_f32_e32 v128, v126, v94
	s_delay_alu instid0(VALU_DEP_1) | instskip(SKIP_1) | instid1(VALU_DEP_1)
	v_fmac_f32_e32 v128, v127, v95
	s_waitcnt vmcnt(0)
	v_fmac_f32_e32 v128, v3, v96
	s_delay_alu instid0(VALU_DEP_1)
	v_sub_f32_e32 v2, v92, v128
	scratch_store_b32 off, v2, off offset:28
	v_cmpx_lt_u32_e32 6, v0
	s_cbranch_execz .LBB43_259
; %bb.258:
	scratch_load_b32 v2, off, off offset:24
	v_mov_b32_e32 v3, 0
	scratch_store_b32 off, v3, off offset:24
	s_waitcnt vmcnt(0)
	ds_store_b32 v1, v2
.LBB43_259:
	s_or_b32 exec_lo, exec_lo, s0
	s_waitcnt lgkmcnt(0)
	s_waitcnt_vscnt null, 0x0
	s_barrier
	buffer_gl0_inv
	s_clause 0x9
	scratch_load_b128 v[92:95], off, off offset:24
	scratch_load_b128 v[96:99], off, off offset:40
	scratch_load_b128 v[100:103], off, off offset:56
	scratch_load_b128 v[104:107], off, off offset:72
	scratch_load_b128 v[108:111], off, off offset:88
	scratch_load_b128 v[112:115], off, off offset:104
	scratch_load_b128 v[116:119], off, off offset:120
	scratch_load_b128 v[120:123], off, off offset:136
	scratch_load_b128 v[124:127], off, off offset:152
	scratch_load_b64 v[128:129], off, off offset:168
	v_mov_b32_e32 v2, 0
	ds_load_2addr_b32 v[130:131], v2 offset0:51 offset1:52
	ds_load_2addr_b32 v[132:133], v2 offset0:53 offset1:54
	;; [unrolled: 1-line block ×4, first 2 shown]
	s_mov_b32 s0, exec_lo
	s_waitcnt vmcnt(9) lgkmcnt(3)
	v_fma_f32 v3, v93, v130, 0
	s_delay_alu instid0(VALU_DEP_1) | instskip(SKIP_4) | instid1(VALU_DEP_1)
	v_fmac_f32_e32 v3, v94, v131
	ds_load_2addr_b32 v[93:94], v2 offset0:59 offset1:60
	s_waitcnt lgkmcnt(3)
	v_fmac_f32_e32 v3, v95, v132
	s_waitcnt vmcnt(8)
	v_fmac_f32_e32 v3, v96, v133
	ds_load_2addr_b32 v[95:96], v2 offset0:61 offset1:62
	s_waitcnt lgkmcnt(3)
	v_fmac_f32_e32 v3, v97, v134
	s_delay_alu instid0(VALU_DEP_1) | instskip(SKIP_1) | instid1(VALU_DEP_1)
	v_fmac_f32_e32 v3, v98, v135
	s_waitcnt lgkmcnt(2)
	v_fmac_f32_e32 v3, v99, v136
	s_waitcnt vmcnt(7)
	s_delay_alu instid0(VALU_DEP_1) | instskip(SKIP_4) | instid1(VALU_DEP_1)
	v_fmac_f32_e32 v3, v100, v137
	ds_load_2addr_b32 v[97:98], v2 offset0:63 offset1:64
	ds_load_2addr_b32 v[99:100], v2 offset0:65 offset1:66
	s_waitcnt lgkmcnt(3)
	v_fmac_f32_e32 v3, v101, v93
	v_fmac_f32_e32 v3, v102, v94
	ds_load_2addr_b32 v[93:94], v2 offset0:67 offset1:68
	s_waitcnt lgkmcnt(3)
	v_fmac_f32_e32 v3, v103, v95
	s_waitcnt vmcnt(6)
	s_delay_alu instid0(VALU_DEP_1) | instskip(SKIP_3) | instid1(VALU_DEP_1)
	v_fmac_f32_e32 v3, v104, v96
	ds_load_2addr_b32 v[95:96], v2 offset0:69 offset1:70
	s_waitcnt lgkmcnt(3)
	v_fmac_f32_e32 v3, v105, v97
	v_fmac_f32_e32 v3, v106, v98
	s_waitcnt lgkmcnt(2)
	s_delay_alu instid0(VALU_DEP_1) | instskip(SKIP_1) | instid1(VALU_DEP_1)
	v_fmac_f32_e32 v3, v107, v99
	s_waitcnt vmcnt(5)
	v_fmac_f32_e32 v3, v108, v100
	ds_load_2addr_b32 v[97:98], v2 offset0:71 offset1:72
	ds_load_2addr_b32 v[99:100], v2 offset0:73 offset1:74
	s_waitcnt lgkmcnt(3)
	v_fmac_f32_e32 v3, v109, v93
	s_delay_alu instid0(VALU_DEP_1) | instskip(SKIP_4) | instid1(VALU_DEP_1)
	v_fmac_f32_e32 v3, v110, v94
	ds_load_2addr_b32 v[93:94], v2 offset0:75 offset1:76
	s_waitcnt lgkmcnt(3)
	v_fmac_f32_e32 v3, v111, v95
	s_waitcnt vmcnt(4)
	v_fmac_f32_e32 v3, v112, v96
	ds_load_2addr_b32 v[95:96], v2 offset0:77 offset1:78
	s_waitcnt lgkmcnt(3)
	v_fmac_f32_e32 v3, v113, v97
	s_delay_alu instid0(VALU_DEP_1) | instskip(SKIP_1) | instid1(VALU_DEP_1)
	v_fmac_f32_e32 v3, v114, v98
	s_waitcnt lgkmcnt(2)
	v_fmac_f32_e32 v3, v115, v99
	s_waitcnt vmcnt(3)
	s_delay_alu instid0(VALU_DEP_1) | instskip(SKIP_4) | instid1(VALU_DEP_1)
	v_fmac_f32_e32 v3, v116, v100
	ds_load_2addr_b32 v[97:98], v2 offset0:79 offset1:80
	ds_load_2addr_b32 v[99:100], v2 offset0:81 offset1:82
	s_waitcnt lgkmcnt(3)
	v_fmac_f32_e32 v3, v117, v93
	v_fmac_f32_e32 v3, v118, v94
	ds_load_2addr_b32 v[93:94], v2 offset0:83 offset1:84
	s_waitcnt lgkmcnt(3)
	v_fmac_f32_e32 v3, v119, v95
	s_waitcnt vmcnt(2)
	s_delay_alu instid0(VALU_DEP_1)
	v_fmac_f32_e32 v3, v120, v96
	ds_load_2addr_b32 v[95:96], v2 offset0:85 offset1:86
	s_waitcnt lgkmcnt(3)
	v_fmac_f32_e32 v3, v121, v97
	ds_load_b32 v97, v2 offset:348
	v_fmac_f32_e32 v3, v122, v98
	s_waitcnt lgkmcnt(3)
	s_delay_alu instid0(VALU_DEP_1) | instskip(SKIP_1) | instid1(VALU_DEP_1)
	v_fmac_f32_e32 v3, v123, v99
	s_waitcnt vmcnt(1)
	v_fmac_f32_e32 v3, v124, v100
	s_waitcnt lgkmcnt(2)
	s_delay_alu instid0(VALU_DEP_1) | instskip(NEXT) | instid1(VALU_DEP_1)
	v_fmac_f32_e32 v3, v125, v93
	v_fmac_f32_e32 v3, v126, v94
	s_waitcnt lgkmcnt(1)
	s_delay_alu instid0(VALU_DEP_1) | instskip(SKIP_1) | instid1(VALU_DEP_1)
	v_fmac_f32_e32 v3, v127, v95
	s_waitcnt vmcnt(0)
	v_fmac_f32_e32 v3, v128, v96
	s_waitcnt lgkmcnt(0)
	s_delay_alu instid0(VALU_DEP_1) | instskip(NEXT) | instid1(VALU_DEP_1)
	v_fmac_f32_e32 v3, v129, v97
	v_sub_f32_e32 v3, v92, v3
	scratch_store_b32 off, v3, off offset:24
	v_cmpx_lt_u32_e32 5, v0
	s_cbranch_execz .LBB43_261
; %bb.260:
	scratch_load_b32 v3, off, off offset:20
	scratch_store_b32 off, v2, off offset:20
	s_waitcnt vmcnt(0)
	ds_store_b32 v1, v3
.LBB43_261:
	s_or_b32 exec_lo, exec_lo, s0
	s_waitcnt lgkmcnt(0)
	s_waitcnt_vscnt null, 0x0
	s_barrier
	buffer_gl0_inv
	s_clause 0x9
	scratch_load_b128 v[92:95], off, off offset:20
	scratch_load_b128 v[96:99], off, off offset:36
	;; [unrolled: 1-line block ×9, first 2 shown]
	scratch_load_b96 v[136:138], off, off offset:164
	ds_load_2addr_b64 v[128:131], v2 offset0:25 offset1:26
	ds_load_2addr_b64 v[132:135], v2 offset0:27 offset1:28
	s_mov_b32 s0, exec_lo
	s_waitcnt vmcnt(9) lgkmcnt(1)
	v_fma_f32 v128, v93, v128, 0
	s_delay_alu instid0(VALU_DEP_1) | instskip(NEXT) | instid1(VALU_DEP_1)
	v_fmac_f32_e32 v128, v94, v129
	v_fmac_f32_e32 v128, v95, v130
	s_waitcnt vmcnt(8)
	s_delay_alu instid0(VALU_DEP_1) | instskip(SKIP_3) | instid1(VALU_DEP_1)
	v_fmac_f32_e32 v128, v96, v131
	ds_load_2addr_b64 v[93:96], v2 offset0:29 offset1:30
	s_waitcnt lgkmcnt(1)
	v_fmac_f32_e32 v128, v97, v132
	v_fmac_f32_e32 v128, v98, v133
	s_delay_alu instid0(VALU_DEP_1) | instskip(SKIP_1) | instid1(VALU_DEP_1)
	v_fmac_f32_e32 v128, v99, v134
	s_waitcnt vmcnt(7)
	v_fmac_f32_e32 v128, v100, v135
	ds_load_2addr_b64 v[97:100], v2 offset0:31 offset1:32
	s_waitcnt lgkmcnt(1)
	v_fmac_f32_e32 v128, v101, v93
	s_delay_alu instid0(VALU_DEP_1) | instskip(NEXT) | instid1(VALU_DEP_1)
	v_fmac_f32_e32 v128, v102, v94
	v_fmac_f32_e32 v128, v103, v95
	s_waitcnt vmcnt(6)
	s_delay_alu instid0(VALU_DEP_1) | instskip(SKIP_3) | instid1(VALU_DEP_1)
	v_fmac_f32_e32 v128, v104, v96
	ds_load_2addr_b64 v[93:96], v2 offset0:33 offset1:34
	s_waitcnt lgkmcnt(1)
	v_fmac_f32_e32 v128, v105, v97
	v_fmac_f32_e32 v128, v106, v98
	s_delay_alu instid0(VALU_DEP_1) | instskip(SKIP_1) | instid1(VALU_DEP_1)
	v_fmac_f32_e32 v128, v107, v99
	s_waitcnt vmcnt(5)
	v_fmac_f32_e32 v128, v108, v100
	ds_load_2addr_b64 v[97:100], v2 offset0:35 offset1:36
	s_waitcnt lgkmcnt(1)
	v_fmac_f32_e32 v128, v109, v93
	;; [unrolled: 17-line block ×3, first 2 shown]
	s_delay_alu instid0(VALU_DEP_1) | instskip(NEXT) | instid1(VALU_DEP_1)
	v_fmac_f32_e32 v128, v118, v94
	v_fmac_f32_e32 v128, v119, v95
	s_waitcnt vmcnt(2)
	s_delay_alu instid0(VALU_DEP_1) | instskip(SKIP_4) | instid1(VALU_DEP_1)
	v_fmac_f32_e32 v128, v120, v96
	ds_load_2addr_b64 v[93:96], v2 offset0:41 offset1:42
	ds_load_b64 v[2:3], v2 offset:344
	s_waitcnt lgkmcnt(2)
	v_fmac_f32_e32 v128, v121, v97
	v_fmac_f32_e32 v128, v122, v98
	s_delay_alu instid0(VALU_DEP_1) | instskip(SKIP_1) | instid1(VALU_DEP_1)
	v_fmac_f32_e32 v128, v123, v99
	s_waitcnt vmcnt(1)
	v_fmac_f32_e32 v128, v124, v100
	s_waitcnt lgkmcnt(1)
	s_delay_alu instid0(VALU_DEP_1) | instskip(NEXT) | instid1(VALU_DEP_1)
	v_fmac_f32_e32 v128, v125, v93
	v_fmac_f32_e32 v128, v126, v94
	s_delay_alu instid0(VALU_DEP_1) | instskip(SKIP_1) | instid1(VALU_DEP_1)
	v_fmac_f32_e32 v128, v127, v95
	s_waitcnt vmcnt(0)
	v_fmac_f32_e32 v128, v136, v96
	s_waitcnt lgkmcnt(0)
	s_delay_alu instid0(VALU_DEP_1) | instskip(NEXT) | instid1(VALU_DEP_1)
	v_fmac_f32_e32 v128, v137, v2
	v_fmac_f32_e32 v128, v138, v3
	s_delay_alu instid0(VALU_DEP_1)
	v_sub_f32_e32 v2, v92, v128
	scratch_store_b32 off, v2, off offset:20
	v_cmpx_lt_u32_e32 4, v0
	s_cbranch_execz .LBB43_263
; %bb.262:
	scratch_load_b32 v2, off, off offset:16
	v_mov_b32_e32 v3, 0
	scratch_store_b32 off, v3, off offset:16
	s_waitcnt vmcnt(0)
	ds_store_b32 v1, v2
.LBB43_263:
	s_or_b32 exec_lo, exec_lo, s0
	s_waitcnt lgkmcnt(0)
	s_waitcnt_vscnt null, 0x0
	s_barrier
	buffer_gl0_inv
	s_clause 0x9
	scratch_load_b128 v[92:95], off, off offset:16
	scratch_load_b128 v[96:99], off, off offset:32
	;; [unrolled: 1-line block ×10, first 2 shown]
	v_mov_b32_e32 v2, 0
	ds_load_2addr_b32 v[132:133], v2 offset0:49 offset1:50
	ds_load_2addr_b32 v[134:135], v2 offset0:51 offset1:52
	;; [unrolled: 1-line block ×4, first 2 shown]
	s_mov_b32 s0, exec_lo
	s_waitcnt vmcnt(9) lgkmcnt(3)
	v_fma_f32 v3, v93, v132, 0
	s_delay_alu instid0(VALU_DEP_1) | instskip(SKIP_4) | instid1(VALU_DEP_1)
	v_fmac_f32_e32 v3, v94, v133
	ds_load_2addr_b32 v[93:94], v2 offset0:57 offset1:58
	s_waitcnt lgkmcnt(3)
	v_fmac_f32_e32 v3, v95, v134
	s_waitcnt vmcnt(8)
	v_fmac_f32_e32 v3, v96, v135
	ds_load_2addr_b32 v[95:96], v2 offset0:59 offset1:60
	s_waitcnt lgkmcnt(3)
	v_fmac_f32_e32 v3, v97, v136
	s_delay_alu instid0(VALU_DEP_1) | instskip(SKIP_1) | instid1(VALU_DEP_1)
	v_fmac_f32_e32 v3, v98, v137
	s_waitcnt lgkmcnt(2)
	v_fmac_f32_e32 v3, v99, v138
	s_waitcnt vmcnt(7)
	s_delay_alu instid0(VALU_DEP_1) | instskip(SKIP_4) | instid1(VALU_DEP_1)
	v_fmac_f32_e32 v3, v100, v139
	ds_load_2addr_b32 v[97:98], v2 offset0:61 offset1:62
	ds_load_2addr_b32 v[99:100], v2 offset0:63 offset1:64
	s_waitcnt lgkmcnt(3)
	v_fmac_f32_e32 v3, v101, v93
	v_fmac_f32_e32 v3, v102, v94
	ds_load_2addr_b32 v[93:94], v2 offset0:65 offset1:66
	s_waitcnt lgkmcnt(3)
	v_fmac_f32_e32 v3, v103, v95
	s_waitcnt vmcnt(6)
	s_delay_alu instid0(VALU_DEP_1) | instskip(SKIP_3) | instid1(VALU_DEP_1)
	v_fmac_f32_e32 v3, v104, v96
	ds_load_2addr_b32 v[95:96], v2 offset0:67 offset1:68
	s_waitcnt lgkmcnt(3)
	v_fmac_f32_e32 v3, v105, v97
	v_fmac_f32_e32 v3, v106, v98
	s_waitcnt lgkmcnt(2)
	s_delay_alu instid0(VALU_DEP_1) | instskip(SKIP_1) | instid1(VALU_DEP_1)
	v_fmac_f32_e32 v3, v107, v99
	s_waitcnt vmcnt(5)
	v_fmac_f32_e32 v3, v108, v100
	ds_load_2addr_b32 v[97:98], v2 offset0:69 offset1:70
	ds_load_2addr_b32 v[99:100], v2 offset0:71 offset1:72
	s_waitcnt lgkmcnt(3)
	v_fmac_f32_e32 v3, v109, v93
	s_delay_alu instid0(VALU_DEP_1) | instskip(SKIP_4) | instid1(VALU_DEP_1)
	v_fmac_f32_e32 v3, v110, v94
	ds_load_2addr_b32 v[93:94], v2 offset0:73 offset1:74
	s_waitcnt lgkmcnt(3)
	v_fmac_f32_e32 v3, v111, v95
	s_waitcnt vmcnt(4)
	v_fmac_f32_e32 v3, v112, v96
	ds_load_2addr_b32 v[95:96], v2 offset0:75 offset1:76
	s_waitcnt lgkmcnt(3)
	v_fmac_f32_e32 v3, v113, v97
	s_delay_alu instid0(VALU_DEP_1) | instskip(SKIP_1) | instid1(VALU_DEP_1)
	v_fmac_f32_e32 v3, v114, v98
	s_waitcnt lgkmcnt(2)
	v_fmac_f32_e32 v3, v115, v99
	s_waitcnt vmcnt(3)
	s_delay_alu instid0(VALU_DEP_1) | instskip(SKIP_4) | instid1(VALU_DEP_1)
	v_fmac_f32_e32 v3, v116, v100
	ds_load_2addr_b32 v[97:98], v2 offset0:77 offset1:78
	ds_load_2addr_b32 v[99:100], v2 offset0:79 offset1:80
	s_waitcnt lgkmcnt(3)
	v_fmac_f32_e32 v3, v117, v93
	v_fmac_f32_e32 v3, v118, v94
	ds_load_2addr_b32 v[93:94], v2 offset0:81 offset1:82
	s_waitcnt lgkmcnt(3)
	v_fmac_f32_e32 v3, v119, v95
	s_waitcnt vmcnt(2)
	s_delay_alu instid0(VALU_DEP_1) | instskip(SKIP_3) | instid1(VALU_DEP_1)
	v_fmac_f32_e32 v3, v120, v96
	ds_load_2addr_b32 v[95:96], v2 offset0:83 offset1:84
	s_waitcnt lgkmcnt(3)
	v_fmac_f32_e32 v3, v121, v97
	v_fmac_f32_e32 v3, v122, v98
	s_waitcnt lgkmcnt(2)
	s_delay_alu instid0(VALU_DEP_1)
	v_fmac_f32_e32 v3, v123, v99
	ds_load_2addr_b32 v[97:98], v2 offset0:85 offset1:86
	ds_load_b32 v99, v2 offset:348
	s_waitcnt vmcnt(1)
	v_fmac_f32_e32 v3, v124, v100
	s_waitcnt lgkmcnt(3)
	s_delay_alu instid0(VALU_DEP_1) | instskip(NEXT) | instid1(VALU_DEP_1)
	v_fmac_f32_e32 v3, v125, v93
	v_fmac_f32_e32 v3, v126, v94
	s_waitcnt lgkmcnt(2)
	s_delay_alu instid0(VALU_DEP_1) | instskip(SKIP_1) | instid1(VALU_DEP_1)
	v_fmac_f32_e32 v3, v127, v95
	s_waitcnt vmcnt(0)
	v_fmac_f32_e32 v3, v128, v96
	s_waitcnt lgkmcnt(1)
	s_delay_alu instid0(VALU_DEP_1) | instskip(NEXT) | instid1(VALU_DEP_1)
	v_fmac_f32_e32 v3, v129, v97
	v_fmac_f32_e32 v3, v130, v98
	s_waitcnt lgkmcnt(0)
	s_delay_alu instid0(VALU_DEP_1) | instskip(NEXT) | instid1(VALU_DEP_1)
	v_fmac_f32_e32 v3, v131, v99
	v_sub_f32_e32 v3, v92, v3
	scratch_store_b32 off, v3, off offset:16
	v_cmpx_lt_u32_e32 3, v0
	s_cbranch_execz .LBB43_265
; %bb.264:
	scratch_load_b32 v3, off, off offset:12
	scratch_store_b32 off, v2, off offset:12
	s_waitcnt vmcnt(0)
	ds_store_b32 v1, v3
.LBB43_265:
	s_or_b32 exec_lo, exec_lo, s0
	s_waitcnt lgkmcnt(0)
	s_waitcnt_vscnt null, 0x0
	s_barrier
	buffer_gl0_inv
	s_clause 0xa
	scratch_load_b128 v[92:95], off, off offset:12
	scratch_load_b128 v[96:99], off, off offset:28
	;; [unrolled: 1-line block ×10, first 2 shown]
	scratch_load_b32 v3, off, off offset:172
	ds_load_b128 v[132:135], v2 offset:192
	ds_load_b128 v[136:139], v2 offset:208
	s_mov_b32 s0, exec_lo
	s_waitcnt vmcnt(10) lgkmcnt(1)
	v_fma_f32 v132, v93, v132, 0
	s_delay_alu instid0(VALU_DEP_1) | instskip(NEXT) | instid1(VALU_DEP_1)
	v_fmac_f32_e32 v132, v94, v133
	v_fmac_f32_e32 v132, v95, v134
	s_waitcnt vmcnt(9)
	s_delay_alu instid0(VALU_DEP_1) | instskip(SKIP_3) | instid1(VALU_DEP_1)
	v_fmac_f32_e32 v132, v96, v135
	ds_load_b128 v[93:96], v2 offset:224
	s_waitcnt lgkmcnt(1)
	v_fmac_f32_e32 v132, v97, v136
	v_fmac_f32_e32 v132, v98, v137
	s_delay_alu instid0(VALU_DEP_1) | instskip(SKIP_1) | instid1(VALU_DEP_1)
	v_fmac_f32_e32 v132, v99, v138
	s_waitcnt vmcnt(8)
	v_fmac_f32_e32 v132, v100, v139
	ds_load_b128 v[97:100], v2 offset:240
	s_waitcnt lgkmcnt(1)
	v_fmac_f32_e32 v132, v101, v93
	s_delay_alu instid0(VALU_DEP_1) | instskip(NEXT) | instid1(VALU_DEP_1)
	v_fmac_f32_e32 v132, v102, v94
	v_fmac_f32_e32 v132, v103, v95
	s_waitcnt vmcnt(7)
	s_delay_alu instid0(VALU_DEP_1) | instskip(SKIP_3) | instid1(VALU_DEP_1)
	v_fmac_f32_e32 v132, v104, v96
	ds_load_b128 v[93:96], v2 offset:256
	s_waitcnt lgkmcnt(1)
	v_fmac_f32_e32 v132, v105, v97
	v_fmac_f32_e32 v132, v106, v98
	s_delay_alu instid0(VALU_DEP_1) | instskip(SKIP_1) | instid1(VALU_DEP_1)
	v_fmac_f32_e32 v132, v107, v99
	s_waitcnt vmcnt(6)
	v_fmac_f32_e32 v132, v108, v100
	ds_load_b128 v[97:100], v2 offset:272
	s_waitcnt lgkmcnt(1)
	v_fmac_f32_e32 v132, v109, v93
	;; [unrolled: 17-line block ×4, first 2 shown]
	s_delay_alu instid0(VALU_DEP_1) | instskip(NEXT) | instid1(VALU_DEP_1)
	v_fmac_f32_e32 v132, v126, v94
	v_fmac_f32_e32 v132, v127, v95
	s_waitcnt vmcnt(1)
	s_delay_alu instid0(VALU_DEP_1) | instskip(SKIP_1) | instid1(VALU_DEP_1)
	v_fmac_f32_e32 v132, v128, v96
	s_waitcnt lgkmcnt(0)
	v_fmac_f32_e32 v132, v129, v97
	s_delay_alu instid0(VALU_DEP_1) | instskip(NEXT) | instid1(VALU_DEP_1)
	v_fmac_f32_e32 v132, v130, v98
	v_fmac_f32_e32 v132, v131, v99
	s_waitcnt vmcnt(0)
	s_delay_alu instid0(VALU_DEP_1) | instskip(NEXT) | instid1(VALU_DEP_1)
	v_fmac_f32_e32 v132, v3, v100
	v_sub_f32_e32 v2, v92, v132
	scratch_store_b32 off, v2, off offset:12
	v_cmpx_lt_u32_e32 2, v0
	s_cbranch_execz .LBB43_267
; %bb.266:
	scratch_load_b32 v2, off, off offset:8
	v_mov_b32_e32 v3, 0
	scratch_store_b32 off, v3, off offset:8
	s_waitcnt vmcnt(0)
	ds_store_b32 v1, v2
.LBB43_267:
	s_or_b32 exec_lo, exec_lo, s0
	s_waitcnt lgkmcnt(0)
	s_waitcnt_vscnt null, 0x0
	s_barrier
	buffer_gl0_inv
	s_clause 0xa
	scratch_load_b128 v[92:95], off, off offset:8
	scratch_load_b128 v[96:99], off, off offset:24
	;; [unrolled: 1-line block ×10, first 2 shown]
	scratch_load_b64 v[132:133], off, off offset:168
	v_mov_b32_e32 v2, 0
	ds_load_2addr_b32 v[134:135], v2 offset0:47 offset1:48
	ds_load_2addr_b32 v[136:137], v2 offset0:49 offset1:50
	;; [unrolled: 1-line block ×4, first 2 shown]
	s_mov_b32 s0, exec_lo
	s_waitcnt vmcnt(10) lgkmcnt(3)
	v_fma_f32 v3, v93, v134, 0
	s_delay_alu instid0(VALU_DEP_1) | instskip(SKIP_4) | instid1(VALU_DEP_1)
	v_fmac_f32_e32 v3, v94, v135
	ds_load_2addr_b32 v[93:94], v2 offset0:55 offset1:56
	s_waitcnt lgkmcnt(3)
	v_fmac_f32_e32 v3, v95, v136
	s_waitcnt vmcnt(9)
	v_fmac_f32_e32 v3, v96, v137
	ds_load_2addr_b32 v[95:96], v2 offset0:57 offset1:58
	s_waitcnt lgkmcnt(3)
	v_fmac_f32_e32 v3, v97, v138
	s_delay_alu instid0(VALU_DEP_1) | instskip(SKIP_1) | instid1(VALU_DEP_1)
	v_fmac_f32_e32 v3, v98, v139
	s_waitcnt lgkmcnt(2)
	v_fmac_f32_e32 v3, v99, v140
	s_waitcnt vmcnt(8)
	s_delay_alu instid0(VALU_DEP_1) | instskip(SKIP_4) | instid1(VALU_DEP_1)
	v_fmac_f32_e32 v3, v100, v141
	ds_load_2addr_b32 v[97:98], v2 offset0:59 offset1:60
	ds_load_2addr_b32 v[99:100], v2 offset0:61 offset1:62
	s_waitcnt lgkmcnt(3)
	v_fmac_f32_e32 v3, v101, v93
	v_fmac_f32_e32 v3, v102, v94
	ds_load_2addr_b32 v[93:94], v2 offset0:63 offset1:64
	s_waitcnt lgkmcnt(3)
	v_fmac_f32_e32 v3, v103, v95
	s_waitcnt vmcnt(7)
	s_delay_alu instid0(VALU_DEP_1) | instskip(SKIP_3) | instid1(VALU_DEP_1)
	v_fmac_f32_e32 v3, v104, v96
	ds_load_2addr_b32 v[95:96], v2 offset0:65 offset1:66
	s_waitcnt lgkmcnt(3)
	v_fmac_f32_e32 v3, v105, v97
	v_fmac_f32_e32 v3, v106, v98
	s_waitcnt lgkmcnt(2)
	s_delay_alu instid0(VALU_DEP_1) | instskip(SKIP_1) | instid1(VALU_DEP_1)
	v_fmac_f32_e32 v3, v107, v99
	s_waitcnt vmcnt(6)
	v_fmac_f32_e32 v3, v108, v100
	ds_load_2addr_b32 v[97:98], v2 offset0:67 offset1:68
	ds_load_2addr_b32 v[99:100], v2 offset0:69 offset1:70
	s_waitcnt lgkmcnt(3)
	v_fmac_f32_e32 v3, v109, v93
	s_delay_alu instid0(VALU_DEP_1) | instskip(SKIP_4) | instid1(VALU_DEP_1)
	v_fmac_f32_e32 v3, v110, v94
	ds_load_2addr_b32 v[93:94], v2 offset0:71 offset1:72
	s_waitcnt lgkmcnt(3)
	v_fmac_f32_e32 v3, v111, v95
	s_waitcnt vmcnt(5)
	v_fmac_f32_e32 v3, v112, v96
	ds_load_2addr_b32 v[95:96], v2 offset0:73 offset1:74
	s_waitcnt lgkmcnt(3)
	v_fmac_f32_e32 v3, v113, v97
	s_delay_alu instid0(VALU_DEP_1) | instskip(SKIP_1) | instid1(VALU_DEP_1)
	v_fmac_f32_e32 v3, v114, v98
	s_waitcnt lgkmcnt(2)
	v_fmac_f32_e32 v3, v115, v99
	s_waitcnt vmcnt(4)
	s_delay_alu instid0(VALU_DEP_1) | instskip(SKIP_4) | instid1(VALU_DEP_1)
	v_fmac_f32_e32 v3, v116, v100
	ds_load_2addr_b32 v[97:98], v2 offset0:75 offset1:76
	ds_load_2addr_b32 v[99:100], v2 offset0:77 offset1:78
	s_waitcnt lgkmcnt(3)
	v_fmac_f32_e32 v3, v117, v93
	v_fmac_f32_e32 v3, v118, v94
	ds_load_2addr_b32 v[93:94], v2 offset0:79 offset1:80
	s_waitcnt lgkmcnt(3)
	v_fmac_f32_e32 v3, v119, v95
	s_waitcnt vmcnt(3)
	s_delay_alu instid0(VALU_DEP_1) | instskip(SKIP_3) | instid1(VALU_DEP_1)
	v_fmac_f32_e32 v3, v120, v96
	ds_load_2addr_b32 v[95:96], v2 offset0:81 offset1:82
	s_waitcnt lgkmcnt(3)
	v_fmac_f32_e32 v3, v121, v97
	v_fmac_f32_e32 v3, v122, v98
	s_waitcnt lgkmcnt(2)
	s_delay_alu instid0(VALU_DEP_1) | instskip(SKIP_1) | instid1(VALU_DEP_1)
	v_fmac_f32_e32 v3, v123, v99
	s_waitcnt vmcnt(2)
	v_fmac_f32_e32 v3, v124, v100
	ds_load_2addr_b32 v[97:98], v2 offset0:83 offset1:84
	ds_load_2addr_b32 v[99:100], v2 offset0:85 offset1:86
	s_waitcnt lgkmcnt(3)
	v_fmac_f32_e32 v3, v125, v93
	ds_load_b32 v93, v2 offset:348
	v_fmac_f32_e32 v3, v126, v94
	s_waitcnt lgkmcnt(3)
	s_delay_alu instid0(VALU_DEP_1) | instskip(SKIP_1) | instid1(VALU_DEP_1)
	v_fmac_f32_e32 v3, v127, v95
	s_waitcnt vmcnt(1)
	v_fmac_f32_e32 v3, v128, v96
	s_waitcnt lgkmcnt(2)
	s_delay_alu instid0(VALU_DEP_1) | instskip(NEXT) | instid1(VALU_DEP_1)
	v_fmac_f32_e32 v3, v129, v97
	v_fmac_f32_e32 v3, v130, v98
	s_waitcnt lgkmcnt(1)
	s_delay_alu instid0(VALU_DEP_1) | instskip(SKIP_1) | instid1(VALU_DEP_1)
	v_fmac_f32_e32 v3, v131, v99
	s_waitcnt vmcnt(0)
	v_fmac_f32_e32 v3, v132, v100
	s_waitcnt lgkmcnt(0)
	s_delay_alu instid0(VALU_DEP_1) | instskip(NEXT) | instid1(VALU_DEP_1)
	v_fmac_f32_e32 v3, v133, v93
	v_sub_f32_e32 v3, v92, v3
	scratch_store_b32 off, v3, off offset:8
	v_cmpx_lt_u32_e32 1, v0
	s_cbranch_execz .LBB43_269
; %bb.268:
	scratch_load_b32 v3, off, off offset:4
	scratch_store_b32 off, v2, off offset:4
	s_waitcnt vmcnt(0)
	ds_store_b32 v1, v3
.LBB43_269:
	s_or_b32 exec_lo, exec_lo, s0
	s_waitcnt lgkmcnt(0)
	s_waitcnt_vscnt null, 0x0
	s_barrier
	buffer_gl0_inv
	s_clause 0xa
	scratch_load_b128 v[92:95], off, off offset:4
	scratch_load_b128 v[96:99], off, off offset:20
	;; [unrolled: 1-line block ×10, first 2 shown]
	scratch_load_b96 v[140:142], off, off offset:164
	ds_load_2addr_b64 v[132:135], v2 offset0:23 offset1:24
	ds_load_2addr_b64 v[136:139], v2 offset0:25 offset1:26
	s_mov_b32 s0, exec_lo
	s_waitcnt vmcnt(10) lgkmcnt(1)
	v_fma_f32 v132, v93, v132, 0
	s_delay_alu instid0(VALU_DEP_1) | instskip(NEXT) | instid1(VALU_DEP_1)
	v_fmac_f32_e32 v132, v94, v133
	v_fmac_f32_e32 v132, v95, v134
	s_waitcnt vmcnt(9)
	s_delay_alu instid0(VALU_DEP_1) | instskip(SKIP_3) | instid1(VALU_DEP_1)
	v_fmac_f32_e32 v132, v96, v135
	ds_load_2addr_b64 v[93:96], v2 offset0:27 offset1:28
	s_waitcnt lgkmcnt(1)
	v_fmac_f32_e32 v132, v97, v136
	v_fmac_f32_e32 v132, v98, v137
	s_delay_alu instid0(VALU_DEP_1) | instskip(SKIP_1) | instid1(VALU_DEP_1)
	v_fmac_f32_e32 v132, v99, v138
	s_waitcnt vmcnt(8)
	v_fmac_f32_e32 v132, v100, v139
	ds_load_2addr_b64 v[97:100], v2 offset0:29 offset1:30
	s_waitcnt lgkmcnt(1)
	v_fmac_f32_e32 v132, v101, v93
	s_delay_alu instid0(VALU_DEP_1) | instskip(NEXT) | instid1(VALU_DEP_1)
	v_fmac_f32_e32 v132, v102, v94
	v_fmac_f32_e32 v132, v103, v95
	s_waitcnt vmcnt(7)
	s_delay_alu instid0(VALU_DEP_1) | instskip(SKIP_3) | instid1(VALU_DEP_1)
	v_fmac_f32_e32 v132, v104, v96
	ds_load_2addr_b64 v[93:96], v2 offset0:31 offset1:32
	s_waitcnt lgkmcnt(1)
	v_fmac_f32_e32 v132, v105, v97
	v_fmac_f32_e32 v132, v106, v98
	s_delay_alu instid0(VALU_DEP_1) | instskip(SKIP_1) | instid1(VALU_DEP_1)
	v_fmac_f32_e32 v132, v107, v99
	s_waitcnt vmcnt(6)
	v_fmac_f32_e32 v132, v108, v100
	ds_load_2addr_b64 v[97:100], v2 offset0:33 offset1:34
	s_waitcnt lgkmcnt(1)
	v_fmac_f32_e32 v132, v109, v93
	;; [unrolled: 17-line block ×3, first 2 shown]
	s_delay_alu instid0(VALU_DEP_1) | instskip(NEXT) | instid1(VALU_DEP_1)
	v_fmac_f32_e32 v132, v118, v94
	v_fmac_f32_e32 v132, v119, v95
	s_waitcnt vmcnt(3)
	s_delay_alu instid0(VALU_DEP_1) | instskip(SKIP_3) | instid1(VALU_DEP_1)
	v_fmac_f32_e32 v132, v120, v96
	ds_load_2addr_b64 v[93:96], v2 offset0:39 offset1:40
	s_waitcnt lgkmcnt(1)
	v_fmac_f32_e32 v132, v121, v97
	v_fmac_f32_e32 v132, v122, v98
	s_delay_alu instid0(VALU_DEP_1) | instskip(SKIP_1) | instid1(VALU_DEP_1)
	v_fmac_f32_e32 v132, v123, v99
	s_waitcnt vmcnt(2)
	v_fmac_f32_e32 v132, v124, v100
	ds_load_2addr_b64 v[97:100], v2 offset0:41 offset1:42
	ds_load_b64 v[2:3], v2 offset:344
	s_waitcnt lgkmcnt(2)
	v_fmac_f32_e32 v132, v125, v93
	s_delay_alu instid0(VALU_DEP_1) | instskip(NEXT) | instid1(VALU_DEP_1)
	v_fmac_f32_e32 v132, v126, v94
	v_fmac_f32_e32 v132, v127, v95
	s_waitcnt vmcnt(1)
	s_delay_alu instid0(VALU_DEP_1) | instskip(SKIP_1) | instid1(VALU_DEP_1)
	v_fmac_f32_e32 v132, v128, v96
	s_waitcnt lgkmcnt(1)
	v_fmac_f32_e32 v132, v129, v97
	s_delay_alu instid0(VALU_DEP_1) | instskip(NEXT) | instid1(VALU_DEP_1)
	v_fmac_f32_e32 v132, v130, v98
	v_fmac_f32_e32 v132, v131, v99
	s_waitcnt vmcnt(0)
	s_delay_alu instid0(VALU_DEP_1) | instskip(SKIP_1) | instid1(VALU_DEP_1)
	v_fmac_f32_e32 v132, v140, v100
	s_waitcnt lgkmcnt(0)
	v_fmac_f32_e32 v132, v141, v2
	s_delay_alu instid0(VALU_DEP_1) | instskip(NEXT) | instid1(VALU_DEP_1)
	v_fmac_f32_e32 v132, v142, v3
	v_sub_f32_e32 v2, v92, v132
	scratch_store_b32 off, v2, off offset:4
	v_cmpx_ne_u32_e32 0, v0
	s_cbranch_execz .LBB43_271
; %bb.270:
	scratch_load_b32 v0, off, off
	v_mov_b32_e32 v2, 0
	scratch_store_b32 off, v2, off
	s_waitcnt vmcnt(0)
	ds_store_b32 v1, v0
.LBB43_271:
	s_or_b32 exec_lo, exec_lo, s0
	s_waitcnt lgkmcnt(0)
	s_waitcnt_vscnt null, 0x0
	s_barrier
	buffer_gl0_inv
	s_clause 0xa
	scratch_load_b128 v[92:95], off, off
	scratch_load_b128 v[96:99], off, off offset:16
	scratch_load_b128 v[100:103], off, off offset:32
	scratch_load_b128 v[104:107], off, off offset:48
	scratch_load_b128 v[108:111], off, off offset:64
	scratch_load_b128 v[112:115], off, off offset:80
	scratch_load_b128 v[116:119], off, off offset:96
	scratch_load_b128 v[120:123], off, off offset:112
	scratch_load_b128 v[124:127], off, off offset:128
	scratch_load_b128 v[128:131], off, off offset:144
	scratch_load_b128 v[0:3], off, off offset:160
	v_mov_b32_e32 v140, 0
	ds_load_2addr_b32 v[132:133], v140 offset0:45 offset1:46
	ds_load_2addr_b32 v[134:135], v140 offset0:47 offset1:48
	;; [unrolled: 1-line block ×4, first 2 shown]
	s_and_b32 vcc_lo, exec_lo, s16
	s_waitcnt vmcnt(10) lgkmcnt(3)
	v_fma_f32 v132, v93, v132, 0
	s_delay_alu instid0(VALU_DEP_1) | instskip(SKIP_4) | instid1(VALU_DEP_1)
	v_fmac_f32_e32 v132, v94, v133
	ds_load_2addr_b32 v[93:94], v140 offset0:53 offset1:54
	s_waitcnt lgkmcnt(3)
	v_fmac_f32_e32 v132, v95, v134
	s_waitcnt vmcnt(9)
	v_fmac_f32_e32 v132, v96, v135
	ds_load_2addr_b32 v[95:96], v140 offset0:55 offset1:56
	s_waitcnt lgkmcnt(3)
	v_fmac_f32_e32 v132, v97, v136
	s_delay_alu instid0(VALU_DEP_1) | instskip(SKIP_1) | instid1(VALU_DEP_1)
	v_fmac_f32_e32 v132, v98, v137
	s_waitcnt lgkmcnt(2)
	v_fmac_f32_e32 v132, v99, v138
	s_waitcnt vmcnt(8)
	s_delay_alu instid0(VALU_DEP_1) | instskip(SKIP_4) | instid1(VALU_DEP_1)
	v_fmac_f32_e32 v132, v100, v139
	ds_load_2addr_b32 v[97:98], v140 offset0:57 offset1:58
	ds_load_2addr_b32 v[99:100], v140 offset0:59 offset1:60
	s_waitcnt lgkmcnt(3)
	v_fmac_f32_e32 v132, v101, v93
	v_fmac_f32_e32 v132, v102, v94
	ds_load_2addr_b32 v[93:94], v140 offset0:61 offset1:62
	s_waitcnt lgkmcnt(3)
	v_fmac_f32_e32 v132, v103, v95
	s_waitcnt vmcnt(7)
	s_delay_alu instid0(VALU_DEP_1) | instskip(SKIP_3) | instid1(VALU_DEP_1)
	v_fmac_f32_e32 v132, v104, v96
	ds_load_2addr_b32 v[95:96], v140 offset0:63 offset1:64
	s_waitcnt lgkmcnt(3)
	v_fmac_f32_e32 v132, v105, v97
	v_fmac_f32_e32 v132, v106, v98
	s_waitcnt lgkmcnt(2)
	s_delay_alu instid0(VALU_DEP_1) | instskip(SKIP_1) | instid1(VALU_DEP_1)
	v_fmac_f32_e32 v132, v107, v99
	s_waitcnt vmcnt(6)
	v_fmac_f32_e32 v132, v108, v100
	ds_load_2addr_b32 v[97:98], v140 offset0:65 offset1:66
	ds_load_2addr_b32 v[99:100], v140 offset0:67 offset1:68
	s_waitcnt lgkmcnt(3)
	v_fmac_f32_e32 v132, v109, v93
	s_delay_alu instid0(VALU_DEP_1) | instskip(SKIP_4) | instid1(VALU_DEP_1)
	v_fmac_f32_e32 v132, v110, v94
	ds_load_2addr_b32 v[93:94], v140 offset0:69 offset1:70
	s_waitcnt lgkmcnt(3)
	v_fmac_f32_e32 v132, v111, v95
	s_waitcnt vmcnt(5)
	v_fmac_f32_e32 v132, v112, v96
	ds_load_2addr_b32 v[95:96], v140 offset0:71 offset1:72
	s_waitcnt lgkmcnt(3)
	v_fmac_f32_e32 v132, v113, v97
	s_delay_alu instid0(VALU_DEP_1) | instskip(SKIP_1) | instid1(VALU_DEP_1)
	v_fmac_f32_e32 v132, v114, v98
	s_waitcnt lgkmcnt(2)
	v_fmac_f32_e32 v132, v115, v99
	s_waitcnt vmcnt(4)
	s_delay_alu instid0(VALU_DEP_1) | instskip(SKIP_4) | instid1(VALU_DEP_1)
	v_fmac_f32_e32 v132, v116, v100
	ds_load_2addr_b32 v[97:98], v140 offset0:73 offset1:74
	ds_load_2addr_b32 v[99:100], v140 offset0:75 offset1:76
	s_waitcnt lgkmcnt(3)
	v_fmac_f32_e32 v132, v117, v93
	v_fmac_f32_e32 v132, v118, v94
	ds_load_2addr_b32 v[93:94], v140 offset0:77 offset1:78
	s_waitcnt lgkmcnt(3)
	v_fmac_f32_e32 v132, v119, v95
	s_waitcnt vmcnt(3)
	s_delay_alu instid0(VALU_DEP_1) | instskip(SKIP_3) | instid1(VALU_DEP_1)
	v_fmac_f32_e32 v132, v120, v96
	ds_load_2addr_b32 v[95:96], v140 offset0:79 offset1:80
	s_waitcnt lgkmcnt(3)
	v_fmac_f32_e32 v132, v121, v97
	v_fmac_f32_e32 v132, v122, v98
	s_waitcnt lgkmcnt(2)
	s_delay_alu instid0(VALU_DEP_1) | instskip(SKIP_1) | instid1(VALU_DEP_1)
	v_fmac_f32_e32 v132, v123, v99
	s_waitcnt vmcnt(2)
	v_fmac_f32_e32 v132, v124, v100
	ds_load_2addr_b32 v[97:98], v140 offset0:81 offset1:82
	ds_load_2addr_b32 v[99:100], v140 offset0:83 offset1:84
	s_waitcnt lgkmcnt(3)
	v_fmac_f32_e32 v132, v125, v93
	s_delay_alu instid0(VALU_DEP_1)
	v_fmac_f32_e32 v132, v126, v94
	ds_load_2addr_b32 v[93:94], v140 offset0:85 offset1:86
	s_waitcnt lgkmcnt(3)
	v_fmac_f32_e32 v132, v127, v95
	ds_load_b32 v95, v140 offset:348
	s_waitcnt vmcnt(1)
	v_fmac_f32_e32 v132, v128, v96
	s_waitcnt lgkmcnt(3)
	s_delay_alu instid0(VALU_DEP_1) | instskip(NEXT) | instid1(VALU_DEP_1)
	v_fmac_f32_e32 v132, v129, v97
	v_fmac_f32_e32 v132, v130, v98
	s_waitcnt lgkmcnt(2)
	s_delay_alu instid0(VALU_DEP_1) | instskip(SKIP_1) | instid1(VALU_DEP_1)
	v_fmac_f32_e32 v132, v131, v99
	s_waitcnt vmcnt(0)
	v_fmac_f32_e32 v132, v0, v100
	s_waitcnt lgkmcnt(1)
	s_delay_alu instid0(VALU_DEP_1) | instskip(NEXT) | instid1(VALU_DEP_1)
	v_fmac_f32_e32 v132, v1, v93
	v_fmac_f32_e32 v132, v2, v94
	s_waitcnt lgkmcnt(0)
	s_delay_alu instid0(VALU_DEP_1) | instskip(NEXT) | instid1(VALU_DEP_1)
	v_fmac_f32_e32 v132, v3, v95
	v_sub_f32_e32 v0, v92, v132
	scratch_store_b32 off, v0, off
	s_cbranch_vccz .LBB43_359
; %bb.272:
	v_dual_mov_b32 v0, s12 :: v_dual_mov_b32 v1, s13
	s_mov_b32 s0, exec_lo
	flat_load_b32 v0, v[0:1] offset:168
	s_waitcnt vmcnt(0) lgkmcnt(0)
	v_cmpx_ne_u32_e32 43, v0
	s_cbranch_execz .LBB43_274
; %bb.273:
	v_lshl_add_u32 v0, v0, 2, 0
	scratch_load_b32 v1, v0, off offset:-4
	s_waitcnt vmcnt(0)
	scratch_store_b32 off, v1, off offset:168
	scratch_store_b32 v0, v2, off offset:-4
.LBB43_274:
	s_or_b32 exec_lo, exec_lo, s0
	v_dual_mov_b32 v0, s12 :: v_dual_mov_b32 v1, s13
	s_mov_b32 s0, exec_lo
	flat_load_b32 v0, v[0:1] offset:164
	s_waitcnt vmcnt(0) lgkmcnt(0)
	v_cmpx_ne_u32_e32 42, v0
	s_cbranch_execz .LBB43_276
; %bb.275:
	v_lshl_add_u32 v0, v0, 2, 0
	scratch_load_b32 v1, v0, off offset:-4
	scratch_load_b32 v2, off, off offset:164
	s_waitcnt vmcnt(1)
	scratch_store_b32 off, v1, off offset:164
	s_waitcnt vmcnt(0)
	scratch_store_b32 v0, v2, off offset:-4
.LBB43_276:
	s_or_b32 exec_lo, exec_lo, s0
	v_dual_mov_b32 v0, s12 :: v_dual_mov_b32 v1, s13
	s_mov_b32 s0, exec_lo
	flat_load_b32 v0, v[0:1] offset:160
	s_waitcnt vmcnt(0) lgkmcnt(0)
	v_cmpx_ne_u32_e32 41, v0
	s_cbranch_execz .LBB43_278
; %bb.277:
	v_lshl_add_u32 v0, v0, 2, 0
	scratch_load_b32 v1, v0, off offset:-4
	scratch_load_b32 v2, off, off offset:160
	s_waitcnt vmcnt(1)
	scratch_store_b32 off, v1, off offset:160
	s_waitcnt vmcnt(0)
	scratch_store_b32 v0, v2, off offset:-4
.LBB43_278:
	;; [unrolled: 16-line block ×41, first 2 shown]
	s_or_b32 exec_lo, exec_lo, s0
	v_dual_mov_b32 v0, s12 :: v_dual_mov_b32 v1, s13
	s_mov_b32 s0, exec_lo
	flat_load_b32 v1, v[0:1]
	scratch_load_b32 v0, off, off
	s_waitcnt vmcnt(1) lgkmcnt(0)
	v_cmpx_ne_u32_e32 1, v1
	s_cbranch_execz .LBB43_358
; %bb.357:
	v_lshl_add_u32 v1, v1, 2, 0
	scratch_load_b32 v2, v1, off offset:-4
	s_waitcnt vmcnt(0)
	scratch_store_b32 off, v2, off
	scratch_store_b32 v1, v0, off offset:-4
	scratch_load_b32 v0, off, off
.LBB43_358:
	s_or_b32 exec_lo, exec_lo, s0
.LBB43_359:
	s_clause 0xa
	scratch_load_b128 v[92:95], off, off offset:4
	scratch_load_b128 v[96:99], off, off offset:20
	;; [unrolled: 1-line block ×10, first 2 shown]
	scratch_load_b96 v[1:3], off, off offset:164
	s_waitcnt vmcnt(11)
	global_store_b32 v[4:5], v0, off
	s_waitcnt vmcnt(10)
	s_clause 0x3
	global_store_b32 v[6:7], v92, off
	global_store_b32 v[8:9], v93, off
	global_store_b32 v[10:11], v94, off
	global_store_b32 v[12:13], v95, off
	s_waitcnt vmcnt(9)
	s_clause 0x3
	global_store_b32 v[14:15], v96, off
	global_store_b32 v[16:17], v97, off
	global_store_b32 v[18:19], v98, off
	;; [unrolled: 6-line block ×11, first 2 shown]
	s_endpgm
	.section	.rodata,"a",@progbits
	.p2align	6, 0x0
	.amdhsa_kernel _ZN9rocsolver6v33100L18getri_kernel_smallILi44EfPfEEvT1_iilPiilS4_bb
		.amdhsa_group_segment_fixed_size 356
		.amdhsa_private_segment_fixed_size 192
		.amdhsa_kernarg_size 60
		.amdhsa_user_sgpr_count 15
		.amdhsa_user_sgpr_dispatch_ptr 0
		.amdhsa_user_sgpr_queue_ptr 0
		.amdhsa_user_sgpr_kernarg_segment_ptr 1
		.amdhsa_user_sgpr_dispatch_id 0
		.amdhsa_user_sgpr_private_segment_size 0
		.amdhsa_wavefront_size32 1
		.amdhsa_uses_dynamic_stack 0
		.amdhsa_enable_private_segment 1
		.amdhsa_system_sgpr_workgroup_id_x 1
		.amdhsa_system_sgpr_workgroup_id_y 0
		.amdhsa_system_sgpr_workgroup_id_z 0
		.amdhsa_system_sgpr_workgroup_info 0
		.amdhsa_system_vgpr_workitem_id 0
		.amdhsa_next_free_vgpr 143
		.amdhsa_next_free_sgpr 18
		.amdhsa_reserve_vcc 1
		.amdhsa_float_round_mode_32 0
		.amdhsa_float_round_mode_16_64 0
		.amdhsa_float_denorm_mode_32 3
		.amdhsa_float_denorm_mode_16_64 3
		.amdhsa_dx10_clamp 1
		.amdhsa_ieee_mode 1
		.amdhsa_fp16_overflow 0
		.amdhsa_workgroup_processor_mode 1
		.amdhsa_memory_ordered 1
		.amdhsa_forward_progress 0
		.amdhsa_shared_vgpr_count 0
		.amdhsa_exception_fp_ieee_invalid_op 0
		.amdhsa_exception_fp_denorm_src 0
		.amdhsa_exception_fp_ieee_div_zero 0
		.amdhsa_exception_fp_ieee_overflow 0
		.amdhsa_exception_fp_ieee_underflow 0
		.amdhsa_exception_fp_ieee_inexact 0
		.amdhsa_exception_int_div_zero 0
	.end_amdhsa_kernel
	.section	.text._ZN9rocsolver6v33100L18getri_kernel_smallILi44EfPfEEvT1_iilPiilS4_bb,"axG",@progbits,_ZN9rocsolver6v33100L18getri_kernel_smallILi44EfPfEEvT1_iilPiilS4_bb,comdat
.Lfunc_end43:
	.size	_ZN9rocsolver6v33100L18getri_kernel_smallILi44EfPfEEvT1_iilPiilS4_bb, .Lfunc_end43-_ZN9rocsolver6v33100L18getri_kernel_smallILi44EfPfEEvT1_iilPiilS4_bb
                                        ; -- End function
	.section	.AMDGPU.csdata,"",@progbits
; Kernel info:
; codeLenInByte = 30888
; NumSgprs: 20
; NumVgprs: 143
; ScratchSize: 192
; MemoryBound: 0
; FloatMode: 240
; IeeeMode: 1
; LDSByteSize: 356 bytes/workgroup (compile time only)
; SGPRBlocks: 2
; VGPRBlocks: 17
; NumSGPRsForWavesPerEU: 20
; NumVGPRsForWavesPerEU: 143
; Occupancy: 10
; WaveLimiterHint : 1
; COMPUTE_PGM_RSRC2:SCRATCH_EN: 1
; COMPUTE_PGM_RSRC2:USER_SGPR: 15
; COMPUTE_PGM_RSRC2:TRAP_HANDLER: 0
; COMPUTE_PGM_RSRC2:TGID_X_EN: 1
; COMPUTE_PGM_RSRC2:TGID_Y_EN: 0
; COMPUTE_PGM_RSRC2:TGID_Z_EN: 0
; COMPUTE_PGM_RSRC2:TIDIG_COMP_CNT: 0
	.section	.text._ZN9rocsolver6v33100L18getri_kernel_smallILi45EfPfEEvT1_iilPiilS4_bb,"axG",@progbits,_ZN9rocsolver6v33100L18getri_kernel_smallILi45EfPfEEvT1_iilPiilS4_bb,comdat
	.globl	_ZN9rocsolver6v33100L18getri_kernel_smallILi45EfPfEEvT1_iilPiilS4_bb ; -- Begin function _ZN9rocsolver6v33100L18getri_kernel_smallILi45EfPfEEvT1_iilPiilS4_bb
	.p2align	8
	.type	_ZN9rocsolver6v33100L18getri_kernel_smallILi45EfPfEEvT1_iilPiilS4_bb,@function
_ZN9rocsolver6v33100L18getri_kernel_smallILi45EfPfEEvT1_iilPiilS4_bb: ; @_ZN9rocsolver6v33100L18getri_kernel_smallILi45EfPfEEvT1_iilPiilS4_bb
; %bb.0:
	s_mov_b32 s2, exec_lo
	v_cmpx_gt_u32_e32 45, v0
	s_cbranch_execz .LBB44_188
; %bb.1:
	s_clause 0x2
	s_load_b32 s17, s[0:1], 0x38
	s_load_b128 s[8:11], s[0:1], 0x10
	s_load_b128 s[4:7], s[0:1], 0x28
	s_mov_b32 s14, s15
                                        ; implicit-def: $sgpr12_sgpr13
	s_waitcnt lgkmcnt(0)
	s_bitcmp1_b32 s17, 8
	s_cselect_b32 s16, -1, 0
	s_bfe_u32 s2, s17, 0x10008
	s_ashr_i32 s15, s15, 31
	s_cmp_eq_u32 s2, 0
	s_cbranch_scc1 .LBB44_3
; %bb.2:
	s_load_b32 s2, s[0:1], 0x20
	s_mul_i32 s3, s14, s5
	s_mul_hi_u32 s5, s14, s4
	s_mul_i32 s12, s15, s4
	s_add_i32 s3, s5, s3
	s_mul_i32 s4, s14, s4
	s_add_i32 s5, s3, s12
	s_delay_alu instid0(SALU_CYCLE_1)
	s_lshl_b64 s[4:5], s[4:5], 2
	s_waitcnt lgkmcnt(0)
	s_ashr_i32 s3, s2, 31
	s_add_u32 s4, s10, s4
	s_addc_u32 s5, s11, s5
	s_lshl_b64 s[2:3], s[2:3], 2
	s_delay_alu instid0(SALU_CYCLE_1)
	s_add_u32 s12, s4, s2
	s_addc_u32 s13, s5, s3
.LBB44_3:
	s_load_b128 s[0:3], s[0:1], 0x0
	s_mul_i32 s4, s14, s9
	s_mul_hi_u32 s5, s14, s8
	s_mul_i32 s9, s15, s8
	s_add_i32 s5, s5, s4
	s_mul_i32 s4, s14, s8
	s_add_i32 s5, s5, s9
	v_lshlrev_b32_e32 v3, 2, v0
	s_lshl_b64 s[4:5], s[4:5], 2
	s_waitcnt lgkmcnt(0)
	v_add3_u32 v1, s3, s3, v0
	s_ashr_i32 s9, s2, 31
	s_mov_b32 s8, s2
	s_add_u32 s2, s0, s4
	s_addc_u32 s4, s1, s5
	v_add_nc_u32_e32 v8, s3, v1
	s_lshl_b64 s[0:1], s[8:9], 2
	v_ashrrev_i32_e32 v2, 31, v1
	s_add_u32 s0, s2, s0
	s_addc_u32 s1, s4, s1
	v_add_nc_u32_e32 v10, s3, v8
	v_add_co_u32 v4, s2, s0, v3
	s_mov_b32 s10, s3
	s_ashr_i32 s11, s3, 31
	s_delay_alu instid0(VALU_DEP_2) | instskip(SKIP_3) | instid1(VALU_DEP_4)
	v_add_nc_u32_e32 v12, s3, v10
	v_add_co_ci_u32_e64 v5, null, s1, 0, s2
	v_ashrrev_i32_e32 v9, 31, v8
	v_lshlrev_b64 v[1:2], 2, v[1:2]
	v_add_nc_u32_e32 v14, s3, v12
	s_lshl_b64 s[4:5], s[10:11], 2
	v_ashrrev_i32_e32 v11, 31, v10
	v_add_co_u32 v6, vcc_lo, v4, s4
	s_delay_alu instid0(VALU_DEP_3) | instskip(SKIP_3) | instid1(VALU_DEP_4)
	v_add_nc_u32_e32 v16, s3, v14
	v_add_co_ci_u32_e32 v7, vcc_lo, s5, v5, vcc_lo
	v_lshlrev_b64 v[43:44], 2, v[8:9]
	v_add_co_u32 v8, vcc_lo, s0, v1
	v_add_nc_u32_e32 v18, s3, v16
	v_add_co_ci_u32_e32 v9, vcc_lo, s1, v2, vcc_lo
	v_lshlrev_b64 v[1:2], 2, v[10:11]
	v_ashrrev_i32_e32 v13, 31, v12
	s_delay_alu instid0(VALU_DEP_4) | instskip(SKIP_3) | instid1(VALU_DEP_4)
	v_add_nc_u32_e32 v20, s3, v18
	v_add_co_u32 v10, vcc_lo, s0, v43
	v_ashrrev_i32_e32 v15, 31, v14
	v_add_co_ci_u32_e32 v11, vcc_lo, s1, v44, vcc_lo
	v_add_nc_u32_e32 v22, s3, v20
	v_lshlrev_b64 v[43:44], 2, v[12:13]
	v_add_co_u32 v12, vcc_lo, s0, v1
	v_add_co_ci_u32_e32 v13, vcc_lo, s1, v2, vcc_lo
	s_delay_alu instid0(VALU_DEP_4) | instskip(SKIP_3) | instid1(VALU_DEP_4)
	v_add_nc_u32_e32 v24, s3, v22
	v_lshlrev_b64 v[1:2], 2, v[14:15]
	v_ashrrev_i32_e32 v17, 31, v16
	v_add_co_u32 v14, vcc_lo, s0, v43
	v_add_nc_u32_e32 v26, s3, v24
	v_ashrrev_i32_e32 v19, 31, v18
	v_add_co_ci_u32_e32 v15, vcc_lo, s1, v44, vcc_lo
	v_lshlrev_b64 v[43:44], 2, v[16:17]
	s_delay_alu instid0(VALU_DEP_4) | instskip(SKIP_2) | instid1(VALU_DEP_3)
	v_add_nc_u32_e32 v28, s3, v26
	v_add_co_u32 v16, vcc_lo, s0, v1
	v_add_co_ci_u32_e32 v17, vcc_lo, s1, v2, vcc_lo
	v_add_nc_u32_e32 v30, s3, v28
	v_lshlrev_b64 v[1:2], 2, v[18:19]
	v_ashrrev_i32_e32 v21, 31, v20
	v_add_co_u32 v18, vcc_lo, s0, v43
	s_delay_alu instid0(VALU_DEP_4) | instskip(SKIP_3) | instid1(VALU_DEP_4)
	v_add_nc_u32_e32 v32, s3, v30
	v_ashrrev_i32_e32 v23, 31, v22
	v_add_co_ci_u32_e32 v19, vcc_lo, s1, v44, vcc_lo
	v_lshlrev_b64 v[43:44], 2, v[20:21]
	v_add_nc_u32_e32 v34, s3, v32
	v_add_co_u32 v20, vcc_lo, s0, v1
	v_add_co_ci_u32_e32 v21, vcc_lo, s1, v2, vcc_lo
	s_delay_alu instid0(VALU_DEP_3) | instskip(SKIP_3) | instid1(VALU_DEP_4)
	v_add_nc_u32_e32 v36, s3, v34
	v_lshlrev_b64 v[1:2], 2, v[22:23]
	v_ashrrev_i32_e32 v25, 31, v24
	v_add_co_u32 v22, vcc_lo, s0, v43
	v_add_nc_u32_e32 v38, s3, v36
	v_ashrrev_i32_e32 v27, 31, v26
	v_add_co_ci_u32_e32 v23, vcc_lo, s1, v44, vcc_lo
	v_lshlrev_b64 v[43:44], 2, v[24:25]
	s_delay_alu instid0(VALU_DEP_4) | instskip(SKIP_2) | instid1(VALU_DEP_3)
	v_add_nc_u32_e32 v40, s3, v38
	v_add_co_u32 v24, vcc_lo, s0, v1
	v_add_co_ci_u32_e32 v25, vcc_lo, s1, v2, vcc_lo
	v_add_nc_u32_e32 v42, s3, v40
	v_lshlrev_b64 v[1:2], 2, v[26:27]
	v_ashrrev_i32_e32 v29, 31, v28
	v_add_co_u32 v26, vcc_lo, s0, v43
	s_delay_alu instid0(VALU_DEP_4) | instskip(SKIP_3) | instid1(VALU_DEP_4)
	v_add_nc_u32_e32 v45, s3, v42
	v_ashrrev_i32_e32 v31, 31, v30
	v_add_co_ci_u32_e32 v27, vcc_lo, s1, v44, vcc_lo
	v_lshlrev_b64 v[43:44], 2, v[28:29]
	v_add_nc_u32_e32 v47, s3, v45
	v_add_co_u32 v28, vcc_lo, s0, v1
	v_add_co_ci_u32_e32 v29, vcc_lo, s1, v2, vcc_lo
	s_delay_alu instid0(VALU_DEP_3) | instskip(SKIP_3) | instid1(VALU_DEP_4)
	;; [unrolled: 25-line block ×4, first 2 shown]
	v_add_nc_u32_e32 v76, s3, v74
	v_lshlrev_b64 v[1:2], 2, v[47:48]
	v_ashrrev_i32_e32 v50, 31, v49
	v_add_co_u32 v46, vcc_lo, s0, v54
	v_add_nc_u32_e32 v78, s3, v76
	v_ashrrev_i32_e32 v52, 31, v51
	v_add_co_ci_u32_e32 v47, vcc_lo, s1, v55, vcc_lo
	v_lshlrev_b64 v[69:70], 2, v[49:50]
	s_delay_alu instid0(VALU_DEP_4) | instskip(SKIP_2) | instid1(VALU_DEP_3)
	v_add_nc_u32_e32 v80, s3, v78
	v_add_co_u32 v48, vcc_lo, s0, v1
	v_add_co_ci_u32_e32 v49, vcc_lo, s1, v2, vcc_lo
	v_add_nc_u32_e32 v82, s3, v80
	v_lshlrev_b64 v[1:2], 2, v[51:52]
	v_ashrrev_i32_e32 v54, 31, v53
	v_add_co_u32 v50, vcc_lo, s0, v69
	s_delay_alu instid0(VALU_DEP_4) | instskip(SKIP_1) | instid1(VALU_DEP_4)
	v_add_nc_u32_e32 v84, s3, v82
	v_add_co_ci_u32_e32 v51, vcc_lo, s1, v70, vcc_lo
	v_lshlrev_b64 v[69:70], 2, v[53:54]
	v_ashrrev_i32_e32 v57, 31, v56
	s_delay_alu instid0(VALU_DEP_4) | instskip(SKIP_2) | instid1(VALU_DEP_3)
	v_add_nc_u32_e32 v86, s3, v84
	v_add_co_u32 v54, vcc_lo, s0, v1
	v_add_co_ci_u32_e32 v55, vcc_lo, s1, v2, vcc_lo
	v_add_nc_u32_e32 v88, s3, v86
	v_lshlrev_b64 v[1:2], 2, v[56:57]
	v_ashrrev_i32_e32 v59, 31, v58
	v_ashrrev_i32_e32 v61, 31, v60
	;; [unrolled: 1-line block ×3, first 2 shown]
	v_add_nc_u32_e32 v90, s3, v88
	v_ashrrev_i32_e32 v65, 31, v64
	v_ashrrev_i32_e32 v67, 31, v66
	;; [unrolled: 1-line block ×4, first 2 shown]
	v_add_nc_u32_e32 v92, s3, v90
	v_ashrrev_i32_e32 v77, 31, v76
	v_ashrrev_i32_e32 v79, 31, v78
	;; [unrolled: 1-line block ×3, first 2 shown]
	v_lshlrev_b64 v[74:75], 2, v[74:75]
	v_add_nc_u32_e32 v52, s3, v92
	v_ashrrev_i32_e32 v83, 31, v82
	v_lshlrev_b64 v[78:79], 2, v[78:79]
	v_ashrrev_i32_e32 v85, 31, v84
	v_ashrrev_i32_e32 v87, 31, v86
	;; [unrolled: 1-line block ×3, first 2 shown]
	v_lshlrev_b64 v[82:83], 2, v[82:83]
	v_ashrrev_i32_e32 v89, 31, v88
	v_ashrrev_i32_e32 v91, 31, v90
	v_lshlrev_b64 v[86:87], 2, v[86:87]
	v_lshlrev_b64 v[52:53], 2, v[52:53]
	v_ashrrev_i32_e32 v93, 31, v92
	global_load_b32 v94, v3, s[0:1]
	v_lshlrev_b64 v[90:91], 2, v[90:91]
	s_clause 0xf
	global_load_b32 v95, v[6:7], off
	global_load_b32 v96, v[8:9], off
	global_load_b32 v97, v[10:11], off
	global_load_b32 v98, v[12:13], off
	global_load_b32 v99, v[14:15], off
	global_load_b32 v100, v[16:17], off
	global_load_b32 v101, v[18:19], off
	global_load_b32 v102, v[20:21], off
	global_load_b32 v103, v[22:23], off
	global_load_b32 v104, v[24:25], off
	global_load_b32 v105, v[26:27], off
	global_load_b32 v106, v[28:29], off
	global_load_b32 v107, v[30:31], off
	global_load_b32 v108, v[32:33], off
	global_load_b32 v109, v[34:35], off
	global_load_b32 v110, v[36:37], off
	v_add_co_u32 v52, vcc_lo, s0, v52
	v_add_co_ci_u32_e32 v53, vcc_lo, s1, v53, vcc_lo
	v_add_co_u32 v56, vcc_lo, s0, v69
	v_add_co_ci_u32_e32 v57, vcc_lo, s1, v70, vcc_lo
	v_lshlrev_b64 v[69:70], 2, v[58:59]
	v_add_co_u32 v58, vcc_lo, s0, v1
	v_add_co_ci_u32_e32 v59, vcc_lo, s1, v2, vcc_lo
	v_lshlrev_b64 v[1:2], 2, v[60:61]
	s_delay_alu instid0(VALU_DEP_4) | instskip(SKIP_2) | instid1(VALU_DEP_4)
	v_add_co_u32 v60, vcc_lo, s0, v69
	v_add_co_ci_u32_e32 v61, vcc_lo, s1, v70, vcc_lo
	v_lshlrev_b64 v[69:70], 2, v[62:63]
	v_add_co_u32 v62, vcc_lo, s0, v1
	v_add_co_ci_u32_e32 v63, vcc_lo, s1, v2, vcc_lo
	v_lshlrev_b64 v[1:2], 2, v[64:65]
	s_delay_alu instid0(VALU_DEP_4)
	v_add_co_u32 v64, vcc_lo, s0, v69
	v_ashrrev_i32_e32 v69, 31, v68
	v_add_co_ci_u32_e32 v65, vcc_lo, s1, v70, vcc_lo
	v_lshlrev_b64 v[70:71], 2, v[66:67]
	v_add_co_u32 v66, vcc_lo, s0, v1
	v_add_co_ci_u32_e32 v67, vcc_lo, s1, v2, vcc_lo
	v_lshlrev_b64 v[1:2], 2, v[68:69]
	s_delay_alu instid0(VALU_DEP_4)
	v_add_co_u32 v68, vcc_lo, s0, v70
	v_add_co_ci_u32_e32 v69, vcc_lo, s1, v71, vcc_lo
	s_clause 0x7
	global_load_b32 v111, v[38:39], off
	global_load_b32 v112, v[40:41], off
	;; [unrolled: 1-line block ×8, first 2 shown]
	v_add_co_u32 v70, vcc_lo, s0, v1
	v_add_co_ci_u32_e32 v71, vcc_lo, s1, v2, vcc_lo
	v_lshlrev_b64 v[1:2], 2, v[72:73]
	s_clause 0x7
	global_load_b32 v119, v[56:57], off
	global_load_b32 v120, v[58:59], off
	;; [unrolled: 1-line block ×8, first 2 shown]
	s_bitcmp0_b32 s17, 0
	v_add_co_u32 v72, vcc_lo, s0, v1
	v_add_co_ci_u32_e32 v73, vcc_lo, s1, v2, vcc_lo
	v_lshlrev_b64 v[1:2], 2, v[76:77]
	v_add_co_u32 v74, vcc_lo, s0, v74
	v_add_co_ci_u32_e32 v75, vcc_lo, s1, v75, vcc_lo
	s_delay_alu instid0(VALU_DEP_3) | instskip(NEXT) | instid1(VALU_DEP_4)
	v_add_co_u32 v76, vcc_lo, s0, v1
	v_add_co_ci_u32_e32 v77, vcc_lo, s1, v2, vcc_lo
	v_lshlrev_b64 v[1:2], 2, v[80:81]
	v_add_co_u32 v78, vcc_lo, s0, v78
	v_add_co_ci_u32_e32 v79, vcc_lo, s1, v79, vcc_lo
	s_delay_alu instid0(VALU_DEP_3) | instskip(NEXT) | instid1(VALU_DEP_4)
	;; [unrolled: 6-line block ×5, first 2 shown]
	v_add_co_u32 v92, vcc_lo, s0, v1
	v_add_co_ci_u32_e32 v93, vcc_lo, s1, v2, vcc_lo
	s_clause 0xb
	global_load_b32 v127, v[72:73], off
	global_load_b32 v128, v[74:75], off
	;; [unrolled: 1-line block ×12, first 2 shown]
	s_mov_b32 s1, -1
	s_waitcnt vmcnt(41)
	scratch_store_b128 off, v[94:97], off
	s_waitcnt vmcnt(37)
	scratch_store_b128 off, v[98:101], off offset:16
	s_waitcnt vmcnt(33)
	scratch_store_b128 off, v[102:105], off offset:32
	;; [unrolled: 2-line block ×10, first 2 shown]
	s_waitcnt vmcnt(0)
	scratch_store_b32 off, v1, off offset:176
	s_cbranch_scc1 .LBB44_186
; %bb.4:
	v_cmp_eq_u32_e64 s0, 0, v0
	s_delay_alu instid0(VALU_DEP_1)
	s_and_saveexec_b32 s1, s0
	s_cbranch_execz .LBB44_6
; %bb.5:
	v_mov_b32_e32 v1, 0
	ds_store_b32 v1, v1 offset:180
.LBB44_6:
	s_or_b32 exec_lo, exec_lo, s1
	s_waitcnt lgkmcnt(0)
	s_waitcnt_vscnt null, 0x0
	s_barrier
	buffer_gl0_inv
	scratch_load_b32 v1, v3, off
	s_mov_b32 s2, exec_lo
	s_waitcnt vmcnt(0)
	v_cmpx_eq_f32_e32 0, v1
	s_cbranch_execz .LBB44_10
; %bb.7:
	v_mov_b32_e32 v1, 0
	s_mov_b32 s3, 0
	ds_load_b32 v2, v1 offset:180
	s_waitcnt lgkmcnt(0)
	v_readfirstlane_b32 s1, v2
	v_add_nc_u32_e32 v2, 1, v0
	s_delay_alu instid0(VALU_DEP_2) | instskip(NEXT) | instid1(VALU_DEP_1)
	s_cmp_eq_u32 s1, 0
	v_cmp_gt_i32_e32 vcc_lo, s1, v2
	s_cselect_b32 s4, -1, 0
	s_delay_alu instid0(SALU_CYCLE_1) | instskip(NEXT) | instid1(SALU_CYCLE_1)
	s_or_b32 s4, s4, vcc_lo
	s_and_b32 exec_lo, exec_lo, s4
	s_cbranch_execz .LBB44_10
; %bb.8:
	v_mov_b32_e32 v94, s1
.LBB44_9:                               ; =>This Inner Loop Header: Depth=1
	ds_cmpstore_rtn_b32 v94, v1, v2, v94 offset:180
	s_waitcnt lgkmcnt(0)
	v_cmp_ne_u32_e32 vcc_lo, 0, v94
	v_cmp_le_i32_e64 s1, v94, v2
	s_delay_alu instid0(VALU_DEP_1) | instskip(NEXT) | instid1(SALU_CYCLE_1)
	s_and_b32 s1, vcc_lo, s1
	s_and_b32 s1, exec_lo, s1
	s_delay_alu instid0(SALU_CYCLE_1) | instskip(NEXT) | instid1(SALU_CYCLE_1)
	s_or_b32 s3, s1, s3
	s_and_not1_b32 exec_lo, exec_lo, s3
	s_cbranch_execnz .LBB44_9
.LBB44_10:
	s_or_b32 exec_lo, exec_lo, s2
	v_mov_b32_e32 v1, 0
	s_barrier
	buffer_gl0_inv
	ds_load_b32 v2, v1 offset:180
	s_and_saveexec_b32 s1, s0
	s_cbranch_execz .LBB44_12
; %bb.11:
	s_lshl_b64 s[2:3], s[14:15], 2
	s_delay_alu instid0(SALU_CYCLE_1)
	s_add_u32 s2, s6, s2
	s_addc_u32 s3, s7, s3
	s_waitcnt lgkmcnt(0)
	global_store_b32 v1, v2, s[2:3]
.LBB44_12:
	s_or_b32 exec_lo, exec_lo, s1
	s_waitcnt lgkmcnt(0)
	v_cmp_ne_u32_e32 vcc_lo, 0, v2
	s_mov_b32 s1, 0
	s_cbranch_vccnz .LBB44_186
; %bb.13:
	v_add_nc_u32_e32 v1, 0, v3
	scratch_load_b32 v2, v1, off
	s_waitcnt vmcnt(0)
	v_div_scale_f32 v94, null, v2, v2, 1.0
	v_div_scale_f32 v97, vcc_lo, 1.0, v2, 1.0
	s_delay_alu instid0(VALU_DEP_2) | instskip(SKIP_2) | instid1(VALU_DEP_1)
	v_rcp_f32_e32 v95, v94
	s_waitcnt_depctr 0xfff
	v_fma_f32 v96, -v94, v95, 1.0
	v_fmac_f32_e32 v95, v96, v95
	s_delay_alu instid0(VALU_DEP_1) | instskip(NEXT) | instid1(VALU_DEP_1)
	v_mul_f32_e32 v96, v97, v95
	v_fma_f32 v98, -v94, v96, v97
	s_delay_alu instid0(VALU_DEP_1) | instskip(NEXT) | instid1(VALU_DEP_1)
	v_fmac_f32_e32 v96, v98, v95
	v_fma_f32 v94, -v94, v96, v97
	s_delay_alu instid0(VALU_DEP_1) | instskip(NEXT) | instid1(VALU_DEP_1)
	v_div_fmas_f32 v94, v94, v95, v96
	v_div_fixup_f32 v2, v94, v2, 1.0
	scratch_store_b32 v1, v2, off
	scratch_load_b32 v94, off, off offset:4
	v_xor_b32_e32 v95, 0x80000000, v2
	v_add_nc_u32_e32 v2, 0xc0, v3
	s_waitcnt vmcnt(0)
	ds_store_2addr_b32 v3, v95, v94 offset1:48
	s_waitcnt lgkmcnt(0)
	s_waitcnt_vscnt null, 0x0
	s_barrier
	buffer_gl0_inv
	s_and_saveexec_b32 s1, s0
	s_cbranch_execz .LBB44_15
; %bb.14:
	scratch_load_b32 v94, v1, off
	ds_load_b32 v95, v2
	v_mov_b32_e32 v96, 0
	ds_load_b32 v96, v96 offset:4
	s_waitcnt vmcnt(0) lgkmcnt(1)
	v_fma_f32 v94, v94, v95, 0
	s_waitcnt lgkmcnt(0)
	s_delay_alu instid0(VALU_DEP_1)
	v_mul_f32_e32 v94, v94, v96
	scratch_store_b32 off, v94, off offset:4
.LBB44_15:
	s_or_b32 exec_lo, exec_lo, s1
	s_waitcnt_vscnt null, 0x0
	s_barrier
	buffer_gl0_inv
	scratch_load_b32 v94, off, off offset:8
	s_mov_b32 s1, exec_lo
	s_waitcnt vmcnt(0)
	ds_store_b32 v2, v94
	s_waitcnt lgkmcnt(0)
	s_barrier
	buffer_gl0_inv
	v_cmpx_gt_u32_e32 2, v0
	s_cbranch_execz .LBB44_17
; %bb.16:
	scratch_load_b32 v96, v1, off
	scratch_load_b32 v97, off, off offset:4
	ds_load_b32 v98, v2
	v_mov_b32_e32 v94, 0
	ds_load_2addr_b32 v[94:95], v94 offset0:2 offset1:49
	s_waitcnt vmcnt(1) lgkmcnt(1)
	v_fma_f32 v96, v96, v98, 0
	s_waitcnt vmcnt(0) lgkmcnt(0)
	s_delay_alu instid0(VALU_DEP_1) | instskip(NEXT) | instid1(VALU_DEP_1)
	v_fma_f32 v95, v97, v95, v96
	v_cndmask_b32_e64 v95, v96, v95, s0
	s_delay_alu instid0(VALU_DEP_1)
	v_mul_f32_e32 v94, v95, v94
	scratch_store_b32 off, v94, off offset:8
.LBB44_17:
	s_or_b32 exec_lo, exec_lo, s1
	s_waitcnt_vscnt null, 0x0
	s_barrier
	buffer_gl0_inv
	scratch_load_b32 v95, off, off offset:12
	v_add_nc_u32_e32 v94, -1, v0
	s_mov_b32 s0, exec_lo
	s_waitcnt vmcnt(0)
	ds_store_b32 v2, v95
	s_waitcnt lgkmcnt(0)
	s_barrier
	buffer_gl0_inv
	v_cmpx_gt_u32_e32 3, v0
	s_cbranch_execz .LBB44_21
; %bb.18:
	v_dual_mov_b32 v95, 0 :: v_dual_add_nc_u32 v96, -1, v0
	v_add_nc_u32_e32 v97, 0xc0, v3
	v_add_nc_u32_e32 v98, 0, v3
	s_mov_b32 s1, 0
.LBB44_19:                              ; =>This Inner Loop Header: Depth=1
	scratch_load_b32 v99, v98, off
	ds_load_b32 v100, v97
	v_add_nc_u32_e32 v96, 1, v96
	v_add_nc_u32_e32 v97, 4, v97
	v_add_nc_u32_e32 v98, 4, v98
	s_delay_alu instid0(VALU_DEP_3)
	v_cmp_lt_u32_e32 vcc_lo, 1, v96
	s_or_b32 s1, vcc_lo, s1
	s_waitcnt vmcnt(0) lgkmcnt(0)
	v_fmac_f32_e32 v95, v99, v100
	s_and_not1_b32 exec_lo, exec_lo, s1
	s_cbranch_execnz .LBB44_19
; %bb.20:
	s_or_b32 exec_lo, exec_lo, s1
	v_mov_b32_e32 v96, 0
	ds_load_b32 v96, v96 offset:12
	s_waitcnt lgkmcnt(0)
	v_mul_f32_e32 v95, v95, v96
	scratch_store_b32 off, v95, off offset:12
.LBB44_21:
	s_or_b32 exec_lo, exec_lo, s0
	s_waitcnt_vscnt null, 0x0
	s_barrier
	buffer_gl0_inv
	scratch_load_b32 v95, off, off offset:16
	s_mov_b32 s0, exec_lo
	s_waitcnt vmcnt(0)
	ds_store_b32 v2, v95
	s_waitcnt lgkmcnt(0)
	s_barrier
	buffer_gl0_inv
	v_cmpx_gt_u32_e32 4, v0
	s_cbranch_execz .LBB44_25
; %bb.22:
	v_dual_mov_b32 v95, 0 :: v_dual_add_nc_u32 v96, -1, v0
	v_add_nc_u32_e32 v97, 0xc0, v3
	v_add_nc_u32_e32 v98, 0, v3
	s_mov_b32 s1, 0
.LBB44_23:                              ; =>This Inner Loop Header: Depth=1
	scratch_load_b32 v99, v98, off
	ds_load_b32 v100, v97
	v_add_nc_u32_e32 v96, 1, v96
	v_add_nc_u32_e32 v97, 4, v97
	v_add_nc_u32_e32 v98, 4, v98
	s_delay_alu instid0(VALU_DEP_3)
	v_cmp_lt_u32_e32 vcc_lo, 2, v96
	s_or_b32 s1, vcc_lo, s1
	s_waitcnt vmcnt(0) lgkmcnt(0)
	v_fmac_f32_e32 v95, v99, v100
	s_and_not1_b32 exec_lo, exec_lo, s1
	s_cbranch_execnz .LBB44_23
; %bb.24:
	s_or_b32 exec_lo, exec_lo, s1
	v_mov_b32_e32 v96, 0
	ds_load_b32 v96, v96 offset:16
	s_waitcnt lgkmcnt(0)
	v_mul_f32_e32 v95, v95, v96
	scratch_store_b32 off, v95, off offset:16
.LBB44_25:
	s_or_b32 exec_lo, exec_lo, s0
	s_waitcnt_vscnt null, 0x0
	s_barrier
	buffer_gl0_inv
	scratch_load_b32 v95, off, off offset:20
	;; [unrolled: 39-line block ×21, first 2 shown]
	s_mov_b32 s0, exec_lo
	s_waitcnt vmcnt(0)
	ds_store_b32 v2, v95
	s_waitcnt lgkmcnt(0)
	s_barrier
	buffer_gl0_inv
	v_cmpx_gt_u32_e32 24, v0
	s_cbranch_execz .LBB44_105
; %bb.102:
	v_dual_mov_b32 v95, 0 :: v_dual_add_nc_u32 v96, -1, v0
	v_add_nc_u32_e32 v97, 0xc0, v3
	v_add_nc_u32_e32 v98, 0, v3
	s_mov_b32 s1, 0
.LBB44_103:                             ; =>This Inner Loop Header: Depth=1
	scratch_load_b32 v99, v98, off
	ds_load_b32 v100, v97
	v_add_nc_u32_e32 v96, 1, v96
	v_add_nc_u32_e32 v97, 4, v97
	v_add_nc_u32_e32 v98, 4, v98
	s_delay_alu instid0(VALU_DEP_3)
	v_cmp_lt_u32_e32 vcc_lo, 22, v96
	s_or_b32 s1, vcc_lo, s1
	s_waitcnt vmcnt(0) lgkmcnt(0)
	v_fmac_f32_e32 v95, v99, v100
	s_and_not1_b32 exec_lo, exec_lo, s1
	s_cbranch_execnz .LBB44_103
; %bb.104:
	s_or_b32 exec_lo, exec_lo, s1
	v_mov_b32_e32 v96, 0
	ds_load_b32 v96, v96 offset:96
	s_waitcnt lgkmcnt(0)
	v_mul_f32_e32 v95, v95, v96
	scratch_store_b32 off, v95, off offset:96
.LBB44_105:
	s_or_b32 exec_lo, exec_lo, s0
	s_waitcnt_vscnt null, 0x0
	s_barrier
	buffer_gl0_inv
	scratch_load_b32 v95, off, off offset:100
	s_mov_b32 s0, exec_lo
	s_waitcnt vmcnt(0)
	ds_store_b32 v2, v95
	s_waitcnt lgkmcnt(0)
	s_barrier
	buffer_gl0_inv
	v_cmpx_gt_u32_e32 25, v0
	s_cbranch_execz .LBB44_109
; %bb.106:
	v_dual_mov_b32 v95, 0 :: v_dual_add_nc_u32 v96, -1, v0
	v_add_nc_u32_e32 v97, 0xc0, v3
	v_add_nc_u32_e32 v98, 0, v3
	s_mov_b32 s1, 0
.LBB44_107:                             ; =>This Inner Loop Header: Depth=1
	scratch_load_b32 v99, v98, off
	ds_load_b32 v100, v97
	v_add_nc_u32_e32 v96, 1, v96
	v_add_nc_u32_e32 v97, 4, v97
	v_add_nc_u32_e32 v98, 4, v98
	s_delay_alu instid0(VALU_DEP_3)
	v_cmp_lt_u32_e32 vcc_lo, 23, v96
	s_or_b32 s1, vcc_lo, s1
	s_waitcnt vmcnt(0) lgkmcnt(0)
	v_fmac_f32_e32 v95, v99, v100
	s_and_not1_b32 exec_lo, exec_lo, s1
	s_cbranch_execnz .LBB44_107
; %bb.108:
	s_or_b32 exec_lo, exec_lo, s1
	v_mov_b32_e32 v96, 0
	ds_load_b32 v96, v96 offset:100
	s_waitcnt lgkmcnt(0)
	v_mul_f32_e32 v95, v95, v96
	scratch_store_b32 off, v95, off offset:100
.LBB44_109:
	s_or_b32 exec_lo, exec_lo, s0
	s_waitcnt_vscnt null, 0x0
	s_barrier
	buffer_gl0_inv
	scratch_load_b32 v95, off, off offset:104
	;; [unrolled: 39-line block ×19, first 2 shown]
	s_mov_b32 s0, exec_lo
	s_waitcnt vmcnt(0)
	ds_store_b32 v2, v95
	s_waitcnt lgkmcnt(0)
	s_barrier
	buffer_gl0_inv
	v_cmpx_gt_u32_e32 43, v0
	s_cbranch_execz .LBB44_181
; %bb.178:
	v_add_nc_u32_e32 v95, -1, v0
	v_add_nc_u32_e32 v96, 0xc0, v3
	v_add_nc_u32_e32 v97, 0, v3
	v_mov_b32_e32 v3, 0
	s_mov_b32 s1, 0
.LBB44_179:                             ; =>This Inner Loop Header: Depth=1
	scratch_load_b32 v98, v97, off
	ds_load_b32 v99, v96
	v_add_nc_u32_e32 v95, 1, v95
	v_add_nc_u32_e32 v96, 4, v96
	;; [unrolled: 1-line block ×3, first 2 shown]
	s_delay_alu instid0(VALU_DEP_3)
	v_cmp_lt_u32_e32 vcc_lo, 41, v95
	s_or_b32 s1, vcc_lo, s1
	s_waitcnt vmcnt(0) lgkmcnt(0)
	v_fmac_f32_e32 v3, v98, v99
	s_and_not1_b32 exec_lo, exec_lo, s1
	s_cbranch_execnz .LBB44_179
; %bb.180:
	s_or_b32 exec_lo, exec_lo, s1
	v_mov_b32_e32 v95, 0
	ds_load_b32 v95, v95 offset:172
	s_waitcnt lgkmcnt(0)
	v_mul_f32_e32 v3, v3, v95
	scratch_store_b32 off, v3, off offset:172
.LBB44_181:
	s_or_b32 exec_lo, exec_lo, s0
	s_waitcnt_vscnt null, 0x0
	s_barrier
	buffer_gl0_inv
	scratch_load_b32 v3, off, off offset:176
	s_mov_b32 s0, exec_lo
	s_waitcnt vmcnt(0)
	ds_store_b32 v2, v3
	s_waitcnt lgkmcnt(0)
	s_barrier
	buffer_gl0_inv
	v_cmpx_ne_u32_e32 44, v0
	s_cbranch_execz .LBB44_185
; %bb.182:
	v_mov_b32_e32 v3, 0
	s_mov_b32 s1, 0
.LBB44_183:                             ; =>This Inner Loop Header: Depth=1
	scratch_load_b32 v95, v1, off
	ds_load_b32 v96, v2
	v_add_nc_u32_e32 v94, 1, v94
	v_add_nc_u32_e32 v2, 4, v2
	;; [unrolled: 1-line block ×3, first 2 shown]
	s_waitcnt vmcnt(0) lgkmcnt(0)
	v_fmac_f32_e32 v3, v95, v96
	v_cmp_lt_u32_e32 vcc_lo, 42, v94
	s_or_b32 s1, vcc_lo, s1
	s_delay_alu instid0(SALU_CYCLE_1)
	s_and_not1_b32 exec_lo, exec_lo, s1
	s_cbranch_execnz .LBB44_183
; %bb.184:
	s_or_b32 exec_lo, exec_lo, s1
	v_mov_b32_e32 v1, 0
	ds_load_b32 v1, v1 offset:176
	s_waitcnt lgkmcnt(0)
	v_mul_f32_e32 v1, v3, v1
	scratch_store_b32 off, v1, off offset:176
.LBB44_185:
	s_or_b32 exec_lo, exec_lo, s0
	s_mov_b32 s1, -1
	s_waitcnt_vscnt null, 0x0
	s_barrier
	buffer_gl0_inv
.LBB44_186:
	s_and_b32 vcc_lo, exec_lo, s1
	s_cbranch_vccz .LBB44_188
; %bb.187:
	s_lshl_b64 s[0:1], s[14:15], 2
	v_mov_b32_e32 v1, 0
	s_add_u32 s0, s6, s0
	s_addc_u32 s1, s7, s1
	global_load_b32 v1, v1, s[0:1]
	s_waitcnt vmcnt(0)
	v_cmp_ne_u32_e32 vcc_lo, 0, v1
	s_cbranch_vccz .LBB44_189
.LBB44_188:
	s_endpgm
.LBB44_189:
	v_lshl_add_u32 v1, v0, 2, 0xc0
	s_mov_b32 s0, exec_lo
	v_cmpx_eq_u32_e32 44, v0
	s_cbranch_execz .LBB44_191
; %bb.190:
	scratch_load_b32 v2, off, off offset:172
	v_mov_b32_e32 v3, 0
	scratch_store_b32 off, v3, off offset:172
	s_waitcnt vmcnt(0)
	ds_store_b32 v1, v2
.LBB44_191:
	s_or_b32 exec_lo, exec_lo, s0
	s_waitcnt lgkmcnt(0)
	s_waitcnt_vscnt null, 0x0
	s_barrier
	buffer_gl0_inv
	scratch_load_b64 v[94:95], off, off offset:172
	v_mov_b32_e32 v2, 0
	s_mov_b32 s0, exec_lo
	ds_load_b32 v3, v2 offset:368
	s_waitcnt vmcnt(0) lgkmcnt(0)
	v_fma_f32 v3, v95, v3, 0
	s_delay_alu instid0(VALU_DEP_1)
	v_sub_f32_e32 v3, v94, v3
	scratch_store_b32 off, v3, off offset:172
	v_cmpx_lt_u32_e32 42, v0
	s_cbranch_execz .LBB44_193
; %bb.192:
	scratch_load_b32 v3, off, off offset:168
	scratch_store_b32 off, v2, off offset:168
	s_waitcnt vmcnt(0)
	ds_store_b32 v1, v3
.LBB44_193:
	s_or_b32 exec_lo, exec_lo, s0
	s_waitcnt lgkmcnt(0)
	s_waitcnt_vscnt null, 0x0
	s_barrier
	buffer_gl0_inv
	scratch_load_b96 v[94:96], off, off offset:168
	ds_load_2addr_b32 v[2:3], v2 offset0:91 offset1:92
	s_mov_b32 s0, exec_lo
	s_waitcnt vmcnt(0) lgkmcnt(0)
	v_fma_f32 v2, v95, v2, 0
	s_delay_alu instid0(VALU_DEP_1) | instskip(NEXT) | instid1(VALU_DEP_1)
	v_fmac_f32_e32 v2, v96, v3
	v_sub_f32_e32 v2, v94, v2
	scratch_store_b32 off, v2, off offset:168
	v_cmpx_lt_u32_e32 41, v0
	s_cbranch_execz .LBB44_195
; %bb.194:
	scratch_load_b32 v2, off, off offset:164
	v_mov_b32_e32 v3, 0
	scratch_store_b32 off, v3, off offset:164
	s_waitcnt vmcnt(0)
	ds_store_b32 v1, v2
.LBB44_195:
	s_or_b32 exec_lo, exec_lo, s0
	s_waitcnt lgkmcnt(0)
	s_waitcnt_vscnt null, 0x0
	s_barrier
	buffer_gl0_inv
	scratch_load_b128 v[94:97], off, off offset:164
	v_mov_b32_e32 v2, 0
	ds_load_b64 v[98:99], v2 offset:360
	ds_load_b32 v3, v2 offset:368
	s_mov_b32 s0, exec_lo
	s_waitcnt vmcnt(0) lgkmcnt(1)
	v_fma_f32 v95, v95, v98, 0
	s_delay_alu instid0(VALU_DEP_1) | instskip(SKIP_1) | instid1(VALU_DEP_1)
	v_fmac_f32_e32 v95, v96, v99
	s_waitcnt lgkmcnt(0)
	v_fmac_f32_e32 v95, v97, v3
	s_delay_alu instid0(VALU_DEP_1)
	v_sub_f32_e32 v3, v94, v95
	scratch_store_b32 off, v3, off offset:164
	v_cmpx_lt_u32_e32 40, v0
	s_cbranch_execz .LBB44_197
; %bb.196:
	scratch_load_b32 v3, off, off offset:160
	scratch_store_b32 off, v2, off offset:160
	s_waitcnt vmcnt(0)
	ds_store_b32 v1, v3
.LBB44_197:
	s_or_b32 exec_lo, exec_lo, s0
	s_waitcnt lgkmcnt(0)
	s_waitcnt_vscnt null, 0x0
	s_barrier
	buffer_gl0_inv
	s_clause 0x1
	scratch_load_b128 v[94:97], off, off offset:160
	scratch_load_b32 v100, off, off offset:176
	ds_load_2addr_b32 v[98:99], v2 offset0:89 offset1:90
	ds_load_2addr_b32 v[2:3], v2 offset0:91 offset1:92
	s_mov_b32 s0, exec_lo
	s_waitcnt vmcnt(1) lgkmcnt(1)
	v_fma_f32 v95, v95, v98, 0
	s_delay_alu instid0(VALU_DEP_1) | instskip(SKIP_1) | instid1(VALU_DEP_1)
	v_fmac_f32_e32 v95, v96, v99
	s_waitcnt lgkmcnt(0)
	v_fmac_f32_e32 v95, v97, v2
	s_waitcnt vmcnt(0)
	s_delay_alu instid0(VALU_DEP_1) | instskip(NEXT) | instid1(VALU_DEP_1)
	v_fmac_f32_e32 v95, v100, v3
	v_sub_f32_e32 v2, v94, v95
	scratch_store_b32 off, v2, off offset:160
	v_cmpx_lt_u32_e32 39, v0
	s_cbranch_execz .LBB44_199
; %bb.198:
	scratch_load_b32 v2, off, off offset:156
	v_mov_b32_e32 v3, 0
	scratch_store_b32 off, v3, off offset:156
	s_waitcnt vmcnt(0)
	ds_store_b32 v1, v2
.LBB44_199:
	s_or_b32 exec_lo, exec_lo, s0
	s_waitcnt lgkmcnt(0)
	s_waitcnt_vscnt null, 0x0
	s_barrier
	buffer_gl0_inv
	s_clause 0x1
	scratch_load_b128 v[94:97], off, off offset:156
	scratch_load_b64 v[102:103], off, off offset:172
	v_mov_b32_e32 v2, 0
	ds_load_b128 v[98:101], v2 offset:352
	ds_load_b32 v3, v2 offset:368
	s_mov_b32 s0, exec_lo
	s_waitcnt vmcnt(1) lgkmcnt(1)
	v_fma_f32 v95, v95, v98, 0
	s_delay_alu instid0(VALU_DEP_1) | instskip(NEXT) | instid1(VALU_DEP_1)
	v_fmac_f32_e32 v95, v96, v99
	v_fmac_f32_e32 v95, v97, v100
	s_waitcnt vmcnt(0)
	s_delay_alu instid0(VALU_DEP_1) | instskip(SKIP_1) | instid1(VALU_DEP_1)
	v_fmac_f32_e32 v95, v102, v101
	s_waitcnt lgkmcnt(0)
	v_fmac_f32_e32 v95, v103, v3
	s_delay_alu instid0(VALU_DEP_1)
	v_sub_f32_e32 v3, v94, v95
	scratch_store_b32 off, v3, off offset:156
	v_cmpx_lt_u32_e32 38, v0
	s_cbranch_execz .LBB44_201
; %bb.200:
	scratch_load_b32 v3, off, off offset:152
	scratch_store_b32 off, v2, off offset:152
	s_waitcnt vmcnt(0)
	ds_store_b32 v1, v3
.LBB44_201:
	s_or_b32 exec_lo, exec_lo, s0
	s_waitcnt lgkmcnt(0)
	s_waitcnt_vscnt null, 0x0
	s_barrier
	buffer_gl0_inv
	s_clause 0x1
	scratch_load_b128 v[94:97], off, off offset:152
	scratch_load_b96 v[98:100], off, off offset:168
	ds_load_2addr_b32 v[101:102], v2 offset0:87 offset1:88
	ds_load_2addr_b32 v[103:104], v2 offset0:89 offset1:90
	;; [unrolled: 1-line block ×3, first 2 shown]
	s_mov_b32 s0, exec_lo
	s_waitcnt vmcnt(1) lgkmcnt(2)
	v_fma_f32 v95, v95, v101, 0
	s_delay_alu instid0(VALU_DEP_1) | instskip(SKIP_1) | instid1(VALU_DEP_1)
	v_fmac_f32_e32 v95, v96, v102
	s_waitcnt lgkmcnt(1)
	v_fmac_f32_e32 v95, v97, v103
	s_waitcnt vmcnt(0)
	s_delay_alu instid0(VALU_DEP_1) | instskip(SKIP_1) | instid1(VALU_DEP_1)
	v_fmac_f32_e32 v95, v98, v104
	s_waitcnt lgkmcnt(0)
	v_fmac_f32_e32 v95, v99, v2
	s_delay_alu instid0(VALU_DEP_1) | instskip(NEXT) | instid1(VALU_DEP_1)
	v_fmac_f32_e32 v95, v100, v3
	v_sub_f32_e32 v2, v94, v95
	scratch_store_b32 off, v2, off offset:152
	v_cmpx_lt_u32_e32 37, v0
	s_cbranch_execz .LBB44_203
; %bb.202:
	scratch_load_b32 v2, off, off offset:148
	v_mov_b32_e32 v3, 0
	scratch_store_b32 off, v3, off offset:148
	s_waitcnt vmcnt(0)
	ds_store_b32 v1, v2
.LBB44_203:
	s_or_b32 exec_lo, exec_lo, s0
	s_waitcnt lgkmcnt(0)
	s_waitcnt_vscnt null, 0x0
	s_barrier
	buffer_gl0_inv
	s_clause 0x1
	scratch_load_b128 v[94:97], off, off offset:148
	scratch_load_b128 v[98:101], off, off offset:164
	v_mov_b32_e32 v2, 0
	ds_load_2addr_b64 v[102:105], v2 offset0:43 offset1:44
	ds_load_b64 v[106:107], v2 offset:360
	s_mov_b32 s0, exec_lo
	s_waitcnt vmcnt(1) lgkmcnt(1)
	v_fma_f32 v3, v95, v102, 0
	s_delay_alu instid0(VALU_DEP_1) | instskip(SKIP_3) | instid1(VALU_DEP_1)
	v_fmac_f32_e32 v3, v96, v103
	ds_load_b32 v95, v2 offset:368
	v_fmac_f32_e32 v3, v97, v104
	s_waitcnt vmcnt(0)
	v_fmac_f32_e32 v3, v98, v105
	s_waitcnt lgkmcnt(1)
	s_delay_alu instid0(VALU_DEP_1) | instskip(NEXT) | instid1(VALU_DEP_1)
	v_fmac_f32_e32 v3, v99, v106
	v_fmac_f32_e32 v3, v100, v107
	s_waitcnt lgkmcnt(0)
	s_delay_alu instid0(VALU_DEP_1) | instskip(NEXT) | instid1(VALU_DEP_1)
	v_fmac_f32_e32 v3, v101, v95
	v_sub_f32_e32 v3, v94, v3
	scratch_store_b32 off, v3, off offset:148
	v_cmpx_lt_u32_e32 36, v0
	s_cbranch_execz .LBB44_205
; %bb.204:
	scratch_load_b32 v3, off, off offset:144
	scratch_store_b32 off, v2, off offset:144
	s_waitcnt vmcnt(0)
	ds_store_b32 v1, v3
.LBB44_205:
	s_or_b32 exec_lo, exec_lo, s0
	s_waitcnt lgkmcnt(0)
	s_waitcnt_vscnt null, 0x0
	s_barrier
	buffer_gl0_inv
	s_clause 0x2
	scratch_load_b128 v[94:97], off, off offset:144
	scratch_load_b128 v[98:101], off, off offset:160
	scratch_load_b32 v108, off, off offset:176
	ds_load_2addr_b32 v[102:103], v2 offset0:85 offset1:86
	ds_load_2addr_b32 v[104:105], v2 offset0:87 offset1:88
	;; [unrolled: 1-line block ×4, first 2 shown]
	s_mov_b32 s0, exec_lo
	s_waitcnt vmcnt(2) lgkmcnt(3)
	v_fma_f32 v95, v95, v102, 0
	s_delay_alu instid0(VALU_DEP_1) | instskip(SKIP_1) | instid1(VALU_DEP_1)
	v_fmac_f32_e32 v95, v96, v103
	s_waitcnt lgkmcnt(2)
	v_fmac_f32_e32 v95, v97, v104
	s_waitcnt vmcnt(1)
	s_delay_alu instid0(VALU_DEP_1) | instskip(SKIP_1) | instid1(VALU_DEP_1)
	v_fmac_f32_e32 v95, v98, v105
	s_waitcnt lgkmcnt(1)
	v_fmac_f32_e32 v95, v99, v106
	s_delay_alu instid0(VALU_DEP_1) | instskip(SKIP_1) | instid1(VALU_DEP_1)
	v_fmac_f32_e32 v95, v100, v107
	s_waitcnt lgkmcnt(0)
	v_fmac_f32_e32 v95, v101, v2
	s_waitcnt vmcnt(0)
	s_delay_alu instid0(VALU_DEP_1) | instskip(NEXT) | instid1(VALU_DEP_1)
	v_fmac_f32_e32 v95, v108, v3
	v_sub_f32_e32 v2, v94, v95
	scratch_store_b32 off, v2, off offset:144
	v_cmpx_lt_u32_e32 35, v0
	s_cbranch_execz .LBB44_207
; %bb.206:
	scratch_load_b32 v2, off, off offset:140
	v_mov_b32_e32 v3, 0
	scratch_store_b32 off, v3, off offset:140
	s_waitcnt vmcnt(0)
	ds_store_b32 v1, v2
.LBB44_207:
	s_or_b32 exec_lo, exec_lo, s0
	s_waitcnt lgkmcnt(0)
	s_waitcnt_vscnt null, 0x0
	s_barrier
	buffer_gl0_inv
	s_clause 0x2
	scratch_load_b128 v[94:97], off, off offset:140
	scratch_load_b128 v[98:101], off, off offset:156
	scratch_load_b64 v[110:111], off, off offset:172
	v_mov_b32_e32 v2, 0
	ds_load_b128 v[102:105], v2 offset:336
	ds_load_b128 v[106:109], v2 offset:352
	s_mov_b32 s0, exec_lo
	s_waitcnt vmcnt(2) lgkmcnt(1)
	v_fma_f32 v3, v95, v102, 0
	s_delay_alu instid0(VALU_DEP_1) | instskip(SKIP_3) | instid1(VALU_DEP_1)
	v_fmac_f32_e32 v3, v96, v103
	ds_load_b32 v95, v2 offset:368
	v_fmac_f32_e32 v3, v97, v104
	s_waitcnt vmcnt(1)
	v_fmac_f32_e32 v3, v98, v105
	s_waitcnt lgkmcnt(1)
	s_delay_alu instid0(VALU_DEP_1) | instskip(NEXT) | instid1(VALU_DEP_1)
	v_fmac_f32_e32 v3, v99, v106
	v_fmac_f32_e32 v3, v100, v107
	s_delay_alu instid0(VALU_DEP_1) | instskip(SKIP_1) | instid1(VALU_DEP_1)
	v_fmac_f32_e32 v3, v101, v108
	s_waitcnt vmcnt(0)
	v_fmac_f32_e32 v3, v110, v109
	s_waitcnt lgkmcnt(0)
	s_delay_alu instid0(VALU_DEP_1) | instskip(NEXT) | instid1(VALU_DEP_1)
	v_fmac_f32_e32 v3, v111, v95
	v_sub_f32_e32 v3, v94, v3
	scratch_store_b32 off, v3, off offset:140
	v_cmpx_lt_u32_e32 34, v0
	s_cbranch_execz .LBB44_209
; %bb.208:
	scratch_load_b32 v3, off, off offset:136
	scratch_store_b32 off, v2, off offset:136
	s_waitcnt vmcnt(0)
	ds_store_b32 v1, v3
.LBB44_209:
	s_or_b32 exec_lo, exec_lo, s0
	s_waitcnt lgkmcnt(0)
	s_waitcnt_vscnt null, 0x0
	s_barrier
	buffer_gl0_inv
	s_clause 0x2
	scratch_load_b128 v[94:97], off, off offset:136
	scratch_load_b128 v[98:101], off, off offset:152
	scratch_load_b96 v[102:104], off, off offset:168
	ds_load_2addr_b32 v[105:106], v2 offset0:83 offset1:84
	ds_load_2addr_b32 v[107:108], v2 offset0:85 offset1:86
	;; [unrolled: 1-line block ×5, first 2 shown]
	s_mov_b32 s0, exec_lo
	s_waitcnt vmcnt(2) lgkmcnt(4)
	v_fma_f32 v95, v95, v105, 0
	s_delay_alu instid0(VALU_DEP_1) | instskip(SKIP_1) | instid1(VALU_DEP_1)
	v_fmac_f32_e32 v95, v96, v106
	s_waitcnt lgkmcnt(3)
	v_fmac_f32_e32 v95, v97, v107
	s_waitcnt vmcnt(1)
	s_delay_alu instid0(VALU_DEP_1) | instskip(SKIP_1) | instid1(VALU_DEP_1)
	v_fmac_f32_e32 v95, v98, v108
	s_waitcnt lgkmcnt(2)
	v_fmac_f32_e32 v95, v99, v109
	s_delay_alu instid0(VALU_DEP_1) | instskip(SKIP_1) | instid1(VALU_DEP_1)
	v_fmac_f32_e32 v95, v100, v110
	s_waitcnt lgkmcnt(1)
	v_fmac_f32_e32 v95, v101, v111
	s_waitcnt vmcnt(0)
	s_delay_alu instid0(VALU_DEP_1) | instskip(SKIP_1) | instid1(VALU_DEP_1)
	v_fmac_f32_e32 v95, v102, v112
	s_waitcnt lgkmcnt(0)
	v_fmac_f32_e32 v95, v103, v2
	s_delay_alu instid0(VALU_DEP_1) | instskip(NEXT) | instid1(VALU_DEP_1)
	v_fmac_f32_e32 v95, v104, v3
	v_sub_f32_e32 v2, v94, v95
	scratch_store_b32 off, v2, off offset:136
	v_cmpx_lt_u32_e32 33, v0
	s_cbranch_execz .LBB44_211
; %bb.210:
	scratch_load_b32 v2, off, off offset:132
	v_mov_b32_e32 v3, 0
	scratch_store_b32 off, v3, off offset:132
	s_waitcnt vmcnt(0)
	ds_store_b32 v1, v2
.LBB44_211:
	s_or_b32 exec_lo, exec_lo, s0
	s_waitcnt lgkmcnt(0)
	s_waitcnt_vscnt null, 0x0
	s_barrier
	buffer_gl0_inv
	s_clause 0x2
	scratch_load_b128 v[94:97], off, off offset:132
	scratch_load_b128 v[98:101], off, off offset:148
	;; [unrolled: 1-line block ×3, first 2 shown]
	v_mov_b32_e32 v2, 0
	ds_load_2addr_b64 v[106:109], v2 offset0:41 offset1:42
	ds_load_2addr_b64 v[110:113], v2 offset0:43 offset1:44
	s_mov_b32 s0, exec_lo
	s_waitcnt vmcnt(2) lgkmcnt(1)
	v_fma_f32 v3, v95, v106, 0
	s_delay_alu instid0(VALU_DEP_1)
	v_fmac_f32_e32 v3, v96, v107
	ds_load_b64 v[95:96], v2 offset:360
	v_fmac_f32_e32 v3, v97, v108
	ds_load_b32 v97, v2 offset:368
	s_waitcnt vmcnt(1)
	v_fmac_f32_e32 v3, v98, v109
	s_waitcnt lgkmcnt(2)
	s_delay_alu instid0(VALU_DEP_1) | instskip(NEXT) | instid1(VALU_DEP_1)
	v_fmac_f32_e32 v3, v99, v110
	v_fmac_f32_e32 v3, v100, v111
	s_delay_alu instid0(VALU_DEP_1) | instskip(SKIP_1) | instid1(VALU_DEP_1)
	v_fmac_f32_e32 v3, v101, v112
	s_waitcnt vmcnt(0)
	v_fmac_f32_e32 v3, v102, v113
	s_waitcnt lgkmcnt(1)
	s_delay_alu instid0(VALU_DEP_1) | instskip(NEXT) | instid1(VALU_DEP_1)
	v_fmac_f32_e32 v3, v103, v95
	v_fmac_f32_e32 v3, v104, v96
	s_waitcnt lgkmcnt(0)
	s_delay_alu instid0(VALU_DEP_1) | instskip(NEXT) | instid1(VALU_DEP_1)
	v_fmac_f32_e32 v3, v105, v97
	v_sub_f32_e32 v3, v94, v3
	scratch_store_b32 off, v3, off offset:132
	v_cmpx_lt_u32_e32 32, v0
	s_cbranch_execz .LBB44_213
; %bb.212:
	scratch_load_b32 v3, off, off offset:128
	scratch_store_b32 off, v2, off offset:128
	s_waitcnt vmcnt(0)
	ds_store_b32 v1, v3
.LBB44_213:
	s_or_b32 exec_lo, exec_lo, s0
	s_waitcnt lgkmcnt(0)
	s_waitcnt_vscnt null, 0x0
	s_barrier
	buffer_gl0_inv
	s_clause 0x3
	scratch_load_b128 v[94:97], off, off offset:128
	scratch_load_b128 v[98:101], off, off offset:144
	;; [unrolled: 1-line block ×3, first 2 shown]
	scratch_load_b32 v114, off, off offset:176
	ds_load_2addr_b32 v[106:107], v2 offset0:81 offset1:82
	ds_load_2addr_b32 v[108:109], v2 offset0:83 offset1:84
	;; [unrolled: 1-line block ×4, first 2 shown]
	s_mov_b32 s0, exec_lo
	s_waitcnt vmcnt(3) lgkmcnt(3)
	v_fma_f32 v106, v95, v106, 0
	s_delay_alu instid0(VALU_DEP_1)
	v_fmac_f32_e32 v106, v96, v107
	ds_load_2addr_b32 v[95:96], v2 offset0:89 offset1:90
	ds_load_2addr_b32 v[2:3], v2 offset0:91 offset1:92
	s_waitcnt lgkmcnt(4)
	v_fmac_f32_e32 v106, v97, v108
	s_waitcnt vmcnt(2)
	s_delay_alu instid0(VALU_DEP_1) | instskip(SKIP_1) | instid1(VALU_DEP_1)
	v_fmac_f32_e32 v106, v98, v109
	s_waitcnt lgkmcnt(3)
	v_fmac_f32_e32 v106, v99, v110
	s_delay_alu instid0(VALU_DEP_1) | instskip(SKIP_1) | instid1(VALU_DEP_1)
	v_fmac_f32_e32 v106, v100, v111
	s_waitcnt lgkmcnt(2)
	v_fmac_f32_e32 v106, v101, v112
	s_waitcnt vmcnt(1)
	s_delay_alu instid0(VALU_DEP_1) | instskip(SKIP_1) | instid1(VALU_DEP_1)
	v_fmac_f32_e32 v106, v102, v113
	s_waitcnt lgkmcnt(1)
	v_fmac_f32_e32 v106, v103, v95
	s_delay_alu instid0(VALU_DEP_1) | instskip(SKIP_1) | instid1(VALU_DEP_1)
	v_fmac_f32_e32 v106, v104, v96
	s_waitcnt lgkmcnt(0)
	v_fmac_f32_e32 v106, v105, v2
	s_waitcnt vmcnt(0)
	s_delay_alu instid0(VALU_DEP_1) | instskip(NEXT) | instid1(VALU_DEP_1)
	v_fmac_f32_e32 v106, v114, v3
	v_sub_f32_e32 v2, v94, v106
	scratch_store_b32 off, v2, off offset:128
	v_cmpx_lt_u32_e32 31, v0
	s_cbranch_execz .LBB44_215
; %bb.214:
	scratch_load_b32 v2, off, off offset:124
	v_mov_b32_e32 v3, 0
	scratch_store_b32 off, v3, off offset:124
	s_waitcnt vmcnt(0)
	ds_store_b32 v1, v2
.LBB44_215:
	s_or_b32 exec_lo, exec_lo, s0
	s_waitcnt lgkmcnt(0)
	s_waitcnt_vscnt null, 0x0
	s_barrier
	buffer_gl0_inv
	s_clause 0x3
	scratch_load_b128 v[94:97], off, off offset:124
	scratch_load_b128 v[98:101], off, off offset:140
	;; [unrolled: 1-line block ×3, first 2 shown]
	scratch_load_b64 v[114:115], off, off offset:172
	v_mov_b32_e32 v2, 0
	ds_load_b128 v[106:109], v2 offset:320
	ds_load_b128 v[110:113], v2 offset:336
	s_mov_b32 s0, exec_lo
	s_waitcnt vmcnt(3) lgkmcnt(1)
	v_fma_f32 v3, v95, v106, 0
	s_delay_alu instid0(VALU_DEP_1) | instskip(NEXT) | instid1(VALU_DEP_1)
	v_fmac_f32_e32 v3, v96, v107
	v_fmac_f32_e32 v3, v97, v108
	s_waitcnt vmcnt(2)
	s_delay_alu instid0(VALU_DEP_1)
	v_fmac_f32_e32 v3, v98, v109
	ds_load_b128 v[95:98], v2 offset:352
	s_waitcnt lgkmcnt(1)
	v_fmac_f32_e32 v3, v99, v110
	ds_load_b32 v99, v2 offset:368
	v_fmac_f32_e32 v3, v100, v111
	s_delay_alu instid0(VALU_DEP_1) | instskip(SKIP_1) | instid1(VALU_DEP_1)
	v_fmac_f32_e32 v3, v101, v112
	s_waitcnt vmcnt(1)
	v_fmac_f32_e32 v3, v102, v113
	s_waitcnt lgkmcnt(1)
	s_delay_alu instid0(VALU_DEP_1) | instskip(NEXT) | instid1(VALU_DEP_1)
	v_fmac_f32_e32 v3, v103, v95
	v_fmac_f32_e32 v3, v104, v96
	s_delay_alu instid0(VALU_DEP_1) | instskip(SKIP_1) | instid1(VALU_DEP_1)
	v_fmac_f32_e32 v3, v105, v97
	s_waitcnt vmcnt(0)
	v_fmac_f32_e32 v3, v114, v98
	s_waitcnt lgkmcnt(0)
	s_delay_alu instid0(VALU_DEP_1) | instskip(NEXT) | instid1(VALU_DEP_1)
	v_fmac_f32_e32 v3, v115, v99
	v_sub_f32_e32 v3, v94, v3
	scratch_store_b32 off, v3, off offset:124
	v_cmpx_lt_u32_e32 30, v0
	s_cbranch_execz .LBB44_217
; %bb.216:
	scratch_load_b32 v3, off, off offset:120
	scratch_store_b32 off, v2, off offset:120
	s_waitcnt vmcnt(0)
	ds_store_b32 v1, v3
.LBB44_217:
	s_or_b32 exec_lo, exec_lo, s0
	s_waitcnt lgkmcnt(0)
	s_waitcnt_vscnt null, 0x0
	s_barrier
	buffer_gl0_inv
	s_clause 0x3
	scratch_load_b128 v[94:97], off, off offset:120
	scratch_load_b128 v[98:101], off, off offset:136
	;; [unrolled: 1-line block ×3, first 2 shown]
	scratch_load_b96 v[106:108], off, off offset:168
	ds_load_2addr_b32 v[109:110], v2 offset0:79 offset1:80
	ds_load_2addr_b32 v[111:112], v2 offset0:81 offset1:82
	;; [unrolled: 1-line block ×4, first 2 shown]
	s_mov_b32 s0, exec_lo
	s_waitcnt vmcnt(3) lgkmcnt(3)
	v_fma_f32 v109, v95, v109, 0
	s_delay_alu instid0(VALU_DEP_1) | instskip(SKIP_4) | instid1(VALU_DEP_1)
	v_fmac_f32_e32 v109, v96, v110
	ds_load_2addr_b32 v[95:96], v2 offset0:87 offset1:88
	s_waitcnt lgkmcnt(3)
	v_fmac_f32_e32 v109, v97, v111
	s_waitcnt vmcnt(2)
	v_fmac_f32_e32 v109, v98, v112
	ds_load_2addr_b32 v[97:98], v2 offset0:89 offset1:90
	ds_load_2addr_b32 v[2:3], v2 offset0:91 offset1:92
	s_waitcnt lgkmcnt(4)
	v_fmac_f32_e32 v109, v99, v113
	s_delay_alu instid0(VALU_DEP_1) | instskip(SKIP_1) | instid1(VALU_DEP_1)
	v_fmac_f32_e32 v109, v100, v114
	s_waitcnt lgkmcnt(3)
	v_fmac_f32_e32 v109, v101, v115
	s_waitcnt vmcnt(1)
	s_delay_alu instid0(VALU_DEP_1) | instskip(SKIP_1) | instid1(VALU_DEP_1)
	v_fmac_f32_e32 v109, v102, v116
	s_waitcnt lgkmcnt(2)
	v_fmac_f32_e32 v109, v103, v95
	s_delay_alu instid0(VALU_DEP_1) | instskip(SKIP_1) | instid1(VALU_DEP_1)
	v_fmac_f32_e32 v109, v104, v96
	s_waitcnt lgkmcnt(1)
	v_fmac_f32_e32 v109, v105, v97
	s_waitcnt vmcnt(0)
	s_delay_alu instid0(VALU_DEP_1) | instskip(SKIP_1) | instid1(VALU_DEP_1)
	v_fmac_f32_e32 v109, v106, v98
	s_waitcnt lgkmcnt(0)
	v_fmac_f32_e32 v109, v107, v2
	s_delay_alu instid0(VALU_DEP_1) | instskip(NEXT) | instid1(VALU_DEP_1)
	v_fmac_f32_e32 v109, v108, v3
	v_sub_f32_e32 v2, v94, v109
	scratch_store_b32 off, v2, off offset:120
	v_cmpx_lt_u32_e32 29, v0
	s_cbranch_execz .LBB44_219
; %bb.218:
	scratch_load_b32 v2, off, off offset:116
	v_mov_b32_e32 v3, 0
	scratch_store_b32 off, v3, off offset:116
	s_waitcnt vmcnt(0)
	ds_store_b32 v1, v2
.LBB44_219:
	s_or_b32 exec_lo, exec_lo, s0
	s_waitcnt lgkmcnt(0)
	s_waitcnt_vscnt null, 0x0
	s_barrier
	buffer_gl0_inv
	s_clause 0x3
	scratch_load_b128 v[94:97], off, off offset:116
	scratch_load_b128 v[98:101], off, off offset:132
	;; [unrolled: 1-line block ×4, first 2 shown]
	v_mov_b32_e32 v2, 0
	ds_load_2addr_b64 v[110:113], v2 offset0:39 offset1:40
	ds_load_2addr_b64 v[114:117], v2 offset0:41 offset1:42
	s_mov_b32 s0, exec_lo
	s_waitcnt vmcnt(3) lgkmcnt(1)
	v_fma_f32 v3, v95, v110, 0
	s_delay_alu instid0(VALU_DEP_1) | instskip(NEXT) | instid1(VALU_DEP_1)
	v_fmac_f32_e32 v3, v96, v111
	v_fmac_f32_e32 v3, v97, v112
	s_waitcnt vmcnt(2)
	s_delay_alu instid0(VALU_DEP_1) | instskip(SKIP_3) | instid1(VALU_DEP_1)
	v_fmac_f32_e32 v3, v98, v113
	ds_load_2addr_b64 v[95:98], v2 offset0:43 offset1:44
	s_waitcnt lgkmcnt(1)
	v_fmac_f32_e32 v3, v99, v114
	v_fmac_f32_e32 v3, v100, v115
	ds_load_b64 v[99:100], v2 offset:360
	v_fmac_f32_e32 v3, v101, v116
	s_waitcnt vmcnt(1)
	s_delay_alu instid0(VALU_DEP_1) | instskip(SKIP_1) | instid1(VALU_DEP_1)
	v_fmac_f32_e32 v3, v102, v117
	s_waitcnt lgkmcnt(1)
	v_fmac_f32_e32 v3, v103, v95
	ds_load_b32 v95, v2 offset:368
	v_fmac_f32_e32 v3, v104, v96
	s_delay_alu instid0(VALU_DEP_1) | instskip(SKIP_1) | instid1(VALU_DEP_1)
	v_fmac_f32_e32 v3, v105, v97
	s_waitcnt vmcnt(0)
	v_fmac_f32_e32 v3, v106, v98
	s_waitcnt lgkmcnt(1)
	s_delay_alu instid0(VALU_DEP_1) | instskip(NEXT) | instid1(VALU_DEP_1)
	v_fmac_f32_e32 v3, v107, v99
	v_fmac_f32_e32 v3, v108, v100
	s_waitcnt lgkmcnt(0)
	s_delay_alu instid0(VALU_DEP_1) | instskip(NEXT) | instid1(VALU_DEP_1)
	v_fmac_f32_e32 v3, v109, v95
	v_sub_f32_e32 v3, v94, v3
	scratch_store_b32 off, v3, off offset:116
	v_cmpx_lt_u32_e32 28, v0
	s_cbranch_execz .LBB44_221
; %bb.220:
	scratch_load_b32 v3, off, off offset:112
	scratch_store_b32 off, v2, off offset:112
	s_waitcnt vmcnt(0)
	ds_store_b32 v1, v3
.LBB44_221:
	s_or_b32 exec_lo, exec_lo, s0
	s_waitcnt lgkmcnt(0)
	s_waitcnt_vscnt null, 0x0
	s_barrier
	buffer_gl0_inv
	s_clause 0x4
	scratch_load_b128 v[94:97], off, off offset:112
	scratch_load_b128 v[98:101], off, off offset:128
	;; [unrolled: 1-line block ×4, first 2 shown]
	scratch_load_b32 v118, off, off offset:176
	ds_load_2addr_b32 v[110:111], v2 offset0:77 offset1:78
	ds_load_2addr_b32 v[112:113], v2 offset0:79 offset1:80
	;; [unrolled: 1-line block ×4, first 2 shown]
	s_mov_b32 s0, exec_lo
	s_waitcnt vmcnt(4) lgkmcnt(3)
	v_fma_f32 v110, v95, v110, 0
	s_delay_alu instid0(VALU_DEP_1) | instskip(SKIP_4) | instid1(VALU_DEP_1)
	v_fmac_f32_e32 v110, v96, v111
	ds_load_2addr_b32 v[95:96], v2 offset0:85 offset1:86
	s_waitcnt lgkmcnt(3)
	v_fmac_f32_e32 v110, v97, v112
	s_waitcnt vmcnt(3)
	v_fmac_f32_e32 v110, v98, v113
	ds_load_2addr_b32 v[97:98], v2 offset0:87 offset1:88
	s_waitcnt lgkmcnt(3)
	v_fmac_f32_e32 v110, v99, v114
	s_delay_alu instid0(VALU_DEP_1)
	v_fmac_f32_e32 v110, v100, v115
	ds_load_2addr_b32 v[99:100], v2 offset0:89 offset1:90
	ds_load_2addr_b32 v[2:3], v2 offset0:91 offset1:92
	s_waitcnt lgkmcnt(4)
	v_fmac_f32_e32 v110, v101, v116
	s_waitcnt vmcnt(2)
	s_delay_alu instid0(VALU_DEP_1) | instskip(SKIP_1) | instid1(VALU_DEP_1)
	v_fmac_f32_e32 v110, v102, v117
	s_waitcnt lgkmcnt(3)
	v_fmac_f32_e32 v110, v103, v95
	s_delay_alu instid0(VALU_DEP_1) | instskip(SKIP_1) | instid1(VALU_DEP_1)
	v_fmac_f32_e32 v110, v104, v96
	s_waitcnt lgkmcnt(2)
	v_fmac_f32_e32 v110, v105, v97
	s_waitcnt vmcnt(1)
	s_delay_alu instid0(VALU_DEP_1) | instskip(SKIP_1) | instid1(VALU_DEP_1)
	v_fmac_f32_e32 v110, v106, v98
	s_waitcnt lgkmcnt(1)
	v_fmac_f32_e32 v110, v107, v99
	s_delay_alu instid0(VALU_DEP_1) | instskip(SKIP_1) | instid1(VALU_DEP_1)
	v_fmac_f32_e32 v110, v108, v100
	s_waitcnt lgkmcnt(0)
	v_fmac_f32_e32 v110, v109, v2
	s_waitcnt vmcnt(0)
	s_delay_alu instid0(VALU_DEP_1) | instskip(NEXT) | instid1(VALU_DEP_1)
	v_fmac_f32_e32 v110, v118, v3
	v_sub_f32_e32 v2, v94, v110
	scratch_store_b32 off, v2, off offset:112
	v_cmpx_lt_u32_e32 27, v0
	s_cbranch_execz .LBB44_223
; %bb.222:
	scratch_load_b32 v2, off, off offset:108
	v_mov_b32_e32 v3, 0
	scratch_store_b32 off, v3, off offset:108
	s_waitcnt vmcnt(0)
	ds_store_b32 v1, v2
.LBB44_223:
	s_or_b32 exec_lo, exec_lo, s0
	s_waitcnt lgkmcnt(0)
	s_waitcnt_vscnt null, 0x0
	s_barrier
	buffer_gl0_inv
	s_clause 0x4
	scratch_load_b128 v[94:97], off, off offset:108
	scratch_load_b128 v[98:101], off, off offset:124
	;; [unrolled: 1-line block ×4, first 2 shown]
	scratch_load_b64 v[118:119], off, off offset:172
	v_mov_b32_e32 v2, 0
	ds_load_b128 v[110:113], v2 offset:304
	ds_load_b128 v[114:117], v2 offset:320
	s_mov_b32 s0, exec_lo
	s_waitcnt vmcnt(4) lgkmcnt(1)
	v_fma_f32 v3, v95, v110, 0
	s_delay_alu instid0(VALU_DEP_1) | instskip(NEXT) | instid1(VALU_DEP_1)
	v_fmac_f32_e32 v3, v96, v111
	v_fmac_f32_e32 v3, v97, v112
	s_waitcnt vmcnt(3)
	s_delay_alu instid0(VALU_DEP_1) | instskip(SKIP_3) | instid1(VALU_DEP_1)
	v_fmac_f32_e32 v3, v98, v113
	ds_load_b128 v[95:98], v2 offset:336
	s_waitcnt lgkmcnt(1)
	v_fmac_f32_e32 v3, v99, v114
	v_fmac_f32_e32 v3, v100, v115
	s_delay_alu instid0(VALU_DEP_1) | instskip(SKIP_1) | instid1(VALU_DEP_1)
	v_fmac_f32_e32 v3, v101, v116
	s_waitcnt vmcnt(2)
	v_fmac_f32_e32 v3, v102, v117
	ds_load_b128 v[99:102], v2 offset:352
	s_waitcnt lgkmcnt(1)
	v_fmac_f32_e32 v3, v103, v95
	ds_load_b32 v95, v2 offset:368
	v_fmac_f32_e32 v3, v104, v96
	s_delay_alu instid0(VALU_DEP_1) | instskip(SKIP_1) | instid1(VALU_DEP_1)
	v_fmac_f32_e32 v3, v105, v97
	s_waitcnt vmcnt(1)
	v_fmac_f32_e32 v3, v106, v98
	s_waitcnt lgkmcnt(1)
	s_delay_alu instid0(VALU_DEP_1) | instskip(NEXT) | instid1(VALU_DEP_1)
	v_fmac_f32_e32 v3, v107, v99
	v_fmac_f32_e32 v3, v108, v100
	s_delay_alu instid0(VALU_DEP_1) | instskip(SKIP_1) | instid1(VALU_DEP_1)
	v_fmac_f32_e32 v3, v109, v101
	s_waitcnt vmcnt(0)
	v_fmac_f32_e32 v3, v118, v102
	s_waitcnt lgkmcnt(0)
	s_delay_alu instid0(VALU_DEP_1) | instskip(NEXT) | instid1(VALU_DEP_1)
	v_fmac_f32_e32 v3, v119, v95
	v_sub_f32_e32 v3, v94, v3
	scratch_store_b32 off, v3, off offset:108
	v_cmpx_lt_u32_e32 26, v0
	s_cbranch_execz .LBB44_225
; %bb.224:
	scratch_load_b32 v3, off, off offset:104
	scratch_store_b32 off, v2, off offset:104
	s_waitcnt vmcnt(0)
	ds_store_b32 v1, v3
.LBB44_225:
	s_or_b32 exec_lo, exec_lo, s0
	s_waitcnt lgkmcnt(0)
	s_waitcnt_vscnt null, 0x0
	s_barrier
	buffer_gl0_inv
	s_clause 0x4
	scratch_load_b128 v[94:97], off, off offset:104
	scratch_load_b128 v[98:101], off, off offset:120
	;; [unrolled: 1-line block ×4, first 2 shown]
	scratch_load_b96 v[110:112], off, off offset:168
	ds_load_2addr_b32 v[113:114], v2 offset0:75 offset1:76
	ds_load_2addr_b32 v[115:116], v2 offset0:77 offset1:78
	;; [unrolled: 1-line block ×4, first 2 shown]
	s_mov_b32 s0, exec_lo
	s_waitcnt vmcnt(4) lgkmcnt(3)
	v_fma_f32 v113, v95, v113, 0
	s_delay_alu instid0(VALU_DEP_1) | instskip(SKIP_4) | instid1(VALU_DEP_1)
	v_fmac_f32_e32 v113, v96, v114
	ds_load_2addr_b32 v[95:96], v2 offset0:83 offset1:84
	s_waitcnt lgkmcnt(3)
	v_fmac_f32_e32 v113, v97, v115
	s_waitcnt vmcnt(3)
	v_fmac_f32_e32 v113, v98, v116
	ds_load_2addr_b32 v[97:98], v2 offset0:85 offset1:86
	s_waitcnt lgkmcnt(3)
	v_fmac_f32_e32 v113, v99, v117
	s_delay_alu instid0(VALU_DEP_1) | instskip(SKIP_1) | instid1(VALU_DEP_1)
	v_fmac_f32_e32 v113, v100, v118
	s_waitcnt lgkmcnt(2)
	v_fmac_f32_e32 v113, v101, v119
	s_waitcnt vmcnt(2)
	s_delay_alu instid0(VALU_DEP_1)
	v_fmac_f32_e32 v113, v102, v120
	ds_load_2addr_b32 v[99:100], v2 offset0:87 offset1:88
	ds_load_2addr_b32 v[101:102], v2 offset0:89 offset1:90
	;; [unrolled: 1-line block ×3, first 2 shown]
	s_waitcnt lgkmcnt(4)
	v_fmac_f32_e32 v113, v103, v95
	s_delay_alu instid0(VALU_DEP_1) | instskip(SKIP_1) | instid1(VALU_DEP_1)
	v_fmac_f32_e32 v113, v104, v96
	s_waitcnt lgkmcnt(3)
	v_fmac_f32_e32 v113, v105, v97
	s_waitcnt vmcnt(1)
	s_delay_alu instid0(VALU_DEP_1) | instskip(SKIP_1) | instid1(VALU_DEP_1)
	v_fmac_f32_e32 v113, v106, v98
	s_waitcnt lgkmcnt(2)
	v_fmac_f32_e32 v113, v107, v99
	s_delay_alu instid0(VALU_DEP_1) | instskip(SKIP_1) | instid1(VALU_DEP_1)
	v_fmac_f32_e32 v113, v108, v100
	s_waitcnt lgkmcnt(1)
	v_fmac_f32_e32 v113, v109, v101
	s_waitcnt vmcnt(0)
	s_delay_alu instid0(VALU_DEP_1) | instskip(SKIP_1) | instid1(VALU_DEP_1)
	v_fmac_f32_e32 v113, v110, v102
	s_waitcnt lgkmcnt(0)
	v_fmac_f32_e32 v113, v111, v2
	s_delay_alu instid0(VALU_DEP_1) | instskip(NEXT) | instid1(VALU_DEP_1)
	v_fmac_f32_e32 v113, v112, v3
	v_sub_f32_e32 v2, v94, v113
	scratch_store_b32 off, v2, off offset:104
	v_cmpx_lt_u32_e32 25, v0
	s_cbranch_execz .LBB44_227
; %bb.226:
	scratch_load_b32 v2, off, off offset:100
	v_mov_b32_e32 v3, 0
	scratch_store_b32 off, v3, off offset:100
	s_waitcnt vmcnt(0)
	ds_store_b32 v1, v2
.LBB44_227:
	s_or_b32 exec_lo, exec_lo, s0
	s_waitcnt lgkmcnt(0)
	s_waitcnt_vscnt null, 0x0
	s_barrier
	buffer_gl0_inv
	s_clause 0x4
	scratch_load_b128 v[94:97], off, off offset:100
	scratch_load_b128 v[98:101], off, off offset:116
	;; [unrolled: 1-line block ×5, first 2 shown]
	v_mov_b32_e32 v2, 0
	ds_load_2addr_b64 v[114:117], v2 offset0:37 offset1:38
	ds_load_2addr_b64 v[118:121], v2 offset0:39 offset1:40
	s_mov_b32 s0, exec_lo
	s_waitcnt vmcnt(4) lgkmcnt(1)
	v_fma_f32 v3, v95, v114, 0
	s_delay_alu instid0(VALU_DEP_1) | instskip(NEXT) | instid1(VALU_DEP_1)
	v_fmac_f32_e32 v3, v96, v115
	v_fmac_f32_e32 v3, v97, v116
	s_waitcnt vmcnt(3)
	s_delay_alu instid0(VALU_DEP_1) | instskip(SKIP_3) | instid1(VALU_DEP_1)
	v_fmac_f32_e32 v3, v98, v117
	ds_load_2addr_b64 v[95:98], v2 offset0:41 offset1:42
	s_waitcnt lgkmcnt(1)
	v_fmac_f32_e32 v3, v99, v118
	v_fmac_f32_e32 v3, v100, v119
	s_delay_alu instid0(VALU_DEP_1) | instskip(SKIP_1) | instid1(VALU_DEP_1)
	v_fmac_f32_e32 v3, v101, v120
	s_waitcnt vmcnt(2)
	v_fmac_f32_e32 v3, v102, v121
	ds_load_2addr_b64 v[99:102], v2 offset0:43 offset1:44
	s_waitcnt lgkmcnt(1)
	v_fmac_f32_e32 v3, v103, v95
	s_delay_alu instid0(VALU_DEP_1)
	v_fmac_f32_e32 v3, v104, v96
	ds_load_b64 v[95:96], v2 offset:360
	v_fmac_f32_e32 v3, v105, v97
	ds_load_b32 v97, v2 offset:368
	s_waitcnt vmcnt(1)
	v_fmac_f32_e32 v3, v106, v98
	s_waitcnt lgkmcnt(2)
	s_delay_alu instid0(VALU_DEP_1) | instskip(NEXT) | instid1(VALU_DEP_1)
	v_fmac_f32_e32 v3, v107, v99
	v_fmac_f32_e32 v3, v108, v100
	s_delay_alu instid0(VALU_DEP_1) | instskip(SKIP_1) | instid1(VALU_DEP_1)
	v_fmac_f32_e32 v3, v109, v101
	s_waitcnt vmcnt(0)
	v_fmac_f32_e32 v3, v110, v102
	s_waitcnt lgkmcnt(1)
	s_delay_alu instid0(VALU_DEP_1) | instskip(NEXT) | instid1(VALU_DEP_1)
	v_fmac_f32_e32 v3, v111, v95
	v_fmac_f32_e32 v3, v112, v96
	s_waitcnt lgkmcnt(0)
	s_delay_alu instid0(VALU_DEP_1) | instskip(NEXT) | instid1(VALU_DEP_1)
	v_fmac_f32_e32 v3, v113, v97
	v_sub_f32_e32 v3, v94, v3
	scratch_store_b32 off, v3, off offset:100
	v_cmpx_lt_u32_e32 24, v0
	s_cbranch_execz .LBB44_229
; %bb.228:
	scratch_load_b32 v3, off, off offset:96
	scratch_store_b32 off, v2, off offset:96
	s_waitcnt vmcnt(0)
	ds_store_b32 v1, v3
.LBB44_229:
	s_or_b32 exec_lo, exec_lo, s0
	s_waitcnt lgkmcnt(0)
	s_waitcnt_vscnt null, 0x0
	s_barrier
	buffer_gl0_inv
	s_clause 0x5
	scratch_load_b128 v[94:97], off, off offset:96
	scratch_load_b128 v[98:101], off, off offset:112
	;; [unrolled: 1-line block ×5, first 2 shown]
	scratch_load_b32 v122, off, off offset:176
	ds_load_2addr_b32 v[114:115], v2 offset0:73 offset1:74
	ds_load_2addr_b32 v[116:117], v2 offset0:75 offset1:76
	;; [unrolled: 1-line block ×4, first 2 shown]
	s_mov_b32 s0, exec_lo
	s_waitcnt vmcnt(5) lgkmcnt(3)
	v_fma_f32 v114, v95, v114, 0
	s_delay_alu instid0(VALU_DEP_1) | instskip(SKIP_4) | instid1(VALU_DEP_1)
	v_fmac_f32_e32 v114, v96, v115
	ds_load_2addr_b32 v[95:96], v2 offset0:81 offset1:82
	s_waitcnt lgkmcnt(3)
	v_fmac_f32_e32 v114, v97, v116
	s_waitcnt vmcnt(4)
	v_fmac_f32_e32 v114, v98, v117
	ds_load_2addr_b32 v[97:98], v2 offset0:83 offset1:84
	s_waitcnt lgkmcnt(3)
	v_fmac_f32_e32 v114, v99, v118
	s_delay_alu instid0(VALU_DEP_1) | instskip(SKIP_1) | instid1(VALU_DEP_1)
	v_fmac_f32_e32 v114, v100, v119
	s_waitcnt lgkmcnt(2)
	v_fmac_f32_e32 v114, v101, v120
	s_waitcnt vmcnt(3)
	s_delay_alu instid0(VALU_DEP_1) | instskip(SKIP_4) | instid1(VALU_DEP_1)
	v_fmac_f32_e32 v114, v102, v121
	ds_load_2addr_b32 v[99:100], v2 offset0:85 offset1:86
	ds_load_2addr_b32 v[101:102], v2 offset0:87 offset1:88
	s_waitcnt lgkmcnt(3)
	v_fmac_f32_e32 v114, v103, v95
	v_fmac_f32_e32 v114, v104, v96
	ds_load_2addr_b32 v[95:96], v2 offset0:89 offset1:90
	ds_load_2addr_b32 v[2:3], v2 offset0:91 offset1:92
	s_waitcnt lgkmcnt(4)
	v_fmac_f32_e32 v114, v105, v97
	s_waitcnt vmcnt(2)
	s_delay_alu instid0(VALU_DEP_1) | instskip(SKIP_1) | instid1(VALU_DEP_1)
	v_fmac_f32_e32 v114, v106, v98
	s_waitcnt lgkmcnt(3)
	v_fmac_f32_e32 v114, v107, v99
	s_delay_alu instid0(VALU_DEP_1) | instskip(SKIP_1) | instid1(VALU_DEP_1)
	v_fmac_f32_e32 v114, v108, v100
	s_waitcnt lgkmcnt(2)
	v_fmac_f32_e32 v114, v109, v101
	s_waitcnt vmcnt(1)
	s_delay_alu instid0(VALU_DEP_1) | instskip(SKIP_1) | instid1(VALU_DEP_1)
	v_fmac_f32_e32 v114, v110, v102
	s_waitcnt lgkmcnt(1)
	v_fmac_f32_e32 v114, v111, v95
	s_delay_alu instid0(VALU_DEP_1) | instskip(SKIP_1) | instid1(VALU_DEP_1)
	v_fmac_f32_e32 v114, v112, v96
	s_waitcnt lgkmcnt(0)
	v_fmac_f32_e32 v114, v113, v2
	s_waitcnt vmcnt(0)
	s_delay_alu instid0(VALU_DEP_1) | instskip(NEXT) | instid1(VALU_DEP_1)
	v_fmac_f32_e32 v114, v122, v3
	v_sub_f32_e32 v2, v94, v114
	scratch_store_b32 off, v2, off offset:96
	v_cmpx_lt_u32_e32 23, v0
	s_cbranch_execz .LBB44_231
; %bb.230:
	scratch_load_b32 v2, off, off offset:92
	v_mov_b32_e32 v3, 0
	scratch_store_b32 off, v3, off offset:92
	s_waitcnt vmcnt(0)
	ds_store_b32 v1, v2
.LBB44_231:
	s_or_b32 exec_lo, exec_lo, s0
	s_waitcnt lgkmcnt(0)
	s_waitcnt_vscnt null, 0x0
	s_barrier
	buffer_gl0_inv
	s_clause 0x5
	scratch_load_b128 v[94:97], off, off offset:92
	scratch_load_b128 v[98:101], off, off offset:108
	;; [unrolled: 1-line block ×5, first 2 shown]
	scratch_load_b64 v[122:123], off, off offset:172
	v_mov_b32_e32 v2, 0
	ds_load_b128 v[114:117], v2 offset:288
	ds_load_b128 v[118:121], v2 offset:304
	s_mov_b32 s0, exec_lo
	s_waitcnt vmcnt(5) lgkmcnt(1)
	v_fma_f32 v3, v95, v114, 0
	s_delay_alu instid0(VALU_DEP_1) | instskip(NEXT) | instid1(VALU_DEP_1)
	v_fmac_f32_e32 v3, v96, v115
	v_fmac_f32_e32 v3, v97, v116
	s_waitcnt vmcnt(4)
	s_delay_alu instid0(VALU_DEP_1) | instskip(SKIP_3) | instid1(VALU_DEP_1)
	v_fmac_f32_e32 v3, v98, v117
	ds_load_b128 v[95:98], v2 offset:320
	s_waitcnt lgkmcnt(1)
	v_fmac_f32_e32 v3, v99, v118
	v_fmac_f32_e32 v3, v100, v119
	s_delay_alu instid0(VALU_DEP_1) | instskip(SKIP_1) | instid1(VALU_DEP_1)
	v_fmac_f32_e32 v3, v101, v120
	s_waitcnt vmcnt(3)
	v_fmac_f32_e32 v3, v102, v121
	ds_load_b128 v[99:102], v2 offset:336
	s_waitcnt lgkmcnt(1)
	v_fmac_f32_e32 v3, v103, v95
	s_delay_alu instid0(VALU_DEP_1) | instskip(NEXT) | instid1(VALU_DEP_1)
	v_fmac_f32_e32 v3, v104, v96
	v_fmac_f32_e32 v3, v105, v97
	s_waitcnt vmcnt(2)
	s_delay_alu instid0(VALU_DEP_1)
	v_fmac_f32_e32 v3, v106, v98
	ds_load_b128 v[95:98], v2 offset:352
	s_waitcnt lgkmcnt(1)
	v_fmac_f32_e32 v3, v107, v99
	ds_load_b32 v99, v2 offset:368
	v_fmac_f32_e32 v3, v108, v100
	s_delay_alu instid0(VALU_DEP_1) | instskip(SKIP_1) | instid1(VALU_DEP_1)
	v_fmac_f32_e32 v3, v109, v101
	s_waitcnt vmcnt(1)
	v_fmac_f32_e32 v3, v110, v102
	s_waitcnt lgkmcnt(1)
	s_delay_alu instid0(VALU_DEP_1) | instskip(NEXT) | instid1(VALU_DEP_1)
	v_fmac_f32_e32 v3, v111, v95
	v_fmac_f32_e32 v3, v112, v96
	s_delay_alu instid0(VALU_DEP_1) | instskip(SKIP_1) | instid1(VALU_DEP_1)
	v_fmac_f32_e32 v3, v113, v97
	s_waitcnt vmcnt(0)
	v_fmac_f32_e32 v3, v122, v98
	s_waitcnt lgkmcnt(0)
	s_delay_alu instid0(VALU_DEP_1) | instskip(NEXT) | instid1(VALU_DEP_1)
	v_fmac_f32_e32 v3, v123, v99
	v_sub_f32_e32 v3, v94, v3
	scratch_store_b32 off, v3, off offset:92
	v_cmpx_lt_u32_e32 22, v0
	s_cbranch_execz .LBB44_233
; %bb.232:
	scratch_load_b32 v3, off, off offset:88
	scratch_store_b32 off, v2, off offset:88
	s_waitcnt vmcnt(0)
	ds_store_b32 v1, v3
.LBB44_233:
	s_or_b32 exec_lo, exec_lo, s0
	s_waitcnt lgkmcnt(0)
	s_waitcnt_vscnt null, 0x0
	s_barrier
	buffer_gl0_inv
	s_clause 0x5
	scratch_load_b128 v[94:97], off, off offset:88
	scratch_load_b128 v[98:101], off, off offset:104
	;; [unrolled: 1-line block ×5, first 2 shown]
	scratch_load_b96 v[114:116], off, off offset:168
	ds_load_2addr_b32 v[117:118], v2 offset0:71 offset1:72
	ds_load_2addr_b32 v[119:120], v2 offset0:73 offset1:74
	;; [unrolled: 1-line block ×4, first 2 shown]
	s_mov_b32 s0, exec_lo
	s_waitcnt vmcnt(5) lgkmcnt(3)
	v_fma_f32 v117, v95, v117, 0
	s_delay_alu instid0(VALU_DEP_1) | instskip(SKIP_4) | instid1(VALU_DEP_1)
	v_fmac_f32_e32 v117, v96, v118
	ds_load_2addr_b32 v[95:96], v2 offset0:79 offset1:80
	s_waitcnt lgkmcnt(3)
	v_fmac_f32_e32 v117, v97, v119
	s_waitcnt vmcnt(4)
	v_fmac_f32_e32 v117, v98, v120
	ds_load_2addr_b32 v[97:98], v2 offset0:81 offset1:82
	s_waitcnt lgkmcnt(3)
	v_fmac_f32_e32 v117, v99, v121
	s_delay_alu instid0(VALU_DEP_1) | instskip(SKIP_1) | instid1(VALU_DEP_1)
	v_fmac_f32_e32 v117, v100, v122
	s_waitcnt lgkmcnt(2)
	v_fmac_f32_e32 v117, v101, v123
	s_waitcnt vmcnt(3)
	s_delay_alu instid0(VALU_DEP_1) | instskip(SKIP_4) | instid1(VALU_DEP_1)
	v_fmac_f32_e32 v117, v102, v124
	ds_load_2addr_b32 v[99:100], v2 offset0:83 offset1:84
	ds_load_2addr_b32 v[101:102], v2 offset0:85 offset1:86
	s_waitcnt lgkmcnt(3)
	v_fmac_f32_e32 v117, v103, v95
	v_fmac_f32_e32 v117, v104, v96
	ds_load_2addr_b32 v[95:96], v2 offset0:87 offset1:88
	s_waitcnt lgkmcnt(3)
	v_fmac_f32_e32 v117, v105, v97
	s_waitcnt vmcnt(2)
	s_delay_alu instid0(VALU_DEP_1) | instskip(SKIP_4) | instid1(VALU_DEP_1)
	v_fmac_f32_e32 v117, v106, v98
	ds_load_2addr_b32 v[97:98], v2 offset0:89 offset1:90
	ds_load_2addr_b32 v[2:3], v2 offset0:91 offset1:92
	s_waitcnt lgkmcnt(4)
	v_fmac_f32_e32 v117, v107, v99
	v_fmac_f32_e32 v117, v108, v100
	s_waitcnt lgkmcnt(3)
	s_delay_alu instid0(VALU_DEP_1) | instskip(SKIP_1) | instid1(VALU_DEP_1)
	v_fmac_f32_e32 v117, v109, v101
	s_waitcnt vmcnt(1)
	v_fmac_f32_e32 v117, v110, v102
	s_waitcnt lgkmcnt(2)
	s_delay_alu instid0(VALU_DEP_1) | instskip(NEXT) | instid1(VALU_DEP_1)
	v_fmac_f32_e32 v117, v111, v95
	v_fmac_f32_e32 v117, v112, v96
	s_waitcnt lgkmcnt(1)
	s_delay_alu instid0(VALU_DEP_1) | instskip(SKIP_1) | instid1(VALU_DEP_1)
	v_fmac_f32_e32 v117, v113, v97
	s_waitcnt vmcnt(0)
	v_fmac_f32_e32 v117, v114, v98
	s_waitcnt lgkmcnt(0)
	s_delay_alu instid0(VALU_DEP_1) | instskip(NEXT) | instid1(VALU_DEP_1)
	v_fmac_f32_e32 v117, v115, v2
	v_fmac_f32_e32 v117, v116, v3
	s_delay_alu instid0(VALU_DEP_1)
	v_sub_f32_e32 v2, v94, v117
	scratch_store_b32 off, v2, off offset:88
	v_cmpx_lt_u32_e32 21, v0
	s_cbranch_execz .LBB44_235
; %bb.234:
	scratch_load_b32 v2, off, off offset:84
	v_mov_b32_e32 v3, 0
	scratch_store_b32 off, v3, off offset:84
	s_waitcnt vmcnt(0)
	ds_store_b32 v1, v2
.LBB44_235:
	s_or_b32 exec_lo, exec_lo, s0
	s_waitcnt lgkmcnt(0)
	s_waitcnt_vscnt null, 0x0
	s_barrier
	buffer_gl0_inv
	s_clause 0x5
	scratch_load_b128 v[94:97], off, off offset:84
	scratch_load_b128 v[98:101], off, off offset:100
	;; [unrolled: 1-line block ×6, first 2 shown]
	v_mov_b32_e32 v2, 0
	ds_load_2addr_b64 v[118:121], v2 offset0:35 offset1:36
	ds_load_2addr_b64 v[122:125], v2 offset0:37 offset1:38
	s_mov_b32 s0, exec_lo
	s_waitcnt vmcnt(5) lgkmcnt(1)
	v_fma_f32 v3, v95, v118, 0
	s_delay_alu instid0(VALU_DEP_1) | instskip(NEXT) | instid1(VALU_DEP_1)
	v_fmac_f32_e32 v3, v96, v119
	v_fmac_f32_e32 v3, v97, v120
	s_waitcnt vmcnt(4)
	s_delay_alu instid0(VALU_DEP_1) | instskip(SKIP_3) | instid1(VALU_DEP_1)
	v_fmac_f32_e32 v3, v98, v121
	ds_load_2addr_b64 v[95:98], v2 offset0:39 offset1:40
	s_waitcnt lgkmcnt(1)
	v_fmac_f32_e32 v3, v99, v122
	v_fmac_f32_e32 v3, v100, v123
	s_delay_alu instid0(VALU_DEP_1) | instskip(SKIP_1) | instid1(VALU_DEP_1)
	v_fmac_f32_e32 v3, v101, v124
	s_waitcnt vmcnt(3)
	v_fmac_f32_e32 v3, v102, v125
	ds_load_2addr_b64 v[99:102], v2 offset0:41 offset1:42
	s_waitcnt lgkmcnt(1)
	v_fmac_f32_e32 v3, v103, v95
	s_delay_alu instid0(VALU_DEP_1) | instskip(NEXT) | instid1(VALU_DEP_1)
	v_fmac_f32_e32 v3, v104, v96
	v_fmac_f32_e32 v3, v105, v97
	s_waitcnt vmcnt(2)
	s_delay_alu instid0(VALU_DEP_1) | instskip(SKIP_3) | instid1(VALU_DEP_1)
	v_fmac_f32_e32 v3, v106, v98
	ds_load_2addr_b64 v[95:98], v2 offset0:43 offset1:44
	s_waitcnt lgkmcnt(1)
	v_fmac_f32_e32 v3, v107, v99
	v_fmac_f32_e32 v3, v108, v100
	ds_load_b64 v[99:100], v2 offset:360
	v_fmac_f32_e32 v3, v109, v101
	s_waitcnt vmcnt(1)
	s_delay_alu instid0(VALU_DEP_1) | instskip(SKIP_1) | instid1(VALU_DEP_1)
	v_fmac_f32_e32 v3, v110, v102
	s_waitcnt lgkmcnt(1)
	v_fmac_f32_e32 v3, v111, v95
	ds_load_b32 v95, v2 offset:368
	v_fmac_f32_e32 v3, v112, v96
	s_delay_alu instid0(VALU_DEP_1) | instskip(SKIP_1) | instid1(VALU_DEP_1)
	v_fmac_f32_e32 v3, v113, v97
	s_waitcnt vmcnt(0)
	v_fmac_f32_e32 v3, v114, v98
	s_waitcnt lgkmcnt(1)
	s_delay_alu instid0(VALU_DEP_1) | instskip(NEXT) | instid1(VALU_DEP_1)
	v_fmac_f32_e32 v3, v115, v99
	v_fmac_f32_e32 v3, v116, v100
	s_waitcnt lgkmcnt(0)
	s_delay_alu instid0(VALU_DEP_1) | instskip(NEXT) | instid1(VALU_DEP_1)
	v_fmac_f32_e32 v3, v117, v95
	v_sub_f32_e32 v3, v94, v3
	scratch_store_b32 off, v3, off offset:84
	v_cmpx_lt_u32_e32 20, v0
	s_cbranch_execz .LBB44_237
; %bb.236:
	scratch_load_b32 v3, off, off offset:80
	scratch_store_b32 off, v2, off offset:80
	s_waitcnt vmcnt(0)
	ds_store_b32 v1, v3
.LBB44_237:
	s_or_b32 exec_lo, exec_lo, s0
	s_waitcnt lgkmcnt(0)
	s_waitcnt_vscnt null, 0x0
	s_barrier
	buffer_gl0_inv
	s_clause 0x6
	scratch_load_b128 v[94:97], off, off offset:80
	scratch_load_b128 v[98:101], off, off offset:96
	;; [unrolled: 1-line block ×6, first 2 shown]
	scratch_load_b32 v126, off, off offset:176
	ds_load_2addr_b32 v[118:119], v2 offset0:69 offset1:70
	ds_load_2addr_b32 v[120:121], v2 offset0:71 offset1:72
	;; [unrolled: 1-line block ×4, first 2 shown]
	s_mov_b32 s0, exec_lo
	s_waitcnt vmcnt(6) lgkmcnt(3)
	v_fma_f32 v118, v95, v118, 0
	s_delay_alu instid0(VALU_DEP_1) | instskip(SKIP_4) | instid1(VALU_DEP_1)
	v_fmac_f32_e32 v118, v96, v119
	ds_load_2addr_b32 v[95:96], v2 offset0:77 offset1:78
	s_waitcnt lgkmcnt(3)
	v_fmac_f32_e32 v118, v97, v120
	s_waitcnt vmcnt(5)
	v_fmac_f32_e32 v118, v98, v121
	ds_load_2addr_b32 v[97:98], v2 offset0:79 offset1:80
	s_waitcnt lgkmcnt(3)
	v_fmac_f32_e32 v118, v99, v122
	s_delay_alu instid0(VALU_DEP_1) | instskip(SKIP_1) | instid1(VALU_DEP_1)
	v_fmac_f32_e32 v118, v100, v123
	s_waitcnt lgkmcnt(2)
	v_fmac_f32_e32 v118, v101, v124
	s_waitcnt vmcnt(4)
	s_delay_alu instid0(VALU_DEP_1) | instskip(SKIP_4) | instid1(VALU_DEP_1)
	v_fmac_f32_e32 v118, v102, v125
	ds_load_2addr_b32 v[99:100], v2 offset0:81 offset1:82
	ds_load_2addr_b32 v[101:102], v2 offset0:83 offset1:84
	s_waitcnt lgkmcnt(3)
	v_fmac_f32_e32 v118, v103, v95
	v_fmac_f32_e32 v118, v104, v96
	ds_load_2addr_b32 v[95:96], v2 offset0:85 offset1:86
	s_waitcnt lgkmcnt(3)
	v_fmac_f32_e32 v118, v105, v97
	s_waitcnt vmcnt(3)
	s_delay_alu instid0(VALU_DEP_1) | instskip(SKIP_3) | instid1(VALU_DEP_1)
	v_fmac_f32_e32 v118, v106, v98
	ds_load_2addr_b32 v[97:98], v2 offset0:87 offset1:88
	s_waitcnt lgkmcnt(3)
	v_fmac_f32_e32 v118, v107, v99
	v_fmac_f32_e32 v118, v108, v100
	ds_load_2addr_b32 v[99:100], v2 offset0:89 offset1:90
	ds_load_2addr_b32 v[2:3], v2 offset0:91 offset1:92
	s_waitcnt lgkmcnt(4)
	v_fmac_f32_e32 v118, v109, v101
	s_waitcnt vmcnt(2)
	s_delay_alu instid0(VALU_DEP_1) | instskip(SKIP_1) | instid1(VALU_DEP_1)
	v_fmac_f32_e32 v118, v110, v102
	s_waitcnt lgkmcnt(3)
	v_fmac_f32_e32 v118, v111, v95
	s_delay_alu instid0(VALU_DEP_1) | instskip(SKIP_1) | instid1(VALU_DEP_1)
	v_fmac_f32_e32 v118, v112, v96
	s_waitcnt lgkmcnt(2)
	v_fmac_f32_e32 v118, v113, v97
	s_waitcnt vmcnt(1)
	s_delay_alu instid0(VALU_DEP_1) | instskip(SKIP_1) | instid1(VALU_DEP_1)
	v_fmac_f32_e32 v118, v114, v98
	s_waitcnt lgkmcnt(1)
	v_fmac_f32_e32 v118, v115, v99
	s_delay_alu instid0(VALU_DEP_1) | instskip(SKIP_1) | instid1(VALU_DEP_1)
	v_fmac_f32_e32 v118, v116, v100
	s_waitcnt lgkmcnt(0)
	v_fmac_f32_e32 v118, v117, v2
	s_waitcnt vmcnt(0)
	s_delay_alu instid0(VALU_DEP_1) | instskip(NEXT) | instid1(VALU_DEP_1)
	v_fmac_f32_e32 v118, v126, v3
	v_sub_f32_e32 v2, v94, v118
	scratch_store_b32 off, v2, off offset:80
	v_cmpx_lt_u32_e32 19, v0
	s_cbranch_execz .LBB44_239
; %bb.238:
	scratch_load_b32 v2, off, off offset:76
	v_mov_b32_e32 v3, 0
	scratch_store_b32 off, v3, off offset:76
	s_waitcnt vmcnt(0)
	ds_store_b32 v1, v2
.LBB44_239:
	s_or_b32 exec_lo, exec_lo, s0
	s_waitcnt lgkmcnt(0)
	s_waitcnt_vscnt null, 0x0
	s_barrier
	buffer_gl0_inv
	s_clause 0x6
	scratch_load_b128 v[94:97], off, off offset:76
	scratch_load_b128 v[98:101], off, off offset:92
	;; [unrolled: 1-line block ×6, first 2 shown]
	scratch_load_b64 v[126:127], off, off offset:172
	v_mov_b32_e32 v2, 0
	ds_load_b128 v[118:121], v2 offset:272
	ds_load_b128 v[122:125], v2 offset:288
	s_mov_b32 s0, exec_lo
	s_waitcnt vmcnt(6) lgkmcnt(1)
	v_fma_f32 v3, v95, v118, 0
	s_delay_alu instid0(VALU_DEP_1) | instskip(NEXT) | instid1(VALU_DEP_1)
	v_fmac_f32_e32 v3, v96, v119
	v_fmac_f32_e32 v3, v97, v120
	s_waitcnt vmcnt(5)
	s_delay_alu instid0(VALU_DEP_1) | instskip(SKIP_3) | instid1(VALU_DEP_1)
	v_fmac_f32_e32 v3, v98, v121
	ds_load_b128 v[95:98], v2 offset:304
	s_waitcnt lgkmcnt(1)
	v_fmac_f32_e32 v3, v99, v122
	v_fmac_f32_e32 v3, v100, v123
	s_delay_alu instid0(VALU_DEP_1) | instskip(SKIP_1) | instid1(VALU_DEP_1)
	v_fmac_f32_e32 v3, v101, v124
	s_waitcnt vmcnt(4)
	v_fmac_f32_e32 v3, v102, v125
	ds_load_b128 v[99:102], v2 offset:320
	s_waitcnt lgkmcnt(1)
	v_fmac_f32_e32 v3, v103, v95
	s_delay_alu instid0(VALU_DEP_1) | instskip(NEXT) | instid1(VALU_DEP_1)
	v_fmac_f32_e32 v3, v104, v96
	v_fmac_f32_e32 v3, v105, v97
	s_waitcnt vmcnt(3)
	s_delay_alu instid0(VALU_DEP_1) | instskip(SKIP_3) | instid1(VALU_DEP_1)
	v_fmac_f32_e32 v3, v106, v98
	ds_load_b128 v[95:98], v2 offset:336
	s_waitcnt lgkmcnt(1)
	v_fmac_f32_e32 v3, v107, v99
	v_fmac_f32_e32 v3, v108, v100
	s_delay_alu instid0(VALU_DEP_1) | instskip(SKIP_1) | instid1(VALU_DEP_1)
	v_fmac_f32_e32 v3, v109, v101
	s_waitcnt vmcnt(2)
	v_fmac_f32_e32 v3, v110, v102
	ds_load_b128 v[99:102], v2 offset:352
	s_waitcnt lgkmcnt(1)
	v_fmac_f32_e32 v3, v111, v95
	ds_load_b32 v95, v2 offset:368
	v_fmac_f32_e32 v3, v112, v96
	s_delay_alu instid0(VALU_DEP_1) | instskip(SKIP_1) | instid1(VALU_DEP_1)
	v_fmac_f32_e32 v3, v113, v97
	s_waitcnt vmcnt(1)
	v_fmac_f32_e32 v3, v114, v98
	s_waitcnt lgkmcnt(1)
	s_delay_alu instid0(VALU_DEP_1) | instskip(NEXT) | instid1(VALU_DEP_1)
	v_fmac_f32_e32 v3, v115, v99
	v_fmac_f32_e32 v3, v116, v100
	s_delay_alu instid0(VALU_DEP_1) | instskip(SKIP_1) | instid1(VALU_DEP_1)
	v_fmac_f32_e32 v3, v117, v101
	s_waitcnt vmcnt(0)
	v_fmac_f32_e32 v3, v126, v102
	s_waitcnt lgkmcnt(0)
	s_delay_alu instid0(VALU_DEP_1) | instskip(NEXT) | instid1(VALU_DEP_1)
	v_fmac_f32_e32 v3, v127, v95
	v_sub_f32_e32 v3, v94, v3
	scratch_store_b32 off, v3, off offset:76
	v_cmpx_lt_u32_e32 18, v0
	s_cbranch_execz .LBB44_241
; %bb.240:
	scratch_load_b32 v3, off, off offset:72
	scratch_store_b32 off, v2, off offset:72
	s_waitcnt vmcnt(0)
	ds_store_b32 v1, v3
.LBB44_241:
	s_or_b32 exec_lo, exec_lo, s0
	s_waitcnt lgkmcnt(0)
	s_waitcnt_vscnt null, 0x0
	s_barrier
	buffer_gl0_inv
	s_clause 0x6
	scratch_load_b128 v[94:97], off, off offset:72
	scratch_load_b128 v[98:101], off, off offset:88
	;; [unrolled: 1-line block ×6, first 2 shown]
	scratch_load_b96 v[118:120], off, off offset:168
	ds_load_2addr_b32 v[121:122], v2 offset0:67 offset1:68
	ds_load_2addr_b32 v[123:124], v2 offset0:69 offset1:70
	;; [unrolled: 1-line block ×4, first 2 shown]
	s_mov_b32 s0, exec_lo
	s_waitcnt vmcnt(6) lgkmcnt(3)
	v_fma_f32 v121, v95, v121, 0
	s_delay_alu instid0(VALU_DEP_1) | instskip(SKIP_4) | instid1(VALU_DEP_1)
	v_fmac_f32_e32 v121, v96, v122
	ds_load_2addr_b32 v[95:96], v2 offset0:75 offset1:76
	s_waitcnt lgkmcnt(3)
	v_fmac_f32_e32 v121, v97, v123
	s_waitcnt vmcnt(5)
	v_fmac_f32_e32 v121, v98, v124
	ds_load_2addr_b32 v[97:98], v2 offset0:77 offset1:78
	s_waitcnt lgkmcnt(3)
	v_fmac_f32_e32 v121, v99, v125
	s_delay_alu instid0(VALU_DEP_1) | instskip(SKIP_1) | instid1(VALU_DEP_1)
	v_fmac_f32_e32 v121, v100, v126
	s_waitcnt lgkmcnt(2)
	v_fmac_f32_e32 v121, v101, v127
	s_waitcnt vmcnt(4)
	s_delay_alu instid0(VALU_DEP_1) | instskip(SKIP_4) | instid1(VALU_DEP_1)
	v_fmac_f32_e32 v121, v102, v128
	ds_load_2addr_b32 v[99:100], v2 offset0:79 offset1:80
	ds_load_2addr_b32 v[101:102], v2 offset0:81 offset1:82
	s_waitcnt lgkmcnt(3)
	v_fmac_f32_e32 v121, v103, v95
	v_fmac_f32_e32 v121, v104, v96
	ds_load_2addr_b32 v[95:96], v2 offset0:83 offset1:84
	s_waitcnt lgkmcnt(3)
	v_fmac_f32_e32 v121, v105, v97
	s_waitcnt vmcnt(3)
	s_delay_alu instid0(VALU_DEP_1) | instskip(SKIP_3) | instid1(VALU_DEP_1)
	v_fmac_f32_e32 v121, v106, v98
	ds_load_2addr_b32 v[97:98], v2 offset0:85 offset1:86
	s_waitcnt lgkmcnt(3)
	v_fmac_f32_e32 v121, v107, v99
	v_fmac_f32_e32 v121, v108, v100
	s_waitcnt lgkmcnt(2)
	s_delay_alu instid0(VALU_DEP_1) | instskip(SKIP_1) | instid1(VALU_DEP_1)
	v_fmac_f32_e32 v121, v109, v101
	s_waitcnt vmcnt(2)
	v_fmac_f32_e32 v121, v110, v102
	ds_load_2addr_b32 v[99:100], v2 offset0:87 offset1:88
	ds_load_2addr_b32 v[101:102], v2 offset0:89 offset1:90
	;; [unrolled: 1-line block ×3, first 2 shown]
	s_waitcnt lgkmcnt(4)
	v_fmac_f32_e32 v121, v111, v95
	s_delay_alu instid0(VALU_DEP_1) | instskip(SKIP_1) | instid1(VALU_DEP_1)
	v_fmac_f32_e32 v121, v112, v96
	s_waitcnt lgkmcnt(3)
	v_fmac_f32_e32 v121, v113, v97
	s_waitcnt vmcnt(1)
	s_delay_alu instid0(VALU_DEP_1) | instskip(SKIP_1) | instid1(VALU_DEP_1)
	v_fmac_f32_e32 v121, v114, v98
	s_waitcnt lgkmcnt(2)
	v_fmac_f32_e32 v121, v115, v99
	s_delay_alu instid0(VALU_DEP_1) | instskip(SKIP_1) | instid1(VALU_DEP_1)
	v_fmac_f32_e32 v121, v116, v100
	s_waitcnt lgkmcnt(1)
	v_fmac_f32_e32 v121, v117, v101
	s_waitcnt vmcnt(0)
	s_delay_alu instid0(VALU_DEP_1) | instskip(SKIP_1) | instid1(VALU_DEP_1)
	v_fmac_f32_e32 v121, v118, v102
	s_waitcnt lgkmcnt(0)
	v_fmac_f32_e32 v121, v119, v2
	s_delay_alu instid0(VALU_DEP_1) | instskip(NEXT) | instid1(VALU_DEP_1)
	v_fmac_f32_e32 v121, v120, v3
	v_sub_f32_e32 v2, v94, v121
	scratch_store_b32 off, v2, off offset:72
	v_cmpx_lt_u32_e32 17, v0
	s_cbranch_execz .LBB44_243
; %bb.242:
	scratch_load_b32 v2, off, off offset:68
	v_mov_b32_e32 v3, 0
	scratch_store_b32 off, v3, off offset:68
	s_waitcnt vmcnt(0)
	ds_store_b32 v1, v2
.LBB44_243:
	s_or_b32 exec_lo, exec_lo, s0
	s_waitcnt lgkmcnt(0)
	s_waitcnt_vscnt null, 0x0
	s_barrier
	buffer_gl0_inv
	s_clause 0x6
	scratch_load_b128 v[94:97], off, off offset:68
	scratch_load_b128 v[98:101], off, off offset:84
	;; [unrolled: 1-line block ×7, first 2 shown]
	v_mov_b32_e32 v2, 0
	ds_load_2addr_b64 v[122:125], v2 offset0:33 offset1:34
	ds_load_2addr_b64 v[126:129], v2 offset0:35 offset1:36
	s_mov_b32 s0, exec_lo
	s_waitcnt vmcnt(6) lgkmcnt(1)
	v_fma_f32 v3, v95, v122, 0
	s_delay_alu instid0(VALU_DEP_1) | instskip(NEXT) | instid1(VALU_DEP_1)
	v_fmac_f32_e32 v3, v96, v123
	v_fmac_f32_e32 v3, v97, v124
	s_waitcnt vmcnt(5)
	s_delay_alu instid0(VALU_DEP_1) | instskip(SKIP_3) | instid1(VALU_DEP_1)
	v_fmac_f32_e32 v3, v98, v125
	ds_load_2addr_b64 v[95:98], v2 offset0:37 offset1:38
	s_waitcnt lgkmcnt(1)
	v_fmac_f32_e32 v3, v99, v126
	v_fmac_f32_e32 v3, v100, v127
	s_delay_alu instid0(VALU_DEP_1) | instskip(SKIP_1) | instid1(VALU_DEP_1)
	v_fmac_f32_e32 v3, v101, v128
	s_waitcnt vmcnt(4)
	v_fmac_f32_e32 v3, v102, v129
	ds_load_2addr_b64 v[99:102], v2 offset0:39 offset1:40
	s_waitcnt lgkmcnt(1)
	v_fmac_f32_e32 v3, v103, v95
	s_delay_alu instid0(VALU_DEP_1) | instskip(NEXT) | instid1(VALU_DEP_1)
	v_fmac_f32_e32 v3, v104, v96
	v_fmac_f32_e32 v3, v105, v97
	s_waitcnt vmcnt(3)
	s_delay_alu instid0(VALU_DEP_1) | instskip(SKIP_3) | instid1(VALU_DEP_1)
	v_fmac_f32_e32 v3, v106, v98
	ds_load_2addr_b64 v[95:98], v2 offset0:41 offset1:42
	s_waitcnt lgkmcnt(1)
	v_fmac_f32_e32 v3, v107, v99
	v_fmac_f32_e32 v3, v108, v100
	s_delay_alu instid0(VALU_DEP_1) | instskip(SKIP_1) | instid1(VALU_DEP_1)
	v_fmac_f32_e32 v3, v109, v101
	s_waitcnt vmcnt(2)
	v_fmac_f32_e32 v3, v110, v102
	ds_load_2addr_b64 v[99:102], v2 offset0:43 offset1:44
	s_waitcnt lgkmcnt(1)
	v_fmac_f32_e32 v3, v111, v95
	s_delay_alu instid0(VALU_DEP_1)
	v_fmac_f32_e32 v3, v112, v96
	ds_load_b64 v[95:96], v2 offset:360
	v_fmac_f32_e32 v3, v113, v97
	ds_load_b32 v97, v2 offset:368
	s_waitcnt vmcnt(1)
	v_fmac_f32_e32 v3, v114, v98
	s_waitcnt lgkmcnt(2)
	s_delay_alu instid0(VALU_DEP_1) | instskip(NEXT) | instid1(VALU_DEP_1)
	v_fmac_f32_e32 v3, v115, v99
	v_fmac_f32_e32 v3, v116, v100
	s_delay_alu instid0(VALU_DEP_1) | instskip(SKIP_1) | instid1(VALU_DEP_1)
	v_fmac_f32_e32 v3, v117, v101
	s_waitcnt vmcnt(0)
	v_fmac_f32_e32 v3, v118, v102
	s_waitcnt lgkmcnt(1)
	s_delay_alu instid0(VALU_DEP_1) | instskip(NEXT) | instid1(VALU_DEP_1)
	v_fmac_f32_e32 v3, v119, v95
	v_fmac_f32_e32 v3, v120, v96
	s_waitcnt lgkmcnt(0)
	s_delay_alu instid0(VALU_DEP_1) | instskip(NEXT) | instid1(VALU_DEP_1)
	v_fmac_f32_e32 v3, v121, v97
	v_sub_f32_e32 v3, v94, v3
	scratch_store_b32 off, v3, off offset:68
	v_cmpx_lt_u32_e32 16, v0
	s_cbranch_execz .LBB44_245
; %bb.244:
	scratch_load_b32 v3, off, off offset:64
	scratch_store_b32 off, v2, off offset:64
	s_waitcnt vmcnt(0)
	ds_store_b32 v1, v3
.LBB44_245:
	s_or_b32 exec_lo, exec_lo, s0
	s_waitcnt lgkmcnt(0)
	s_waitcnt_vscnt null, 0x0
	s_barrier
	buffer_gl0_inv
	s_clause 0x7
	scratch_load_b128 v[94:97], off, off offset:64
	scratch_load_b128 v[98:101], off, off offset:80
	;; [unrolled: 1-line block ×7, first 2 shown]
	scratch_load_b32 v130, off, off offset:176
	ds_load_2addr_b32 v[122:123], v2 offset0:65 offset1:66
	ds_load_2addr_b32 v[124:125], v2 offset0:67 offset1:68
	;; [unrolled: 1-line block ×4, first 2 shown]
	s_mov_b32 s0, exec_lo
	s_waitcnt vmcnt(7) lgkmcnt(3)
	v_fma_f32 v122, v95, v122, 0
	s_delay_alu instid0(VALU_DEP_1) | instskip(SKIP_4) | instid1(VALU_DEP_1)
	v_fmac_f32_e32 v122, v96, v123
	ds_load_2addr_b32 v[95:96], v2 offset0:73 offset1:74
	s_waitcnt lgkmcnt(3)
	v_fmac_f32_e32 v122, v97, v124
	s_waitcnt vmcnt(6)
	v_fmac_f32_e32 v122, v98, v125
	ds_load_2addr_b32 v[97:98], v2 offset0:75 offset1:76
	s_waitcnt lgkmcnt(3)
	v_fmac_f32_e32 v122, v99, v126
	s_delay_alu instid0(VALU_DEP_1) | instskip(SKIP_1) | instid1(VALU_DEP_1)
	v_fmac_f32_e32 v122, v100, v127
	s_waitcnt lgkmcnt(2)
	v_fmac_f32_e32 v122, v101, v128
	s_waitcnt vmcnt(5)
	s_delay_alu instid0(VALU_DEP_1) | instskip(SKIP_4) | instid1(VALU_DEP_1)
	v_fmac_f32_e32 v122, v102, v129
	ds_load_2addr_b32 v[99:100], v2 offset0:77 offset1:78
	ds_load_2addr_b32 v[101:102], v2 offset0:79 offset1:80
	s_waitcnt lgkmcnt(3)
	v_fmac_f32_e32 v122, v103, v95
	v_fmac_f32_e32 v122, v104, v96
	ds_load_2addr_b32 v[95:96], v2 offset0:81 offset1:82
	s_waitcnt lgkmcnt(3)
	v_fmac_f32_e32 v122, v105, v97
	s_waitcnt vmcnt(4)
	s_delay_alu instid0(VALU_DEP_1) | instskip(SKIP_3) | instid1(VALU_DEP_1)
	v_fmac_f32_e32 v122, v106, v98
	ds_load_2addr_b32 v[97:98], v2 offset0:83 offset1:84
	s_waitcnt lgkmcnt(3)
	v_fmac_f32_e32 v122, v107, v99
	v_fmac_f32_e32 v122, v108, v100
	s_waitcnt lgkmcnt(2)
	s_delay_alu instid0(VALU_DEP_1) | instskip(SKIP_1) | instid1(VALU_DEP_1)
	v_fmac_f32_e32 v122, v109, v101
	s_waitcnt vmcnt(3)
	v_fmac_f32_e32 v122, v110, v102
	ds_load_2addr_b32 v[99:100], v2 offset0:85 offset1:86
	ds_load_2addr_b32 v[101:102], v2 offset0:87 offset1:88
	s_waitcnt lgkmcnt(3)
	v_fmac_f32_e32 v122, v111, v95
	s_delay_alu instid0(VALU_DEP_1)
	v_fmac_f32_e32 v122, v112, v96
	ds_load_2addr_b32 v[95:96], v2 offset0:89 offset1:90
	ds_load_2addr_b32 v[2:3], v2 offset0:91 offset1:92
	s_waitcnt lgkmcnt(4)
	v_fmac_f32_e32 v122, v113, v97
	s_waitcnt vmcnt(2)
	s_delay_alu instid0(VALU_DEP_1) | instskip(SKIP_1) | instid1(VALU_DEP_1)
	v_fmac_f32_e32 v122, v114, v98
	s_waitcnt lgkmcnt(3)
	v_fmac_f32_e32 v122, v115, v99
	s_delay_alu instid0(VALU_DEP_1) | instskip(SKIP_1) | instid1(VALU_DEP_1)
	v_fmac_f32_e32 v122, v116, v100
	s_waitcnt lgkmcnt(2)
	v_fmac_f32_e32 v122, v117, v101
	s_waitcnt vmcnt(1)
	s_delay_alu instid0(VALU_DEP_1) | instskip(SKIP_1) | instid1(VALU_DEP_1)
	v_fmac_f32_e32 v122, v118, v102
	s_waitcnt lgkmcnt(1)
	v_fmac_f32_e32 v122, v119, v95
	s_delay_alu instid0(VALU_DEP_1) | instskip(SKIP_1) | instid1(VALU_DEP_1)
	v_fmac_f32_e32 v122, v120, v96
	s_waitcnt lgkmcnt(0)
	v_fmac_f32_e32 v122, v121, v2
	s_waitcnt vmcnt(0)
	s_delay_alu instid0(VALU_DEP_1) | instskip(NEXT) | instid1(VALU_DEP_1)
	v_fmac_f32_e32 v122, v130, v3
	v_sub_f32_e32 v2, v94, v122
	scratch_store_b32 off, v2, off offset:64
	v_cmpx_lt_u32_e32 15, v0
	s_cbranch_execz .LBB44_247
; %bb.246:
	scratch_load_b32 v2, off, off offset:60
	v_mov_b32_e32 v3, 0
	scratch_store_b32 off, v3, off offset:60
	s_waitcnt vmcnt(0)
	ds_store_b32 v1, v2
.LBB44_247:
	s_or_b32 exec_lo, exec_lo, s0
	s_waitcnt lgkmcnt(0)
	s_waitcnt_vscnt null, 0x0
	s_barrier
	buffer_gl0_inv
	s_clause 0x7
	scratch_load_b128 v[94:97], off, off offset:60
	scratch_load_b128 v[98:101], off, off offset:76
	;; [unrolled: 1-line block ×7, first 2 shown]
	scratch_load_b64 v[130:131], off, off offset:172
	v_mov_b32_e32 v2, 0
	ds_load_b128 v[122:125], v2 offset:256
	ds_load_b128 v[126:129], v2 offset:272
	s_mov_b32 s0, exec_lo
	s_waitcnt vmcnt(7) lgkmcnt(1)
	v_fma_f32 v3, v95, v122, 0
	s_delay_alu instid0(VALU_DEP_1) | instskip(NEXT) | instid1(VALU_DEP_1)
	v_fmac_f32_e32 v3, v96, v123
	v_fmac_f32_e32 v3, v97, v124
	s_waitcnt vmcnt(6)
	s_delay_alu instid0(VALU_DEP_1) | instskip(SKIP_3) | instid1(VALU_DEP_1)
	v_fmac_f32_e32 v3, v98, v125
	ds_load_b128 v[95:98], v2 offset:288
	s_waitcnt lgkmcnt(1)
	v_fmac_f32_e32 v3, v99, v126
	v_fmac_f32_e32 v3, v100, v127
	s_delay_alu instid0(VALU_DEP_1) | instskip(SKIP_1) | instid1(VALU_DEP_1)
	v_fmac_f32_e32 v3, v101, v128
	s_waitcnt vmcnt(5)
	v_fmac_f32_e32 v3, v102, v129
	ds_load_b128 v[99:102], v2 offset:304
	s_waitcnt lgkmcnt(1)
	v_fmac_f32_e32 v3, v103, v95
	s_delay_alu instid0(VALU_DEP_1) | instskip(NEXT) | instid1(VALU_DEP_1)
	v_fmac_f32_e32 v3, v104, v96
	v_fmac_f32_e32 v3, v105, v97
	s_waitcnt vmcnt(4)
	s_delay_alu instid0(VALU_DEP_1) | instskip(SKIP_3) | instid1(VALU_DEP_1)
	v_fmac_f32_e32 v3, v106, v98
	ds_load_b128 v[95:98], v2 offset:320
	s_waitcnt lgkmcnt(1)
	v_fmac_f32_e32 v3, v107, v99
	v_fmac_f32_e32 v3, v108, v100
	s_delay_alu instid0(VALU_DEP_1) | instskip(SKIP_1) | instid1(VALU_DEP_1)
	v_fmac_f32_e32 v3, v109, v101
	s_waitcnt vmcnt(3)
	v_fmac_f32_e32 v3, v110, v102
	ds_load_b128 v[99:102], v2 offset:336
	s_waitcnt lgkmcnt(1)
	v_fmac_f32_e32 v3, v111, v95
	s_delay_alu instid0(VALU_DEP_1) | instskip(NEXT) | instid1(VALU_DEP_1)
	v_fmac_f32_e32 v3, v112, v96
	v_fmac_f32_e32 v3, v113, v97
	s_waitcnt vmcnt(2)
	s_delay_alu instid0(VALU_DEP_1)
	v_fmac_f32_e32 v3, v114, v98
	ds_load_b128 v[95:98], v2 offset:352
	s_waitcnt lgkmcnt(1)
	v_fmac_f32_e32 v3, v115, v99
	ds_load_b32 v99, v2 offset:368
	v_fmac_f32_e32 v3, v116, v100
	s_delay_alu instid0(VALU_DEP_1) | instskip(SKIP_1) | instid1(VALU_DEP_1)
	v_fmac_f32_e32 v3, v117, v101
	s_waitcnt vmcnt(1)
	v_fmac_f32_e32 v3, v118, v102
	s_waitcnt lgkmcnt(1)
	s_delay_alu instid0(VALU_DEP_1) | instskip(NEXT) | instid1(VALU_DEP_1)
	v_fmac_f32_e32 v3, v119, v95
	v_fmac_f32_e32 v3, v120, v96
	s_delay_alu instid0(VALU_DEP_1) | instskip(SKIP_1) | instid1(VALU_DEP_1)
	v_fmac_f32_e32 v3, v121, v97
	s_waitcnt vmcnt(0)
	v_fmac_f32_e32 v3, v130, v98
	s_waitcnt lgkmcnt(0)
	s_delay_alu instid0(VALU_DEP_1) | instskip(NEXT) | instid1(VALU_DEP_1)
	v_fmac_f32_e32 v3, v131, v99
	v_sub_f32_e32 v3, v94, v3
	scratch_store_b32 off, v3, off offset:60
	v_cmpx_lt_u32_e32 14, v0
	s_cbranch_execz .LBB44_249
; %bb.248:
	scratch_load_b32 v3, off, off offset:56
	scratch_store_b32 off, v2, off offset:56
	s_waitcnt vmcnt(0)
	ds_store_b32 v1, v3
.LBB44_249:
	s_or_b32 exec_lo, exec_lo, s0
	s_waitcnt lgkmcnt(0)
	s_waitcnt_vscnt null, 0x0
	s_barrier
	buffer_gl0_inv
	s_clause 0x7
	scratch_load_b128 v[94:97], off, off offset:56
	scratch_load_b128 v[98:101], off, off offset:72
	;; [unrolled: 1-line block ×7, first 2 shown]
	scratch_load_b96 v[122:124], off, off offset:168
	ds_load_2addr_b32 v[125:126], v2 offset0:63 offset1:64
	ds_load_2addr_b32 v[127:128], v2 offset0:65 offset1:66
	;; [unrolled: 1-line block ×4, first 2 shown]
	s_mov_b32 s0, exec_lo
	s_waitcnt vmcnt(7) lgkmcnt(3)
	v_fma_f32 v125, v95, v125, 0
	s_delay_alu instid0(VALU_DEP_1) | instskip(SKIP_4) | instid1(VALU_DEP_1)
	v_fmac_f32_e32 v125, v96, v126
	ds_load_2addr_b32 v[95:96], v2 offset0:71 offset1:72
	s_waitcnt lgkmcnt(3)
	v_fmac_f32_e32 v125, v97, v127
	s_waitcnt vmcnt(6)
	v_fmac_f32_e32 v125, v98, v128
	ds_load_2addr_b32 v[97:98], v2 offset0:73 offset1:74
	s_waitcnt lgkmcnt(3)
	v_fmac_f32_e32 v125, v99, v129
	s_delay_alu instid0(VALU_DEP_1) | instskip(SKIP_1) | instid1(VALU_DEP_1)
	v_fmac_f32_e32 v125, v100, v130
	s_waitcnt lgkmcnt(2)
	v_fmac_f32_e32 v125, v101, v131
	s_waitcnt vmcnt(5)
	s_delay_alu instid0(VALU_DEP_1) | instskip(SKIP_4) | instid1(VALU_DEP_1)
	v_fmac_f32_e32 v125, v102, v132
	ds_load_2addr_b32 v[99:100], v2 offset0:75 offset1:76
	ds_load_2addr_b32 v[101:102], v2 offset0:77 offset1:78
	s_waitcnt lgkmcnt(3)
	v_fmac_f32_e32 v125, v103, v95
	v_fmac_f32_e32 v125, v104, v96
	ds_load_2addr_b32 v[95:96], v2 offset0:79 offset1:80
	s_waitcnt lgkmcnt(3)
	v_fmac_f32_e32 v125, v105, v97
	s_waitcnt vmcnt(4)
	s_delay_alu instid0(VALU_DEP_1) | instskip(SKIP_3) | instid1(VALU_DEP_1)
	v_fmac_f32_e32 v125, v106, v98
	ds_load_2addr_b32 v[97:98], v2 offset0:81 offset1:82
	s_waitcnt lgkmcnt(3)
	v_fmac_f32_e32 v125, v107, v99
	v_fmac_f32_e32 v125, v108, v100
	s_waitcnt lgkmcnt(2)
	s_delay_alu instid0(VALU_DEP_1) | instskip(SKIP_1) | instid1(VALU_DEP_1)
	v_fmac_f32_e32 v125, v109, v101
	s_waitcnt vmcnt(3)
	v_fmac_f32_e32 v125, v110, v102
	ds_load_2addr_b32 v[99:100], v2 offset0:83 offset1:84
	ds_load_2addr_b32 v[101:102], v2 offset0:85 offset1:86
	s_waitcnt lgkmcnt(3)
	v_fmac_f32_e32 v125, v111, v95
	s_delay_alu instid0(VALU_DEP_1) | instskip(SKIP_4) | instid1(VALU_DEP_1)
	v_fmac_f32_e32 v125, v112, v96
	ds_load_2addr_b32 v[95:96], v2 offset0:87 offset1:88
	s_waitcnt lgkmcnt(3)
	v_fmac_f32_e32 v125, v113, v97
	s_waitcnt vmcnt(2)
	v_fmac_f32_e32 v125, v114, v98
	ds_load_2addr_b32 v[97:98], v2 offset0:89 offset1:90
	ds_load_2addr_b32 v[2:3], v2 offset0:91 offset1:92
	s_waitcnt lgkmcnt(4)
	v_fmac_f32_e32 v125, v115, v99
	s_delay_alu instid0(VALU_DEP_1) | instskip(SKIP_1) | instid1(VALU_DEP_1)
	v_fmac_f32_e32 v125, v116, v100
	s_waitcnt lgkmcnt(3)
	v_fmac_f32_e32 v125, v117, v101
	s_waitcnt vmcnt(1)
	s_delay_alu instid0(VALU_DEP_1) | instskip(SKIP_1) | instid1(VALU_DEP_1)
	v_fmac_f32_e32 v125, v118, v102
	s_waitcnt lgkmcnt(2)
	v_fmac_f32_e32 v125, v119, v95
	s_delay_alu instid0(VALU_DEP_1) | instskip(SKIP_1) | instid1(VALU_DEP_1)
	v_fmac_f32_e32 v125, v120, v96
	s_waitcnt lgkmcnt(1)
	v_fmac_f32_e32 v125, v121, v97
	s_waitcnt vmcnt(0)
	s_delay_alu instid0(VALU_DEP_1) | instskip(SKIP_1) | instid1(VALU_DEP_1)
	v_fmac_f32_e32 v125, v122, v98
	s_waitcnt lgkmcnt(0)
	v_fmac_f32_e32 v125, v123, v2
	s_delay_alu instid0(VALU_DEP_1) | instskip(NEXT) | instid1(VALU_DEP_1)
	v_fmac_f32_e32 v125, v124, v3
	v_sub_f32_e32 v2, v94, v125
	scratch_store_b32 off, v2, off offset:56
	v_cmpx_lt_u32_e32 13, v0
	s_cbranch_execz .LBB44_251
; %bb.250:
	scratch_load_b32 v2, off, off offset:52
	v_mov_b32_e32 v3, 0
	scratch_store_b32 off, v3, off offset:52
	s_waitcnt vmcnt(0)
	ds_store_b32 v1, v2
.LBB44_251:
	s_or_b32 exec_lo, exec_lo, s0
	s_waitcnt lgkmcnt(0)
	s_waitcnt_vscnt null, 0x0
	s_barrier
	buffer_gl0_inv
	s_clause 0x7
	scratch_load_b128 v[94:97], off, off offset:52
	scratch_load_b128 v[98:101], off, off offset:68
	;; [unrolled: 1-line block ×8, first 2 shown]
	v_mov_b32_e32 v2, 0
	ds_load_2addr_b64 v[126:129], v2 offset0:31 offset1:32
	ds_load_2addr_b64 v[130:133], v2 offset0:33 offset1:34
	s_mov_b32 s0, exec_lo
	s_waitcnt vmcnt(7) lgkmcnt(1)
	v_fma_f32 v3, v95, v126, 0
	s_delay_alu instid0(VALU_DEP_1) | instskip(NEXT) | instid1(VALU_DEP_1)
	v_fmac_f32_e32 v3, v96, v127
	v_fmac_f32_e32 v3, v97, v128
	s_waitcnt vmcnt(6)
	s_delay_alu instid0(VALU_DEP_1) | instskip(SKIP_3) | instid1(VALU_DEP_1)
	v_fmac_f32_e32 v3, v98, v129
	ds_load_2addr_b64 v[95:98], v2 offset0:35 offset1:36
	s_waitcnt lgkmcnt(1)
	v_fmac_f32_e32 v3, v99, v130
	v_fmac_f32_e32 v3, v100, v131
	s_delay_alu instid0(VALU_DEP_1) | instskip(SKIP_1) | instid1(VALU_DEP_1)
	v_fmac_f32_e32 v3, v101, v132
	s_waitcnt vmcnt(5)
	v_fmac_f32_e32 v3, v102, v133
	ds_load_2addr_b64 v[99:102], v2 offset0:37 offset1:38
	s_waitcnt lgkmcnt(1)
	v_fmac_f32_e32 v3, v103, v95
	s_delay_alu instid0(VALU_DEP_1) | instskip(NEXT) | instid1(VALU_DEP_1)
	v_fmac_f32_e32 v3, v104, v96
	v_fmac_f32_e32 v3, v105, v97
	s_waitcnt vmcnt(4)
	s_delay_alu instid0(VALU_DEP_1) | instskip(SKIP_3) | instid1(VALU_DEP_1)
	v_fmac_f32_e32 v3, v106, v98
	ds_load_2addr_b64 v[95:98], v2 offset0:39 offset1:40
	s_waitcnt lgkmcnt(1)
	v_fmac_f32_e32 v3, v107, v99
	v_fmac_f32_e32 v3, v108, v100
	s_delay_alu instid0(VALU_DEP_1) | instskip(SKIP_1) | instid1(VALU_DEP_1)
	v_fmac_f32_e32 v3, v109, v101
	s_waitcnt vmcnt(3)
	v_fmac_f32_e32 v3, v110, v102
	ds_load_2addr_b64 v[99:102], v2 offset0:41 offset1:42
	s_waitcnt lgkmcnt(1)
	v_fmac_f32_e32 v3, v111, v95
	s_delay_alu instid0(VALU_DEP_1) | instskip(NEXT) | instid1(VALU_DEP_1)
	v_fmac_f32_e32 v3, v112, v96
	v_fmac_f32_e32 v3, v113, v97
	s_waitcnt vmcnt(2)
	s_delay_alu instid0(VALU_DEP_1) | instskip(SKIP_3) | instid1(VALU_DEP_1)
	v_fmac_f32_e32 v3, v114, v98
	ds_load_2addr_b64 v[95:98], v2 offset0:43 offset1:44
	s_waitcnt lgkmcnt(1)
	v_fmac_f32_e32 v3, v115, v99
	v_fmac_f32_e32 v3, v116, v100
	ds_load_b64 v[99:100], v2 offset:360
	v_fmac_f32_e32 v3, v117, v101
	s_waitcnt vmcnt(1)
	s_delay_alu instid0(VALU_DEP_1) | instskip(SKIP_1) | instid1(VALU_DEP_1)
	v_fmac_f32_e32 v3, v118, v102
	s_waitcnt lgkmcnt(1)
	v_fmac_f32_e32 v3, v119, v95
	ds_load_b32 v95, v2 offset:368
	v_fmac_f32_e32 v3, v120, v96
	s_delay_alu instid0(VALU_DEP_1) | instskip(SKIP_1) | instid1(VALU_DEP_1)
	v_fmac_f32_e32 v3, v121, v97
	s_waitcnt vmcnt(0)
	v_fmac_f32_e32 v3, v122, v98
	s_waitcnt lgkmcnt(1)
	s_delay_alu instid0(VALU_DEP_1) | instskip(NEXT) | instid1(VALU_DEP_1)
	v_fmac_f32_e32 v3, v123, v99
	v_fmac_f32_e32 v3, v124, v100
	s_waitcnt lgkmcnt(0)
	s_delay_alu instid0(VALU_DEP_1) | instskip(NEXT) | instid1(VALU_DEP_1)
	v_fmac_f32_e32 v3, v125, v95
	v_sub_f32_e32 v3, v94, v3
	scratch_store_b32 off, v3, off offset:52
	v_cmpx_lt_u32_e32 12, v0
	s_cbranch_execz .LBB44_253
; %bb.252:
	scratch_load_b32 v3, off, off offset:48
	scratch_store_b32 off, v2, off offset:48
	s_waitcnt vmcnt(0)
	ds_store_b32 v1, v3
.LBB44_253:
	s_or_b32 exec_lo, exec_lo, s0
	s_waitcnt lgkmcnt(0)
	s_waitcnt_vscnt null, 0x0
	s_barrier
	buffer_gl0_inv
	s_clause 0x8
	scratch_load_b128 v[94:97], off, off offset:48
	scratch_load_b128 v[98:101], off, off offset:64
	;; [unrolled: 1-line block ×8, first 2 shown]
	scratch_load_b32 v134, off, off offset:176
	ds_load_2addr_b32 v[126:127], v2 offset0:61 offset1:62
	ds_load_2addr_b32 v[128:129], v2 offset0:63 offset1:64
	ds_load_2addr_b32 v[130:131], v2 offset0:65 offset1:66
	ds_load_2addr_b32 v[132:133], v2 offset0:67 offset1:68
	s_mov_b32 s0, exec_lo
	s_waitcnt vmcnt(8) lgkmcnt(3)
	v_fma_f32 v126, v95, v126, 0
	s_delay_alu instid0(VALU_DEP_1) | instskip(SKIP_4) | instid1(VALU_DEP_1)
	v_fmac_f32_e32 v126, v96, v127
	ds_load_2addr_b32 v[95:96], v2 offset0:69 offset1:70
	s_waitcnt lgkmcnt(3)
	v_fmac_f32_e32 v126, v97, v128
	s_waitcnt vmcnt(7)
	v_fmac_f32_e32 v126, v98, v129
	ds_load_2addr_b32 v[97:98], v2 offset0:71 offset1:72
	s_waitcnt lgkmcnt(3)
	v_fmac_f32_e32 v126, v99, v130
	s_delay_alu instid0(VALU_DEP_1) | instskip(SKIP_1) | instid1(VALU_DEP_1)
	v_fmac_f32_e32 v126, v100, v131
	s_waitcnt lgkmcnt(2)
	v_fmac_f32_e32 v126, v101, v132
	s_waitcnt vmcnt(6)
	s_delay_alu instid0(VALU_DEP_1) | instskip(SKIP_4) | instid1(VALU_DEP_1)
	v_fmac_f32_e32 v126, v102, v133
	ds_load_2addr_b32 v[99:100], v2 offset0:73 offset1:74
	ds_load_2addr_b32 v[101:102], v2 offset0:75 offset1:76
	s_waitcnt lgkmcnt(3)
	v_fmac_f32_e32 v126, v103, v95
	v_fmac_f32_e32 v126, v104, v96
	ds_load_2addr_b32 v[95:96], v2 offset0:77 offset1:78
	s_waitcnt lgkmcnt(3)
	v_fmac_f32_e32 v126, v105, v97
	s_waitcnt vmcnt(5)
	s_delay_alu instid0(VALU_DEP_1) | instskip(SKIP_3) | instid1(VALU_DEP_1)
	v_fmac_f32_e32 v126, v106, v98
	ds_load_2addr_b32 v[97:98], v2 offset0:79 offset1:80
	s_waitcnt lgkmcnt(3)
	v_fmac_f32_e32 v126, v107, v99
	v_fmac_f32_e32 v126, v108, v100
	s_waitcnt lgkmcnt(2)
	s_delay_alu instid0(VALU_DEP_1) | instskip(SKIP_1) | instid1(VALU_DEP_1)
	v_fmac_f32_e32 v126, v109, v101
	s_waitcnt vmcnt(4)
	v_fmac_f32_e32 v126, v110, v102
	ds_load_2addr_b32 v[99:100], v2 offset0:81 offset1:82
	ds_load_2addr_b32 v[101:102], v2 offset0:83 offset1:84
	s_waitcnt lgkmcnt(3)
	v_fmac_f32_e32 v126, v111, v95
	s_delay_alu instid0(VALU_DEP_1) | instskip(SKIP_4) | instid1(VALU_DEP_1)
	v_fmac_f32_e32 v126, v112, v96
	ds_load_2addr_b32 v[95:96], v2 offset0:85 offset1:86
	s_waitcnt lgkmcnt(3)
	v_fmac_f32_e32 v126, v113, v97
	s_waitcnt vmcnt(3)
	v_fmac_f32_e32 v126, v114, v98
	ds_load_2addr_b32 v[97:98], v2 offset0:87 offset1:88
	s_waitcnt lgkmcnt(3)
	v_fmac_f32_e32 v126, v115, v99
	s_delay_alu instid0(VALU_DEP_1)
	v_fmac_f32_e32 v126, v116, v100
	ds_load_2addr_b32 v[99:100], v2 offset0:89 offset1:90
	ds_load_2addr_b32 v[2:3], v2 offset0:91 offset1:92
	s_waitcnt lgkmcnt(4)
	v_fmac_f32_e32 v126, v117, v101
	s_waitcnt vmcnt(2)
	s_delay_alu instid0(VALU_DEP_1) | instskip(SKIP_1) | instid1(VALU_DEP_1)
	v_fmac_f32_e32 v126, v118, v102
	s_waitcnt lgkmcnt(3)
	v_fmac_f32_e32 v126, v119, v95
	s_delay_alu instid0(VALU_DEP_1) | instskip(SKIP_1) | instid1(VALU_DEP_1)
	v_fmac_f32_e32 v126, v120, v96
	s_waitcnt lgkmcnt(2)
	v_fmac_f32_e32 v126, v121, v97
	s_waitcnt vmcnt(1)
	s_delay_alu instid0(VALU_DEP_1) | instskip(SKIP_1) | instid1(VALU_DEP_1)
	v_fmac_f32_e32 v126, v122, v98
	s_waitcnt lgkmcnt(1)
	v_fmac_f32_e32 v126, v123, v99
	s_delay_alu instid0(VALU_DEP_1) | instskip(SKIP_1) | instid1(VALU_DEP_1)
	v_fmac_f32_e32 v126, v124, v100
	s_waitcnt lgkmcnt(0)
	v_fmac_f32_e32 v126, v125, v2
	s_waitcnt vmcnt(0)
	s_delay_alu instid0(VALU_DEP_1) | instskip(NEXT) | instid1(VALU_DEP_1)
	v_fmac_f32_e32 v126, v134, v3
	v_sub_f32_e32 v2, v94, v126
	scratch_store_b32 off, v2, off offset:48
	v_cmpx_lt_u32_e32 11, v0
	s_cbranch_execz .LBB44_255
; %bb.254:
	scratch_load_b32 v2, off, off offset:44
	v_mov_b32_e32 v3, 0
	scratch_store_b32 off, v3, off offset:44
	s_waitcnt vmcnt(0)
	ds_store_b32 v1, v2
.LBB44_255:
	s_or_b32 exec_lo, exec_lo, s0
	s_waitcnt lgkmcnt(0)
	s_waitcnt_vscnt null, 0x0
	s_barrier
	buffer_gl0_inv
	s_clause 0x8
	scratch_load_b128 v[94:97], off, off offset:44
	scratch_load_b128 v[98:101], off, off offset:60
	;; [unrolled: 1-line block ×8, first 2 shown]
	scratch_load_b64 v[134:135], off, off offset:172
	v_mov_b32_e32 v2, 0
	ds_load_b128 v[126:129], v2 offset:240
	ds_load_b128 v[130:133], v2 offset:256
	s_mov_b32 s0, exec_lo
	s_waitcnt vmcnt(8) lgkmcnt(1)
	v_fma_f32 v3, v95, v126, 0
	s_delay_alu instid0(VALU_DEP_1) | instskip(NEXT) | instid1(VALU_DEP_1)
	v_fmac_f32_e32 v3, v96, v127
	v_fmac_f32_e32 v3, v97, v128
	s_waitcnt vmcnt(7)
	s_delay_alu instid0(VALU_DEP_1) | instskip(SKIP_3) | instid1(VALU_DEP_1)
	v_fmac_f32_e32 v3, v98, v129
	ds_load_b128 v[95:98], v2 offset:272
	s_waitcnt lgkmcnt(1)
	v_fmac_f32_e32 v3, v99, v130
	v_fmac_f32_e32 v3, v100, v131
	s_delay_alu instid0(VALU_DEP_1) | instskip(SKIP_1) | instid1(VALU_DEP_1)
	v_fmac_f32_e32 v3, v101, v132
	s_waitcnt vmcnt(6)
	v_fmac_f32_e32 v3, v102, v133
	ds_load_b128 v[99:102], v2 offset:288
	s_waitcnt lgkmcnt(1)
	v_fmac_f32_e32 v3, v103, v95
	s_delay_alu instid0(VALU_DEP_1) | instskip(NEXT) | instid1(VALU_DEP_1)
	v_fmac_f32_e32 v3, v104, v96
	v_fmac_f32_e32 v3, v105, v97
	s_waitcnt vmcnt(5)
	s_delay_alu instid0(VALU_DEP_1) | instskip(SKIP_3) | instid1(VALU_DEP_1)
	v_fmac_f32_e32 v3, v106, v98
	ds_load_b128 v[95:98], v2 offset:304
	s_waitcnt lgkmcnt(1)
	v_fmac_f32_e32 v3, v107, v99
	v_fmac_f32_e32 v3, v108, v100
	s_delay_alu instid0(VALU_DEP_1) | instskip(SKIP_1) | instid1(VALU_DEP_1)
	v_fmac_f32_e32 v3, v109, v101
	s_waitcnt vmcnt(4)
	v_fmac_f32_e32 v3, v110, v102
	ds_load_b128 v[99:102], v2 offset:320
	s_waitcnt lgkmcnt(1)
	v_fmac_f32_e32 v3, v111, v95
	;; [unrolled: 17-line block ×3, first 2 shown]
	ds_load_b32 v95, v2 offset:368
	v_fmac_f32_e32 v3, v120, v96
	s_delay_alu instid0(VALU_DEP_1) | instskip(SKIP_1) | instid1(VALU_DEP_1)
	v_fmac_f32_e32 v3, v121, v97
	s_waitcnt vmcnt(1)
	v_fmac_f32_e32 v3, v122, v98
	s_waitcnt lgkmcnt(1)
	s_delay_alu instid0(VALU_DEP_1) | instskip(NEXT) | instid1(VALU_DEP_1)
	v_fmac_f32_e32 v3, v123, v99
	v_fmac_f32_e32 v3, v124, v100
	s_delay_alu instid0(VALU_DEP_1) | instskip(SKIP_1) | instid1(VALU_DEP_1)
	v_fmac_f32_e32 v3, v125, v101
	s_waitcnt vmcnt(0)
	v_fmac_f32_e32 v3, v134, v102
	s_waitcnt lgkmcnt(0)
	s_delay_alu instid0(VALU_DEP_1) | instskip(NEXT) | instid1(VALU_DEP_1)
	v_fmac_f32_e32 v3, v135, v95
	v_sub_f32_e32 v3, v94, v3
	scratch_store_b32 off, v3, off offset:44
	v_cmpx_lt_u32_e32 10, v0
	s_cbranch_execz .LBB44_257
; %bb.256:
	scratch_load_b32 v3, off, off offset:40
	scratch_store_b32 off, v2, off offset:40
	s_waitcnt vmcnt(0)
	ds_store_b32 v1, v3
.LBB44_257:
	s_or_b32 exec_lo, exec_lo, s0
	s_waitcnt lgkmcnt(0)
	s_waitcnt_vscnt null, 0x0
	s_barrier
	buffer_gl0_inv
	s_clause 0x8
	scratch_load_b128 v[94:97], off, off offset:40
	scratch_load_b128 v[98:101], off, off offset:56
	;; [unrolled: 1-line block ×8, first 2 shown]
	scratch_load_b96 v[126:128], off, off offset:168
	ds_load_2addr_b32 v[129:130], v2 offset0:59 offset1:60
	ds_load_2addr_b32 v[131:132], v2 offset0:61 offset1:62
	;; [unrolled: 1-line block ×4, first 2 shown]
	s_mov_b32 s0, exec_lo
	s_waitcnt vmcnt(8) lgkmcnt(3)
	v_fma_f32 v129, v95, v129, 0
	s_delay_alu instid0(VALU_DEP_1) | instskip(SKIP_4) | instid1(VALU_DEP_1)
	v_fmac_f32_e32 v129, v96, v130
	ds_load_2addr_b32 v[95:96], v2 offset0:67 offset1:68
	s_waitcnt lgkmcnt(3)
	v_fmac_f32_e32 v129, v97, v131
	s_waitcnt vmcnt(7)
	v_fmac_f32_e32 v129, v98, v132
	ds_load_2addr_b32 v[97:98], v2 offset0:69 offset1:70
	s_waitcnt lgkmcnt(3)
	v_fmac_f32_e32 v129, v99, v133
	s_delay_alu instid0(VALU_DEP_1) | instskip(SKIP_1) | instid1(VALU_DEP_1)
	v_fmac_f32_e32 v129, v100, v134
	s_waitcnt lgkmcnt(2)
	v_fmac_f32_e32 v129, v101, v135
	s_waitcnt vmcnt(6)
	s_delay_alu instid0(VALU_DEP_1) | instskip(SKIP_4) | instid1(VALU_DEP_1)
	v_fmac_f32_e32 v129, v102, v136
	ds_load_2addr_b32 v[99:100], v2 offset0:71 offset1:72
	ds_load_2addr_b32 v[101:102], v2 offset0:73 offset1:74
	s_waitcnt lgkmcnt(3)
	v_fmac_f32_e32 v129, v103, v95
	v_fmac_f32_e32 v129, v104, v96
	ds_load_2addr_b32 v[95:96], v2 offset0:75 offset1:76
	s_waitcnt lgkmcnt(3)
	v_fmac_f32_e32 v129, v105, v97
	s_waitcnt vmcnt(5)
	s_delay_alu instid0(VALU_DEP_1) | instskip(SKIP_3) | instid1(VALU_DEP_1)
	v_fmac_f32_e32 v129, v106, v98
	ds_load_2addr_b32 v[97:98], v2 offset0:77 offset1:78
	s_waitcnt lgkmcnt(3)
	v_fmac_f32_e32 v129, v107, v99
	v_fmac_f32_e32 v129, v108, v100
	s_waitcnt lgkmcnt(2)
	s_delay_alu instid0(VALU_DEP_1) | instskip(SKIP_1) | instid1(VALU_DEP_1)
	v_fmac_f32_e32 v129, v109, v101
	s_waitcnt vmcnt(4)
	v_fmac_f32_e32 v129, v110, v102
	ds_load_2addr_b32 v[99:100], v2 offset0:79 offset1:80
	ds_load_2addr_b32 v[101:102], v2 offset0:81 offset1:82
	s_waitcnt lgkmcnt(3)
	v_fmac_f32_e32 v129, v111, v95
	s_delay_alu instid0(VALU_DEP_1) | instskip(SKIP_4) | instid1(VALU_DEP_1)
	v_fmac_f32_e32 v129, v112, v96
	ds_load_2addr_b32 v[95:96], v2 offset0:83 offset1:84
	s_waitcnt lgkmcnt(3)
	v_fmac_f32_e32 v129, v113, v97
	s_waitcnt vmcnt(3)
	v_fmac_f32_e32 v129, v114, v98
	ds_load_2addr_b32 v[97:98], v2 offset0:85 offset1:86
	s_waitcnt lgkmcnt(3)
	v_fmac_f32_e32 v129, v115, v99
	s_delay_alu instid0(VALU_DEP_1) | instskip(SKIP_1) | instid1(VALU_DEP_1)
	v_fmac_f32_e32 v129, v116, v100
	s_waitcnt lgkmcnt(2)
	v_fmac_f32_e32 v129, v117, v101
	s_waitcnt vmcnt(2)
	s_delay_alu instid0(VALU_DEP_1)
	v_fmac_f32_e32 v129, v118, v102
	ds_load_2addr_b32 v[99:100], v2 offset0:87 offset1:88
	ds_load_2addr_b32 v[101:102], v2 offset0:89 offset1:90
	;; [unrolled: 1-line block ×3, first 2 shown]
	s_waitcnt lgkmcnt(4)
	v_fmac_f32_e32 v129, v119, v95
	s_delay_alu instid0(VALU_DEP_1) | instskip(SKIP_1) | instid1(VALU_DEP_1)
	v_fmac_f32_e32 v129, v120, v96
	s_waitcnt lgkmcnt(3)
	v_fmac_f32_e32 v129, v121, v97
	s_waitcnt vmcnt(1)
	s_delay_alu instid0(VALU_DEP_1) | instskip(SKIP_1) | instid1(VALU_DEP_1)
	v_fmac_f32_e32 v129, v122, v98
	s_waitcnt lgkmcnt(2)
	v_fmac_f32_e32 v129, v123, v99
	s_delay_alu instid0(VALU_DEP_1) | instskip(SKIP_1) | instid1(VALU_DEP_1)
	v_fmac_f32_e32 v129, v124, v100
	s_waitcnt lgkmcnt(1)
	v_fmac_f32_e32 v129, v125, v101
	s_waitcnt vmcnt(0)
	s_delay_alu instid0(VALU_DEP_1) | instskip(SKIP_1) | instid1(VALU_DEP_1)
	v_fmac_f32_e32 v129, v126, v102
	s_waitcnt lgkmcnt(0)
	v_fmac_f32_e32 v129, v127, v2
	s_delay_alu instid0(VALU_DEP_1) | instskip(NEXT) | instid1(VALU_DEP_1)
	v_fmac_f32_e32 v129, v128, v3
	v_sub_f32_e32 v2, v94, v129
	scratch_store_b32 off, v2, off offset:40
	v_cmpx_lt_u32_e32 9, v0
	s_cbranch_execz .LBB44_259
; %bb.258:
	scratch_load_b32 v2, off, off offset:36
	v_mov_b32_e32 v3, 0
	scratch_store_b32 off, v3, off offset:36
	s_waitcnt vmcnt(0)
	ds_store_b32 v1, v2
.LBB44_259:
	s_or_b32 exec_lo, exec_lo, s0
	s_waitcnt lgkmcnt(0)
	s_waitcnt_vscnt null, 0x0
	s_barrier
	buffer_gl0_inv
	s_clause 0x8
	scratch_load_b128 v[94:97], off, off offset:36
	scratch_load_b128 v[98:101], off, off offset:52
	;; [unrolled: 1-line block ×9, first 2 shown]
	v_mov_b32_e32 v2, 0
	ds_load_2addr_b64 v[130:133], v2 offset0:29 offset1:30
	ds_load_2addr_b64 v[134:137], v2 offset0:31 offset1:32
	s_mov_b32 s0, exec_lo
	s_waitcnt vmcnt(8) lgkmcnt(1)
	v_fma_f32 v3, v95, v130, 0
	s_delay_alu instid0(VALU_DEP_1) | instskip(NEXT) | instid1(VALU_DEP_1)
	v_fmac_f32_e32 v3, v96, v131
	v_fmac_f32_e32 v3, v97, v132
	s_waitcnt vmcnt(7)
	s_delay_alu instid0(VALU_DEP_1) | instskip(SKIP_3) | instid1(VALU_DEP_1)
	v_fmac_f32_e32 v3, v98, v133
	ds_load_2addr_b64 v[95:98], v2 offset0:33 offset1:34
	s_waitcnt lgkmcnt(1)
	v_fmac_f32_e32 v3, v99, v134
	v_fmac_f32_e32 v3, v100, v135
	s_delay_alu instid0(VALU_DEP_1) | instskip(SKIP_1) | instid1(VALU_DEP_1)
	v_fmac_f32_e32 v3, v101, v136
	s_waitcnt vmcnt(6)
	v_fmac_f32_e32 v3, v102, v137
	ds_load_2addr_b64 v[99:102], v2 offset0:35 offset1:36
	s_waitcnt lgkmcnt(1)
	v_fmac_f32_e32 v3, v103, v95
	s_delay_alu instid0(VALU_DEP_1) | instskip(NEXT) | instid1(VALU_DEP_1)
	v_fmac_f32_e32 v3, v104, v96
	v_fmac_f32_e32 v3, v105, v97
	s_waitcnt vmcnt(5)
	s_delay_alu instid0(VALU_DEP_1) | instskip(SKIP_3) | instid1(VALU_DEP_1)
	v_fmac_f32_e32 v3, v106, v98
	ds_load_2addr_b64 v[95:98], v2 offset0:37 offset1:38
	s_waitcnt lgkmcnt(1)
	v_fmac_f32_e32 v3, v107, v99
	v_fmac_f32_e32 v3, v108, v100
	s_delay_alu instid0(VALU_DEP_1) | instskip(SKIP_1) | instid1(VALU_DEP_1)
	v_fmac_f32_e32 v3, v109, v101
	s_waitcnt vmcnt(4)
	v_fmac_f32_e32 v3, v110, v102
	ds_load_2addr_b64 v[99:102], v2 offset0:39 offset1:40
	s_waitcnt lgkmcnt(1)
	v_fmac_f32_e32 v3, v111, v95
	;; [unrolled: 17-line block ×3, first 2 shown]
	s_delay_alu instid0(VALU_DEP_1)
	v_fmac_f32_e32 v3, v120, v96
	ds_load_b64 v[95:96], v2 offset:360
	v_fmac_f32_e32 v3, v121, v97
	ds_load_b32 v97, v2 offset:368
	s_waitcnt vmcnt(1)
	v_fmac_f32_e32 v3, v122, v98
	s_waitcnt lgkmcnt(2)
	s_delay_alu instid0(VALU_DEP_1) | instskip(NEXT) | instid1(VALU_DEP_1)
	v_fmac_f32_e32 v3, v123, v99
	v_fmac_f32_e32 v3, v124, v100
	s_delay_alu instid0(VALU_DEP_1) | instskip(SKIP_1) | instid1(VALU_DEP_1)
	v_fmac_f32_e32 v3, v125, v101
	s_waitcnt vmcnt(0)
	v_fmac_f32_e32 v3, v126, v102
	s_waitcnt lgkmcnt(1)
	s_delay_alu instid0(VALU_DEP_1) | instskip(NEXT) | instid1(VALU_DEP_1)
	v_fmac_f32_e32 v3, v127, v95
	v_fmac_f32_e32 v3, v128, v96
	s_waitcnt lgkmcnt(0)
	s_delay_alu instid0(VALU_DEP_1) | instskip(NEXT) | instid1(VALU_DEP_1)
	v_fmac_f32_e32 v3, v129, v97
	v_sub_f32_e32 v3, v94, v3
	scratch_store_b32 off, v3, off offset:36
	v_cmpx_lt_u32_e32 8, v0
	s_cbranch_execz .LBB44_261
; %bb.260:
	scratch_load_b32 v3, off, off offset:32
	scratch_store_b32 off, v2, off offset:32
	s_waitcnt vmcnt(0)
	ds_store_b32 v1, v3
.LBB44_261:
	s_or_b32 exec_lo, exec_lo, s0
	s_waitcnt lgkmcnt(0)
	s_waitcnt_vscnt null, 0x0
	s_barrier
	buffer_gl0_inv
	s_clause 0x9
	scratch_load_b128 v[94:97], off, off offset:32
	scratch_load_b128 v[98:101], off, off offset:48
	;; [unrolled: 1-line block ×9, first 2 shown]
	scratch_load_b32 v138, off, off offset:176
	ds_load_2addr_b32 v[130:131], v2 offset0:57 offset1:58
	ds_load_2addr_b32 v[132:133], v2 offset0:59 offset1:60
	;; [unrolled: 1-line block ×4, first 2 shown]
	s_mov_b32 s0, exec_lo
	s_waitcnt vmcnt(9) lgkmcnt(3)
	v_fma_f32 v130, v95, v130, 0
	s_delay_alu instid0(VALU_DEP_1) | instskip(SKIP_4) | instid1(VALU_DEP_1)
	v_fmac_f32_e32 v130, v96, v131
	ds_load_2addr_b32 v[95:96], v2 offset0:65 offset1:66
	s_waitcnt lgkmcnt(3)
	v_fmac_f32_e32 v130, v97, v132
	s_waitcnt vmcnt(8)
	v_fmac_f32_e32 v130, v98, v133
	ds_load_2addr_b32 v[97:98], v2 offset0:67 offset1:68
	s_waitcnt lgkmcnt(3)
	v_fmac_f32_e32 v130, v99, v134
	s_delay_alu instid0(VALU_DEP_1) | instskip(SKIP_1) | instid1(VALU_DEP_1)
	v_fmac_f32_e32 v130, v100, v135
	s_waitcnt lgkmcnt(2)
	v_fmac_f32_e32 v130, v101, v136
	s_waitcnt vmcnt(7)
	s_delay_alu instid0(VALU_DEP_1) | instskip(SKIP_4) | instid1(VALU_DEP_1)
	v_fmac_f32_e32 v130, v102, v137
	ds_load_2addr_b32 v[99:100], v2 offset0:69 offset1:70
	ds_load_2addr_b32 v[101:102], v2 offset0:71 offset1:72
	s_waitcnt lgkmcnt(3)
	v_fmac_f32_e32 v130, v103, v95
	v_fmac_f32_e32 v130, v104, v96
	ds_load_2addr_b32 v[95:96], v2 offset0:73 offset1:74
	s_waitcnt lgkmcnt(3)
	v_fmac_f32_e32 v130, v105, v97
	s_waitcnt vmcnt(6)
	s_delay_alu instid0(VALU_DEP_1) | instskip(SKIP_3) | instid1(VALU_DEP_1)
	v_fmac_f32_e32 v130, v106, v98
	ds_load_2addr_b32 v[97:98], v2 offset0:75 offset1:76
	s_waitcnt lgkmcnt(3)
	v_fmac_f32_e32 v130, v107, v99
	v_fmac_f32_e32 v130, v108, v100
	s_waitcnt lgkmcnt(2)
	s_delay_alu instid0(VALU_DEP_1) | instskip(SKIP_1) | instid1(VALU_DEP_1)
	v_fmac_f32_e32 v130, v109, v101
	s_waitcnt vmcnt(5)
	v_fmac_f32_e32 v130, v110, v102
	ds_load_2addr_b32 v[99:100], v2 offset0:77 offset1:78
	ds_load_2addr_b32 v[101:102], v2 offset0:79 offset1:80
	s_waitcnt lgkmcnt(3)
	v_fmac_f32_e32 v130, v111, v95
	s_delay_alu instid0(VALU_DEP_1) | instskip(SKIP_4) | instid1(VALU_DEP_1)
	v_fmac_f32_e32 v130, v112, v96
	ds_load_2addr_b32 v[95:96], v2 offset0:81 offset1:82
	s_waitcnt lgkmcnt(3)
	v_fmac_f32_e32 v130, v113, v97
	s_waitcnt vmcnt(4)
	v_fmac_f32_e32 v130, v114, v98
	ds_load_2addr_b32 v[97:98], v2 offset0:83 offset1:84
	s_waitcnt lgkmcnt(3)
	v_fmac_f32_e32 v130, v115, v99
	s_delay_alu instid0(VALU_DEP_1) | instskip(SKIP_1) | instid1(VALU_DEP_1)
	v_fmac_f32_e32 v130, v116, v100
	s_waitcnt lgkmcnt(2)
	v_fmac_f32_e32 v130, v117, v101
	s_waitcnt vmcnt(3)
	s_delay_alu instid0(VALU_DEP_1) | instskip(SKIP_4) | instid1(VALU_DEP_1)
	v_fmac_f32_e32 v130, v118, v102
	ds_load_2addr_b32 v[99:100], v2 offset0:85 offset1:86
	ds_load_2addr_b32 v[101:102], v2 offset0:87 offset1:88
	s_waitcnt lgkmcnt(3)
	v_fmac_f32_e32 v130, v119, v95
	v_fmac_f32_e32 v130, v120, v96
	ds_load_2addr_b32 v[95:96], v2 offset0:89 offset1:90
	ds_load_2addr_b32 v[2:3], v2 offset0:91 offset1:92
	s_waitcnt lgkmcnt(4)
	v_fmac_f32_e32 v130, v121, v97
	s_waitcnt vmcnt(2)
	s_delay_alu instid0(VALU_DEP_1) | instskip(SKIP_1) | instid1(VALU_DEP_1)
	v_fmac_f32_e32 v130, v122, v98
	s_waitcnt lgkmcnt(3)
	v_fmac_f32_e32 v130, v123, v99
	s_delay_alu instid0(VALU_DEP_1) | instskip(SKIP_1) | instid1(VALU_DEP_1)
	v_fmac_f32_e32 v130, v124, v100
	s_waitcnt lgkmcnt(2)
	v_fmac_f32_e32 v130, v125, v101
	s_waitcnt vmcnt(1)
	s_delay_alu instid0(VALU_DEP_1) | instskip(SKIP_1) | instid1(VALU_DEP_1)
	v_fmac_f32_e32 v130, v126, v102
	s_waitcnt lgkmcnt(1)
	v_fmac_f32_e32 v130, v127, v95
	s_delay_alu instid0(VALU_DEP_1) | instskip(SKIP_1) | instid1(VALU_DEP_1)
	v_fmac_f32_e32 v130, v128, v96
	s_waitcnt lgkmcnt(0)
	v_fmac_f32_e32 v130, v129, v2
	s_waitcnt vmcnt(0)
	s_delay_alu instid0(VALU_DEP_1) | instskip(NEXT) | instid1(VALU_DEP_1)
	v_fmac_f32_e32 v130, v138, v3
	v_sub_f32_e32 v2, v94, v130
	scratch_store_b32 off, v2, off offset:32
	v_cmpx_lt_u32_e32 7, v0
	s_cbranch_execz .LBB44_263
; %bb.262:
	scratch_load_b32 v2, off, off offset:28
	v_mov_b32_e32 v3, 0
	scratch_store_b32 off, v3, off offset:28
	s_waitcnt vmcnt(0)
	ds_store_b32 v1, v2
.LBB44_263:
	s_or_b32 exec_lo, exec_lo, s0
	s_waitcnt lgkmcnt(0)
	s_waitcnt_vscnt null, 0x0
	s_barrier
	buffer_gl0_inv
	s_clause 0x9
	scratch_load_b128 v[94:97], off, off offset:28
	scratch_load_b128 v[98:101], off, off offset:44
	;; [unrolled: 1-line block ×9, first 2 shown]
	scratch_load_b64 v[138:139], off, off offset:172
	v_mov_b32_e32 v2, 0
	ds_load_b128 v[130:133], v2 offset:224
	ds_load_b128 v[134:137], v2 offset:240
	s_mov_b32 s0, exec_lo
	s_waitcnt vmcnt(9) lgkmcnt(1)
	v_fma_f32 v3, v95, v130, 0
	s_delay_alu instid0(VALU_DEP_1) | instskip(NEXT) | instid1(VALU_DEP_1)
	v_fmac_f32_e32 v3, v96, v131
	v_fmac_f32_e32 v3, v97, v132
	s_waitcnt vmcnt(8)
	s_delay_alu instid0(VALU_DEP_1) | instskip(SKIP_3) | instid1(VALU_DEP_1)
	v_fmac_f32_e32 v3, v98, v133
	ds_load_b128 v[95:98], v2 offset:256
	s_waitcnt lgkmcnt(1)
	v_fmac_f32_e32 v3, v99, v134
	v_fmac_f32_e32 v3, v100, v135
	s_delay_alu instid0(VALU_DEP_1) | instskip(SKIP_1) | instid1(VALU_DEP_1)
	v_fmac_f32_e32 v3, v101, v136
	s_waitcnt vmcnt(7)
	v_fmac_f32_e32 v3, v102, v137
	ds_load_b128 v[99:102], v2 offset:272
	s_waitcnt lgkmcnt(1)
	v_fmac_f32_e32 v3, v103, v95
	s_delay_alu instid0(VALU_DEP_1) | instskip(NEXT) | instid1(VALU_DEP_1)
	v_fmac_f32_e32 v3, v104, v96
	v_fmac_f32_e32 v3, v105, v97
	s_waitcnt vmcnt(6)
	s_delay_alu instid0(VALU_DEP_1) | instskip(SKIP_3) | instid1(VALU_DEP_1)
	v_fmac_f32_e32 v3, v106, v98
	ds_load_b128 v[95:98], v2 offset:288
	s_waitcnt lgkmcnt(1)
	v_fmac_f32_e32 v3, v107, v99
	v_fmac_f32_e32 v3, v108, v100
	s_delay_alu instid0(VALU_DEP_1) | instskip(SKIP_1) | instid1(VALU_DEP_1)
	v_fmac_f32_e32 v3, v109, v101
	s_waitcnt vmcnt(5)
	v_fmac_f32_e32 v3, v110, v102
	ds_load_b128 v[99:102], v2 offset:304
	s_waitcnt lgkmcnt(1)
	v_fmac_f32_e32 v3, v111, v95
	;; [unrolled: 17-line block ×3, first 2 shown]
	s_delay_alu instid0(VALU_DEP_1) | instskip(NEXT) | instid1(VALU_DEP_1)
	v_fmac_f32_e32 v3, v120, v96
	v_fmac_f32_e32 v3, v121, v97
	s_waitcnt vmcnt(2)
	s_delay_alu instid0(VALU_DEP_1)
	v_fmac_f32_e32 v3, v122, v98
	ds_load_b128 v[95:98], v2 offset:352
	s_waitcnt lgkmcnt(1)
	v_fmac_f32_e32 v3, v123, v99
	ds_load_b32 v99, v2 offset:368
	v_fmac_f32_e32 v3, v124, v100
	s_delay_alu instid0(VALU_DEP_1) | instskip(SKIP_1) | instid1(VALU_DEP_1)
	v_fmac_f32_e32 v3, v125, v101
	s_waitcnt vmcnt(1)
	v_fmac_f32_e32 v3, v126, v102
	s_waitcnt lgkmcnt(1)
	s_delay_alu instid0(VALU_DEP_1) | instskip(NEXT) | instid1(VALU_DEP_1)
	v_fmac_f32_e32 v3, v127, v95
	v_fmac_f32_e32 v3, v128, v96
	s_delay_alu instid0(VALU_DEP_1) | instskip(SKIP_1) | instid1(VALU_DEP_1)
	v_fmac_f32_e32 v3, v129, v97
	s_waitcnt vmcnt(0)
	v_fmac_f32_e32 v3, v138, v98
	s_waitcnt lgkmcnt(0)
	s_delay_alu instid0(VALU_DEP_1) | instskip(NEXT) | instid1(VALU_DEP_1)
	v_fmac_f32_e32 v3, v139, v99
	v_sub_f32_e32 v3, v94, v3
	scratch_store_b32 off, v3, off offset:28
	v_cmpx_lt_u32_e32 6, v0
	s_cbranch_execz .LBB44_265
; %bb.264:
	scratch_load_b32 v3, off, off offset:24
	scratch_store_b32 off, v2, off offset:24
	s_waitcnt vmcnt(0)
	ds_store_b32 v1, v3
.LBB44_265:
	s_or_b32 exec_lo, exec_lo, s0
	s_waitcnt lgkmcnt(0)
	s_waitcnt_vscnt null, 0x0
	s_barrier
	buffer_gl0_inv
	s_clause 0x9
	scratch_load_b128 v[94:97], off, off offset:24
	scratch_load_b128 v[98:101], off, off offset:40
	;; [unrolled: 1-line block ×9, first 2 shown]
	scratch_load_b96 v[130:132], off, off offset:168
	ds_load_2addr_b32 v[133:134], v2 offset0:55 offset1:56
	ds_load_2addr_b32 v[135:136], v2 offset0:57 offset1:58
	;; [unrolled: 1-line block ×4, first 2 shown]
	s_mov_b32 s0, exec_lo
	s_waitcnt vmcnt(9) lgkmcnt(3)
	v_fma_f32 v133, v95, v133, 0
	s_delay_alu instid0(VALU_DEP_1) | instskip(SKIP_4) | instid1(VALU_DEP_1)
	v_fmac_f32_e32 v133, v96, v134
	ds_load_2addr_b32 v[95:96], v2 offset0:63 offset1:64
	s_waitcnt lgkmcnt(3)
	v_fmac_f32_e32 v133, v97, v135
	s_waitcnt vmcnt(8)
	v_fmac_f32_e32 v133, v98, v136
	ds_load_2addr_b32 v[97:98], v2 offset0:65 offset1:66
	s_waitcnt lgkmcnt(3)
	v_fmac_f32_e32 v133, v99, v137
	s_delay_alu instid0(VALU_DEP_1) | instskip(SKIP_1) | instid1(VALU_DEP_1)
	v_fmac_f32_e32 v133, v100, v138
	s_waitcnt lgkmcnt(2)
	v_fmac_f32_e32 v133, v101, v139
	s_waitcnt vmcnt(7)
	s_delay_alu instid0(VALU_DEP_1) | instskip(SKIP_4) | instid1(VALU_DEP_1)
	v_fmac_f32_e32 v133, v102, v140
	ds_load_2addr_b32 v[99:100], v2 offset0:67 offset1:68
	ds_load_2addr_b32 v[101:102], v2 offset0:69 offset1:70
	s_waitcnt lgkmcnt(3)
	v_fmac_f32_e32 v133, v103, v95
	v_fmac_f32_e32 v133, v104, v96
	ds_load_2addr_b32 v[95:96], v2 offset0:71 offset1:72
	s_waitcnt lgkmcnt(3)
	v_fmac_f32_e32 v133, v105, v97
	s_waitcnt vmcnt(6)
	s_delay_alu instid0(VALU_DEP_1) | instskip(SKIP_3) | instid1(VALU_DEP_1)
	v_fmac_f32_e32 v133, v106, v98
	ds_load_2addr_b32 v[97:98], v2 offset0:73 offset1:74
	s_waitcnt lgkmcnt(3)
	v_fmac_f32_e32 v133, v107, v99
	v_fmac_f32_e32 v133, v108, v100
	s_waitcnt lgkmcnt(2)
	s_delay_alu instid0(VALU_DEP_1) | instskip(SKIP_1) | instid1(VALU_DEP_1)
	v_fmac_f32_e32 v133, v109, v101
	s_waitcnt vmcnt(5)
	v_fmac_f32_e32 v133, v110, v102
	ds_load_2addr_b32 v[99:100], v2 offset0:75 offset1:76
	ds_load_2addr_b32 v[101:102], v2 offset0:77 offset1:78
	s_waitcnt lgkmcnt(3)
	v_fmac_f32_e32 v133, v111, v95
	s_delay_alu instid0(VALU_DEP_1) | instskip(SKIP_4) | instid1(VALU_DEP_1)
	v_fmac_f32_e32 v133, v112, v96
	ds_load_2addr_b32 v[95:96], v2 offset0:79 offset1:80
	s_waitcnt lgkmcnt(3)
	v_fmac_f32_e32 v133, v113, v97
	s_waitcnt vmcnt(4)
	v_fmac_f32_e32 v133, v114, v98
	ds_load_2addr_b32 v[97:98], v2 offset0:81 offset1:82
	s_waitcnt lgkmcnt(3)
	v_fmac_f32_e32 v133, v115, v99
	s_delay_alu instid0(VALU_DEP_1) | instskip(SKIP_1) | instid1(VALU_DEP_1)
	v_fmac_f32_e32 v133, v116, v100
	s_waitcnt lgkmcnt(2)
	v_fmac_f32_e32 v133, v117, v101
	s_waitcnt vmcnt(3)
	s_delay_alu instid0(VALU_DEP_1) | instskip(SKIP_4) | instid1(VALU_DEP_1)
	v_fmac_f32_e32 v133, v118, v102
	ds_load_2addr_b32 v[99:100], v2 offset0:83 offset1:84
	ds_load_2addr_b32 v[101:102], v2 offset0:85 offset1:86
	s_waitcnt lgkmcnt(3)
	v_fmac_f32_e32 v133, v119, v95
	v_fmac_f32_e32 v133, v120, v96
	ds_load_2addr_b32 v[95:96], v2 offset0:87 offset1:88
	s_waitcnt lgkmcnt(3)
	v_fmac_f32_e32 v133, v121, v97
	s_waitcnt vmcnt(2)
	s_delay_alu instid0(VALU_DEP_1) | instskip(SKIP_4) | instid1(VALU_DEP_1)
	v_fmac_f32_e32 v133, v122, v98
	ds_load_2addr_b32 v[97:98], v2 offset0:89 offset1:90
	ds_load_2addr_b32 v[2:3], v2 offset0:91 offset1:92
	s_waitcnt lgkmcnt(4)
	v_fmac_f32_e32 v133, v123, v99
	v_fmac_f32_e32 v133, v124, v100
	s_waitcnt lgkmcnt(3)
	s_delay_alu instid0(VALU_DEP_1) | instskip(SKIP_1) | instid1(VALU_DEP_1)
	v_fmac_f32_e32 v133, v125, v101
	s_waitcnt vmcnt(1)
	v_fmac_f32_e32 v133, v126, v102
	s_waitcnt lgkmcnt(2)
	s_delay_alu instid0(VALU_DEP_1) | instskip(NEXT) | instid1(VALU_DEP_1)
	v_fmac_f32_e32 v133, v127, v95
	v_fmac_f32_e32 v133, v128, v96
	s_waitcnt lgkmcnt(1)
	s_delay_alu instid0(VALU_DEP_1) | instskip(SKIP_1) | instid1(VALU_DEP_1)
	v_fmac_f32_e32 v133, v129, v97
	s_waitcnt vmcnt(0)
	v_fmac_f32_e32 v133, v130, v98
	s_waitcnt lgkmcnt(0)
	s_delay_alu instid0(VALU_DEP_1) | instskip(NEXT) | instid1(VALU_DEP_1)
	v_fmac_f32_e32 v133, v131, v2
	v_fmac_f32_e32 v133, v132, v3
	s_delay_alu instid0(VALU_DEP_1)
	v_sub_f32_e32 v2, v94, v133
	scratch_store_b32 off, v2, off offset:24
	v_cmpx_lt_u32_e32 5, v0
	s_cbranch_execz .LBB44_267
; %bb.266:
	scratch_load_b32 v2, off, off offset:20
	v_mov_b32_e32 v3, 0
	scratch_store_b32 off, v3, off offset:20
	s_waitcnt vmcnt(0)
	ds_store_b32 v1, v2
.LBB44_267:
	s_or_b32 exec_lo, exec_lo, s0
	s_waitcnt lgkmcnt(0)
	s_waitcnt_vscnt null, 0x0
	s_barrier
	buffer_gl0_inv
	s_clause 0x9
	scratch_load_b128 v[94:97], off, off offset:20
	scratch_load_b128 v[98:101], off, off offset:36
	;; [unrolled: 1-line block ×10, first 2 shown]
	v_mov_b32_e32 v2, 0
	ds_load_2addr_b64 v[134:137], v2 offset0:27 offset1:28
	ds_load_2addr_b64 v[138:141], v2 offset0:29 offset1:30
	s_mov_b32 s0, exec_lo
	s_waitcnt vmcnt(9) lgkmcnt(1)
	v_fma_f32 v3, v95, v134, 0
	s_delay_alu instid0(VALU_DEP_1) | instskip(NEXT) | instid1(VALU_DEP_1)
	v_fmac_f32_e32 v3, v96, v135
	v_fmac_f32_e32 v3, v97, v136
	s_waitcnt vmcnt(8)
	s_delay_alu instid0(VALU_DEP_1) | instskip(SKIP_3) | instid1(VALU_DEP_1)
	v_fmac_f32_e32 v3, v98, v137
	ds_load_2addr_b64 v[95:98], v2 offset0:31 offset1:32
	s_waitcnt lgkmcnt(1)
	v_fmac_f32_e32 v3, v99, v138
	v_fmac_f32_e32 v3, v100, v139
	s_delay_alu instid0(VALU_DEP_1) | instskip(SKIP_1) | instid1(VALU_DEP_1)
	v_fmac_f32_e32 v3, v101, v140
	s_waitcnt vmcnt(7)
	v_fmac_f32_e32 v3, v102, v141
	ds_load_2addr_b64 v[99:102], v2 offset0:33 offset1:34
	s_waitcnt lgkmcnt(1)
	v_fmac_f32_e32 v3, v103, v95
	s_delay_alu instid0(VALU_DEP_1) | instskip(NEXT) | instid1(VALU_DEP_1)
	v_fmac_f32_e32 v3, v104, v96
	v_fmac_f32_e32 v3, v105, v97
	s_waitcnt vmcnt(6)
	s_delay_alu instid0(VALU_DEP_1) | instskip(SKIP_3) | instid1(VALU_DEP_1)
	v_fmac_f32_e32 v3, v106, v98
	ds_load_2addr_b64 v[95:98], v2 offset0:35 offset1:36
	s_waitcnt lgkmcnt(1)
	v_fmac_f32_e32 v3, v107, v99
	v_fmac_f32_e32 v3, v108, v100
	s_delay_alu instid0(VALU_DEP_1) | instskip(SKIP_1) | instid1(VALU_DEP_1)
	v_fmac_f32_e32 v3, v109, v101
	s_waitcnt vmcnt(5)
	v_fmac_f32_e32 v3, v110, v102
	ds_load_2addr_b64 v[99:102], v2 offset0:37 offset1:38
	s_waitcnt lgkmcnt(1)
	v_fmac_f32_e32 v3, v111, v95
	;; [unrolled: 17-line block ×3, first 2 shown]
	s_delay_alu instid0(VALU_DEP_1) | instskip(NEXT) | instid1(VALU_DEP_1)
	v_fmac_f32_e32 v3, v120, v96
	v_fmac_f32_e32 v3, v121, v97
	s_waitcnt vmcnt(2)
	s_delay_alu instid0(VALU_DEP_1) | instskip(SKIP_3) | instid1(VALU_DEP_1)
	v_fmac_f32_e32 v3, v122, v98
	ds_load_2addr_b64 v[95:98], v2 offset0:43 offset1:44
	s_waitcnt lgkmcnt(1)
	v_fmac_f32_e32 v3, v123, v99
	v_fmac_f32_e32 v3, v124, v100
	ds_load_b64 v[99:100], v2 offset:360
	v_fmac_f32_e32 v3, v125, v101
	s_waitcnt vmcnt(1)
	s_delay_alu instid0(VALU_DEP_1) | instskip(SKIP_1) | instid1(VALU_DEP_1)
	v_fmac_f32_e32 v3, v126, v102
	s_waitcnt lgkmcnt(1)
	v_fmac_f32_e32 v3, v127, v95
	ds_load_b32 v95, v2 offset:368
	v_fmac_f32_e32 v3, v128, v96
	s_delay_alu instid0(VALU_DEP_1) | instskip(SKIP_1) | instid1(VALU_DEP_1)
	v_fmac_f32_e32 v3, v129, v97
	s_waitcnt vmcnt(0)
	v_fmac_f32_e32 v3, v130, v98
	s_waitcnt lgkmcnt(1)
	s_delay_alu instid0(VALU_DEP_1) | instskip(NEXT) | instid1(VALU_DEP_1)
	v_fmac_f32_e32 v3, v131, v99
	v_fmac_f32_e32 v3, v132, v100
	s_waitcnt lgkmcnt(0)
	s_delay_alu instid0(VALU_DEP_1) | instskip(NEXT) | instid1(VALU_DEP_1)
	v_fmac_f32_e32 v3, v133, v95
	v_sub_f32_e32 v3, v94, v3
	scratch_store_b32 off, v3, off offset:20
	v_cmpx_lt_u32_e32 4, v0
	s_cbranch_execz .LBB44_269
; %bb.268:
	scratch_load_b32 v3, off, off offset:16
	scratch_store_b32 off, v2, off offset:16
	s_waitcnt vmcnt(0)
	ds_store_b32 v1, v3
.LBB44_269:
	s_or_b32 exec_lo, exec_lo, s0
	s_waitcnt lgkmcnt(0)
	s_waitcnt_vscnt null, 0x0
	s_barrier
	buffer_gl0_inv
	s_clause 0xa
	scratch_load_b128 v[94:97], off, off offset:16
	scratch_load_b128 v[98:101], off, off offset:32
	;; [unrolled: 1-line block ×10, first 2 shown]
	scratch_load_b32 v142, off, off offset:176
	ds_load_2addr_b32 v[134:135], v2 offset0:53 offset1:54
	ds_load_2addr_b32 v[136:137], v2 offset0:55 offset1:56
	;; [unrolled: 1-line block ×4, first 2 shown]
	s_mov_b32 s0, exec_lo
	s_waitcnt vmcnt(10) lgkmcnt(3)
	v_fma_f32 v134, v95, v134, 0
	s_delay_alu instid0(VALU_DEP_1) | instskip(SKIP_4) | instid1(VALU_DEP_1)
	v_fmac_f32_e32 v134, v96, v135
	ds_load_2addr_b32 v[95:96], v2 offset0:61 offset1:62
	s_waitcnt lgkmcnt(3)
	v_fmac_f32_e32 v134, v97, v136
	s_waitcnt vmcnt(9)
	v_fmac_f32_e32 v134, v98, v137
	ds_load_2addr_b32 v[97:98], v2 offset0:63 offset1:64
	s_waitcnt lgkmcnt(3)
	v_fmac_f32_e32 v134, v99, v138
	s_delay_alu instid0(VALU_DEP_1) | instskip(SKIP_1) | instid1(VALU_DEP_1)
	v_fmac_f32_e32 v134, v100, v139
	s_waitcnt lgkmcnt(2)
	v_fmac_f32_e32 v134, v101, v140
	s_waitcnt vmcnt(8)
	s_delay_alu instid0(VALU_DEP_1) | instskip(SKIP_4) | instid1(VALU_DEP_1)
	v_fmac_f32_e32 v134, v102, v141
	ds_load_2addr_b32 v[99:100], v2 offset0:65 offset1:66
	ds_load_2addr_b32 v[101:102], v2 offset0:67 offset1:68
	s_waitcnt lgkmcnt(3)
	v_fmac_f32_e32 v134, v103, v95
	v_fmac_f32_e32 v134, v104, v96
	ds_load_2addr_b32 v[95:96], v2 offset0:69 offset1:70
	s_waitcnt lgkmcnt(3)
	v_fmac_f32_e32 v134, v105, v97
	s_waitcnt vmcnt(7)
	s_delay_alu instid0(VALU_DEP_1) | instskip(SKIP_3) | instid1(VALU_DEP_1)
	v_fmac_f32_e32 v134, v106, v98
	ds_load_2addr_b32 v[97:98], v2 offset0:71 offset1:72
	s_waitcnt lgkmcnt(3)
	v_fmac_f32_e32 v134, v107, v99
	v_fmac_f32_e32 v134, v108, v100
	s_waitcnt lgkmcnt(2)
	s_delay_alu instid0(VALU_DEP_1) | instskip(SKIP_1) | instid1(VALU_DEP_1)
	v_fmac_f32_e32 v134, v109, v101
	s_waitcnt vmcnt(6)
	v_fmac_f32_e32 v134, v110, v102
	ds_load_2addr_b32 v[99:100], v2 offset0:73 offset1:74
	ds_load_2addr_b32 v[101:102], v2 offset0:75 offset1:76
	s_waitcnt lgkmcnt(3)
	v_fmac_f32_e32 v134, v111, v95
	s_delay_alu instid0(VALU_DEP_1) | instskip(SKIP_4) | instid1(VALU_DEP_1)
	v_fmac_f32_e32 v134, v112, v96
	ds_load_2addr_b32 v[95:96], v2 offset0:77 offset1:78
	s_waitcnt lgkmcnt(3)
	v_fmac_f32_e32 v134, v113, v97
	s_waitcnt vmcnt(5)
	v_fmac_f32_e32 v134, v114, v98
	ds_load_2addr_b32 v[97:98], v2 offset0:79 offset1:80
	s_waitcnt lgkmcnt(3)
	v_fmac_f32_e32 v134, v115, v99
	s_delay_alu instid0(VALU_DEP_1) | instskip(SKIP_1) | instid1(VALU_DEP_1)
	v_fmac_f32_e32 v134, v116, v100
	s_waitcnt lgkmcnt(2)
	v_fmac_f32_e32 v134, v117, v101
	s_waitcnt vmcnt(4)
	s_delay_alu instid0(VALU_DEP_1) | instskip(SKIP_4) | instid1(VALU_DEP_1)
	v_fmac_f32_e32 v134, v118, v102
	ds_load_2addr_b32 v[99:100], v2 offset0:81 offset1:82
	ds_load_2addr_b32 v[101:102], v2 offset0:83 offset1:84
	s_waitcnt lgkmcnt(3)
	v_fmac_f32_e32 v134, v119, v95
	v_fmac_f32_e32 v134, v120, v96
	ds_load_2addr_b32 v[95:96], v2 offset0:85 offset1:86
	s_waitcnt lgkmcnt(3)
	v_fmac_f32_e32 v134, v121, v97
	s_waitcnt vmcnt(3)
	s_delay_alu instid0(VALU_DEP_1) | instskip(SKIP_3) | instid1(VALU_DEP_1)
	v_fmac_f32_e32 v134, v122, v98
	ds_load_2addr_b32 v[97:98], v2 offset0:87 offset1:88
	s_waitcnt lgkmcnt(3)
	v_fmac_f32_e32 v134, v123, v99
	v_fmac_f32_e32 v134, v124, v100
	ds_load_2addr_b32 v[99:100], v2 offset0:89 offset1:90
	ds_load_2addr_b32 v[2:3], v2 offset0:91 offset1:92
	s_waitcnt lgkmcnt(4)
	v_fmac_f32_e32 v134, v125, v101
	s_waitcnt vmcnt(2)
	s_delay_alu instid0(VALU_DEP_1) | instskip(SKIP_1) | instid1(VALU_DEP_1)
	v_fmac_f32_e32 v134, v126, v102
	s_waitcnt lgkmcnt(3)
	v_fmac_f32_e32 v134, v127, v95
	s_delay_alu instid0(VALU_DEP_1) | instskip(SKIP_1) | instid1(VALU_DEP_1)
	v_fmac_f32_e32 v134, v128, v96
	s_waitcnt lgkmcnt(2)
	v_fmac_f32_e32 v134, v129, v97
	s_waitcnt vmcnt(1)
	s_delay_alu instid0(VALU_DEP_1) | instskip(SKIP_1) | instid1(VALU_DEP_1)
	v_fmac_f32_e32 v134, v130, v98
	s_waitcnt lgkmcnt(1)
	v_fmac_f32_e32 v134, v131, v99
	s_delay_alu instid0(VALU_DEP_1) | instskip(SKIP_1) | instid1(VALU_DEP_1)
	v_fmac_f32_e32 v134, v132, v100
	s_waitcnt lgkmcnt(0)
	v_fmac_f32_e32 v134, v133, v2
	s_waitcnt vmcnt(0)
	s_delay_alu instid0(VALU_DEP_1) | instskip(NEXT) | instid1(VALU_DEP_1)
	v_fmac_f32_e32 v134, v142, v3
	v_sub_f32_e32 v2, v94, v134
	scratch_store_b32 off, v2, off offset:16
	v_cmpx_lt_u32_e32 3, v0
	s_cbranch_execz .LBB44_271
; %bb.270:
	scratch_load_b32 v2, off, off offset:12
	v_mov_b32_e32 v3, 0
	scratch_store_b32 off, v3, off offset:12
	s_waitcnt vmcnt(0)
	ds_store_b32 v1, v2
.LBB44_271:
	s_or_b32 exec_lo, exec_lo, s0
	s_waitcnt lgkmcnt(0)
	s_waitcnt_vscnt null, 0x0
	s_barrier
	buffer_gl0_inv
	s_clause 0xa
	scratch_load_b128 v[94:97], off, off offset:12
	scratch_load_b128 v[98:101], off, off offset:28
	;; [unrolled: 1-line block ×10, first 2 shown]
	scratch_load_b64 v[142:143], off, off offset:172
	v_mov_b32_e32 v2, 0
	ds_load_b128 v[134:137], v2 offset:208
	ds_load_b128 v[138:141], v2 offset:224
	s_mov_b32 s0, exec_lo
	s_waitcnt vmcnt(10) lgkmcnt(1)
	v_fma_f32 v3, v95, v134, 0
	s_delay_alu instid0(VALU_DEP_1) | instskip(NEXT) | instid1(VALU_DEP_1)
	v_fmac_f32_e32 v3, v96, v135
	v_fmac_f32_e32 v3, v97, v136
	s_waitcnt vmcnt(9)
	s_delay_alu instid0(VALU_DEP_1) | instskip(SKIP_3) | instid1(VALU_DEP_1)
	v_fmac_f32_e32 v3, v98, v137
	ds_load_b128 v[95:98], v2 offset:240
	s_waitcnt lgkmcnt(1)
	v_fmac_f32_e32 v3, v99, v138
	v_fmac_f32_e32 v3, v100, v139
	s_delay_alu instid0(VALU_DEP_1) | instskip(SKIP_1) | instid1(VALU_DEP_1)
	v_fmac_f32_e32 v3, v101, v140
	s_waitcnt vmcnt(8)
	v_fmac_f32_e32 v3, v102, v141
	ds_load_b128 v[99:102], v2 offset:256
	s_waitcnt lgkmcnt(1)
	v_fmac_f32_e32 v3, v103, v95
	s_delay_alu instid0(VALU_DEP_1) | instskip(NEXT) | instid1(VALU_DEP_1)
	v_fmac_f32_e32 v3, v104, v96
	v_fmac_f32_e32 v3, v105, v97
	s_waitcnt vmcnt(7)
	s_delay_alu instid0(VALU_DEP_1) | instskip(SKIP_3) | instid1(VALU_DEP_1)
	v_fmac_f32_e32 v3, v106, v98
	ds_load_b128 v[95:98], v2 offset:272
	s_waitcnt lgkmcnt(1)
	v_fmac_f32_e32 v3, v107, v99
	v_fmac_f32_e32 v3, v108, v100
	s_delay_alu instid0(VALU_DEP_1) | instskip(SKIP_1) | instid1(VALU_DEP_1)
	v_fmac_f32_e32 v3, v109, v101
	s_waitcnt vmcnt(6)
	v_fmac_f32_e32 v3, v110, v102
	ds_load_b128 v[99:102], v2 offset:288
	s_waitcnt lgkmcnt(1)
	v_fmac_f32_e32 v3, v111, v95
	;; [unrolled: 17-line block ×4, first 2 shown]
	ds_load_b32 v95, v2 offset:368
	v_fmac_f32_e32 v3, v128, v96
	s_delay_alu instid0(VALU_DEP_1) | instskip(SKIP_1) | instid1(VALU_DEP_1)
	v_fmac_f32_e32 v3, v129, v97
	s_waitcnt vmcnt(1)
	v_fmac_f32_e32 v3, v130, v98
	s_waitcnt lgkmcnt(1)
	s_delay_alu instid0(VALU_DEP_1) | instskip(NEXT) | instid1(VALU_DEP_1)
	v_fmac_f32_e32 v3, v131, v99
	v_fmac_f32_e32 v3, v132, v100
	s_delay_alu instid0(VALU_DEP_1) | instskip(SKIP_1) | instid1(VALU_DEP_1)
	v_fmac_f32_e32 v3, v133, v101
	s_waitcnt vmcnt(0)
	v_fmac_f32_e32 v3, v142, v102
	s_waitcnt lgkmcnt(0)
	s_delay_alu instid0(VALU_DEP_1) | instskip(NEXT) | instid1(VALU_DEP_1)
	v_fmac_f32_e32 v3, v143, v95
	v_sub_f32_e32 v3, v94, v3
	scratch_store_b32 off, v3, off offset:12
	v_cmpx_lt_u32_e32 2, v0
	s_cbranch_execz .LBB44_273
; %bb.272:
	scratch_load_b32 v3, off, off offset:8
	scratch_store_b32 off, v2, off offset:8
	s_waitcnt vmcnt(0)
	ds_store_b32 v1, v3
.LBB44_273:
	s_or_b32 exec_lo, exec_lo, s0
	s_waitcnt lgkmcnt(0)
	s_waitcnt_vscnt null, 0x0
	s_barrier
	buffer_gl0_inv
	s_clause 0xa
	scratch_load_b128 v[94:97], off, off offset:8
	scratch_load_b128 v[98:101], off, off offset:24
	;; [unrolled: 1-line block ×10, first 2 shown]
	scratch_load_b96 v[134:136], off, off offset:168
	ds_load_2addr_b32 v[137:138], v2 offset0:51 offset1:52
	ds_load_2addr_b32 v[139:140], v2 offset0:53 offset1:54
	;; [unrolled: 1-line block ×3, first 2 shown]
	s_mov_b32 s0, exec_lo
	s_waitcnt vmcnt(10) lgkmcnt(2)
	v_fma_f32 v137, v95, v137, 0
	s_delay_alu instid0(VALU_DEP_1) | instskip(SKIP_4) | instid1(VALU_DEP_1)
	v_fmac_f32_e32 v137, v96, v138
	ds_load_2addr_b32 v[95:96], v2 offset0:57 offset1:58
	s_waitcnt lgkmcnt(2)
	v_fmac_f32_e32 v137, v97, v139
	s_waitcnt vmcnt(9)
	v_fmac_f32_e32 v137, v98, v140
	ds_load_2addr_b32 v[97:98], v2 offset0:59 offset1:60
	s_waitcnt lgkmcnt(2)
	v_fmac_f32_e32 v137, v99, v141
	s_delay_alu instid0(VALU_DEP_1) | instskip(SKIP_4) | instid1(VALU_DEP_1)
	v_fmac_f32_e32 v137, v100, v142
	ds_load_2addr_b32 v[99:100], v2 offset0:61 offset1:62
	s_waitcnt lgkmcnt(2)
	v_fmac_f32_e32 v137, v101, v95
	s_waitcnt vmcnt(8)
	v_fmac_f32_e32 v137, v102, v96
	ds_load_2addr_b32 v[95:96], v2 offset0:63 offset1:64
	s_waitcnt lgkmcnt(2)
	v_fmac_f32_e32 v137, v103, v97
	s_delay_alu instid0(VALU_DEP_1) | instskip(SKIP_4) | instid1(VALU_DEP_1)
	v_fmac_f32_e32 v137, v104, v98
	ds_load_2addr_b32 v[97:98], v2 offset0:65 offset1:66
	s_waitcnt lgkmcnt(2)
	v_fmac_f32_e32 v137, v105, v99
	s_waitcnt vmcnt(7)
	v_fmac_f32_e32 v137, v106, v100
	ds_load_2addr_b32 v[99:100], v2 offset0:67 offset1:68
	s_waitcnt lgkmcnt(2)
	v_fmac_f32_e32 v137, v107, v95
	s_delay_alu instid0(VALU_DEP_1) | instskip(SKIP_4) | instid1(VALU_DEP_1)
	v_fmac_f32_e32 v137, v108, v96
	ds_load_2addr_b32 v[95:96], v2 offset0:69 offset1:70
	s_waitcnt lgkmcnt(2)
	v_fmac_f32_e32 v137, v109, v97
	s_waitcnt vmcnt(6)
	v_fmac_f32_e32 v137, v110, v98
	ds_load_2addr_b32 v[97:98], v2 offset0:71 offset1:72
	s_waitcnt lgkmcnt(2)
	v_fmac_f32_e32 v137, v111, v99
	s_delay_alu instid0(VALU_DEP_1) | instskip(SKIP_4) | instid1(VALU_DEP_1)
	v_fmac_f32_e32 v137, v112, v100
	ds_load_2addr_b32 v[99:100], v2 offset0:73 offset1:74
	s_waitcnt lgkmcnt(2)
	v_fmac_f32_e32 v137, v113, v95
	s_waitcnt vmcnt(5)
	v_fmac_f32_e32 v137, v114, v96
	ds_load_2addr_b32 v[95:96], v2 offset0:75 offset1:76
	s_waitcnt lgkmcnt(2)
	v_fmac_f32_e32 v137, v115, v97
	s_delay_alu instid0(VALU_DEP_1) | instskip(SKIP_4) | instid1(VALU_DEP_1)
	v_fmac_f32_e32 v137, v116, v98
	ds_load_2addr_b32 v[97:98], v2 offset0:77 offset1:78
	s_waitcnt lgkmcnt(2)
	v_fmac_f32_e32 v137, v117, v99
	s_waitcnt vmcnt(4)
	v_fmac_f32_e32 v137, v118, v100
	ds_load_2addr_b32 v[99:100], v2 offset0:79 offset1:80
	s_waitcnt lgkmcnt(2)
	v_fmac_f32_e32 v137, v119, v95
	s_delay_alu instid0(VALU_DEP_1) | instskip(SKIP_4) | instid1(VALU_DEP_1)
	v_fmac_f32_e32 v137, v120, v96
	ds_load_2addr_b32 v[95:96], v2 offset0:81 offset1:82
	s_waitcnt lgkmcnt(2)
	v_fmac_f32_e32 v137, v121, v97
	s_waitcnt vmcnt(3)
	v_fmac_f32_e32 v137, v122, v98
	ds_load_2addr_b32 v[97:98], v2 offset0:83 offset1:84
	s_waitcnt lgkmcnt(2)
	v_fmac_f32_e32 v137, v123, v99
	s_delay_alu instid0(VALU_DEP_1) | instskip(SKIP_4) | instid1(VALU_DEP_1)
	v_fmac_f32_e32 v137, v124, v100
	ds_load_2addr_b32 v[99:100], v2 offset0:85 offset1:86
	s_waitcnt lgkmcnt(2)
	v_fmac_f32_e32 v137, v125, v95
	s_waitcnt vmcnt(2)
	v_fmac_f32_e32 v137, v126, v96
	ds_load_2addr_b32 v[95:96], v2 offset0:87 offset1:88
	s_waitcnt lgkmcnt(2)
	v_fmac_f32_e32 v137, v127, v97
	s_delay_alu instid0(VALU_DEP_1)
	v_fmac_f32_e32 v137, v128, v98
	ds_load_2addr_b32 v[97:98], v2 offset0:89 offset1:90
	ds_load_2addr_b32 v[2:3], v2 offset0:91 offset1:92
	s_waitcnt lgkmcnt(3)
	v_fmac_f32_e32 v137, v129, v99
	s_waitcnt vmcnt(1)
	s_delay_alu instid0(VALU_DEP_1) | instskip(SKIP_1) | instid1(VALU_DEP_1)
	v_fmac_f32_e32 v137, v130, v100
	s_waitcnt lgkmcnt(2)
	v_fmac_f32_e32 v137, v131, v95
	s_delay_alu instid0(VALU_DEP_1) | instskip(SKIP_1) | instid1(VALU_DEP_1)
	v_fmac_f32_e32 v137, v132, v96
	s_waitcnt lgkmcnt(1)
	v_fmac_f32_e32 v137, v133, v97
	s_waitcnt vmcnt(0)
	s_delay_alu instid0(VALU_DEP_1) | instskip(SKIP_1) | instid1(VALU_DEP_1)
	v_fmac_f32_e32 v137, v134, v98
	s_waitcnt lgkmcnt(0)
	v_fmac_f32_e32 v137, v135, v2
	s_delay_alu instid0(VALU_DEP_1) | instskip(NEXT) | instid1(VALU_DEP_1)
	v_fmac_f32_e32 v137, v136, v3
	v_sub_f32_e32 v2, v94, v137
	scratch_store_b32 off, v2, off offset:8
	v_cmpx_lt_u32_e32 1, v0
	s_cbranch_execz .LBB44_275
; %bb.274:
	scratch_load_b32 v2, off, off offset:4
	v_mov_b32_e32 v3, 0
	scratch_store_b32 off, v3, off offset:4
	s_waitcnt vmcnt(0)
	ds_store_b32 v1, v2
.LBB44_275:
	s_or_b32 exec_lo, exec_lo, s0
	s_waitcnt lgkmcnt(0)
	s_waitcnt_vscnt null, 0x0
	s_barrier
	buffer_gl0_inv
	s_clause 0xa
	scratch_load_b128 v[95:98], off, off offset:4
	scratch_load_b128 v[99:102], off, off offset:20
	;; [unrolled: 1-line block ×11, first 2 shown]
	v_mov_b32_e32 v94, 0
	ds_load_2addr_b64 v[139:142], v94 offset0:25 offset1:26
	ds_load_2addr_b64 v[143:146], v94 offset0:27 offset1:28
	s_mov_b32 s0, exec_lo
	s_waitcnt vmcnt(10) lgkmcnt(1)
	v_fma_f32 v139, v96, v139, 0
	s_delay_alu instid0(VALU_DEP_1) | instskip(SKIP_3) | instid1(VALU_DEP_1)
	v_fmac_f32_e32 v139, v97, v140
	ds_load_b64 v[2:3], v94 offset:360
	v_fmac_f32_e32 v139, v98, v141
	s_waitcnt vmcnt(9)
	v_fmac_f32_e32 v139, v99, v142
	ds_load_2addr_b64 v[96:99], v94 offset0:29 offset1:30
	s_waitcnt lgkmcnt(2)
	v_fmac_f32_e32 v139, v100, v143
	s_delay_alu instid0(VALU_DEP_1) | instskip(NEXT) | instid1(VALU_DEP_1)
	v_fmac_f32_e32 v139, v101, v144
	v_fmac_f32_e32 v139, v102, v145
	s_waitcnt vmcnt(8)
	s_delay_alu instid0(VALU_DEP_1) | instskip(SKIP_3) | instid1(VALU_DEP_1)
	v_fmac_f32_e32 v139, v103, v146
	ds_load_2addr_b64 v[100:103], v94 offset0:31 offset1:32
	s_waitcnt lgkmcnt(1)
	v_fmac_f32_e32 v139, v104, v96
	v_fmac_f32_e32 v139, v105, v97
	s_delay_alu instid0(VALU_DEP_1) | instskip(SKIP_1) | instid1(VALU_DEP_1)
	v_fmac_f32_e32 v139, v106, v98
	s_waitcnt vmcnt(7)
	v_fmac_f32_e32 v139, v107, v99
	ds_load_2addr_b64 v[96:99], v94 offset0:33 offset1:34
	s_waitcnt lgkmcnt(1)
	v_fmac_f32_e32 v139, v108, v100
	s_delay_alu instid0(VALU_DEP_1) | instskip(NEXT) | instid1(VALU_DEP_1)
	v_fmac_f32_e32 v139, v109, v101
	v_fmac_f32_e32 v139, v110, v102
	s_waitcnt vmcnt(6)
	s_delay_alu instid0(VALU_DEP_1) | instskip(SKIP_3) | instid1(VALU_DEP_1)
	v_fmac_f32_e32 v139, v111, v103
	ds_load_2addr_b64 v[100:103], v94 offset0:35 offset1:36
	s_waitcnt lgkmcnt(1)
	v_fmac_f32_e32 v139, v112, v96
	v_fmac_f32_e32 v139, v113, v97
	s_delay_alu instid0(VALU_DEP_1) | instskip(SKIP_1) | instid1(VALU_DEP_1)
	;; [unrolled: 17-line block ×3, first 2 shown]
	v_fmac_f32_e32 v139, v122, v98
	s_waitcnt vmcnt(3)
	v_fmac_f32_e32 v139, v123, v99
	ds_load_2addr_b64 v[96:99], v94 offset0:41 offset1:42
	s_waitcnt lgkmcnt(1)
	v_fmac_f32_e32 v139, v124, v100
	s_delay_alu instid0(VALU_DEP_1) | instskip(NEXT) | instid1(VALU_DEP_1)
	v_fmac_f32_e32 v139, v125, v101
	v_fmac_f32_e32 v139, v126, v102
	s_waitcnt vmcnt(2)
	s_delay_alu instid0(VALU_DEP_1)
	v_fmac_f32_e32 v139, v127, v103
	ds_load_2addr_b64 v[100:103], v94 offset0:43 offset1:44
	s_waitcnt lgkmcnt(1)
	v_fmac_f32_e32 v139, v128, v96
	ds_load_b32 v96, v94 offset:368
	v_fmac_f32_e32 v139, v129, v97
	s_delay_alu instid0(VALU_DEP_1) | instskip(SKIP_1) | instid1(VALU_DEP_1)
	v_fmac_f32_e32 v139, v130, v98
	s_waitcnt vmcnt(1)
	v_fmac_f32_e32 v139, v131, v99
	s_waitcnt lgkmcnt(1)
	s_delay_alu instid0(VALU_DEP_1) | instskip(NEXT) | instid1(VALU_DEP_1)
	v_fmac_f32_e32 v139, v132, v100
	v_fmac_f32_e32 v139, v133, v101
	s_delay_alu instid0(VALU_DEP_1) | instskip(SKIP_1) | instid1(VALU_DEP_1)
	v_fmac_f32_e32 v139, v134, v102
	s_waitcnt vmcnt(0)
	v_fmac_f32_e32 v139, v135, v103
	s_delay_alu instid0(VALU_DEP_1) | instskip(NEXT) | instid1(VALU_DEP_1)
	v_fmac_f32_e32 v139, v136, v2
	v_fmac_f32_e32 v139, v137, v3
	s_waitcnt lgkmcnt(0)
	s_delay_alu instid0(VALU_DEP_1) | instskip(NEXT) | instid1(VALU_DEP_1)
	v_fmac_f32_e32 v139, v138, v96
	v_sub_f32_e32 v2, v95, v139
	scratch_store_b32 off, v2, off offset:4
	v_cmpx_ne_u32_e32 0, v0
	s_cbranch_execz .LBB44_277
; %bb.276:
	scratch_load_b32 v0, off, off
	scratch_store_b32 off, v94, off
	s_waitcnt vmcnt(0)
	ds_store_b32 v1, v0
.LBB44_277:
	s_or_b32 exec_lo, exec_lo, s0
	s_waitcnt lgkmcnt(0)
	s_waitcnt_vscnt null, 0x0
	s_barrier
	buffer_gl0_inv
	s_clause 0xb
	scratch_load_b128 v[95:98], off, off
	scratch_load_b128 v[99:102], off, off offset:16
	scratch_load_b128 v[103:106], off, off offset:32
	;; [unrolled: 1-line block ×10, first 2 shown]
	scratch_load_b32 v143, off, off offset:176
	ds_load_2addr_b32 v[135:136], v94 offset0:49 offset1:50
	ds_load_2addr_b32 v[137:138], v94 offset0:51 offset1:52
	;; [unrolled: 1-line block ×4, first 2 shown]
	s_and_b32 vcc_lo, exec_lo, s16
	s_waitcnt vmcnt(11) lgkmcnt(3)
	v_fma_f32 v135, v96, v135, 0
	s_delay_alu instid0(VALU_DEP_1) | instskip(SKIP_4) | instid1(VALU_DEP_1)
	v_fmac_f32_e32 v135, v97, v136
	ds_load_2addr_b32 v[96:97], v94 offset0:57 offset1:58
	s_waitcnt lgkmcnt(3)
	v_fmac_f32_e32 v135, v98, v137
	s_waitcnt vmcnt(10)
	v_fmac_f32_e32 v135, v99, v138
	ds_load_2addr_b32 v[98:99], v94 offset0:59 offset1:60
	s_waitcnt lgkmcnt(3)
	v_fmac_f32_e32 v135, v100, v139
	s_delay_alu instid0(VALU_DEP_1) | instskip(SKIP_1) | instid1(VALU_DEP_1)
	v_fmac_f32_e32 v135, v101, v140
	s_waitcnt lgkmcnt(2)
	v_fmac_f32_e32 v135, v102, v141
	s_waitcnt vmcnt(9)
	s_delay_alu instid0(VALU_DEP_1) | instskip(SKIP_4) | instid1(VALU_DEP_1)
	v_fmac_f32_e32 v135, v103, v142
	ds_load_2addr_b32 v[100:101], v94 offset0:61 offset1:62
	ds_load_2addr_b32 v[102:103], v94 offset0:63 offset1:64
	s_waitcnt lgkmcnt(3)
	v_fmac_f32_e32 v135, v104, v96
	v_fmac_f32_e32 v135, v105, v97
	ds_load_2addr_b32 v[96:97], v94 offset0:65 offset1:66
	s_waitcnt lgkmcnt(3)
	v_fmac_f32_e32 v135, v106, v98
	s_waitcnt vmcnt(8)
	s_delay_alu instid0(VALU_DEP_1) | instskip(SKIP_3) | instid1(VALU_DEP_1)
	v_fmac_f32_e32 v135, v107, v99
	ds_load_2addr_b32 v[98:99], v94 offset0:67 offset1:68
	s_waitcnt lgkmcnt(3)
	v_fmac_f32_e32 v135, v108, v100
	v_fmac_f32_e32 v135, v109, v101
	s_waitcnt lgkmcnt(2)
	s_delay_alu instid0(VALU_DEP_1) | instskip(SKIP_1) | instid1(VALU_DEP_1)
	v_fmac_f32_e32 v135, v110, v102
	s_waitcnt vmcnt(7)
	v_fmac_f32_e32 v135, v111, v103
	ds_load_2addr_b32 v[100:101], v94 offset0:69 offset1:70
	ds_load_2addr_b32 v[102:103], v94 offset0:71 offset1:72
	s_waitcnt lgkmcnt(3)
	v_fmac_f32_e32 v135, v112, v96
	s_delay_alu instid0(VALU_DEP_1) | instskip(SKIP_4) | instid1(VALU_DEP_1)
	v_fmac_f32_e32 v135, v113, v97
	ds_load_2addr_b32 v[96:97], v94 offset0:73 offset1:74
	s_waitcnt lgkmcnt(3)
	v_fmac_f32_e32 v135, v114, v98
	s_waitcnt vmcnt(6)
	v_fmac_f32_e32 v135, v115, v99
	ds_load_2addr_b32 v[98:99], v94 offset0:75 offset1:76
	s_waitcnt lgkmcnt(3)
	v_fmac_f32_e32 v135, v116, v100
	s_delay_alu instid0(VALU_DEP_1) | instskip(SKIP_1) | instid1(VALU_DEP_1)
	v_fmac_f32_e32 v135, v117, v101
	s_waitcnt lgkmcnt(2)
	v_fmac_f32_e32 v135, v118, v102
	s_waitcnt vmcnt(5)
	s_delay_alu instid0(VALU_DEP_1) | instskip(SKIP_4) | instid1(VALU_DEP_1)
	v_fmac_f32_e32 v135, v119, v103
	ds_load_2addr_b32 v[100:101], v94 offset0:77 offset1:78
	ds_load_2addr_b32 v[102:103], v94 offset0:79 offset1:80
	s_waitcnt lgkmcnt(3)
	v_fmac_f32_e32 v135, v120, v96
	v_fmac_f32_e32 v135, v121, v97
	ds_load_2addr_b32 v[96:97], v94 offset0:81 offset1:82
	s_waitcnt lgkmcnt(3)
	v_fmac_f32_e32 v135, v122, v98
	s_waitcnt vmcnt(4)
	s_delay_alu instid0(VALU_DEP_1) | instskip(SKIP_3) | instid1(VALU_DEP_1)
	v_fmac_f32_e32 v135, v123, v99
	ds_load_2addr_b32 v[98:99], v94 offset0:83 offset1:84
	s_waitcnt lgkmcnt(3)
	v_fmac_f32_e32 v135, v124, v100
	v_fmac_f32_e32 v135, v125, v101
	s_waitcnt lgkmcnt(2)
	s_delay_alu instid0(VALU_DEP_1) | instskip(SKIP_1) | instid1(VALU_DEP_1)
	v_fmac_f32_e32 v135, v126, v102
	s_waitcnt vmcnt(3)
	v_fmac_f32_e32 v135, v127, v103
	ds_load_2addr_b32 v[100:101], v94 offset0:85 offset1:86
	ds_load_2addr_b32 v[102:103], v94 offset0:87 offset1:88
	s_waitcnt lgkmcnt(3)
	v_fmac_f32_e32 v135, v128, v96
	s_delay_alu instid0(VALU_DEP_1) | instskip(SKIP_4) | instid1(VALU_DEP_1)
	v_fmac_f32_e32 v135, v129, v97
	ds_load_2addr_b32 v[96:97], v94 offset0:89 offset1:90
	s_waitcnt lgkmcnt(3)
	v_fmac_f32_e32 v135, v130, v98
	s_waitcnt vmcnt(2)
	v_fmac_f32_e32 v135, v131, v99
	ds_load_2addr_b32 v[98:99], v94 offset0:91 offset1:92
	s_waitcnt lgkmcnt(3)
	v_fmac_f32_e32 v135, v132, v100
	s_delay_alu instid0(VALU_DEP_1) | instskip(SKIP_1) | instid1(VALU_DEP_1)
	v_fmac_f32_e32 v135, v133, v101
	s_waitcnt lgkmcnt(2)
	v_fmac_f32_e32 v135, v134, v102
	s_waitcnt vmcnt(1)
	s_delay_alu instid0(VALU_DEP_1) | instskip(SKIP_1) | instid1(VALU_DEP_1)
	v_fmac_f32_e32 v135, v0, v103
	s_waitcnt lgkmcnt(1)
	v_fmac_f32_e32 v135, v1, v96
	s_delay_alu instid0(VALU_DEP_1) | instskip(SKIP_1) | instid1(VALU_DEP_1)
	v_fmac_f32_e32 v135, v2, v97
	s_waitcnt lgkmcnt(0)
	v_fmac_f32_e32 v135, v3, v98
	s_waitcnt vmcnt(0)
	s_delay_alu instid0(VALU_DEP_1) | instskip(NEXT) | instid1(VALU_DEP_1)
	v_fmac_f32_e32 v135, v143, v99
	v_sub_f32_e32 v0, v95, v135
	scratch_store_b32 off, v0, off
	s_cbranch_vccz .LBB44_367
; %bb.278:
	v_dual_mov_b32 v0, s12 :: v_dual_mov_b32 v1, s13
	s_mov_b32 s0, exec_lo
	flat_load_b32 v0, v[0:1] offset:172
	s_waitcnt vmcnt(0) lgkmcnt(0)
	v_cmpx_ne_u32_e32 44, v0
	s_cbranch_execz .LBB44_280
; %bb.279:
	v_lshl_add_u32 v0, v0, 2, 0
	scratch_load_b32 v1, v0, off offset:-4
	s_waitcnt vmcnt(0)
	scratch_store_b32 off, v1, off offset:172
	scratch_store_b32 v0, v3, off offset:-4
.LBB44_280:
	s_or_b32 exec_lo, exec_lo, s0
	v_dual_mov_b32 v0, s12 :: v_dual_mov_b32 v1, s13
	s_mov_b32 s0, exec_lo
	flat_load_b32 v0, v[0:1] offset:168
	s_waitcnt vmcnt(0) lgkmcnt(0)
	v_cmpx_ne_u32_e32 43, v0
	s_cbranch_execz .LBB44_282
; %bb.281:
	v_lshl_add_u32 v0, v0, 2, 0
	scratch_load_b32 v1, v0, off offset:-4
	scratch_load_b32 v2, off, off offset:168
	s_waitcnt vmcnt(1)
	scratch_store_b32 off, v1, off offset:168
	s_waitcnt vmcnt(0)
	scratch_store_b32 v0, v2, off offset:-4
.LBB44_282:
	s_or_b32 exec_lo, exec_lo, s0
	v_dual_mov_b32 v0, s12 :: v_dual_mov_b32 v1, s13
	s_mov_b32 s0, exec_lo
	flat_load_b32 v0, v[0:1] offset:164
	s_waitcnt vmcnt(0) lgkmcnt(0)
	v_cmpx_ne_u32_e32 42, v0
	s_cbranch_execz .LBB44_284
; %bb.283:
	v_lshl_add_u32 v0, v0, 2, 0
	scratch_load_b32 v1, v0, off offset:-4
	scratch_load_b32 v2, off, off offset:164
	s_waitcnt vmcnt(1)
	scratch_store_b32 off, v1, off offset:164
	s_waitcnt vmcnt(0)
	scratch_store_b32 v0, v2, off offset:-4
.LBB44_284:
	;; [unrolled: 16-line block ×42, first 2 shown]
	s_or_b32 exec_lo, exec_lo, s0
	v_dual_mov_b32 v0, s12 :: v_dual_mov_b32 v1, s13
	s_mov_b32 s0, exec_lo
	flat_load_b32 v1, v[0:1]
	scratch_load_b32 v0, off, off
	s_waitcnt vmcnt(1) lgkmcnt(0)
	v_cmpx_ne_u32_e32 1, v1
	s_cbranch_execz .LBB44_366
; %bb.365:
	v_lshl_add_u32 v1, v1, 2, 0
	scratch_load_b32 v2, v1, off offset:-4
	s_waitcnt vmcnt(0)
	scratch_store_b32 off, v2, off
	scratch_store_b32 v1, v0, off offset:-4
	scratch_load_b32 v0, off, off
.LBB44_366:
	s_or_b32 exec_lo, exec_lo, s0
.LBB44_367:
	s_clause 0xa
	scratch_load_b128 v[94:97], off, off offset:4
	scratch_load_b128 v[98:101], off, off offset:20
	;; [unrolled: 1-line block ×11, first 2 shown]
	s_waitcnt vmcnt(11)
	global_store_b32 v[4:5], v0, off
	s_waitcnt vmcnt(10)
	s_clause 0x3
	global_store_b32 v[6:7], v94, off
	global_store_b32 v[8:9], v95, off
	global_store_b32 v[10:11], v96, off
	global_store_b32 v[12:13], v97, off
	s_waitcnt vmcnt(9)
	s_clause 0x3
	global_store_b32 v[14:15], v98, off
	global_store_b32 v[16:17], v99, off
	global_store_b32 v[18:19], v100, off
	;; [unrolled: 6-line block ×11, first 2 shown]
	global_store_b32 v[52:53], v137, off
	s_endpgm
	.section	.rodata,"a",@progbits
	.p2align	6, 0x0
	.amdhsa_kernel _ZN9rocsolver6v33100L18getri_kernel_smallILi45EfPfEEvT1_iilPiilS4_bb
		.amdhsa_group_segment_fixed_size 372
		.amdhsa_private_segment_fixed_size 192
		.amdhsa_kernarg_size 60
		.amdhsa_user_sgpr_count 15
		.amdhsa_user_sgpr_dispatch_ptr 0
		.amdhsa_user_sgpr_queue_ptr 0
		.amdhsa_user_sgpr_kernarg_segment_ptr 1
		.amdhsa_user_sgpr_dispatch_id 0
		.amdhsa_user_sgpr_private_segment_size 0
		.amdhsa_wavefront_size32 1
		.amdhsa_uses_dynamic_stack 0
		.amdhsa_enable_private_segment 1
		.amdhsa_system_sgpr_workgroup_id_x 1
		.amdhsa_system_sgpr_workgroup_id_y 0
		.amdhsa_system_sgpr_workgroup_id_z 0
		.amdhsa_system_sgpr_workgroup_info 0
		.amdhsa_system_vgpr_workitem_id 0
		.amdhsa_next_free_vgpr 147
		.amdhsa_next_free_sgpr 18
		.amdhsa_reserve_vcc 1
		.amdhsa_float_round_mode_32 0
		.amdhsa_float_round_mode_16_64 0
		.amdhsa_float_denorm_mode_32 3
		.amdhsa_float_denorm_mode_16_64 3
		.amdhsa_dx10_clamp 1
		.amdhsa_ieee_mode 1
		.amdhsa_fp16_overflow 0
		.amdhsa_workgroup_processor_mode 1
		.amdhsa_memory_ordered 1
		.amdhsa_forward_progress 0
		.amdhsa_shared_vgpr_count 0
		.amdhsa_exception_fp_ieee_invalid_op 0
		.amdhsa_exception_fp_denorm_src 0
		.amdhsa_exception_fp_ieee_div_zero 0
		.amdhsa_exception_fp_ieee_overflow 0
		.amdhsa_exception_fp_ieee_underflow 0
		.amdhsa_exception_fp_ieee_inexact 0
		.amdhsa_exception_int_div_zero 0
	.end_amdhsa_kernel
	.section	.text._ZN9rocsolver6v33100L18getri_kernel_smallILi45EfPfEEvT1_iilPiilS4_bb,"axG",@progbits,_ZN9rocsolver6v33100L18getri_kernel_smallILi45EfPfEEvT1_iilPiilS4_bb,comdat
.Lfunc_end44:
	.size	_ZN9rocsolver6v33100L18getri_kernel_smallILi45EfPfEEvT1_iilPiilS4_bb, .Lfunc_end44-_ZN9rocsolver6v33100L18getri_kernel_smallILi45EfPfEEvT1_iilPiilS4_bb
                                        ; -- End function
	.section	.AMDGPU.csdata,"",@progbits
; Kernel info:
; codeLenInByte = 31920
; NumSgprs: 20
; NumVgprs: 147
; ScratchSize: 192
; MemoryBound: 0
; FloatMode: 240
; IeeeMode: 1
; LDSByteSize: 372 bytes/workgroup (compile time only)
; SGPRBlocks: 2
; VGPRBlocks: 18
; NumSGPRsForWavesPerEU: 20
; NumVGPRsForWavesPerEU: 147
; Occupancy: 9
; WaveLimiterHint : 1
; COMPUTE_PGM_RSRC2:SCRATCH_EN: 1
; COMPUTE_PGM_RSRC2:USER_SGPR: 15
; COMPUTE_PGM_RSRC2:TRAP_HANDLER: 0
; COMPUTE_PGM_RSRC2:TGID_X_EN: 1
; COMPUTE_PGM_RSRC2:TGID_Y_EN: 0
; COMPUTE_PGM_RSRC2:TGID_Z_EN: 0
; COMPUTE_PGM_RSRC2:TIDIG_COMP_CNT: 0
	.section	.text._ZN9rocsolver6v33100L18getri_kernel_smallILi46EfPfEEvT1_iilPiilS4_bb,"axG",@progbits,_ZN9rocsolver6v33100L18getri_kernel_smallILi46EfPfEEvT1_iilPiilS4_bb,comdat
	.globl	_ZN9rocsolver6v33100L18getri_kernel_smallILi46EfPfEEvT1_iilPiilS4_bb ; -- Begin function _ZN9rocsolver6v33100L18getri_kernel_smallILi46EfPfEEvT1_iilPiilS4_bb
	.p2align	8
	.type	_ZN9rocsolver6v33100L18getri_kernel_smallILi46EfPfEEvT1_iilPiilS4_bb,@function
_ZN9rocsolver6v33100L18getri_kernel_smallILi46EfPfEEvT1_iilPiilS4_bb: ; @_ZN9rocsolver6v33100L18getri_kernel_smallILi46EfPfEEvT1_iilPiilS4_bb
; %bb.0:
	s_mov_b32 s2, exec_lo
	v_cmpx_gt_u32_e32 46, v0
	s_cbranch_execz .LBB45_192
; %bb.1:
	s_clause 0x2
	s_load_b32 s17, s[0:1], 0x38
	s_load_b128 s[8:11], s[0:1], 0x10
	s_load_b128 s[4:7], s[0:1], 0x28
	s_mov_b32 s14, s15
                                        ; implicit-def: $sgpr12_sgpr13
	s_waitcnt lgkmcnt(0)
	s_bitcmp1_b32 s17, 8
	s_cselect_b32 s16, -1, 0
	s_bfe_u32 s2, s17, 0x10008
	s_ashr_i32 s15, s15, 31
	s_cmp_eq_u32 s2, 0
	s_cbranch_scc1 .LBB45_3
; %bb.2:
	s_load_b32 s2, s[0:1], 0x20
	s_mul_i32 s3, s14, s5
	s_mul_hi_u32 s5, s14, s4
	s_mul_i32 s12, s15, s4
	s_add_i32 s3, s5, s3
	s_mul_i32 s4, s14, s4
	s_add_i32 s5, s3, s12
	s_delay_alu instid0(SALU_CYCLE_1)
	s_lshl_b64 s[4:5], s[4:5], 2
	s_waitcnt lgkmcnt(0)
	s_ashr_i32 s3, s2, 31
	s_add_u32 s4, s10, s4
	s_addc_u32 s5, s11, s5
	s_lshl_b64 s[2:3], s[2:3], 2
	s_delay_alu instid0(SALU_CYCLE_1)
	s_add_u32 s12, s4, s2
	s_addc_u32 s13, s5, s3
.LBB45_3:
	s_load_b128 s[0:3], s[0:1], 0x0
	s_mul_i32 s4, s14, s9
	s_mul_hi_u32 s5, s14, s8
	s_mul_i32 s9, s15, s8
	s_add_i32 s5, s5, s4
	s_mul_i32 s4, s14, s8
	s_add_i32 s5, s5, s9
	v_lshlrev_b32_e32 v93, 2, v0
	s_lshl_b64 s[8:9], s[4:5], 2
	s_waitcnt lgkmcnt(0)
	v_add3_u32 v3, s3, s3, v0
	s_ashr_i32 s11, s2, 31
	s_mov_b32 s10, s2
	s_add_u32 s2, s0, s8
	s_addc_u32 s5, s1, s9
	v_add_nc_u32_e32 v5, s3, v3
	s_lshl_b64 s[0:1], s[10:11], 2
	v_ashrrev_i32_e32 v4, 31, v3
	s_add_u32 s0, s2, s0
	s_addc_u32 s1, s5, s1
	v_add_nc_u32_e32 v7, s3, v5
	v_add_co_u32 v1, s2, s0, v93
	v_ashrrev_i32_e32 v6, 31, v5
	s_mov_b32 s4, s3
	s_delay_alu instid0(VALU_DEP_3) | instskip(SKIP_3) | instid1(VALU_DEP_3)
	v_add_nc_u32_e32 v9, s3, v7
	s_ashr_i32 s5, s3, 31
	v_add_co_ci_u32_e64 v2, null, s1, 0, s2
	v_lshlrev_b64 v[38:39], 2, v[3:4]
	v_add_nc_u32_e32 v11, s3, v9
	s_lshl_b64 s[4:5], s[4:5], 2
	v_lshlrev_b64 v[41:42], 2, v[5:6]
	v_add_co_u32 v3, vcc_lo, v1, s4
	s_delay_alu instid0(VALU_DEP_3) | instskip(SKIP_3) | instid1(VALU_DEP_4)
	v_add_nc_u32_e32 v13, s3, v11
	v_ashrrev_i32_e32 v8, 31, v7
	v_add_co_ci_u32_e32 v4, vcc_lo, s5, v2, vcc_lo
	v_add_co_u32 v5, vcc_lo, s0, v38
	v_add_nc_u32_e32 v15, s3, v13
	v_ashrrev_i32_e32 v10, 31, v9
	v_add_co_ci_u32_e32 v6, vcc_lo, s1, v39, vcc_lo
	v_lshlrev_b64 v[38:39], 2, v[7:8]
	s_delay_alu instid0(VALU_DEP_4) | instskip(SKIP_2) | instid1(VALU_DEP_3)
	v_add_nc_u32_e32 v17, s3, v15
	v_add_co_u32 v7, vcc_lo, s0, v41
	v_add_co_ci_u32_e32 v8, vcc_lo, s1, v42, vcc_lo
	v_add_nc_u32_e32 v19, s3, v17
	v_lshlrev_b64 v[41:42], 2, v[9:10]
	v_ashrrev_i32_e32 v12, 31, v11
	v_add_co_u32 v9, vcc_lo, s0, v38
	s_delay_alu instid0(VALU_DEP_4) | instskip(SKIP_3) | instid1(VALU_DEP_4)
	v_add_nc_u32_e32 v21, s3, v19
	v_ashrrev_i32_e32 v14, 31, v13
	v_add_co_ci_u32_e32 v10, vcc_lo, s1, v39, vcc_lo
	v_lshlrev_b64 v[38:39], 2, v[11:12]
	v_add_nc_u32_e32 v23, s3, v21
	v_add_co_u32 v11, vcc_lo, s0, v41
	v_add_co_ci_u32_e32 v12, vcc_lo, s1, v42, vcc_lo
	s_delay_alu instid0(VALU_DEP_3) | instskip(SKIP_3) | instid1(VALU_DEP_4)
	v_add_nc_u32_e32 v25, s3, v23
	v_lshlrev_b64 v[41:42], 2, v[13:14]
	v_ashrrev_i32_e32 v16, 31, v15
	v_add_co_u32 v13, vcc_lo, s0, v38
	v_add_nc_u32_e32 v27, s3, v25
	v_ashrrev_i32_e32 v18, 31, v17
	v_add_co_ci_u32_e32 v14, vcc_lo, s1, v39, vcc_lo
	v_lshlrev_b64 v[38:39], 2, v[15:16]
	s_delay_alu instid0(VALU_DEP_4) | instskip(SKIP_2) | instid1(VALU_DEP_3)
	v_add_nc_u32_e32 v29, s3, v27
	v_add_co_u32 v15, vcc_lo, s0, v41
	v_add_co_ci_u32_e32 v16, vcc_lo, s1, v42, vcc_lo
	v_add_nc_u32_e32 v31, s3, v29
	v_lshlrev_b64 v[41:42], 2, v[17:18]
	v_ashrrev_i32_e32 v20, 31, v19
	v_add_co_u32 v17, vcc_lo, s0, v38
	s_delay_alu instid0(VALU_DEP_4) | instskip(SKIP_3) | instid1(VALU_DEP_4)
	v_add_nc_u32_e32 v33, s3, v31
	v_ashrrev_i32_e32 v22, 31, v21
	v_add_co_ci_u32_e32 v18, vcc_lo, s1, v39, vcc_lo
	v_lshlrev_b64 v[38:39], 2, v[19:20]
	v_add_nc_u32_e32 v35, s3, v33
	v_add_co_u32 v19, vcc_lo, s0, v41
	v_add_co_ci_u32_e32 v20, vcc_lo, s1, v42, vcc_lo
	s_delay_alu instid0(VALU_DEP_3) | instskip(SKIP_3) | instid1(VALU_DEP_4)
	v_add_nc_u32_e32 v37, s3, v35
	v_lshlrev_b64 v[41:42], 2, v[21:22]
	v_ashrrev_i32_e32 v24, 31, v23
	v_add_co_u32 v21, vcc_lo, s0, v38
	v_add_nc_u32_e32 v40, s3, v37
	v_ashrrev_i32_e32 v26, 31, v25
	v_add_co_ci_u32_e32 v22, vcc_lo, s1, v39, vcc_lo
	v_lshlrev_b64 v[38:39], 2, v[23:24]
	s_delay_alu instid0(VALU_DEP_4) | instskip(SKIP_2) | instid1(VALU_DEP_3)
	v_add_nc_u32_e32 v43, s3, v40
	v_add_co_u32 v23, vcc_lo, s0, v41
	v_add_co_ci_u32_e32 v24, vcc_lo, s1, v42, vcc_lo
	v_add_nc_u32_e32 v45, s3, v43
	v_lshlrev_b64 v[41:42], 2, v[25:26]
	v_ashrrev_i32_e32 v28, 31, v27
	v_add_co_u32 v25, vcc_lo, s0, v38
	s_delay_alu instid0(VALU_DEP_4) | instskip(SKIP_3) | instid1(VALU_DEP_4)
	v_add_nc_u32_e32 v47, s3, v45
	v_ashrrev_i32_e32 v30, 31, v29
	v_add_co_ci_u32_e32 v26, vcc_lo, s1, v39, vcc_lo
	v_lshlrev_b64 v[38:39], 2, v[27:28]
	v_add_nc_u32_e32 v49, s3, v47
	v_add_co_u32 v27, vcc_lo, s0, v41
	v_add_co_ci_u32_e32 v28, vcc_lo, s1, v42, vcc_lo
	s_delay_alu instid0(VALU_DEP_3) | instskip(SKIP_3) | instid1(VALU_DEP_4)
	v_add_nc_u32_e32 v51, s3, v49
	v_lshlrev_b64 v[41:42], 2, v[29:30]
	v_ashrrev_i32_e32 v32, 31, v31
	v_add_co_u32 v29, vcc_lo, s0, v38
	v_add_nc_u32_e32 v53, s3, v51
	v_ashrrev_i32_e32 v34, 31, v33
	v_add_co_ci_u32_e32 v30, vcc_lo, s1, v39, vcc_lo
	v_lshlrev_b64 v[38:39], 2, v[31:32]
	s_delay_alu instid0(VALU_DEP_4) | instskip(SKIP_2) | instid1(VALU_DEP_3)
	v_add_nc_u32_e32 v55, s3, v53
	v_add_co_u32 v31, vcc_lo, s0, v41
	v_add_co_ci_u32_e32 v32, vcc_lo, s1, v42, vcc_lo
	v_add_nc_u32_e32 v57, s3, v55
	v_lshlrev_b64 v[41:42], 2, v[33:34]
	v_ashrrev_i32_e32 v36, 31, v35
	v_add_co_u32 v33, vcc_lo, s0, v38
	s_delay_alu instid0(VALU_DEP_4) | instskip(SKIP_3) | instid1(VALU_DEP_4)
	v_add_nc_u32_e32 v59, s3, v57
	v_ashrrev_i32_e32 v38, 31, v37
	v_add_co_ci_u32_e32 v34, vcc_lo, s1, v39, vcc_lo
	v_lshlrev_b64 v[66:67], 2, v[35:36]
	v_add_nc_u32_e32 v61, s3, v59
	v_add_co_u32 v35, vcc_lo, s0, v41
	v_ashrrev_i32_e32 v41, 31, v40
	v_lshlrev_b64 v[80:81], 2, v[37:38]
	s_delay_alu instid0(VALU_DEP_4) | instskip(SKIP_3) | instid1(VALU_DEP_4)
	v_add_nc_u32_e32 v63, s3, v61
	v_ashrrev_i32_e32 v44, 31, v43
	v_add_co_ci_u32_e32 v36, vcc_lo, s1, v42, vcc_lo
	v_add_co_u32 v37, vcc_lo, s0, v66
	v_add_nc_u32_e32 v65, s3, v63
	v_lshlrev_b64 v[41:42], 2, v[40:41]
	v_ashrrev_i32_e32 v46, 31, v45
	v_add_co_ci_u32_e32 v38, vcc_lo, s1, v67, vcc_lo
	s_delay_alu instid0(VALU_DEP_4) | instskip(SKIP_3) | instid1(VALU_DEP_4)
	v_add_nc_u32_e32 v69, s3, v65
	v_add_co_u32 v39, vcc_lo, s0, v80
	v_lshlrev_b64 v[43:44], 2, v[43:44]
	v_ashrrev_i32_e32 v48, 31, v47
	v_add_nc_u32_e32 v71, s3, v69
	v_add_co_ci_u32_e32 v40, vcc_lo, s1, v81, vcc_lo
	v_add_co_u32 v41, vcc_lo, s0, v41
	s_delay_alu instid0(VALU_DEP_3) | instskip(SKIP_3) | instid1(VALU_DEP_4)
	v_add_nc_u32_e32 v73, s3, v71
	v_lshlrev_b64 v[45:46], 2, v[45:46]
	v_ashrrev_i32_e32 v50, 31, v49
	v_add_co_ci_u32_e32 v42, vcc_lo, s1, v42, vcc_lo
	v_add_nc_u32_e32 v75, s3, v73
	v_add_co_u32 v43, vcc_lo, s0, v43
	v_lshlrev_b64 v[47:48], 2, v[47:48]
	v_ashrrev_i32_e32 v52, 31, v51
	s_delay_alu instid0(VALU_DEP_4) | instskip(SKIP_2) | instid1(VALU_DEP_3)
	v_add_nc_u32_e32 v77, s3, v75
	v_add_co_ci_u32_e32 v44, vcc_lo, s1, v44, vcc_lo
	v_add_co_u32 v45, vcc_lo, s0, v45
	v_add_nc_u32_e32 v79, s3, v77
	v_lshlrev_b64 v[49:50], 2, v[49:50]
	v_add_co_ci_u32_e32 v46, vcc_lo, s1, v46, vcc_lo
	v_add_co_u32 v47, vcc_lo, s0, v47
	s_delay_alu instid0(VALU_DEP_4) | instskip(SKIP_3) | instid1(VALU_DEP_4)
	v_add_nc_u32_e32 v82, s3, v79
	v_lshlrev_b64 v[51:52], 2, v[51:52]
	v_ashrrev_i32_e32 v54, 31, v53
	v_add_co_ci_u32_e32 v48, vcc_lo, s1, v48, vcc_lo
	v_add_nc_u32_e32 v84, s3, v82
	v_add_co_u32 v49, vcc_lo, s0, v49
	v_ashrrev_i32_e32 v56, 31, v55
	v_add_co_ci_u32_e32 v50, vcc_lo, s1, v50, vcc_lo
	s_delay_alu instid0(VALU_DEP_4) | instskip(SKIP_3) | instid1(VALU_DEP_4)
	v_add_nc_u32_e32 v86, s3, v84
	v_lshlrev_b64 v[80:81], 2, v[53:54]
	v_add_co_u32 v53, vcc_lo, s0, v51
	v_ashrrev_i32_e32 v58, 31, v57
	v_add_nc_u32_e32 v88, s3, v86
	v_add_co_ci_u32_e32 v54, vcc_lo, s1, v52, vcc_lo
	v_lshlrev_b64 v[91:92], 2, v[55:56]
	v_ashrrev_i32_e32 v60, 31, v59
	s_delay_alu instid0(VALU_DEP_4)
	v_add_nc_u32_e32 v90, s3, v88
	v_ashrrev_i32_e32 v62, 31, v61
	v_ashrrev_i32_e32 v64, 31, v63
	;; [unrolled: 1-line block ×4, first 2 shown]
	v_add_nc_u32_e32 v135, s3, v90
	v_ashrrev_i32_e32 v74, 31, v73
	v_ashrrev_i32_e32 v76, 31, v75
	v_lshlrev_b64 v[69:70], 2, v[69:70]
	v_lshlrev_b64 v[71:72], 2, v[71:72]
	v_add_nc_u32_e32 v66, s3, v135
	v_lshlrev_b64 v[73:74], 2, v[73:74]
	v_ashrrev_i32_e32 v78, 31, v77
	v_lshlrev_b64 v[75:76], 2, v[75:76]
	v_ashrrev_i32_e32 v83, 31, v82
	v_ashrrev_i32_e32 v67, 31, v66
	;; [unrolled: 1-line block ×3, first 2 shown]
	v_lshlrev_b64 v[77:78], 2, v[77:78]
	v_ashrrev_i32_e32 v87, 31, v86
	v_ashrrev_i32_e32 v89, 31, v88
	v_lshlrev_b64 v[66:67], 2, v[66:67]
	v_ashrrev_i32_e32 v136, 31, v135
	s_clause 0x18
	global_load_b32 v94, v93, s[0:1]
	global_load_b32 v95, v[3:4], off
	global_load_b32 v96, v[5:6], off
	;; [unrolled: 1-line block ×24, first 2 shown]
	v_add_co_u32 v51, vcc_lo, s0, v66
	v_add_co_ci_u32_e32 v52, vcc_lo, s1, v67, vcc_lo
	v_add_co_u32 v55, vcc_lo, s0, v80
	v_lshlrev_b64 v[66:67], 2, v[57:58]
	v_add_co_ci_u32_e32 v56, vcc_lo, s1, v81, vcc_lo
	v_add_co_u32 v57, vcc_lo, s0, v91
	v_add_co_ci_u32_e32 v58, vcc_lo, s1, v92, vcc_lo
	v_lshlrev_b64 v[80:81], 2, v[59:60]
	v_add_co_u32 v59, vcc_lo, s0, v66
	v_add_co_ci_u32_e32 v60, vcc_lo, s1, v67, vcc_lo
	v_lshlrev_b64 v[67:68], 2, v[61:62]
	s_delay_alu instid0(VALU_DEP_4)
	v_add_co_u32 v61, vcc_lo, s0, v80
	v_ashrrev_i32_e32 v66, 31, v65
	v_add_co_ci_u32_e32 v62, vcc_lo, s1, v81, vcc_lo
	v_lshlrev_b64 v[80:81], 2, v[63:64]
	v_add_co_u32 v63, vcc_lo, s0, v67
	v_add_co_ci_u32_e32 v64, vcc_lo, s1, v68, vcc_lo
	v_lshlrev_b64 v[67:68], 2, v[65:66]
	s_delay_alu instid0(VALU_DEP_4) | instskip(SKIP_2) | instid1(VALU_DEP_4)
	v_add_co_u32 v65, vcc_lo, s0, v80
	v_add_co_ci_u32_e32 v66, vcc_lo, s1, v81, vcc_lo
	v_ashrrev_i32_e32 v80, 31, v79
	v_add_co_u32 v67, vcc_lo, s0, v67
	v_add_co_ci_u32_e32 v68, vcc_lo, s1, v68, vcc_lo
	v_add_co_u32 v69, vcc_lo, s0, v69
	v_add_co_ci_u32_e32 v70, vcc_lo, s1, v70, vcc_lo
	;; [unrolled: 2-line block ×4, first 2 shown]
	v_add_co_u32 v75, vcc_lo, s0, v75
	v_lshlrev_b64 v[79:80], 2, v[79:80]
	v_add_co_ci_u32_e32 v76, vcc_lo, s1, v76, vcc_lo
	v_add_co_u32 v77, vcc_lo, s0, v77
	v_lshlrev_b64 v[81:82], 2, v[82:83]
	v_add_co_ci_u32_e32 v78, vcc_lo, s1, v78, vcc_lo
	;; [unrolled: 3-line block ×3, first 2 shown]
	v_add_co_u32 v81, vcc_lo, s0, v81
	v_lshlrev_b64 v[85:86], 2, v[86:87]
	v_ashrrev_i32_e32 v91, 31, v90
	v_add_co_ci_u32_e32 v82, vcc_lo, s1, v82, vcc_lo
	v_add_co_u32 v83, vcc_lo, s0, v83
	v_lshlrev_b64 v[87:88], 2, v[88:89]
	v_add_co_ci_u32_e32 v84, vcc_lo, s1, v84, vcc_lo
	v_add_co_u32 v85, vcc_lo, s0, v85
	v_lshlrev_b64 v[89:90], 2, v[90:91]
	;; [unrolled: 3-line block ×3, first 2 shown]
	v_add_co_ci_u32_e32 v88, vcc_lo, s1, v88, vcc_lo
	v_add_co_u32 v89, vcc_lo, s0, v89
	v_add_co_ci_u32_e32 v90, vcc_lo, s1, v90, vcc_lo
	s_delay_alu instid0(VALU_DEP_4)
	v_add_co_u32 v91, vcc_lo, s0, v91
	v_add_co_ci_u32_e32 v92, vcc_lo, s1, v92, vcc_lo
	s_clause 0x14
	global_load_b32 v119, v[53:54], off
	global_load_b32 v120, v[55:56], off
	;; [unrolled: 1-line block ×21, first 2 shown]
	s_bitcmp0_b32 s17, 0
	s_mov_b32 s1, -1
	s_waitcnt vmcnt(42)
	scratch_store_b128 off, v[94:97], off
	s_waitcnt vmcnt(38)
	scratch_store_b128 off, v[98:101], off offset:16
	s_waitcnt vmcnt(34)
	scratch_store_b128 off, v[102:105], off offset:32
	;; [unrolled: 2-line block ×10, first 2 shown]
	s_waitcnt vmcnt(0)
	scratch_store_b64 off, v[138:139], off offset:176
	s_cbranch_scc1 .LBB45_190
; %bb.4:
	v_cmp_eq_u32_e64 s0, 0, v0
	s_delay_alu instid0(VALU_DEP_1)
	s_and_saveexec_b32 s1, s0
	s_cbranch_execz .LBB45_6
; %bb.5:
	v_mov_b32_e32 v94, 0
	ds_store_b32 v94, v94 offset:184
.LBB45_6:
	s_or_b32 exec_lo, exec_lo, s1
	s_waitcnt lgkmcnt(0)
	s_waitcnt_vscnt null, 0x0
	s_barrier
	buffer_gl0_inv
	scratch_load_b32 v94, v93, off
	s_mov_b32 s2, exec_lo
	s_waitcnt vmcnt(0)
	v_cmpx_eq_f32_e32 0, v94
	s_cbranch_execz .LBB45_10
; %bb.7:
	v_mov_b32_e32 v94, 0
	s_mov_b32 s3, 0
	ds_load_b32 v95, v94 offset:184
	s_waitcnt lgkmcnt(0)
	v_readfirstlane_b32 s1, v95
	v_add_nc_u32_e32 v95, 1, v0
	s_delay_alu instid0(VALU_DEP_2) | instskip(NEXT) | instid1(VALU_DEP_1)
	s_cmp_eq_u32 s1, 0
	v_cmp_gt_i32_e32 vcc_lo, s1, v95
	s_cselect_b32 s4, -1, 0
	s_delay_alu instid0(SALU_CYCLE_1) | instskip(NEXT) | instid1(SALU_CYCLE_1)
	s_or_b32 s4, s4, vcc_lo
	s_and_b32 exec_lo, exec_lo, s4
	s_cbranch_execz .LBB45_10
; %bb.8:
	v_mov_b32_e32 v96, s1
.LBB45_9:                               ; =>This Inner Loop Header: Depth=1
	ds_cmpstore_rtn_b32 v96, v94, v95, v96 offset:184
	s_waitcnt lgkmcnt(0)
	v_cmp_ne_u32_e32 vcc_lo, 0, v96
	v_cmp_le_i32_e64 s1, v96, v95
	s_delay_alu instid0(VALU_DEP_1) | instskip(NEXT) | instid1(SALU_CYCLE_1)
	s_and_b32 s1, vcc_lo, s1
	s_and_b32 s1, exec_lo, s1
	s_delay_alu instid0(SALU_CYCLE_1) | instskip(NEXT) | instid1(SALU_CYCLE_1)
	s_or_b32 s3, s1, s3
	s_and_not1_b32 exec_lo, exec_lo, s3
	s_cbranch_execnz .LBB45_9
.LBB45_10:
	s_or_b32 exec_lo, exec_lo, s2
	v_mov_b32_e32 v94, 0
	s_barrier
	buffer_gl0_inv
	ds_load_b32 v95, v94 offset:184
	s_and_saveexec_b32 s1, s0
	s_cbranch_execz .LBB45_12
; %bb.11:
	s_lshl_b64 s[2:3], s[14:15], 2
	s_delay_alu instid0(SALU_CYCLE_1)
	s_add_u32 s2, s6, s2
	s_addc_u32 s3, s7, s3
	s_waitcnt lgkmcnt(0)
	global_store_b32 v94, v95, s[2:3]
.LBB45_12:
	s_or_b32 exec_lo, exec_lo, s1
	s_waitcnt lgkmcnt(0)
	v_cmp_ne_u32_e32 vcc_lo, 0, v95
	s_mov_b32 s1, 0
	s_cbranch_vccnz .LBB45_190
; %bb.13:
	v_add_nc_u32_e32 v94, 0, v93
	scratch_load_b32 v95, v94, off
	s_waitcnt vmcnt(0)
	v_div_scale_f32 v96, null, v95, v95, 1.0
	v_div_scale_f32 v99, vcc_lo, 1.0, v95, 1.0
	s_delay_alu instid0(VALU_DEP_2) | instskip(SKIP_2) | instid1(VALU_DEP_1)
	v_rcp_f32_e32 v97, v96
	s_waitcnt_depctr 0xfff
	v_fma_f32 v98, -v96, v97, 1.0
	v_fmac_f32_e32 v97, v98, v97
	s_delay_alu instid0(VALU_DEP_1) | instskip(NEXT) | instid1(VALU_DEP_1)
	v_mul_f32_e32 v98, v99, v97
	v_fma_f32 v100, -v96, v98, v99
	s_delay_alu instid0(VALU_DEP_1) | instskip(NEXT) | instid1(VALU_DEP_1)
	v_fmac_f32_e32 v98, v100, v97
	v_fma_f32 v96, -v96, v98, v99
	s_delay_alu instid0(VALU_DEP_1) | instskip(NEXT) | instid1(VALU_DEP_1)
	v_div_fmas_f32 v96, v96, v97, v98
	v_div_fixup_f32 v95, v96, v95, 1.0
	scratch_store_b32 v94, v95, off
	scratch_load_b32 v96, off, off offset:4
	v_xor_b32_e32 v97, 0x80000000, v95
	v_add_nc_u32_e32 v95, 0xc0, v93
	s_waitcnt vmcnt(0)
	ds_store_2addr_b32 v93, v97, v96 offset1:48
	s_waitcnt lgkmcnt(0)
	s_waitcnt_vscnt null, 0x0
	s_barrier
	buffer_gl0_inv
	s_and_saveexec_b32 s1, s0
	s_cbranch_execz .LBB45_15
; %bb.14:
	scratch_load_b32 v96, v94, off
	ds_load_b32 v97, v95
	v_mov_b32_e32 v98, 0
	ds_load_b32 v98, v98 offset:4
	s_waitcnt vmcnt(0) lgkmcnt(1)
	v_fma_f32 v96, v96, v97, 0
	s_waitcnt lgkmcnt(0)
	s_delay_alu instid0(VALU_DEP_1)
	v_mul_f32_e32 v96, v96, v98
	scratch_store_b32 off, v96, off offset:4
.LBB45_15:
	s_or_b32 exec_lo, exec_lo, s1
	s_waitcnt_vscnt null, 0x0
	s_barrier
	buffer_gl0_inv
	scratch_load_b32 v96, off, off offset:8
	s_mov_b32 s1, exec_lo
	s_waitcnt vmcnt(0)
	ds_store_b32 v95, v96
	s_waitcnt lgkmcnt(0)
	s_barrier
	buffer_gl0_inv
	v_cmpx_gt_u32_e32 2, v0
	s_cbranch_execz .LBB45_17
; %bb.16:
	scratch_load_b32 v98, v94, off
	scratch_load_b32 v99, off, off offset:4
	ds_load_b32 v100, v95
	v_mov_b32_e32 v96, 0
	ds_load_2addr_b32 v[96:97], v96 offset0:2 offset1:49
	s_waitcnt vmcnt(1) lgkmcnt(1)
	v_fma_f32 v98, v98, v100, 0
	s_waitcnt vmcnt(0) lgkmcnt(0)
	s_delay_alu instid0(VALU_DEP_1) | instskip(NEXT) | instid1(VALU_DEP_1)
	v_fma_f32 v97, v99, v97, v98
	v_cndmask_b32_e64 v97, v98, v97, s0
	s_delay_alu instid0(VALU_DEP_1)
	v_mul_f32_e32 v96, v97, v96
	scratch_store_b32 off, v96, off offset:8
.LBB45_17:
	s_or_b32 exec_lo, exec_lo, s1
	s_waitcnt_vscnt null, 0x0
	s_barrier
	buffer_gl0_inv
	scratch_load_b32 v97, off, off offset:12
	v_add_nc_u32_e32 v96, -1, v0
	s_mov_b32 s0, exec_lo
	s_waitcnt vmcnt(0)
	ds_store_b32 v95, v97
	s_waitcnt lgkmcnt(0)
	s_barrier
	buffer_gl0_inv
	v_cmpx_gt_u32_e32 3, v0
	s_cbranch_execz .LBB45_21
; %bb.18:
	v_dual_mov_b32 v97, 0 :: v_dual_add_nc_u32 v98, -1, v0
	v_add_nc_u32_e32 v99, 0xc0, v93
	v_add_nc_u32_e32 v100, 0, v93
	s_mov_b32 s1, 0
.LBB45_19:                              ; =>This Inner Loop Header: Depth=1
	scratch_load_b32 v101, v100, off
	ds_load_b32 v102, v99
	v_add_nc_u32_e32 v98, 1, v98
	v_add_nc_u32_e32 v99, 4, v99
	v_add_nc_u32_e32 v100, 4, v100
	s_delay_alu instid0(VALU_DEP_3)
	v_cmp_lt_u32_e32 vcc_lo, 1, v98
	s_or_b32 s1, vcc_lo, s1
	s_waitcnt vmcnt(0) lgkmcnt(0)
	v_fmac_f32_e32 v97, v101, v102
	s_and_not1_b32 exec_lo, exec_lo, s1
	s_cbranch_execnz .LBB45_19
; %bb.20:
	s_or_b32 exec_lo, exec_lo, s1
	v_mov_b32_e32 v98, 0
	ds_load_b32 v98, v98 offset:12
	s_waitcnt lgkmcnt(0)
	v_mul_f32_e32 v97, v97, v98
	scratch_store_b32 off, v97, off offset:12
.LBB45_21:
	s_or_b32 exec_lo, exec_lo, s0
	s_waitcnt_vscnt null, 0x0
	s_barrier
	buffer_gl0_inv
	scratch_load_b32 v97, off, off offset:16
	s_mov_b32 s0, exec_lo
	s_waitcnt vmcnt(0)
	ds_store_b32 v95, v97
	s_waitcnt lgkmcnt(0)
	s_barrier
	buffer_gl0_inv
	v_cmpx_gt_u32_e32 4, v0
	s_cbranch_execz .LBB45_25
; %bb.22:
	v_dual_mov_b32 v97, 0 :: v_dual_add_nc_u32 v98, -1, v0
	v_add_nc_u32_e32 v99, 0xc0, v93
	v_add_nc_u32_e32 v100, 0, v93
	s_mov_b32 s1, 0
.LBB45_23:                              ; =>This Inner Loop Header: Depth=1
	scratch_load_b32 v101, v100, off
	ds_load_b32 v102, v99
	v_add_nc_u32_e32 v98, 1, v98
	v_add_nc_u32_e32 v99, 4, v99
	v_add_nc_u32_e32 v100, 4, v100
	s_delay_alu instid0(VALU_DEP_3)
	v_cmp_lt_u32_e32 vcc_lo, 2, v98
	s_or_b32 s1, vcc_lo, s1
	s_waitcnt vmcnt(0) lgkmcnt(0)
	v_fmac_f32_e32 v97, v101, v102
	s_and_not1_b32 exec_lo, exec_lo, s1
	s_cbranch_execnz .LBB45_23
; %bb.24:
	s_or_b32 exec_lo, exec_lo, s1
	v_mov_b32_e32 v98, 0
	ds_load_b32 v98, v98 offset:16
	s_waitcnt lgkmcnt(0)
	v_mul_f32_e32 v97, v97, v98
	scratch_store_b32 off, v97, off offset:16
.LBB45_25:
	s_or_b32 exec_lo, exec_lo, s0
	s_waitcnt_vscnt null, 0x0
	s_barrier
	buffer_gl0_inv
	scratch_load_b32 v97, off, off offset:20
	;; [unrolled: 39-line block ×21, first 2 shown]
	s_mov_b32 s0, exec_lo
	s_waitcnt vmcnt(0)
	ds_store_b32 v95, v97
	s_waitcnt lgkmcnt(0)
	s_barrier
	buffer_gl0_inv
	v_cmpx_gt_u32_e32 24, v0
	s_cbranch_execz .LBB45_105
; %bb.102:
	v_dual_mov_b32 v97, 0 :: v_dual_add_nc_u32 v98, -1, v0
	v_add_nc_u32_e32 v99, 0xc0, v93
	v_add_nc_u32_e32 v100, 0, v93
	s_mov_b32 s1, 0
.LBB45_103:                             ; =>This Inner Loop Header: Depth=1
	scratch_load_b32 v101, v100, off
	ds_load_b32 v102, v99
	v_add_nc_u32_e32 v98, 1, v98
	v_add_nc_u32_e32 v99, 4, v99
	v_add_nc_u32_e32 v100, 4, v100
	s_delay_alu instid0(VALU_DEP_3)
	v_cmp_lt_u32_e32 vcc_lo, 22, v98
	s_or_b32 s1, vcc_lo, s1
	s_waitcnt vmcnt(0) lgkmcnt(0)
	v_fmac_f32_e32 v97, v101, v102
	s_and_not1_b32 exec_lo, exec_lo, s1
	s_cbranch_execnz .LBB45_103
; %bb.104:
	s_or_b32 exec_lo, exec_lo, s1
	v_mov_b32_e32 v98, 0
	ds_load_b32 v98, v98 offset:96
	s_waitcnt lgkmcnt(0)
	v_mul_f32_e32 v97, v97, v98
	scratch_store_b32 off, v97, off offset:96
.LBB45_105:
	s_or_b32 exec_lo, exec_lo, s0
	s_waitcnt_vscnt null, 0x0
	s_barrier
	buffer_gl0_inv
	scratch_load_b32 v97, off, off offset:100
	s_mov_b32 s0, exec_lo
	s_waitcnt vmcnt(0)
	ds_store_b32 v95, v97
	s_waitcnt lgkmcnt(0)
	s_barrier
	buffer_gl0_inv
	v_cmpx_gt_u32_e32 25, v0
	s_cbranch_execz .LBB45_109
; %bb.106:
	v_dual_mov_b32 v97, 0 :: v_dual_add_nc_u32 v98, -1, v0
	v_add_nc_u32_e32 v99, 0xc0, v93
	v_add_nc_u32_e32 v100, 0, v93
	s_mov_b32 s1, 0
.LBB45_107:                             ; =>This Inner Loop Header: Depth=1
	scratch_load_b32 v101, v100, off
	ds_load_b32 v102, v99
	v_add_nc_u32_e32 v98, 1, v98
	v_add_nc_u32_e32 v99, 4, v99
	v_add_nc_u32_e32 v100, 4, v100
	s_delay_alu instid0(VALU_DEP_3)
	v_cmp_lt_u32_e32 vcc_lo, 23, v98
	s_or_b32 s1, vcc_lo, s1
	s_waitcnt vmcnt(0) lgkmcnt(0)
	v_fmac_f32_e32 v97, v101, v102
	s_and_not1_b32 exec_lo, exec_lo, s1
	s_cbranch_execnz .LBB45_107
; %bb.108:
	s_or_b32 exec_lo, exec_lo, s1
	v_mov_b32_e32 v98, 0
	ds_load_b32 v98, v98 offset:100
	s_waitcnt lgkmcnt(0)
	v_mul_f32_e32 v97, v97, v98
	scratch_store_b32 off, v97, off offset:100
.LBB45_109:
	s_or_b32 exec_lo, exec_lo, s0
	s_waitcnt_vscnt null, 0x0
	s_barrier
	buffer_gl0_inv
	scratch_load_b32 v97, off, off offset:104
	;; [unrolled: 39-line block ×20, first 2 shown]
	s_mov_b32 s0, exec_lo
	s_waitcnt vmcnt(0)
	ds_store_b32 v95, v97
	s_waitcnt lgkmcnt(0)
	s_barrier
	buffer_gl0_inv
	v_cmpx_gt_u32_e32 44, v0
	s_cbranch_execz .LBB45_185
; %bb.182:
	v_add_nc_u32_e32 v97, -1, v0
	v_add_nc_u32_e32 v98, 0xc0, v93
	v_add_nc_u32_e32 v99, 0, v93
	v_mov_b32_e32 v93, 0
	s_mov_b32 s1, 0
.LBB45_183:                             ; =>This Inner Loop Header: Depth=1
	scratch_load_b32 v100, v99, off
	ds_load_b32 v101, v98
	v_add_nc_u32_e32 v97, 1, v97
	v_add_nc_u32_e32 v98, 4, v98
	;; [unrolled: 1-line block ×3, first 2 shown]
	s_delay_alu instid0(VALU_DEP_3)
	v_cmp_lt_u32_e32 vcc_lo, 42, v97
	s_or_b32 s1, vcc_lo, s1
	s_waitcnt vmcnt(0) lgkmcnt(0)
	v_fmac_f32_e32 v93, v100, v101
	s_and_not1_b32 exec_lo, exec_lo, s1
	s_cbranch_execnz .LBB45_183
; %bb.184:
	s_or_b32 exec_lo, exec_lo, s1
	v_mov_b32_e32 v97, 0
	ds_load_b32 v97, v97 offset:176
	s_waitcnt lgkmcnt(0)
	v_mul_f32_e32 v93, v93, v97
	scratch_store_b32 off, v93, off offset:176
.LBB45_185:
	s_or_b32 exec_lo, exec_lo, s0
	s_waitcnt_vscnt null, 0x0
	s_barrier
	buffer_gl0_inv
	scratch_load_b32 v93, off, off offset:180
	s_mov_b32 s0, exec_lo
	s_waitcnt vmcnt(0)
	ds_store_b32 v95, v93
	s_waitcnt lgkmcnt(0)
	s_barrier
	buffer_gl0_inv
	v_cmpx_ne_u32_e32 45, v0
	s_cbranch_execz .LBB45_189
; %bb.186:
	v_mov_b32_e32 v93, 0
	s_mov_b32 s1, 0
.LBB45_187:                             ; =>This Inner Loop Header: Depth=1
	scratch_load_b32 v97, v94, off
	ds_load_b32 v98, v95
	v_add_nc_u32_e32 v96, 1, v96
	v_add_nc_u32_e32 v95, 4, v95
	;; [unrolled: 1-line block ×3, first 2 shown]
	s_waitcnt vmcnt(0) lgkmcnt(0)
	v_fmac_f32_e32 v93, v97, v98
	v_cmp_lt_u32_e32 vcc_lo, 43, v96
	s_or_b32 s1, vcc_lo, s1
	s_delay_alu instid0(SALU_CYCLE_1)
	s_and_not1_b32 exec_lo, exec_lo, s1
	s_cbranch_execnz .LBB45_187
; %bb.188:
	s_or_b32 exec_lo, exec_lo, s1
	v_mov_b32_e32 v94, 0
	ds_load_b32 v94, v94 offset:180
	s_waitcnt lgkmcnt(0)
	v_mul_f32_e32 v93, v93, v94
	scratch_store_b32 off, v93, off offset:180
.LBB45_189:
	s_or_b32 exec_lo, exec_lo, s0
	s_mov_b32 s1, -1
	s_waitcnt_vscnt null, 0x0
	s_barrier
	buffer_gl0_inv
.LBB45_190:
	s_and_b32 vcc_lo, exec_lo, s1
	s_cbranch_vccz .LBB45_192
; %bb.191:
	s_lshl_b64 s[0:1], s[14:15], 2
	v_mov_b32_e32 v93, 0
	s_add_u32 s0, s6, s0
	s_addc_u32 s1, s7, s1
	global_load_b32 v93, v93, s[0:1]
	s_waitcnt vmcnt(0)
	v_cmp_ne_u32_e32 vcc_lo, 0, v93
	s_cbranch_vccz .LBB45_193
.LBB45_192:
	s_endpgm
.LBB45_193:
	v_lshl_add_u32 v93, v0, 2, 0xc0
	s_mov_b32 s0, exec_lo
	v_cmpx_eq_u32_e32 45, v0
	s_cbranch_execz .LBB45_195
; %bb.194:
	scratch_load_b32 v94, off, off offset:176
	v_mov_b32_e32 v95, 0
	scratch_store_b32 off, v95, off offset:176
	s_waitcnt vmcnt(0)
	ds_store_b32 v93, v94
.LBB45_195:
	s_or_b32 exec_lo, exec_lo, s0
	s_waitcnt lgkmcnt(0)
	s_waitcnt_vscnt null, 0x0
	s_barrier
	buffer_gl0_inv
	scratch_load_b64 v[95:96], off, off offset:176
	v_mov_b32_e32 v94, 0
	s_mov_b32 s0, exec_lo
	ds_load_b32 v97, v94 offset:372
	s_waitcnt vmcnt(0) lgkmcnt(0)
	v_fma_f32 v96, v96, v97, 0
	s_delay_alu instid0(VALU_DEP_1)
	v_sub_f32_e32 v95, v95, v96
	scratch_store_b32 off, v95, off offset:176
	v_cmpx_lt_u32_e32 43, v0
	s_cbranch_execz .LBB45_197
; %bb.196:
	scratch_load_b32 v95, off, off offset:172
	scratch_store_b32 off, v94, off offset:172
	s_waitcnt vmcnt(0)
	ds_store_b32 v93, v95
.LBB45_197:
	s_or_b32 exec_lo, exec_lo, s0
	s_waitcnt lgkmcnt(0)
	s_waitcnt_vscnt null, 0x0
	s_barrier
	buffer_gl0_inv
	scratch_load_b96 v[95:97], off, off offset:172
	ds_load_b64 v[98:99], v94 offset:368
	s_mov_b32 s0, exec_lo
	s_waitcnt vmcnt(0) lgkmcnt(0)
	v_fma_f32 v94, v96, v98, 0
	s_delay_alu instid0(VALU_DEP_1) | instskip(NEXT) | instid1(VALU_DEP_1)
	v_fmac_f32_e32 v94, v97, v99
	v_sub_f32_e32 v94, v95, v94
	scratch_store_b32 off, v94, off offset:172
	v_cmpx_lt_u32_e32 42, v0
	s_cbranch_execz .LBB45_199
; %bb.198:
	scratch_load_b32 v94, off, off offset:168
	v_mov_b32_e32 v95, 0
	scratch_store_b32 off, v95, off offset:168
	s_waitcnt vmcnt(0)
	ds_store_b32 v93, v94
.LBB45_199:
	s_or_b32 exec_lo, exec_lo, s0
	s_waitcnt lgkmcnt(0)
	s_waitcnt_vscnt null, 0x0
	s_barrier
	buffer_gl0_inv
	scratch_load_b128 v[95:98], off, off offset:168
	v_mov_b32_e32 v94, 0
	ds_load_2addr_b32 v[99:100], v94 offset0:91 offset1:92
	ds_load_b32 v101, v94 offset:372
	s_mov_b32 s0, exec_lo
	s_waitcnt vmcnt(0) lgkmcnt(1)
	v_fma_f32 v96, v96, v99, 0
	s_delay_alu instid0(VALU_DEP_1) | instskip(SKIP_1) | instid1(VALU_DEP_1)
	v_fmac_f32_e32 v96, v97, v100
	s_waitcnt lgkmcnt(0)
	v_fmac_f32_e32 v96, v98, v101
	s_delay_alu instid0(VALU_DEP_1)
	v_sub_f32_e32 v95, v95, v96
	scratch_store_b32 off, v95, off offset:168
	v_cmpx_lt_u32_e32 41, v0
	s_cbranch_execz .LBB45_201
; %bb.200:
	scratch_load_b32 v95, off, off offset:164
	scratch_store_b32 off, v94, off offset:164
	s_waitcnt vmcnt(0)
	ds_store_b32 v93, v95
.LBB45_201:
	s_or_b32 exec_lo, exec_lo, s0
	s_waitcnt lgkmcnt(0)
	s_waitcnt_vscnt null, 0x0
	s_barrier
	buffer_gl0_inv
	s_clause 0x1
	scratch_load_b128 v[95:98], off, off offset:164
	scratch_load_b32 v103, off, off offset:180
	ds_load_2addr_b64 v[99:102], v94 offset0:45 offset1:46
	s_mov_b32 s0, exec_lo
	s_waitcnt vmcnt(1) lgkmcnt(0)
	v_fma_f32 v94, v96, v99, 0
	s_delay_alu instid0(VALU_DEP_1) | instskip(NEXT) | instid1(VALU_DEP_1)
	v_fmac_f32_e32 v94, v97, v100
	v_fmac_f32_e32 v94, v98, v101
	s_waitcnt vmcnt(0)
	s_delay_alu instid0(VALU_DEP_1) | instskip(NEXT) | instid1(VALU_DEP_1)
	v_fmac_f32_e32 v94, v103, v102
	v_sub_f32_e32 v94, v95, v94
	scratch_store_b32 off, v94, off offset:164
	v_cmpx_lt_u32_e32 40, v0
	s_cbranch_execz .LBB45_203
; %bb.202:
	scratch_load_b32 v94, off, off offset:160
	v_mov_b32_e32 v95, 0
	scratch_store_b32 off, v95, off offset:160
	s_waitcnt vmcnt(0)
	ds_store_b32 v93, v94
.LBB45_203:
	s_or_b32 exec_lo, exec_lo, s0
	s_waitcnt lgkmcnt(0)
	s_waitcnt_vscnt null, 0x0
	s_barrier
	buffer_gl0_inv
	s_clause 0x1
	scratch_load_b128 v[95:98], off, off offset:160
	scratch_load_b64 v[99:100], off, off offset:176
	v_mov_b32_e32 v94, 0
	ds_load_2addr_b32 v[101:102], v94 offset0:89 offset1:90
	ds_load_2addr_b32 v[103:104], v94 offset0:91 offset1:92
	ds_load_b32 v105, v94 offset:372
	s_mov_b32 s0, exec_lo
	s_waitcnt vmcnt(1) lgkmcnt(2)
	v_fma_f32 v96, v96, v101, 0
	s_delay_alu instid0(VALU_DEP_1) | instskip(SKIP_1) | instid1(VALU_DEP_1)
	v_fmac_f32_e32 v96, v97, v102
	s_waitcnt lgkmcnt(1)
	v_fmac_f32_e32 v96, v98, v103
	s_waitcnt vmcnt(0)
	s_delay_alu instid0(VALU_DEP_1) | instskip(SKIP_1) | instid1(VALU_DEP_1)
	v_fmac_f32_e32 v96, v99, v104
	s_waitcnt lgkmcnt(0)
	v_fmac_f32_e32 v96, v100, v105
	s_delay_alu instid0(VALU_DEP_1)
	v_sub_f32_e32 v95, v95, v96
	scratch_store_b32 off, v95, off offset:160
	v_cmpx_lt_u32_e32 39, v0
	s_cbranch_execz .LBB45_205
; %bb.204:
	scratch_load_b32 v95, off, off offset:156
	scratch_store_b32 off, v94, off offset:156
	s_waitcnt vmcnt(0)
	ds_store_b32 v93, v95
.LBB45_205:
	s_or_b32 exec_lo, exec_lo, s0
	s_waitcnt lgkmcnt(0)
	s_waitcnt_vscnt null, 0x0
	s_barrier
	buffer_gl0_inv
	s_clause 0x1
	scratch_load_b128 v[95:98], off, off offset:156
	scratch_load_b96 v[103:105], off, off offset:172
	ds_load_b128 v[99:102], v94 offset:352
	ds_load_b64 v[106:107], v94 offset:368
	s_mov_b32 s0, exec_lo
	s_waitcnt vmcnt(1) lgkmcnt(1)
	v_fma_f32 v94, v96, v99, 0
	s_delay_alu instid0(VALU_DEP_1) | instskip(NEXT) | instid1(VALU_DEP_1)
	v_fmac_f32_e32 v94, v97, v100
	v_fmac_f32_e32 v94, v98, v101
	s_waitcnt vmcnt(0)
	s_delay_alu instid0(VALU_DEP_1) | instskip(SKIP_1) | instid1(VALU_DEP_1)
	v_fmac_f32_e32 v94, v103, v102
	s_waitcnt lgkmcnt(0)
	v_fmac_f32_e32 v94, v104, v106
	s_delay_alu instid0(VALU_DEP_1) | instskip(NEXT) | instid1(VALU_DEP_1)
	v_fmac_f32_e32 v94, v105, v107
	v_sub_f32_e32 v94, v95, v94
	scratch_store_b32 off, v94, off offset:156
	v_cmpx_lt_u32_e32 38, v0
	s_cbranch_execz .LBB45_207
; %bb.206:
	scratch_load_b32 v94, off, off offset:152
	v_mov_b32_e32 v95, 0
	scratch_store_b32 off, v95, off offset:152
	s_waitcnt vmcnt(0)
	ds_store_b32 v93, v94
.LBB45_207:
	s_or_b32 exec_lo, exec_lo, s0
	s_waitcnt lgkmcnt(0)
	s_waitcnt_vscnt null, 0x0
	s_barrier
	buffer_gl0_inv
	s_clause 0x1
	scratch_load_b128 v[95:98], off, off offset:152
	scratch_load_b128 v[99:102], off, off offset:168
	v_mov_b32_e32 v94, 0
	ds_load_2addr_b32 v[103:104], v94 offset0:87 offset1:88
	ds_load_2addr_b32 v[105:106], v94 offset0:89 offset1:90
	;; [unrolled: 1-line block ×3, first 2 shown]
	ds_load_b32 v109, v94 offset:372
	s_mov_b32 s0, exec_lo
	s_waitcnt vmcnt(1) lgkmcnt(3)
	v_fma_f32 v96, v96, v103, 0
	s_delay_alu instid0(VALU_DEP_1) | instskip(SKIP_1) | instid1(VALU_DEP_1)
	v_fmac_f32_e32 v96, v97, v104
	s_waitcnt lgkmcnt(2)
	v_fmac_f32_e32 v96, v98, v105
	s_waitcnt vmcnt(0)
	s_delay_alu instid0(VALU_DEP_1) | instskip(SKIP_1) | instid1(VALU_DEP_1)
	v_fmac_f32_e32 v96, v99, v106
	s_waitcnt lgkmcnt(1)
	v_fmac_f32_e32 v96, v100, v107
	s_delay_alu instid0(VALU_DEP_1) | instskip(SKIP_1) | instid1(VALU_DEP_1)
	v_fmac_f32_e32 v96, v101, v108
	s_waitcnt lgkmcnt(0)
	v_fmac_f32_e32 v96, v102, v109
	s_delay_alu instid0(VALU_DEP_1)
	v_sub_f32_e32 v95, v95, v96
	scratch_store_b32 off, v95, off offset:152
	v_cmpx_lt_u32_e32 37, v0
	s_cbranch_execz .LBB45_209
; %bb.208:
	scratch_load_b32 v95, off, off offset:148
	scratch_store_b32 off, v94, off offset:148
	s_waitcnt vmcnt(0)
	ds_store_b32 v93, v95
.LBB45_209:
	s_or_b32 exec_lo, exec_lo, s0
	s_waitcnt lgkmcnt(0)
	s_waitcnt_vscnt null, 0x0
	s_barrier
	buffer_gl0_inv
	s_clause 0x2
	scratch_load_b128 v[95:98], off, off offset:148
	scratch_load_b128 v[99:102], off, off offset:164
	scratch_load_b32 v111, off, off offset:180
	ds_load_2addr_b64 v[103:106], v94 offset0:43 offset1:44
	ds_load_2addr_b64 v[107:110], v94 offset0:45 offset1:46
	s_mov_b32 s0, exec_lo
	s_waitcnt vmcnt(2) lgkmcnt(1)
	v_fma_f32 v94, v96, v103, 0
	s_delay_alu instid0(VALU_DEP_1) | instskip(NEXT) | instid1(VALU_DEP_1)
	v_fmac_f32_e32 v94, v97, v104
	v_fmac_f32_e32 v94, v98, v105
	s_waitcnt vmcnt(1)
	s_delay_alu instid0(VALU_DEP_1) | instskip(SKIP_1) | instid1(VALU_DEP_1)
	v_fmac_f32_e32 v94, v99, v106
	s_waitcnt lgkmcnt(0)
	v_fmac_f32_e32 v94, v100, v107
	s_delay_alu instid0(VALU_DEP_1) | instskip(NEXT) | instid1(VALU_DEP_1)
	v_fmac_f32_e32 v94, v101, v108
	v_fmac_f32_e32 v94, v102, v109
	s_waitcnt vmcnt(0)
	s_delay_alu instid0(VALU_DEP_1) | instskip(NEXT) | instid1(VALU_DEP_1)
	v_fmac_f32_e32 v94, v111, v110
	v_sub_f32_e32 v94, v95, v94
	scratch_store_b32 off, v94, off offset:148
	v_cmpx_lt_u32_e32 36, v0
	s_cbranch_execz .LBB45_211
; %bb.210:
	scratch_load_b32 v94, off, off offset:144
	v_mov_b32_e32 v95, 0
	scratch_store_b32 off, v95, off offset:144
	s_waitcnt vmcnt(0)
	ds_store_b32 v93, v94
.LBB45_211:
	s_or_b32 exec_lo, exec_lo, s0
	s_waitcnt lgkmcnt(0)
	s_waitcnt_vscnt null, 0x0
	s_barrier
	buffer_gl0_inv
	s_clause 0x2
	scratch_load_b128 v[95:98], off, off offset:144
	scratch_load_b128 v[99:102], off, off offset:160
	scratch_load_b64 v[103:104], off, off offset:176
	v_mov_b32_e32 v94, 0
	ds_load_2addr_b32 v[105:106], v94 offset0:85 offset1:86
	ds_load_2addr_b32 v[107:108], v94 offset0:87 offset1:88
	;; [unrolled: 1-line block ×4, first 2 shown]
	s_mov_b32 s0, exec_lo
	s_waitcnt vmcnt(2) lgkmcnt(3)
	v_fma_f32 v96, v96, v105, 0
	s_delay_alu instid0(VALU_DEP_1) | instskip(SKIP_4) | instid1(VALU_DEP_1)
	v_fmac_f32_e32 v96, v97, v106
	ds_load_b32 v97, v94 offset:372
	s_waitcnt lgkmcnt(3)
	v_fmac_f32_e32 v96, v98, v107
	s_waitcnt vmcnt(1)
	v_fmac_f32_e32 v96, v99, v108
	s_waitcnt lgkmcnt(2)
	s_delay_alu instid0(VALU_DEP_1) | instskip(NEXT) | instid1(VALU_DEP_1)
	v_fmac_f32_e32 v96, v100, v109
	v_fmac_f32_e32 v96, v101, v110
	s_waitcnt lgkmcnt(1)
	s_delay_alu instid0(VALU_DEP_1) | instskip(SKIP_1) | instid1(VALU_DEP_1)
	v_fmac_f32_e32 v96, v102, v111
	s_waitcnt vmcnt(0)
	v_fmac_f32_e32 v96, v103, v112
	s_waitcnt lgkmcnt(0)
	s_delay_alu instid0(VALU_DEP_1) | instskip(NEXT) | instid1(VALU_DEP_1)
	v_fmac_f32_e32 v96, v104, v97
	v_sub_f32_e32 v95, v95, v96
	scratch_store_b32 off, v95, off offset:144
	v_cmpx_lt_u32_e32 35, v0
	s_cbranch_execz .LBB45_213
; %bb.212:
	scratch_load_b32 v95, off, off offset:140
	scratch_store_b32 off, v94, off offset:140
	s_waitcnt vmcnt(0)
	ds_store_b32 v93, v95
.LBB45_213:
	s_or_b32 exec_lo, exec_lo, s0
	s_waitcnt lgkmcnt(0)
	s_waitcnt_vscnt null, 0x0
	s_barrier
	buffer_gl0_inv
	s_clause 0x2
	scratch_load_b128 v[95:98], off, off offset:140
	scratch_load_b128 v[99:102], off, off offset:156
	scratch_load_b96 v[111:113], off, off offset:172
	ds_load_b128 v[103:106], v94 offset:336
	ds_load_b128 v[107:110], v94 offset:352
	s_mov_b32 s0, exec_lo
	s_waitcnt vmcnt(2) lgkmcnt(1)
	v_fma_f32 v103, v96, v103, 0
	s_delay_alu instid0(VALU_DEP_1) | instskip(SKIP_3) | instid1(VALU_DEP_1)
	v_fmac_f32_e32 v103, v97, v104
	ds_load_b64 v[96:97], v94 offset:368
	v_fmac_f32_e32 v103, v98, v105
	s_waitcnt vmcnt(1)
	v_fmac_f32_e32 v103, v99, v106
	s_waitcnt lgkmcnt(1)
	s_delay_alu instid0(VALU_DEP_1) | instskip(NEXT) | instid1(VALU_DEP_1)
	v_fmac_f32_e32 v103, v100, v107
	v_fmac_f32_e32 v103, v101, v108
	s_delay_alu instid0(VALU_DEP_1) | instskip(SKIP_1) | instid1(VALU_DEP_1)
	v_fmac_f32_e32 v103, v102, v109
	s_waitcnt vmcnt(0)
	v_fmac_f32_e32 v103, v111, v110
	s_waitcnt lgkmcnt(0)
	s_delay_alu instid0(VALU_DEP_1) | instskip(NEXT) | instid1(VALU_DEP_1)
	v_fmac_f32_e32 v103, v112, v96
	v_fmac_f32_e32 v103, v113, v97
	s_delay_alu instid0(VALU_DEP_1)
	v_sub_f32_e32 v94, v95, v103
	scratch_store_b32 off, v94, off offset:140
	v_cmpx_lt_u32_e32 34, v0
	s_cbranch_execz .LBB45_215
; %bb.214:
	scratch_load_b32 v94, off, off offset:136
	v_mov_b32_e32 v95, 0
	scratch_store_b32 off, v95, off offset:136
	s_waitcnt vmcnt(0)
	ds_store_b32 v93, v94
.LBB45_215:
	s_or_b32 exec_lo, exec_lo, s0
	s_waitcnt lgkmcnt(0)
	s_waitcnt_vscnt null, 0x0
	s_barrier
	buffer_gl0_inv
	s_clause 0x2
	scratch_load_b128 v[95:98], off, off offset:136
	scratch_load_b128 v[99:102], off, off offset:152
	;; [unrolled: 1-line block ×3, first 2 shown]
	v_mov_b32_e32 v94, 0
	ds_load_2addr_b32 v[107:108], v94 offset0:83 offset1:84
	ds_load_2addr_b32 v[109:110], v94 offset0:85 offset1:86
	;; [unrolled: 1-line block ×4, first 2 shown]
	s_mov_b32 s0, exec_lo
	s_waitcnt vmcnt(2) lgkmcnt(3)
	v_fma_f32 v107, v96, v107, 0
	s_delay_alu instid0(VALU_DEP_1)
	v_fmac_f32_e32 v107, v97, v108
	ds_load_2addr_b32 v[96:97], v94 offset0:91 offset1:92
	s_waitcnt lgkmcnt(3)
	v_fmac_f32_e32 v107, v98, v109
	ds_load_b32 v98, v94 offset:372
	s_waitcnt vmcnt(1)
	v_fmac_f32_e32 v107, v99, v110
	s_waitcnt lgkmcnt(3)
	s_delay_alu instid0(VALU_DEP_1) | instskip(NEXT) | instid1(VALU_DEP_1)
	v_fmac_f32_e32 v107, v100, v111
	v_fmac_f32_e32 v107, v101, v112
	s_waitcnt lgkmcnt(2)
	s_delay_alu instid0(VALU_DEP_1) | instskip(SKIP_1) | instid1(VALU_DEP_1)
	v_fmac_f32_e32 v107, v102, v113
	s_waitcnt vmcnt(0)
	v_fmac_f32_e32 v107, v103, v114
	s_waitcnt lgkmcnt(1)
	s_delay_alu instid0(VALU_DEP_1) | instskip(NEXT) | instid1(VALU_DEP_1)
	v_fmac_f32_e32 v107, v104, v96
	v_fmac_f32_e32 v107, v105, v97
	s_waitcnt lgkmcnt(0)
	s_delay_alu instid0(VALU_DEP_1) | instskip(NEXT) | instid1(VALU_DEP_1)
	v_fmac_f32_e32 v107, v106, v98
	v_sub_f32_e32 v95, v95, v107
	scratch_store_b32 off, v95, off offset:136
	v_cmpx_lt_u32_e32 33, v0
	s_cbranch_execz .LBB45_217
; %bb.216:
	scratch_load_b32 v95, off, off offset:132
	scratch_store_b32 off, v94, off offset:132
	s_waitcnt vmcnt(0)
	ds_store_b32 v93, v95
.LBB45_217:
	s_or_b32 exec_lo, exec_lo, s0
	s_waitcnt lgkmcnt(0)
	s_waitcnt_vscnt null, 0x0
	s_barrier
	buffer_gl0_inv
	s_clause 0x3
	scratch_load_b128 v[95:98], off, off offset:132
	scratch_load_b128 v[99:102], off, off offset:148
	;; [unrolled: 1-line block ×3, first 2 shown]
	scratch_load_b32 v115, off, off offset:180
	ds_load_2addr_b64 v[107:110], v94 offset0:41 offset1:42
	ds_load_2addr_b64 v[111:114], v94 offset0:43 offset1:44
	s_mov_b32 s0, exec_lo
	s_waitcnt vmcnt(3) lgkmcnt(1)
	v_fma_f32 v107, v96, v107, 0
	s_delay_alu instid0(VALU_DEP_1) | instskip(NEXT) | instid1(VALU_DEP_1)
	v_fmac_f32_e32 v107, v97, v108
	v_fmac_f32_e32 v107, v98, v109
	s_waitcnt vmcnt(2)
	s_delay_alu instid0(VALU_DEP_1) | instskip(SKIP_3) | instid1(VALU_DEP_1)
	v_fmac_f32_e32 v107, v99, v110
	ds_load_2addr_b64 v[96:99], v94 offset0:45 offset1:46
	s_waitcnt lgkmcnt(1)
	v_fmac_f32_e32 v107, v100, v111
	v_fmac_f32_e32 v107, v101, v112
	s_delay_alu instid0(VALU_DEP_1) | instskip(SKIP_1) | instid1(VALU_DEP_1)
	v_fmac_f32_e32 v107, v102, v113
	s_waitcnt vmcnt(1)
	v_fmac_f32_e32 v107, v103, v114
	s_waitcnt lgkmcnt(0)
	s_delay_alu instid0(VALU_DEP_1) | instskip(NEXT) | instid1(VALU_DEP_1)
	v_fmac_f32_e32 v107, v104, v96
	v_fmac_f32_e32 v107, v105, v97
	s_delay_alu instid0(VALU_DEP_1) | instskip(SKIP_1) | instid1(VALU_DEP_1)
	v_fmac_f32_e32 v107, v106, v98
	s_waitcnt vmcnt(0)
	v_fmac_f32_e32 v107, v115, v99
	s_delay_alu instid0(VALU_DEP_1)
	v_sub_f32_e32 v94, v95, v107
	scratch_store_b32 off, v94, off offset:132
	v_cmpx_lt_u32_e32 32, v0
	s_cbranch_execz .LBB45_219
; %bb.218:
	scratch_load_b32 v94, off, off offset:128
	v_mov_b32_e32 v95, 0
	scratch_store_b32 off, v95, off offset:128
	s_waitcnt vmcnt(0)
	ds_store_b32 v93, v94
.LBB45_219:
	s_or_b32 exec_lo, exec_lo, s0
	s_waitcnt lgkmcnt(0)
	s_waitcnt_vscnt null, 0x0
	s_barrier
	buffer_gl0_inv
	s_clause 0x3
	scratch_load_b128 v[95:98], off, off offset:128
	scratch_load_b128 v[99:102], off, off offset:144
	;; [unrolled: 1-line block ×3, first 2 shown]
	scratch_load_b64 v[107:108], off, off offset:176
	v_mov_b32_e32 v94, 0
	ds_load_2addr_b32 v[109:110], v94 offset0:81 offset1:82
	ds_load_2addr_b32 v[111:112], v94 offset0:83 offset1:84
	;; [unrolled: 1-line block ×4, first 2 shown]
	s_mov_b32 s0, exec_lo
	s_waitcnt vmcnt(3) lgkmcnt(3)
	v_fma_f32 v109, v96, v109, 0
	s_delay_alu instid0(VALU_DEP_1) | instskip(SKIP_4) | instid1(VALU_DEP_1)
	v_fmac_f32_e32 v109, v97, v110
	ds_load_2addr_b32 v[96:97], v94 offset0:89 offset1:90
	s_waitcnt lgkmcnt(3)
	v_fmac_f32_e32 v109, v98, v111
	s_waitcnt vmcnt(2)
	v_fmac_f32_e32 v109, v99, v112
	ds_load_2addr_b32 v[98:99], v94 offset0:91 offset1:92
	s_waitcnt lgkmcnt(3)
	v_fmac_f32_e32 v109, v100, v113
	ds_load_b32 v100, v94 offset:372
	v_fmac_f32_e32 v109, v101, v114
	s_waitcnt lgkmcnt(3)
	s_delay_alu instid0(VALU_DEP_1) | instskip(SKIP_1) | instid1(VALU_DEP_1)
	v_fmac_f32_e32 v109, v102, v115
	s_waitcnt vmcnt(1)
	v_fmac_f32_e32 v109, v103, v116
	s_waitcnt lgkmcnt(2)
	s_delay_alu instid0(VALU_DEP_1) | instskip(NEXT) | instid1(VALU_DEP_1)
	v_fmac_f32_e32 v109, v104, v96
	v_fmac_f32_e32 v109, v105, v97
	s_waitcnt lgkmcnt(1)
	s_delay_alu instid0(VALU_DEP_1) | instskip(SKIP_1) | instid1(VALU_DEP_1)
	v_fmac_f32_e32 v109, v106, v98
	s_waitcnt vmcnt(0)
	v_fmac_f32_e32 v109, v107, v99
	s_waitcnt lgkmcnt(0)
	s_delay_alu instid0(VALU_DEP_1) | instskip(NEXT) | instid1(VALU_DEP_1)
	v_fmac_f32_e32 v109, v108, v100
	v_sub_f32_e32 v95, v95, v109
	scratch_store_b32 off, v95, off offset:128
	v_cmpx_lt_u32_e32 31, v0
	s_cbranch_execz .LBB45_221
; %bb.220:
	scratch_load_b32 v95, off, off offset:124
	scratch_store_b32 off, v94, off offset:124
	s_waitcnt vmcnt(0)
	ds_store_b32 v93, v95
.LBB45_221:
	s_or_b32 exec_lo, exec_lo, s0
	s_waitcnt lgkmcnt(0)
	s_waitcnt_vscnt null, 0x0
	s_barrier
	buffer_gl0_inv
	s_clause 0x3
	scratch_load_b128 v[95:98], off, off offset:124
	scratch_load_b128 v[99:102], off, off offset:140
	;; [unrolled: 1-line block ×3, first 2 shown]
	scratch_load_b96 v[115:117], off, off offset:172
	ds_load_b128 v[107:110], v94 offset:320
	ds_load_b128 v[111:114], v94 offset:336
	s_mov_b32 s0, exec_lo
	s_waitcnt vmcnt(3) lgkmcnt(1)
	v_fma_f32 v107, v96, v107, 0
	s_delay_alu instid0(VALU_DEP_1) | instskip(NEXT) | instid1(VALU_DEP_1)
	v_fmac_f32_e32 v107, v97, v108
	v_fmac_f32_e32 v107, v98, v109
	s_waitcnt vmcnt(2)
	s_delay_alu instid0(VALU_DEP_1) | instskip(SKIP_3) | instid1(VALU_DEP_1)
	v_fmac_f32_e32 v107, v99, v110
	ds_load_b128 v[96:99], v94 offset:352
	s_waitcnt lgkmcnt(1)
	v_fmac_f32_e32 v107, v100, v111
	v_fmac_f32_e32 v107, v101, v112
	ds_load_b64 v[100:101], v94 offset:368
	v_fmac_f32_e32 v107, v102, v113
	s_waitcnt vmcnt(1)
	s_delay_alu instid0(VALU_DEP_1) | instskip(SKIP_1) | instid1(VALU_DEP_1)
	v_fmac_f32_e32 v107, v103, v114
	s_waitcnt lgkmcnt(1)
	v_fmac_f32_e32 v107, v104, v96
	s_delay_alu instid0(VALU_DEP_1) | instskip(NEXT) | instid1(VALU_DEP_1)
	v_fmac_f32_e32 v107, v105, v97
	v_fmac_f32_e32 v107, v106, v98
	s_waitcnt vmcnt(0)
	s_delay_alu instid0(VALU_DEP_1) | instskip(SKIP_1) | instid1(VALU_DEP_1)
	v_fmac_f32_e32 v107, v115, v99
	s_waitcnt lgkmcnt(0)
	v_fmac_f32_e32 v107, v116, v100
	s_delay_alu instid0(VALU_DEP_1) | instskip(NEXT) | instid1(VALU_DEP_1)
	v_fmac_f32_e32 v107, v117, v101
	v_sub_f32_e32 v94, v95, v107
	scratch_store_b32 off, v94, off offset:124
	v_cmpx_lt_u32_e32 30, v0
	s_cbranch_execz .LBB45_223
; %bb.222:
	scratch_load_b32 v94, off, off offset:120
	v_mov_b32_e32 v95, 0
	scratch_store_b32 off, v95, off offset:120
	s_waitcnt vmcnt(0)
	ds_store_b32 v93, v94
.LBB45_223:
	s_or_b32 exec_lo, exec_lo, s0
	s_waitcnt lgkmcnt(0)
	s_waitcnt_vscnt null, 0x0
	s_barrier
	buffer_gl0_inv
	s_clause 0x3
	scratch_load_b128 v[95:98], off, off offset:120
	scratch_load_b128 v[99:102], off, off offset:136
	;; [unrolled: 1-line block ×4, first 2 shown]
	v_mov_b32_e32 v94, 0
	ds_load_2addr_b32 v[111:112], v94 offset0:79 offset1:80
	ds_load_2addr_b32 v[113:114], v94 offset0:81 offset1:82
	;; [unrolled: 1-line block ×4, first 2 shown]
	s_mov_b32 s0, exec_lo
	s_waitcnt vmcnt(3) lgkmcnt(3)
	v_fma_f32 v111, v96, v111, 0
	s_delay_alu instid0(VALU_DEP_1) | instskip(SKIP_4) | instid1(VALU_DEP_1)
	v_fmac_f32_e32 v111, v97, v112
	ds_load_2addr_b32 v[96:97], v94 offset0:87 offset1:88
	s_waitcnt lgkmcnt(3)
	v_fmac_f32_e32 v111, v98, v113
	s_waitcnt vmcnt(2)
	v_fmac_f32_e32 v111, v99, v114
	ds_load_2addr_b32 v[98:99], v94 offset0:89 offset1:90
	s_waitcnt lgkmcnt(3)
	v_fmac_f32_e32 v111, v100, v115
	s_delay_alu instid0(VALU_DEP_1) | instskip(SKIP_1) | instid1(VALU_DEP_1)
	v_fmac_f32_e32 v111, v101, v116
	s_waitcnt lgkmcnt(2)
	v_fmac_f32_e32 v111, v102, v117
	ds_load_2addr_b32 v[100:101], v94 offset0:91 offset1:92
	ds_load_b32 v102, v94 offset:372
	s_waitcnt vmcnt(1)
	v_fmac_f32_e32 v111, v103, v118
	s_waitcnt lgkmcnt(3)
	s_delay_alu instid0(VALU_DEP_1) | instskip(NEXT) | instid1(VALU_DEP_1)
	v_fmac_f32_e32 v111, v104, v96
	v_fmac_f32_e32 v111, v105, v97
	s_waitcnt lgkmcnt(2)
	s_delay_alu instid0(VALU_DEP_1) | instskip(SKIP_1) | instid1(VALU_DEP_1)
	v_fmac_f32_e32 v111, v106, v98
	s_waitcnt vmcnt(0)
	v_fmac_f32_e32 v111, v107, v99
	s_waitcnt lgkmcnt(1)
	s_delay_alu instid0(VALU_DEP_1) | instskip(NEXT) | instid1(VALU_DEP_1)
	v_fmac_f32_e32 v111, v108, v100
	v_fmac_f32_e32 v111, v109, v101
	s_waitcnt lgkmcnt(0)
	s_delay_alu instid0(VALU_DEP_1) | instskip(NEXT) | instid1(VALU_DEP_1)
	v_fmac_f32_e32 v111, v110, v102
	v_sub_f32_e32 v95, v95, v111
	scratch_store_b32 off, v95, off offset:120
	v_cmpx_lt_u32_e32 29, v0
	s_cbranch_execz .LBB45_225
; %bb.224:
	scratch_load_b32 v95, off, off offset:116
	scratch_store_b32 off, v94, off offset:116
	s_waitcnt vmcnt(0)
	ds_store_b32 v93, v95
.LBB45_225:
	s_or_b32 exec_lo, exec_lo, s0
	s_waitcnt lgkmcnt(0)
	s_waitcnt_vscnt null, 0x0
	s_barrier
	buffer_gl0_inv
	s_clause 0x4
	scratch_load_b128 v[95:98], off, off offset:116
	scratch_load_b128 v[99:102], off, off offset:132
	;; [unrolled: 1-line block ×4, first 2 shown]
	scratch_load_b32 v119, off, off offset:180
	ds_load_2addr_b64 v[111:114], v94 offset0:39 offset1:40
	ds_load_2addr_b64 v[115:118], v94 offset0:41 offset1:42
	s_mov_b32 s0, exec_lo
	s_waitcnt vmcnt(4) lgkmcnt(1)
	v_fma_f32 v111, v96, v111, 0
	s_delay_alu instid0(VALU_DEP_1) | instskip(NEXT) | instid1(VALU_DEP_1)
	v_fmac_f32_e32 v111, v97, v112
	v_fmac_f32_e32 v111, v98, v113
	s_waitcnt vmcnt(3)
	s_delay_alu instid0(VALU_DEP_1) | instskip(SKIP_3) | instid1(VALU_DEP_1)
	v_fmac_f32_e32 v111, v99, v114
	ds_load_2addr_b64 v[96:99], v94 offset0:43 offset1:44
	s_waitcnt lgkmcnt(1)
	v_fmac_f32_e32 v111, v100, v115
	v_fmac_f32_e32 v111, v101, v116
	s_delay_alu instid0(VALU_DEP_1) | instskip(SKIP_1) | instid1(VALU_DEP_1)
	v_fmac_f32_e32 v111, v102, v117
	s_waitcnt vmcnt(2)
	v_fmac_f32_e32 v111, v103, v118
	ds_load_2addr_b64 v[100:103], v94 offset0:45 offset1:46
	s_waitcnt lgkmcnt(1)
	v_fmac_f32_e32 v111, v104, v96
	s_delay_alu instid0(VALU_DEP_1) | instskip(NEXT) | instid1(VALU_DEP_1)
	v_fmac_f32_e32 v111, v105, v97
	v_fmac_f32_e32 v111, v106, v98
	s_waitcnt vmcnt(1)
	s_delay_alu instid0(VALU_DEP_1) | instskip(SKIP_1) | instid1(VALU_DEP_1)
	v_fmac_f32_e32 v111, v107, v99
	s_waitcnt lgkmcnt(0)
	v_fmac_f32_e32 v111, v108, v100
	s_delay_alu instid0(VALU_DEP_1) | instskip(NEXT) | instid1(VALU_DEP_1)
	v_fmac_f32_e32 v111, v109, v101
	v_fmac_f32_e32 v111, v110, v102
	s_waitcnt vmcnt(0)
	s_delay_alu instid0(VALU_DEP_1) | instskip(NEXT) | instid1(VALU_DEP_1)
	v_fmac_f32_e32 v111, v119, v103
	v_sub_f32_e32 v94, v95, v111
	scratch_store_b32 off, v94, off offset:116
	v_cmpx_lt_u32_e32 28, v0
	s_cbranch_execz .LBB45_227
; %bb.226:
	scratch_load_b32 v94, off, off offset:112
	v_mov_b32_e32 v95, 0
	scratch_store_b32 off, v95, off offset:112
	s_waitcnt vmcnt(0)
	ds_store_b32 v93, v94
.LBB45_227:
	s_or_b32 exec_lo, exec_lo, s0
	s_waitcnt lgkmcnt(0)
	s_waitcnt_vscnt null, 0x0
	s_barrier
	buffer_gl0_inv
	s_clause 0x4
	scratch_load_b128 v[95:98], off, off offset:112
	scratch_load_b128 v[99:102], off, off offset:128
	;; [unrolled: 1-line block ×4, first 2 shown]
	scratch_load_b64 v[111:112], off, off offset:176
	v_mov_b32_e32 v94, 0
	ds_load_2addr_b32 v[113:114], v94 offset0:77 offset1:78
	ds_load_2addr_b32 v[115:116], v94 offset0:79 offset1:80
	;; [unrolled: 1-line block ×4, first 2 shown]
	s_mov_b32 s0, exec_lo
	s_waitcnt vmcnt(4) lgkmcnt(3)
	v_fma_f32 v113, v96, v113, 0
	s_delay_alu instid0(VALU_DEP_1) | instskip(SKIP_4) | instid1(VALU_DEP_1)
	v_fmac_f32_e32 v113, v97, v114
	ds_load_2addr_b32 v[96:97], v94 offset0:85 offset1:86
	s_waitcnt lgkmcnt(3)
	v_fmac_f32_e32 v113, v98, v115
	s_waitcnt vmcnt(3)
	v_fmac_f32_e32 v113, v99, v116
	ds_load_2addr_b32 v[98:99], v94 offset0:87 offset1:88
	s_waitcnt lgkmcnt(3)
	v_fmac_f32_e32 v113, v100, v117
	s_delay_alu instid0(VALU_DEP_1) | instskip(SKIP_1) | instid1(VALU_DEP_1)
	v_fmac_f32_e32 v113, v101, v118
	s_waitcnt lgkmcnt(2)
	v_fmac_f32_e32 v113, v102, v119
	s_waitcnt vmcnt(2)
	s_delay_alu instid0(VALU_DEP_1)
	v_fmac_f32_e32 v113, v103, v120
	ds_load_2addr_b32 v[100:101], v94 offset0:89 offset1:90
	ds_load_2addr_b32 v[102:103], v94 offset0:91 offset1:92
	s_waitcnt lgkmcnt(3)
	v_fmac_f32_e32 v113, v104, v96
	ds_load_b32 v96, v94 offset:372
	v_fmac_f32_e32 v113, v105, v97
	s_waitcnt lgkmcnt(3)
	s_delay_alu instid0(VALU_DEP_1) | instskip(SKIP_1) | instid1(VALU_DEP_1)
	v_fmac_f32_e32 v113, v106, v98
	s_waitcnt vmcnt(1)
	v_fmac_f32_e32 v113, v107, v99
	s_waitcnt lgkmcnt(2)
	s_delay_alu instid0(VALU_DEP_1) | instskip(NEXT) | instid1(VALU_DEP_1)
	v_fmac_f32_e32 v113, v108, v100
	v_fmac_f32_e32 v113, v109, v101
	s_waitcnt lgkmcnt(1)
	s_delay_alu instid0(VALU_DEP_1) | instskip(SKIP_1) | instid1(VALU_DEP_1)
	v_fmac_f32_e32 v113, v110, v102
	s_waitcnt vmcnt(0)
	v_fmac_f32_e32 v113, v111, v103
	s_waitcnt lgkmcnt(0)
	s_delay_alu instid0(VALU_DEP_1) | instskip(NEXT) | instid1(VALU_DEP_1)
	v_fmac_f32_e32 v113, v112, v96
	v_sub_f32_e32 v95, v95, v113
	scratch_store_b32 off, v95, off offset:112
	v_cmpx_lt_u32_e32 27, v0
	s_cbranch_execz .LBB45_229
; %bb.228:
	scratch_load_b32 v95, off, off offset:108
	scratch_store_b32 off, v94, off offset:108
	s_waitcnt vmcnt(0)
	ds_store_b32 v93, v95
.LBB45_229:
	s_or_b32 exec_lo, exec_lo, s0
	s_waitcnt lgkmcnt(0)
	s_waitcnt_vscnt null, 0x0
	s_barrier
	buffer_gl0_inv
	s_clause 0x4
	scratch_load_b128 v[95:98], off, off offset:108
	scratch_load_b128 v[99:102], off, off offset:124
	;; [unrolled: 1-line block ×4, first 2 shown]
	scratch_load_b96 v[119:121], off, off offset:172
	ds_load_b128 v[111:114], v94 offset:304
	ds_load_b128 v[115:118], v94 offset:320
	s_mov_b32 s0, exec_lo
	s_waitcnt vmcnt(4) lgkmcnt(1)
	v_fma_f32 v111, v96, v111, 0
	s_delay_alu instid0(VALU_DEP_1) | instskip(NEXT) | instid1(VALU_DEP_1)
	v_fmac_f32_e32 v111, v97, v112
	v_fmac_f32_e32 v111, v98, v113
	s_waitcnt vmcnt(3)
	s_delay_alu instid0(VALU_DEP_1) | instskip(SKIP_3) | instid1(VALU_DEP_1)
	v_fmac_f32_e32 v111, v99, v114
	ds_load_b128 v[96:99], v94 offset:336
	s_waitcnt lgkmcnt(1)
	v_fmac_f32_e32 v111, v100, v115
	v_fmac_f32_e32 v111, v101, v116
	s_delay_alu instid0(VALU_DEP_1) | instskip(SKIP_1) | instid1(VALU_DEP_1)
	v_fmac_f32_e32 v111, v102, v117
	s_waitcnt vmcnt(2)
	v_fmac_f32_e32 v111, v103, v118
	ds_load_b128 v[100:103], v94 offset:352
	s_waitcnt lgkmcnt(1)
	v_fmac_f32_e32 v111, v104, v96
	s_delay_alu instid0(VALU_DEP_1) | instskip(SKIP_3) | instid1(VALU_DEP_1)
	v_fmac_f32_e32 v111, v105, v97
	ds_load_b64 v[96:97], v94 offset:368
	v_fmac_f32_e32 v111, v106, v98
	s_waitcnt vmcnt(1)
	v_fmac_f32_e32 v111, v107, v99
	s_waitcnt lgkmcnt(1)
	s_delay_alu instid0(VALU_DEP_1) | instskip(NEXT) | instid1(VALU_DEP_1)
	v_fmac_f32_e32 v111, v108, v100
	v_fmac_f32_e32 v111, v109, v101
	s_delay_alu instid0(VALU_DEP_1) | instskip(SKIP_1) | instid1(VALU_DEP_1)
	v_fmac_f32_e32 v111, v110, v102
	s_waitcnt vmcnt(0)
	v_fmac_f32_e32 v111, v119, v103
	s_waitcnt lgkmcnt(0)
	s_delay_alu instid0(VALU_DEP_1) | instskip(NEXT) | instid1(VALU_DEP_1)
	v_fmac_f32_e32 v111, v120, v96
	v_fmac_f32_e32 v111, v121, v97
	s_delay_alu instid0(VALU_DEP_1)
	v_sub_f32_e32 v94, v95, v111
	scratch_store_b32 off, v94, off offset:108
	v_cmpx_lt_u32_e32 26, v0
	s_cbranch_execz .LBB45_231
; %bb.230:
	scratch_load_b32 v94, off, off offset:104
	v_mov_b32_e32 v95, 0
	scratch_store_b32 off, v95, off offset:104
	s_waitcnt vmcnt(0)
	ds_store_b32 v93, v94
.LBB45_231:
	s_or_b32 exec_lo, exec_lo, s0
	s_waitcnt lgkmcnt(0)
	s_waitcnt_vscnt null, 0x0
	s_barrier
	buffer_gl0_inv
	s_clause 0x4
	scratch_load_b128 v[95:98], off, off offset:104
	scratch_load_b128 v[99:102], off, off offset:120
	scratch_load_b128 v[103:106], off, off offset:136
	scratch_load_b128 v[107:110], off, off offset:152
	scratch_load_b128 v[111:114], off, off offset:168
	v_mov_b32_e32 v94, 0
	ds_load_2addr_b32 v[115:116], v94 offset0:75 offset1:76
	ds_load_2addr_b32 v[117:118], v94 offset0:77 offset1:78
	;; [unrolled: 1-line block ×4, first 2 shown]
	s_mov_b32 s0, exec_lo
	s_waitcnt vmcnt(4) lgkmcnt(3)
	v_fma_f32 v115, v96, v115, 0
	s_delay_alu instid0(VALU_DEP_1) | instskip(SKIP_4) | instid1(VALU_DEP_1)
	v_fmac_f32_e32 v115, v97, v116
	ds_load_2addr_b32 v[96:97], v94 offset0:83 offset1:84
	s_waitcnt lgkmcnt(3)
	v_fmac_f32_e32 v115, v98, v117
	s_waitcnt vmcnt(3)
	v_fmac_f32_e32 v115, v99, v118
	ds_load_2addr_b32 v[98:99], v94 offset0:85 offset1:86
	s_waitcnt lgkmcnt(3)
	v_fmac_f32_e32 v115, v100, v119
	s_delay_alu instid0(VALU_DEP_1) | instskip(SKIP_1) | instid1(VALU_DEP_1)
	v_fmac_f32_e32 v115, v101, v120
	s_waitcnt lgkmcnt(2)
	v_fmac_f32_e32 v115, v102, v121
	s_waitcnt vmcnt(2)
	s_delay_alu instid0(VALU_DEP_1) | instskip(SKIP_4) | instid1(VALU_DEP_1)
	v_fmac_f32_e32 v115, v103, v122
	ds_load_2addr_b32 v[100:101], v94 offset0:87 offset1:88
	ds_load_2addr_b32 v[102:103], v94 offset0:89 offset1:90
	s_waitcnt lgkmcnt(3)
	v_fmac_f32_e32 v115, v104, v96
	v_fmac_f32_e32 v115, v105, v97
	ds_load_2addr_b32 v[96:97], v94 offset0:91 offset1:92
	s_waitcnt lgkmcnt(3)
	v_fmac_f32_e32 v115, v106, v98
	ds_load_b32 v98, v94 offset:372
	s_waitcnt vmcnt(1)
	v_fmac_f32_e32 v115, v107, v99
	s_waitcnt lgkmcnt(3)
	s_delay_alu instid0(VALU_DEP_1) | instskip(NEXT) | instid1(VALU_DEP_1)
	v_fmac_f32_e32 v115, v108, v100
	v_fmac_f32_e32 v115, v109, v101
	s_waitcnt lgkmcnt(2)
	s_delay_alu instid0(VALU_DEP_1) | instskip(SKIP_1) | instid1(VALU_DEP_1)
	v_fmac_f32_e32 v115, v110, v102
	s_waitcnt vmcnt(0)
	v_fmac_f32_e32 v115, v111, v103
	s_waitcnt lgkmcnt(1)
	s_delay_alu instid0(VALU_DEP_1) | instskip(NEXT) | instid1(VALU_DEP_1)
	v_fmac_f32_e32 v115, v112, v96
	v_fmac_f32_e32 v115, v113, v97
	s_waitcnt lgkmcnt(0)
	s_delay_alu instid0(VALU_DEP_1) | instskip(NEXT) | instid1(VALU_DEP_1)
	v_fmac_f32_e32 v115, v114, v98
	v_sub_f32_e32 v95, v95, v115
	scratch_store_b32 off, v95, off offset:104
	v_cmpx_lt_u32_e32 25, v0
	s_cbranch_execz .LBB45_233
; %bb.232:
	scratch_load_b32 v95, off, off offset:100
	scratch_store_b32 off, v94, off offset:100
	s_waitcnt vmcnt(0)
	ds_store_b32 v93, v95
.LBB45_233:
	s_or_b32 exec_lo, exec_lo, s0
	s_waitcnt lgkmcnt(0)
	s_waitcnt_vscnt null, 0x0
	s_barrier
	buffer_gl0_inv
	s_clause 0x5
	scratch_load_b128 v[95:98], off, off offset:100
	scratch_load_b128 v[99:102], off, off offset:116
	;; [unrolled: 1-line block ×5, first 2 shown]
	scratch_load_b32 v123, off, off offset:180
	ds_load_2addr_b64 v[115:118], v94 offset0:37 offset1:38
	ds_load_2addr_b64 v[119:122], v94 offset0:39 offset1:40
	s_mov_b32 s0, exec_lo
	s_waitcnt vmcnt(5) lgkmcnt(1)
	v_fma_f32 v115, v96, v115, 0
	s_delay_alu instid0(VALU_DEP_1) | instskip(NEXT) | instid1(VALU_DEP_1)
	v_fmac_f32_e32 v115, v97, v116
	v_fmac_f32_e32 v115, v98, v117
	s_waitcnt vmcnt(4)
	s_delay_alu instid0(VALU_DEP_1) | instskip(SKIP_3) | instid1(VALU_DEP_1)
	v_fmac_f32_e32 v115, v99, v118
	ds_load_2addr_b64 v[96:99], v94 offset0:41 offset1:42
	s_waitcnt lgkmcnt(1)
	v_fmac_f32_e32 v115, v100, v119
	v_fmac_f32_e32 v115, v101, v120
	s_delay_alu instid0(VALU_DEP_1) | instskip(SKIP_1) | instid1(VALU_DEP_1)
	v_fmac_f32_e32 v115, v102, v121
	s_waitcnt vmcnt(3)
	v_fmac_f32_e32 v115, v103, v122
	ds_load_2addr_b64 v[100:103], v94 offset0:43 offset1:44
	s_waitcnt lgkmcnt(1)
	v_fmac_f32_e32 v115, v104, v96
	s_delay_alu instid0(VALU_DEP_1) | instskip(NEXT) | instid1(VALU_DEP_1)
	v_fmac_f32_e32 v115, v105, v97
	v_fmac_f32_e32 v115, v106, v98
	s_waitcnt vmcnt(2)
	s_delay_alu instid0(VALU_DEP_1) | instskip(SKIP_3) | instid1(VALU_DEP_1)
	v_fmac_f32_e32 v115, v107, v99
	ds_load_2addr_b64 v[96:99], v94 offset0:45 offset1:46
	s_waitcnt lgkmcnt(1)
	v_fmac_f32_e32 v115, v108, v100
	v_fmac_f32_e32 v115, v109, v101
	s_delay_alu instid0(VALU_DEP_1) | instskip(SKIP_1) | instid1(VALU_DEP_1)
	v_fmac_f32_e32 v115, v110, v102
	s_waitcnt vmcnt(1)
	v_fmac_f32_e32 v115, v111, v103
	s_waitcnt lgkmcnt(0)
	s_delay_alu instid0(VALU_DEP_1) | instskip(NEXT) | instid1(VALU_DEP_1)
	v_fmac_f32_e32 v115, v112, v96
	v_fmac_f32_e32 v115, v113, v97
	s_delay_alu instid0(VALU_DEP_1) | instskip(SKIP_1) | instid1(VALU_DEP_1)
	v_fmac_f32_e32 v115, v114, v98
	s_waitcnt vmcnt(0)
	v_fmac_f32_e32 v115, v123, v99
	s_delay_alu instid0(VALU_DEP_1)
	v_sub_f32_e32 v94, v95, v115
	scratch_store_b32 off, v94, off offset:100
	v_cmpx_lt_u32_e32 24, v0
	s_cbranch_execz .LBB45_235
; %bb.234:
	scratch_load_b32 v94, off, off offset:96
	v_mov_b32_e32 v95, 0
	scratch_store_b32 off, v95, off offset:96
	s_waitcnt vmcnt(0)
	ds_store_b32 v93, v94
.LBB45_235:
	s_or_b32 exec_lo, exec_lo, s0
	s_waitcnt lgkmcnt(0)
	s_waitcnt_vscnt null, 0x0
	s_barrier
	buffer_gl0_inv
	s_clause 0x5
	scratch_load_b128 v[95:98], off, off offset:96
	scratch_load_b128 v[99:102], off, off offset:112
	;; [unrolled: 1-line block ×5, first 2 shown]
	scratch_load_b64 v[115:116], off, off offset:176
	v_mov_b32_e32 v94, 0
	ds_load_2addr_b32 v[117:118], v94 offset0:73 offset1:74
	ds_load_2addr_b32 v[119:120], v94 offset0:75 offset1:76
	;; [unrolled: 1-line block ×4, first 2 shown]
	s_mov_b32 s0, exec_lo
	s_waitcnt vmcnt(5) lgkmcnt(3)
	v_fma_f32 v117, v96, v117, 0
	s_delay_alu instid0(VALU_DEP_1) | instskip(SKIP_4) | instid1(VALU_DEP_1)
	v_fmac_f32_e32 v117, v97, v118
	ds_load_2addr_b32 v[96:97], v94 offset0:81 offset1:82
	s_waitcnt lgkmcnt(3)
	v_fmac_f32_e32 v117, v98, v119
	s_waitcnt vmcnt(4)
	v_fmac_f32_e32 v117, v99, v120
	ds_load_2addr_b32 v[98:99], v94 offset0:83 offset1:84
	s_waitcnt lgkmcnt(3)
	v_fmac_f32_e32 v117, v100, v121
	s_delay_alu instid0(VALU_DEP_1) | instskip(SKIP_1) | instid1(VALU_DEP_1)
	v_fmac_f32_e32 v117, v101, v122
	s_waitcnt lgkmcnt(2)
	v_fmac_f32_e32 v117, v102, v123
	s_waitcnt vmcnt(3)
	s_delay_alu instid0(VALU_DEP_1) | instskip(SKIP_4) | instid1(VALU_DEP_1)
	v_fmac_f32_e32 v117, v103, v124
	ds_load_2addr_b32 v[100:101], v94 offset0:85 offset1:86
	ds_load_2addr_b32 v[102:103], v94 offset0:87 offset1:88
	s_waitcnt lgkmcnt(3)
	v_fmac_f32_e32 v117, v104, v96
	v_fmac_f32_e32 v117, v105, v97
	ds_load_2addr_b32 v[96:97], v94 offset0:89 offset1:90
	s_waitcnt lgkmcnt(3)
	v_fmac_f32_e32 v117, v106, v98
	s_waitcnt vmcnt(2)
	s_delay_alu instid0(VALU_DEP_1)
	v_fmac_f32_e32 v117, v107, v99
	ds_load_2addr_b32 v[98:99], v94 offset0:91 offset1:92
	s_waitcnt lgkmcnt(3)
	v_fmac_f32_e32 v117, v108, v100
	ds_load_b32 v100, v94 offset:372
	v_fmac_f32_e32 v117, v109, v101
	s_waitcnt lgkmcnt(3)
	s_delay_alu instid0(VALU_DEP_1) | instskip(SKIP_1) | instid1(VALU_DEP_1)
	v_fmac_f32_e32 v117, v110, v102
	s_waitcnt vmcnt(1)
	v_fmac_f32_e32 v117, v111, v103
	s_waitcnt lgkmcnt(2)
	s_delay_alu instid0(VALU_DEP_1) | instskip(NEXT) | instid1(VALU_DEP_1)
	v_fmac_f32_e32 v117, v112, v96
	v_fmac_f32_e32 v117, v113, v97
	s_waitcnt lgkmcnt(1)
	s_delay_alu instid0(VALU_DEP_1) | instskip(SKIP_1) | instid1(VALU_DEP_1)
	v_fmac_f32_e32 v117, v114, v98
	s_waitcnt vmcnt(0)
	v_fmac_f32_e32 v117, v115, v99
	s_waitcnt lgkmcnt(0)
	s_delay_alu instid0(VALU_DEP_1) | instskip(NEXT) | instid1(VALU_DEP_1)
	v_fmac_f32_e32 v117, v116, v100
	v_sub_f32_e32 v95, v95, v117
	scratch_store_b32 off, v95, off offset:96
	v_cmpx_lt_u32_e32 23, v0
	s_cbranch_execz .LBB45_237
; %bb.236:
	scratch_load_b32 v95, off, off offset:92
	scratch_store_b32 off, v94, off offset:92
	s_waitcnt vmcnt(0)
	ds_store_b32 v93, v95
.LBB45_237:
	s_or_b32 exec_lo, exec_lo, s0
	s_waitcnt lgkmcnt(0)
	s_waitcnt_vscnt null, 0x0
	s_barrier
	buffer_gl0_inv
	s_clause 0x5
	scratch_load_b128 v[95:98], off, off offset:92
	scratch_load_b128 v[99:102], off, off offset:108
	;; [unrolled: 1-line block ×5, first 2 shown]
	scratch_load_b96 v[123:125], off, off offset:172
	ds_load_b128 v[115:118], v94 offset:288
	ds_load_b128 v[119:122], v94 offset:304
	s_mov_b32 s0, exec_lo
	s_waitcnt vmcnt(5) lgkmcnt(1)
	v_fma_f32 v115, v96, v115, 0
	s_delay_alu instid0(VALU_DEP_1) | instskip(NEXT) | instid1(VALU_DEP_1)
	v_fmac_f32_e32 v115, v97, v116
	v_fmac_f32_e32 v115, v98, v117
	s_waitcnt vmcnt(4)
	s_delay_alu instid0(VALU_DEP_1) | instskip(SKIP_3) | instid1(VALU_DEP_1)
	v_fmac_f32_e32 v115, v99, v118
	ds_load_b128 v[96:99], v94 offset:320
	s_waitcnt lgkmcnt(1)
	v_fmac_f32_e32 v115, v100, v119
	v_fmac_f32_e32 v115, v101, v120
	s_delay_alu instid0(VALU_DEP_1) | instskip(SKIP_1) | instid1(VALU_DEP_1)
	v_fmac_f32_e32 v115, v102, v121
	s_waitcnt vmcnt(3)
	v_fmac_f32_e32 v115, v103, v122
	ds_load_b128 v[100:103], v94 offset:336
	s_waitcnt lgkmcnt(1)
	v_fmac_f32_e32 v115, v104, v96
	s_delay_alu instid0(VALU_DEP_1) | instskip(NEXT) | instid1(VALU_DEP_1)
	v_fmac_f32_e32 v115, v105, v97
	v_fmac_f32_e32 v115, v106, v98
	s_waitcnt vmcnt(2)
	s_delay_alu instid0(VALU_DEP_1) | instskip(SKIP_3) | instid1(VALU_DEP_1)
	v_fmac_f32_e32 v115, v107, v99
	ds_load_b128 v[96:99], v94 offset:352
	s_waitcnt lgkmcnt(1)
	v_fmac_f32_e32 v115, v108, v100
	v_fmac_f32_e32 v115, v109, v101
	ds_load_b64 v[100:101], v94 offset:368
	v_fmac_f32_e32 v115, v110, v102
	s_waitcnt vmcnt(1)
	s_delay_alu instid0(VALU_DEP_1) | instskip(SKIP_1) | instid1(VALU_DEP_1)
	v_fmac_f32_e32 v115, v111, v103
	s_waitcnt lgkmcnt(1)
	v_fmac_f32_e32 v115, v112, v96
	s_delay_alu instid0(VALU_DEP_1) | instskip(NEXT) | instid1(VALU_DEP_1)
	v_fmac_f32_e32 v115, v113, v97
	v_fmac_f32_e32 v115, v114, v98
	s_waitcnt vmcnt(0)
	s_delay_alu instid0(VALU_DEP_1) | instskip(SKIP_1) | instid1(VALU_DEP_1)
	v_fmac_f32_e32 v115, v123, v99
	s_waitcnt lgkmcnt(0)
	v_fmac_f32_e32 v115, v124, v100
	s_delay_alu instid0(VALU_DEP_1) | instskip(NEXT) | instid1(VALU_DEP_1)
	v_fmac_f32_e32 v115, v125, v101
	v_sub_f32_e32 v94, v95, v115
	scratch_store_b32 off, v94, off offset:92
	v_cmpx_lt_u32_e32 22, v0
	s_cbranch_execz .LBB45_239
; %bb.238:
	scratch_load_b32 v94, off, off offset:88
	v_mov_b32_e32 v95, 0
	scratch_store_b32 off, v95, off offset:88
	s_waitcnt vmcnt(0)
	ds_store_b32 v93, v94
.LBB45_239:
	s_or_b32 exec_lo, exec_lo, s0
	s_waitcnt lgkmcnt(0)
	s_waitcnt_vscnt null, 0x0
	s_barrier
	buffer_gl0_inv
	s_clause 0x5
	scratch_load_b128 v[95:98], off, off offset:88
	scratch_load_b128 v[99:102], off, off offset:104
	;; [unrolled: 1-line block ×6, first 2 shown]
	v_mov_b32_e32 v94, 0
	ds_load_2addr_b32 v[119:120], v94 offset0:71 offset1:72
	ds_load_2addr_b32 v[121:122], v94 offset0:73 offset1:74
	;; [unrolled: 1-line block ×4, first 2 shown]
	s_mov_b32 s0, exec_lo
	s_waitcnt vmcnt(5) lgkmcnt(3)
	v_fma_f32 v119, v96, v119, 0
	s_delay_alu instid0(VALU_DEP_1) | instskip(SKIP_4) | instid1(VALU_DEP_1)
	v_fmac_f32_e32 v119, v97, v120
	ds_load_2addr_b32 v[96:97], v94 offset0:79 offset1:80
	s_waitcnt lgkmcnt(3)
	v_fmac_f32_e32 v119, v98, v121
	s_waitcnt vmcnt(4)
	v_fmac_f32_e32 v119, v99, v122
	ds_load_2addr_b32 v[98:99], v94 offset0:81 offset1:82
	s_waitcnt lgkmcnt(3)
	v_fmac_f32_e32 v119, v100, v123
	s_delay_alu instid0(VALU_DEP_1) | instskip(SKIP_1) | instid1(VALU_DEP_1)
	v_fmac_f32_e32 v119, v101, v124
	s_waitcnt lgkmcnt(2)
	v_fmac_f32_e32 v119, v102, v125
	s_waitcnt vmcnt(3)
	s_delay_alu instid0(VALU_DEP_1) | instskip(SKIP_4) | instid1(VALU_DEP_1)
	v_fmac_f32_e32 v119, v103, v126
	ds_load_2addr_b32 v[100:101], v94 offset0:83 offset1:84
	ds_load_2addr_b32 v[102:103], v94 offset0:85 offset1:86
	s_waitcnt lgkmcnt(3)
	v_fmac_f32_e32 v119, v104, v96
	v_fmac_f32_e32 v119, v105, v97
	ds_load_2addr_b32 v[96:97], v94 offset0:87 offset1:88
	s_waitcnt lgkmcnt(3)
	v_fmac_f32_e32 v119, v106, v98
	s_waitcnt vmcnt(2)
	s_delay_alu instid0(VALU_DEP_1) | instskip(SKIP_3) | instid1(VALU_DEP_1)
	v_fmac_f32_e32 v119, v107, v99
	ds_load_2addr_b32 v[98:99], v94 offset0:89 offset1:90
	s_waitcnt lgkmcnt(3)
	v_fmac_f32_e32 v119, v108, v100
	v_fmac_f32_e32 v119, v109, v101
	s_waitcnt lgkmcnt(2)
	s_delay_alu instid0(VALU_DEP_1)
	v_fmac_f32_e32 v119, v110, v102
	ds_load_2addr_b32 v[100:101], v94 offset0:91 offset1:92
	ds_load_b32 v102, v94 offset:372
	s_waitcnt vmcnt(1)
	v_fmac_f32_e32 v119, v111, v103
	s_waitcnt lgkmcnt(3)
	s_delay_alu instid0(VALU_DEP_1) | instskip(NEXT) | instid1(VALU_DEP_1)
	v_fmac_f32_e32 v119, v112, v96
	v_fmac_f32_e32 v119, v113, v97
	s_waitcnt lgkmcnt(2)
	s_delay_alu instid0(VALU_DEP_1) | instskip(SKIP_1) | instid1(VALU_DEP_1)
	v_fmac_f32_e32 v119, v114, v98
	s_waitcnt vmcnt(0)
	v_fmac_f32_e32 v119, v115, v99
	s_waitcnt lgkmcnt(1)
	s_delay_alu instid0(VALU_DEP_1) | instskip(NEXT) | instid1(VALU_DEP_1)
	v_fmac_f32_e32 v119, v116, v100
	v_fmac_f32_e32 v119, v117, v101
	s_waitcnt lgkmcnt(0)
	s_delay_alu instid0(VALU_DEP_1) | instskip(NEXT) | instid1(VALU_DEP_1)
	v_fmac_f32_e32 v119, v118, v102
	v_sub_f32_e32 v95, v95, v119
	scratch_store_b32 off, v95, off offset:88
	v_cmpx_lt_u32_e32 21, v0
	s_cbranch_execz .LBB45_241
; %bb.240:
	scratch_load_b32 v95, off, off offset:84
	scratch_store_b32 off, v94, off offset:84
	s_waitcnt vmcnt(0)
	ds_store_b32 v93, v95
.LBB45_241:
	s_or_b32 exec_lo, exec_lo, s0
	s_waitcnt lgkmcnt(0)
	s_waitcnt_vscnt null, 0x0
	s_barrier
	buffer_gl0_inv
	s_clause 0x6
	scratch_load_b128 v[95:98], off, off offset:84
	scratch_load_b128 v[99:102], off, off offset:100
	scratch_load_b128 v[103:106], off, off offset:116
	scratch_load_b128 v[107:110], off, off offset:132
	scratch_load_b128 v[111:114], off, off offset:148
	scratch_load_b128 v[115:118], off, off offset:164
	scratch_load_b32 v127, off, off offset:180
	ds_load_2addr_b64 v[119:122], v94 offset0:35 offset1:36
	ds_load_2addr_b64 v[123:126], v94 offset0:37 offset1:38
	s_mov_b32 s0, exec_lo
	s_waitcnt vmcnt(6) lgkmcnt(1)
	v_fma_f32 v119, v96, v119, 0
	s_delay_alu instid0(VALU_DEP_1) | instskip(NEXT) | instid1(VALU_DEP_1)
	v_fmac_f32_e32 v119, v97, v120
	v_fmac_f32_e32 v119, v98, v121
	s_waitcnt vmcnt(5)
	s_delay_alu instid0(VALU_DEP_1) | instskip(SKIP_3) | instid1(VALU_DEP_1)
	v_fmac_f32_e32 v119, v99, v122
	ds_load_2addr_b64 v[96:99], v94 offset0:39 offset1:40
	s_waitcnt lgkmcnt(1)
	v_fmac_f32_e32 v119, v100, v123
	v_fmac_f32_e32 v119, v101, v124
	s_delay_alu instid0(VALU_DEP_1) | instskip(SKIP_1) | instid1(VALU_DEP_1)
	v_fmac_f32_e32 v119, v102, v125
	s_waitcnt vmcnt(4)
	v_fmac_f32_e32 v119, v103, v126
	ds_load_2addr_b64 v[100:103], v94 offset0:41 offset1:42
	s_waitcnt lgkmcnt(1)
	v_fmac_f32_e32 v119, v104, v96
	s_delay_alu instid0(VALU_DEP_1) | instskip(NEXT) | instid1(VALU_DEP_1)
	v_fmac_f32_e32 v119, v105, v97
	v_fmac_f32_e32 v119, v106, v98
	s_waitcnt vmcnt(3)
	s_delay_alu instid0(VALU_DEP_1) | instskip(SKIP_3) | instid1(VALU_DEP_1)
	v_fmac_f32_e32 v119, v107, v99
	ds_load_2addr_b64 v[96:99], v94 offset0:43 offset1:44
	s_waitcnt lgkmcnt(1)
	v_fmac_f32_e32 v119, v108, v100
	v_fmac_f32_e32 v119, v109, v101
	s_delay_alu instid0(VALU_DEP_1) | instskip(SKIP_1) | instid1(VALU_DEP_1)
	v_fmac_f32_e32 v119, v110, v102
	s_waitcnt vmcnt(2)
	v_fmac_f32_e32 v119, v111, v103
	ds_load_2addr_b64 v[100:103], v94 offset0:45 offset1:46
	s_waitcnt lgkmcnt(1)
	v_fmac_f32_e32 v119, v112, v96
	s_delay_alu instid0(VALU_DEP_1) | instskip(NEXT) | instid1(VALU_DEP_1)
	v_fmac_f32_e32 v119, v113, v97
	v_fmac_f32_e32 v119, v114, v98
	s_waitcnt vmcnt(1)
	s_delay_alu instid0(VALU_DEP_1) | instskip(SKIP_1) | instid1(VALU_DEP_1)
	v_fmac_f32_e32 v119, v115, v99
	s_waitcnt lgkmcnt(0)
	v_fmac_f32_e32 v119, v116, v100
	s_delay_alu instid0(VALU_DEP_1) | instskip(NEXT) | instid1(VALU_DEP_1)
	v_fmac_f32_e32 v119, v117, v101
	v_fmac_f32_e32 v119, v118, v102
	s_waitcnt vmcnt(0)
	s_delay_alu instid0(VALU_DEP_1) | instskip(NEXT) | instid1(VALU_DEP_1)
	v_fmac_f32_e32 v119, v127, v103
	v_sub_f32_e32 v94, v95, v119
	scratch_store_b32 off, v94, off offset:84
	v_cmpx_lt_u32_e32 20, v0
	s_cbranch_execz .LBB45_243
; %bb.242:
	scratch_load_b32 v94, off, off offset:80
	v_mov_b32_e32 v95, 0
	scratch_store_b32 off, v95, off offset:80
	s_waitcnt vmcnt(0)
	ds_store_b32 v93, v94
.LBB45_243:
	s_or_b32 exec_lo, exec_lo, s0
	s_waitcnt lgkmcnt(0)
	s_waitcnt_vscnt null, 0x0
	s_barrier
	buffer_gl0_inv
	s_clause 0x6
	scratch_load_b128 v[95:98], off, off offset:80
	scratch_load_b128 v[99:102], off, off offset:96
	;; [unrolled: 1-line block ×6, first 2 shown]
	scratch_load_b64 v[119:120], off, off offset:176
	v_mov_b32_e32 v94, 0
	ds_load_2addr_b32 v[121:122], v94 offset0:69 offset1:70
	ds_load_2addr_b32 v[123:124], v94 offset0:71 offset1:72
	;; [unrolled: 1-line block ×4, first 2 shown]
	s_mov_b32 s0, exec_lo
	s_waitcnt vmcnt(6) lgkmcnt(3)
	v_fma_f32 v121, v96, v121, 0
	s_delay_alu instid0(VALU_DEP_1) | instskip(SKIP_4) | instid1(VALU_DEP_1)
	v_fmac_f32_e32 v121, v97, v122
	ds_load_2addr_b32 v[96:97], v94 offset0:77 offset1:78
	s_waitcnt lgkmcnt(3)
	v_fmac_f32_e32 v121, v98, v123
	s_waitcnt vmcnt(5)
	v_fmac_f32_e32 v121, v99, v124
	ds_load_2addr_b32 v[98:99], v94 offset0:79 offset1:80
	s_waitcnt lgkmcnt(3)
	v_fmac_f32_e32 v121, v100, v125
	s_delay_alu instid0(VALU_DEP_1) | instskip(SKIP_1) | instid1(VALU_DEP_1)
	v_fmac_f32_e32 v121, v101, v126
	s_waitcnt lgkmcnt(2)
	v_fmac_f32_e32 v121, v102, v127
	s_waitcnt vmcnt(4)
	s_delay_alu instid0(VALU_DEP_1) | instskip(SKIP_4) | instid1(VALU_DEP_1)
	v_fmac_f32_e32 v121, v103, v128
	ds_load_2addr_b32 v[100:101], v94 offset0:81 offset1:82
	ds_load_2addr_b32 v[102:103], v94 offset0:83 offset1:84
	s_waitcnt lgkmcnt(3)
	v_fmac_f32_e32 v121, v104, v96
	v_fmac_f32_e32 v121, v105, v97
	ds_load_2addr_b32 v[96:97], v94 offset0:85 offset1:86
	s_waitcnt lgkmcnt(3)
	v_fmac_f32_e32 v121, v106, v98
	s_waitcnt vmcnt(3)
	s_delay_alu instid0(VALU_DEP_1) | instskip(SKIP_3) | instid1(VALU_DEP_1)
	v_fmac_f32_e32 v121, v107, v99
	ds_load_2addr_b32 v[98:99], v94 offset0:87 offset1:88
	s_waitcnt lgkmcnt(3)
	v_fmac_f32_e32 v121, v108, v100
	v_fmac_f32_e32 v121, v109, v101
	s_waitcnt lgkmcnt(2)
	s_delay_alu instid0(VALU_DEP_1) | instskip(SKIP_1) | instid1(VALU_DEP_1)
	v_fmac_f32_e32 v121, v110, v102
	s_waitcnt vmcnt(2)
	v_fmac_f32_e32 v121, v111, v103
	ds_load_2addr_b32 v[100:101], v94 offset0:89 offset1:90
	ds_load_2addr_b32 v[102:103], v94 offset0:91 offset1:92
	s_waitcnt lgkmcnt(3)
	v_fmac_f32_e32 v121, v112, v96
	ds_load_b32 v96, v94 offset:372
	v_fmac_f32_e32 v121, v113, v97
	s_waitcnt lgkmcnt(3)
	s_delay_alu instid0(VALU_DEP_1) | instskip(SKIP_1) | instid1(VALU_DEP_1)
	v_fmac_f32_e32 v121, v114, v98
	s_waitcnt vmcnt(1)
	v_fmac_f32_e32 v121, v115, v99
	s_waitcnt lgkmcnt(2)
	s_delay_alu instid0(VALU_DEP_1) | instskip(NEXT) | instid1(VALU_DEP_1)
	v_fmac_f32_e32 v121, v116, v100
	v_fmac_f32_e32 v121, v117, v101
	s_waitcnt lgkmcnt(1)
	s_delay_alu instid0(VALU_DEP_1) | instskip(SKIP_1) | instid1(VALU_DEP_1)
	v_fmac_f32_e32 v121, v118, v102
	s_waitcnt vmcnt(0)
	v_fmac_f32_e32 v121, v119, v103
	s_waitcnt lgkmcnt(0)
	s_delay_alu instid0(VALU_DEP_1) | instskip(NEXT) | instid1(VALU_DEP_1)
	v_fmac_f32_e32 v121, v120, v96
	v_sub_f32_e32 v95, v95, v121
	scratch_store_b32 off, v95, off offset:80
	v_cmpx_lt_u32_e32 19, v0
	s_cbranch_execz .LBB45_245
; %bb.244:
	scratch_load_b32 v95, off, off offset:76
	scratch_store_b32 off, v94, off offset:76
	s_waitcnt vmcnt(0)
	ds_store_b32 v93, v95
.LBB45_245:
	s_or_b32 exec_lo, exec_lo, s0
	s_waitcnt lgkmcnt(0)
	s_waitcnt_vscnt null, 0x0
	s_barrier
	buffer_gl0_inv
	s_clause 0x6
	scratch_load_b128 v[95:98], off, off offset:76
	scratch_load_b128 v[99:102], off, off offset:92
	;; [unrolled: 1-line block ×6, first 2 shown]
	scratch_load_b96 v[127:129], off, off offset:172
	ds_load_b128 v[119:122], v94 offset:272
	ds_load_b128 v[123:126], v94 offset:288
	s_mov_b32 s0, exec_lo
	s_waitcnt vmcnt(6) lgkmcnt(1)
	v_fma_f32 v119, v96, v119, 0
	s_delay_alu instid0(VALU_DEP_1) | instskip(NEXT) | instid1(VALU_DEP_1)
	v_fmac_f32_e32 v119, v97, v120
	v_fmac_f32_e32 v119, v98, v121
	s_waitcnt vmcnt(5)
	s_delay_alu instid0(VALU_DEP_1) | instskip(SKIP_3) | instid1(VALU_DEP_1)
	v_fmac_f32_e32 v119, v99, v122
	ds_load_b128 v[96:99], v94 offset:304
	s_waitcnt lgkmcnt(1)
	v_fmac_f32_e32 v119, v100, v123
	v_fmac_f32_e32 v119, v101, v124
	s_delay_alu instid0(VALU_DEP_1) | instskip(SKIP_1) | instid1(VALU_DEP_1)
	v_fmac_f32_e32 v119, v102, v125
	s_waitcnt vmcnt(4)
	v_fmac_f32_e32 v119, v103, v126
	ds_load_b128 v[100:103], v94 offset:320
	s_waitcnt lgkmcnt(1)
	v_fmac_f32_e32 v119, v104, v96
	s_delay_alu instid0(VALU_DEP_1) | instskip(NEXT) | instid1(VALU_DEP_1)
	v_fmac_f32_e32 v119, v105, v97
	v_fmac_f32_e32 v119, v106, v98
	s_waitcnt vmcnt(3)
	s_delay_alu instid0(VALU_DEP_1) | instskip(SKIP_3) | instid1(VALU_DEP_1)
	v_fmac_f32_e32 v119, v107, v99
	ds_load_b128 v[96:99], v94 offset:336
	s_waitcnt lgkmcnt(1)
	v_fmac_f32_e32 v119, v108, v100
	v_fmac_f32_e32 v119, v109, v101
	s_delay_alu instid0(VALU_DEP_1) | instskip(SKIP_1) | instid1(VALU_DEP_1)
	v_fmac_f32_e32 v119, v110, v102
	s_waitcnt vmcnt(2)
	v_fmac_f32_e32 v119, v111, v103
	ds_load_b128 v[100:103], v94 offset:352
	s_waitcnt lgkmcnt(1)
	v_fmac_f32_e32 v119, v112, v96
	s_delay_alu instid0(VALU_DEP_1) | instskip(SKIP_3) | instid1(VALU_DEP_1)
	v_fmac_f32_e32 v119, v113, v97
	ds_load_b64 v[96:97], v94 offset:368
	v_fmac_f32_e32 v119, v114, v98
	s_waitcnt vmcnt(1)
	v_fmac_f32_e32 v119, v115, v99
	s_waitcnt lgkmcnt(1)
	s_delay_alu instid0(VALU_DEP_1) | instskip(NEXT) | instid1(VALU_DEP_1)
	v_fmac_f32_e32 v119, v116, v100
	v_fmac_f32_e32 v119, v117, v101
	s_delay_alu instid0(VALU_DEP_1) | instskip(SKIP_1) | instid1(VALU_DEP_1)
	v_fmac_f32_e32 v119, v118, v102
	s_waitcnt vmcnt(0)
	v_fmac_f32_e32 v119, v127, v103
	s_waitcnt lgkmcnt(0)
	s_delay_alu instid0(VALU_DEP_1) | instskip(NEXT) | instid1(VALU_DEP_1)
	v_fmac_f32_e32 v119, v128, v96
	v_fmac_f32_e32 v119, v129, v97
	s_delay_alu instid0(VALU_DEP_1)
	v_sub_f32_e32 v94, v95, v119
	scratch_store_b32 off, v94, off offset:76
	v_cmpx_lt_u32_e32 18, v0
	s_cbranch_execz .LBB45_247
; %bb.246:
	scratch_load_b32 v94, off, off offset:72
	v_mov_b32_e32 v95, 0
	scratch_store_b32 off, v95, off offset:72
	s_waitcnt vmcnt(0)
	ds_store_b32 v93, v94
.LBB45_247:
	s_or_b32 exec_lo, exec_lo, s0
	s_waitcnt lgkmcnt(0)
	s_waitcnt_vscnt null, 0x0
	s_barrier
	buffer_gl0_inv
	s_clause 0x6
	scratch_load_b128 v[95:98], off, off offset:72
	scratch_load_b128 v[99:102], off, off offset:88
	;; [unrolled: 1-line block ×7, first 2 shown]
	v_mov_b32_e32 v94, 0
	ds_load_2addr_b32 v[123:124], v94 offset0:67 offset1:68
	ds_load_2addr_b32 v[125:126], v94 offset0:69 offset1:70
	;; [unrolled: 1-line block ×4, first 2 shown]
	s_mov_b32 s0, exec_lo
	s_waitcnt vmcnt(6) lgkmcnt(3)
	v_fma_f32 v123, v96, v123, 0
	s_delay_alu instid0(VALU_DEP_1) | instskip(SKIP_4) | instid1(VALU_DEP_1)
	v_fmac_f32_e32 v123, v97, v124
	ds_load_2addr_b32 v[96:97], v94 offset0:75 offset1:76
	s_waitcnt lgkmcnt(3)
	v_fmac_f32_e32 v123, v98, v125
	s_waitcnt vmcnt(5)
	v_fmac_f32_e32 v123, v99, v126
	ds_load_2addr_b32 v[98:99], v94 offset0:77 offset1:78
	s_waitcnt lgkmcnt(3)
	v_fmac_f32_e32 v123, v100, v127
	s_delay_alu instid0(VALU_DEP_1) | instskip(SKIP_1) | instid1(VALU_DEP_1)
	v_fmac_f32_e32 v123, v101, v128
	s_waitcnt lgkmcnt(2)
	v_fmac_f32_e32 v123, v102, v129
	s_waitcnt vmcnt(4)
	s_delay_alu instid0(VALU_DEP_1) | instskip(SKIP_4) | instid1(VALU_DEP_1)
	v_fmac_f32_e32 v123, v103, v130
	ds_load_2addr_b32 v[100:101], v94 offset0:79 offset1:80
	ds_load_2addr_b32 v[102:103], v94 offset0:81 offset1:82
	s_waitcnt lgkmcnt(3)
	v_fmac_f32_e32 v123, v104, v96
	v_fmac_f32_e32 v123, v105, v97
	ds_load_2addr_b32 v[96:97], v94 offset0:83 offset1:84
	s_waitcnt lgkmcnt(3)
	v_fmac_f32_e32 v123, v106, v98
	s_waitcnt vmcnt(3)
	s_delay_alu instid0(VALU_DEP_1) | instskip(SKIP_3) | instid1(VALU_DEP_1)
	v_fmac_f32_e32 v123, v107, v99
	ds_load_2addr_b32 v[98:99], v94 offset0:85 offset1:86
	s_waitcnt lgkmcnt(3)
	v_fmac_f32_e32 v123, v108, v100
	v_fmac_f32_e32 v123, v109, v101
	s_waitcnt lgkmcnt(2)
	s_delay_alu instid0(VALU_DEP_1) | instskip(SKIP_1) | instid1(VALU_DEP_1)
	v_fmac_f32_e32 v123, v110, v102
	s_waitcnt vmcnt(2)
	v_fmac_f32_e32 v123, v111, v103
	ds_load_2addr_b32 v[100:101], v94 offset0:87 offset1:88
	ds_load_2addr_b32 v[102:103], v94 offset0:89 offset1:90
	s_waitcnt lgkmcnt(3)
	v_fmac_f32_e32 v123, v112, v96
	s_delay_alu instid0(VALU_DEP_1)
	v_fmac_f32_e32 v123, v113, v97
	ds_load_2addr_b32 v[96:97], v94 offset0:91 offset1:92
	s_waitcnt lgkmcnt(3)
	v_fmac_f32_e32 v123, v114, v98
	ds_load_b32 v98, v94 offset:372
	s_waitcnt vmcnt(1)
	v_fmac_f32_e32 v123, v115, v99
	s_waitcnt lgkmcnt(3)
	s_delay_alu instid0(VALU_DEP_1) | instskip(NEXT) | instid1(VALU_DEP_1)
	v_fmac_f32_e32 v123, v116, v100
	v_fmac_f32_e32 v123, v117, v101
	s_waitcnt lgkmcnt(2)
	s_delay_alu instid0(VALU_DEP_1) | instskip(SKIP_1) | instid1(VALU_DEP_1)
	v_fmac_f32_e32 v123, v118, v102
	s_waitcnt vmcnt(0)
	v_fmac_f32_e32 v123, v119, v103
	s_waitcnt lgkmcnt(1)
	s_delay_alu instid0(VALU_DEP_1) | instskip(NEXT) | instid1(VALU_DEP_1)
	v_fmac_f32_e32 v123, v120, v96
	v_fmac_f32_e32 v123, v121, v97
	s_waitcnt lgkmcnt(0)
	s_delay_alu instid0(VALU_DEP_1) | instskip(NEXT) | instid1(VALU_DEP_1)
	v_fmac_f32_e32 v123, v122, v98
	v_sub_f32_e32 v95, v95, v123
	scratch_store_b32 off, v95, off offset:72
	v_cmpx_lt_u32_e32 17, v0
	s_cbranch_execz .LBB45_249
; %bb.248:
	scratch_load_b32 v95, off, off offset:68
	scratch_store_b32 off, v94, off offset:68
	s_waitcnt vmcnt(0)
	ds_store_b32 v93, v95
.LBB45_249:
	s_or_b32 exec_lo, exec_lo, s0
	s_waitcnt lgkmcnt(0)
	s_waitcnt_vscnt null, 0x0
	s_barrier
	buffer_gl0_inv
	s_clause 0x7
	scratch_load_b128 v[95:98], off, off offset:68
	scratch_load_b128 v[99:102], off, off offset:84
	;; [unrolled: 1-line block ×7, first 2 shown]
	scratch_load_b32 v131, off, off offset:180
	ds_load_2addr_b64 v[123:126], v94 offset0:33 offset1:34
	ds_load_2addr_b64 v[127:130], v94 offset0:35 offset1:36
	s_mov_b32 s0, exec_lo
	s_waitcnt vmcnt(7) lgkmcnt(1)
	v_fma_f32 v123, v96, v123, 0
	s_delay_alu instid0(VALU_DEP_1) | instskip(NEXT) | instid1(VALU_DEP_1)
	v_fmac_f32_e32 v123, v97, v124
	v_fmac_f32_e32 v123, v98, v125
	s_waitcnt vmcnt(6)
	s_delay_alu instid0(VALU_DEP_1) | instskip(SKIP_3) | instid1(VALU_DEP_1)
	v_fmac_f32_e32 v123, v99, v126
	ds_load_2addr_b64 v[96:99], v94 offset0:37 offset1:38
	s_waitcnt lgkmcnt(1)
	v_fmac_f32_e32 v123, v100, v127
	v_fmac_f32_e32 v123, v101, v128
	s_delay_alu instid0(VALU_DEP_1) | instskip(SKIP_1) | instid1(VALU_DEP_1)
	v_fmac_f32_e32 v123, v102, v129
	s_waitcnt vmcnt(5)
	v_fmac_f32_e32 v123, v103, v130
	ds_load_2addr_b64 v[100:103], v94 offset0:39 offset1:40
	s_waitcnt lgkmcnt(1)
	v_fmac_f32_e32 v123, v104, v96
	s_delay_alu instid0(VALU_DEP_1) | instskip(NEXT) | instid1(VALU_DEP_1)
	v_fmac_f32_e32 v123, v105, v97
	v_fmac_f32_e32 v123, v106, v98
	s_waitcnt vmcnt(4)
	s_delay_alu instid0(VALU_DEP_1) | instskip(SKIP_3) | instid1(VALU_DEP_1)
	v_fmac_f32_e32 v123, v107, v99
	ds_load_2addr_b64 v[96:99], v94 offset0:41 offset1:42
	s_waitcnt lgkmcnt(1)
	v_fmac_f32_e32 v123, v108, v100
	v_fmac_f32_e32 v123, v109, v101
	s_delay_alu instid0(VALU_DEP_1) | instskip(SKIP_1) | instid1(VALU_DEP_1)
	v_fmac_f32_e32 v123, v110, v102
	s_waitcnt vmcnt(3)
	v_fmac_f32_e32 v123, v111, v103
	ds_load_2addr_b64 v[100:103], v94 offset0:43 offset1:44
	s_waitcnt lgkmcnt(1)
	v_fmac_f32_e32 v123, v112, v96
	s_delay_alu instid0(VALU_DEP_1) | instskip(NEXT) | instid1(VALU_DEP_1)
	v_fmac_f32_e32 v123, v113, v97
	v_fmac_f32_e32 v123, v114, v98
	s_waitcnt vmcnt(2)
	s_delay_alu instid0(VALU_DEP_1) | instskip(SKIP_3) | instid1(VALU_DEP_1)
	v_fmac_f32_e32 v123, v115, v99
	ds_load_2addr_b64 v[96:99], v94 offset0:45 offset1:46
	s_waitcnt lgkmcnt(1)
	v_fmac_f32_e32 v123, v116, v100
	v_fmac_f32_e32 v123, v117, v101
	s_delay_alu instid0(VALU_DEP_1) | instskip(SKIP_1) | instid1(VALU_DEP_1)
	v_fmac_f32_e32 v123, v118, v102
	s_waitcnt vmcnt(1)
	v_fmac_f32_e32 v123, v119, v103
	s_waitcnt lgkmcnt(0)
	s_delay_alu instid0(VALU_DEP_1) | instskip(NEXT) | instid1(VALU_DEP_1)
	v_fmac_f32_e32 v123, v120, v96
	v_fmac_f32_e32 v123, v121, v97
	s_delay_alu instid0(VALU_DEP_1) | instskip(SKIP_1) | instid1(VALU_DEP_1)
	v_fmac_f32_e32 v123, v122, v98
	s_waitcnt vmcnt(0)
	v_fmac_f32_e32 v123, v131, v99
	s_delay_alu instid0(VALU_DEP_1)
	v_sub_f32_e32 v94, v95, v123
	scratch_store_b32 off, v94, off offset:68
	v_cmpx_lt_u32_e32 16, v0
	s_cbranch_execz .LBB45_251
; %bb.250:
	scratch_load_b32 v94, off, off offset:64
	v_mov_b32_e32 v95, 0
	scratch_store_b32 off, v95, off offset:64
	s_waitcnt vmcnt(0)
	ds_store_b32 v93, v94
.LBB45_251:
	s_or_b32 exec_lo, exec_lo, s0
	s_waitcnt lgkmcnt(0)
	s_waitcnt_vscnt null, 0x0
	s_barrier
	buffer_gl0_inv
	s_clause 0x7
	scratch_load_b128 v[95:98], off, off offset:64
	scratch_load_b128 v[99:102], off, off offset:80
	;; [unrolled: 1-line block ×7, first 2 shown]
	scratch_load_b64 v[123:124], off, off offset:176
	v_mov_b32_e32 v94, 0
	ds_load_2addr_b32 v[125:126], v94 offset0:65 offset1:66
	ds_load_2addr_b32 v[127:128], v94 offset0:67 offset1:68
	;; [unrolled: 1-line block ×4, first 2 shown]
	s_mov_b32 s0, exec_lo
	s_waitcnt vmcnt(7) lgkmcnt(3)
	v_fma_f32 v125, v96, v125, 0
	s_delay_alu instid0(VALU_DEP_1) | instskip(SKIP_4) | instid1(VALU_DEP_1)
	v_fmac_f32_e32 v125, v97, v126
	ds_load_2addr_b32 v[96:97], v94 offset0:73 offset1:74
	s_waitcnt lgkmcnt(3)
	v_fmac_f32_e32 v125, v98, v127
	s_waitcnt vmcnt(6)
	v_fmac_f32_e32 v125, v99, v128
	ds_load_2addr_b32 v[98:99], v94 offset0:75 offset1:76
	s_waitcnt lgkmcnt(3)
	v_fmac_f32_e32 v125, v100, v129
	s_delay_alu instid0(VALU_DEP_1) | instskip(SKIP_1) | instid1(VALU_DEP_1)
	v_fmac_f32_e32 v125, v101, v130
	s_waitcnt lgkmcnt(2)
	v_fmac_f32_e32 v125, v102, v131
	s_waitcnt vmcnt(5)
	s_delay_alu instid0(VALU_DEP_1) | instskip(SKIP_4) | instid1(VALU_DEP_1)
	v_fmac_f32_e32 v125, v103, v132
	ds_load_2addr_b32 v[100:101], v94 offset0:77 offset1:78
	ds_load_2addr_b32 v[102:103], v94 offset0:79 offset1:80
	s_waitcnt lgkmcnt(3)
	v_fmac_f32_e32 v125, v104, v96
	v_fmac_f32_e32 v125, v105, v97
	ds_load_2addr_b32 v[96:97], v94 offset0:81 offset1:82
	s_waitcnt lgkmcnt(3)
	v_fmac_f32_e32 v125, v106, v98
	s_waitcnt vmcnt(4)
	s_delay_alu instid0(VALU_DEP_1) | instskip(SKIP_3) | instid1(VALU_DEP_1)
	v_fmac_f32_e32 v125, v107, v99
	ds_load_2addr_b32 v[98:99], v94 offset0:83 offset1:84
	s_waitcnt lgkmcnt(3)
	v_fmac_f32_e32 v125, v108, v100
	v_fmac_f32_e32 v125, v109, v101
	s_waitcnt lgkmcnt(2)
	s_delay_alu instid0(VALU_DEP_1) | instskip(SKIP_1) | instid1(VALU_DEP_1)
	v_fmac_f32_e32 v125, v110, v102
	s_waitcnt vmcnt(3)
	v_fmac_f32_e32 v125, v111, v103
	ds_load_2addr_b32 v[100:101], v94 offset0:85 offset1:86
	ds_load_2addr_b32 v[102:103], v94 offset0:87 offset1:88
	s_waitcnt lgkmcnt(3)
	v_fmac_f32_e32 v125, v112, v96
	s_delay_alu instid0(VALU_DEP_1) | instskip(SKIP_4) | instid1(VALU_DEP_1)
	v_fmac_f32_e32 v125, v113, v97
	ds_load_2addr_b32 v[96:97], v94 offset0:89 offset1:90
	s_waitcnt lgkmcnt(3)
	v_fmac_f32_e32 v125, v114, v98
	s_waitcnt vmcnt(2)
	v_fmac_f32_e32 v125, v115, v99
	ds_load_2addr_b32 v[98:99], v94 offset0:91 offset1:92
	s_waitcnt lgkmcnt(3)
	v_fmac_f32_e32 v125, v116, v100
	ds_load_b32 v100, v94 offset:372
	v_fmac_f32_e32 v125, v117, v101
	s_waitcnt lgkmcnt(3)
	s_delay_alu instid0(VALU_DEP_1) | instskip(SKIP_1) | instid1(VALU_DEP_1)
	v_fmac_f32_e32 v125, v118, v102
	s_waitcnt vmcnt(1)
	v_fmac_f32_e32 v125, v119, v103
	s_waitcnt lgkmcnt(2)
	s_delay_alu instid0(VALU_DEP_1) | instskip(NEXT) | instid1(VALU_DEP_1)
	v_fmac_f32_e32 v125, v120, v96
	v_fmac_f32_e32 v125, v121, v97
	s_waitcnt lgkmcnt(1)
	s_delay_alu instid0(VALU_DEP_1) | instskip(SKIP_1) | instid1(VALU_DEP_1)
	v_fmac_f32_e32 v125, v122, v98
	s_waitcnt vmcnt(0)
	v_fmac_f32_e32 v125, v123, v99
	s_waitcnt lgkmcnt(0)
	s_delay_alu instid0(VALU_DEP_1) | instskip(NEXT) | instid1(VALU_DEP_1)
	v_fmac_f32_e32 v125, v124, v100
	v_sub_f32_e32 v95, v95, v125
	scratch_store_b32 off, v95, off offset:64
	v_cmpx_lt_u32_e32 15, v0
	s_cbranch_execz .LBB45_253
; %bb.252:
	scratch_load_b32 v95, off, off offset:60
	scratch_store_b32 off, v94, off offset:60
	s_waitcnt vmcnt(0)
	ds_store_b32 v93, v95
.LBB45_253:
	s_or_b32 exec_lo, exec_lo, s0
	s_waitcnt lgkmcnt(0)
	s_waitcnt_vscnt null, 0x0
	s_barrier
	buffer_gl0_inv
	s_clause 0x7
	scratch_load_b128 v[95:98], off, off offset:60
	scratch_load_b128 v[99:102], off, off offset:76
	;; [unrolled: 1-line block ×7, first 2 shown]
	scratch_load_b96 v[131:133], off, off offset:172
	ds_load_b128 v[123:126], v94 offset:256
	ds_load_b128 v[127:130], v94 offset:272
	s_mov_b32 s0, exec_lo
	s_waitcnt vmcnt(7) lgkmcnt(1)
	v_fma_f32 v123, v96, v123, 0
	s_delay_alu instid0(VALU_DEP_1) | instskip(NEXT) | instid1(VALU_DEP_1)
	v_fmac_f32_e32 v123, v97, v124
	v_fmac_f32_e32 v123, v98, v125
	s_waitcnt vmcnt(6)
	s_delay_alu instid0(VALU_DEP_1) | instskip(SKIP_3) | instid1(VALU_DEP_1)
	v_fmac_f32_e32 v123, v99, v126
	ds_load_b128 v[96:99], v94 offset:288
	s_waitcnt lgkmcnt(1)
	v_fmac_f32_e32 v123, v100, v127
	v_fmac_f32_e32 v123, v101, v128
	s_delay_alu instid0(VALU_DEP_1) | instskip(SKIP_1) | instid1(VALU_DEP_1)
	v_fmac_f32_e32 v123, v102, v129
	s_waitcnt vmcnt(5)
	v_fmac_f32_e32 v123, v103, v130
	ds_load_b128 v[100:103], v94 offset:304
	s_waitcnt lgkmcnt(1)
	v_fmac_f32_e32 v123, v104, v96
	s_delay_alu instid0(VALU_DEP_1) | instskip(NEXT) | instid1(VALU_DEP_1)
	v_fmac_f32_e32 v123, v105, v97
	v_fmac_f32_e32 v123, v106, v98
	s_waitcnt vmcnt(4)
	s_delay_alu instid0(VALU_DEP_1) | instskip(SKIP_3) | instid1(VALU_DEP_1)
	v_fmac_f32_e32 v123, v107, v99
	ds_load_b128 v[96:99], v94 offset:320
	s_waitcnt lgkmcnt(1)
	v_fmac_f32_e32 v123, v108, v100
	v_fmac_f32_e32 v123, v109, v101
	s_delay_alu instid0(VALU_DEP_1) | instskip(SKIP_1) | instid1(VALU_DEP_1)
	v_fmac_f32_e32 v123, v110, v102
	s_waitcnt vmcnt(3)
	v_fmac_f32_e32 v123, v111, v103
	ds_load_b128 v[100:103], v94 offset:336
	s_waitcnt lgkmcnt(1)
	v_fmac_f32_e32 v123, v112, v96
	s_delay_alu instid0(VALU_DEP_1) | instskip(NEXT) | instid1(VALU_DEP_1)
	v_fmac_f32_e32 v123, v113, v97
	v_fmac_f32_e32 v123, v114, v98
	s_waitcnt vmcnt(2)
	s_delay_alu instid0(VALU_DEP_1) | instskip(SKIP_3) | instid1(VALU_DEP_1)
	v_fmac_f32_e32 v123, v115, v99
	ds_load_b128 v[96:99], v94 offset:352
	s_waitcnt lgkmcnt(1)
	v_fmac_f32_e32 v123, v116, v100
	v_fmac_f32_e32 v123, v117, v101
	ds_load_b64 v[100:101], v94 offset:368
	v_fmac_f32_e32 v123, v118, v102
	s_waitcnt vmcnt(1)
	s_delay_alu instid0(VALU_DEP_1) | instskip(SKIP_1) | instid1(VALU_DEP_1)
	v_fmac_f32_e32 v123, v119, v103
	s_waitcnt lgkmcnt(1)
	v_fmac_f32_e32 v123, v120, v96
	s_delay_alu instid0(VALU_DEP_1) | instskip(NEXT) | instid1(VALU_DEP_1)
	v_fmac_f32_e32 v123, v121, v97
	v_fmac_f32_e32 v123, v122, v98
	s_waitcnt vmcnt(0)
	s_delay_alu instid0(VALU_DEP_1) | instskip(SKIP_1) | instid1(VALU_DEP_1)
	v_fmac_f32_e32 v123, v131, v99
	s_waitcnt lgkmcnt(0)
	v_fmac_f32_e32 v123, v132, v100
	s_delay_alu instid0(VALU_DEP_1) | instskip(NEXT) | instid1(VALU_DEP_1)
	v_fmac_f32_e32 v123, v133, v101
	v_sub_f32_e32 v94, v95, v123
	scratch_store_b32 off, v94, off offset:60
	v_cmpx_lt_u32_e32 14, v0
	s_cbranch_execz .LBB45_255
; %bb.254:
	scratch_load_b32 v94, off, off offset:56
	v_mov_b32_e32 v95, 0
	scratch_store_b32 off, v95, off offset:56
	s_waitcnt vmcnt(0)
	ds_store_b32 v93, v94
.LBB45_255:
	s_or_b32 exec_lo, exec_lo, s0
	s_waitcnt lgkmcnt(0)
	s_waitcnt_vscnt null, 0x0
	s_barrier
	buffer_gl0_inv
	s_clause 0x7
	scratch_load_b128 v[95:98], off, off offset:56
	scratch_load_b128 v[99:102], off, off offset:72
	;; [unrolled: 1-line block ×8, first 2 shown]
	v_mov_b32_e32 v94, 0
	ds_load_2addr_b32 v[127:128], v94 offset0:63 offset1:64
	ds_load_2addr_b32 v[129:130], v94 offset0:65 offset1:66
	;; [unrolled: 1-line block ×4, first 2 shown]
	s_mov_b32 s0, exec_lo
	s_waitcnt vmcnt(7) lgkmcnt(3)
	v_fma_f32 v127, v96, v127, 0
	s_delay_alu instid0(VALU_DEP_1) | instskip(SKIP_4) | instid1(VALU_DEP_1)
	v_fmac_f32_e32 v127, v97, v128
	ds_load_2addr_b32 v[96:97], v94 offset0:71 offset1:72
	s_waitcnt lgkmcnt(3)
	v_fmac_f32_e32 v127, v98, v129
	s_waitcnt vmcnt(6)
	v_fmac_f32_e32 v127, v99, v130
	ds_load_2addr_b32 v[98:99], v94 offset0:73 offset1:74
	s_waitcnt lgkmcnt(3)
	v_fmac_f32_e32 v127, v100, v131
	s_delay_alu instid0(VALU_DEP_1) | instskip(SKIP_1) | instid1(VALU_DEP_1)
	v_fmac_f32_e32 v127, v101, v132
	s_waitcnt lgkmcnt(2)
	v_fmac_f32_e32 v127, v102, v133
	s_waitcnt vmcnt(5)
	s_delay_alu instid0(VALU_DEP_1) | instskip(SKIP_4) | instid1(VALU_DEP_1)
	v_fmac_f32_e32 v127, v103, v134
	ds_load_2addr_b32 v[100:101], v94 offset0:75 offset1:76
	ds_load_2addr_b32 v[102:103], v94 offset0:77 offset1:78
	s_waitcnt lgkmcnt(3)
	v_fmac_f32_e32 v127, v104, v96
	v_fmac_f32_e32 v127, v105, v97
	ds_load_2addr_b32 v[96:97], v94 offset0:79 offset1:80
	s_waitcnt lgkmcnt(3)
	v_fmac_f32_e32 v127, v106, v98
	s_waitcnt vmcnt(4)
	s_delay_alu instid0(VALU_DEP_1) | instskip(SKIP_3) | instid1(VALU_DEP_1)
	v_fmac_f32_e32 v127, v107, v99
	ds_load_2addr_b32 v[98:99], v94 offset0:81 offset1:82
	s_waitcnt lgkmcnt(3)
	v_fmac_f32_e32 v127, v108, v100
	v_fmac_f32_e32 v127, v109, v101
	s_waitcnt lgkmcnt(2)
	s_delay_alu instid0(VALU_DEP_1) | instskip(SKIP_1) | instid1(VALU_DEP_1)
	v_fmac_f32_e32 v127, v110, v102
	s_waitcnt vmcnt(3)
	v_fmac_f32_e32 v127, v111, v103
	ds_load_2addr_b32 v[100:101], v94 offset0:83 offset1:84
	ds_load_2addr_b32 v[102:103], v94 offset0:85 offset1:86
	s_waitcnt lgkmcnt(3)
	v_fmac_f32_e32 v127, v112, v96
	s_delay_alu instid0(VALU_DEP_1) | instskip(SKIP_4) | instid1(VALU_DEP_1)
	v_fmac_f32_e32 v127, v113, v97
	ds_load_2addr_b32 v[96:97], v94 offset0:87 offset1:88
	s_waitcnt lgkmcnt(3)
	v_fmac_f32_e32 v127, v114, v98
	s_waitcnt vmcnt(2)
	v_fmac_f32_e32 v127, v115, v99
	ds_load_2addr_b32 v[98:99], v94 offset0:89 offset1:90
	s_waitcnt lgkmcnt(3)
	v_fmac_f32_e32 v127, v116, v100
	s_delay_alu instid0(VALU_DEP_1) | instskip(SKIP_1) | instid1(VALU_DEP_1)
	v_fmac_f32_e32 v127, v117, v101
	s_waitcnt lgkmcnt(2)
	v_fmac_f32_e32 v127, v118, v102
	ds_load_2addr_b32 v[100:101], v94 offset0:91 offset1:92
	ds_load_b32 v102, v94 offset:372
	s_waitcnt vmcnt(1)
	v_fmac_f32_e32 v127, v119, v103
	s_waitcnt lgkmcnt(3)
	s_delay_alu instid0(VALU_DEP_1) | instskip(NEXT) | instid1(VALU_DEP_1)
	v_fmac_f32_e32 v127, v120, v96
	v_fmac_f32_e32 v127, v121, v97
	s_waitcnt lgkmcnt(2)
	s_delay_alu instid0(VALU_DEP_1) | instskip(SKIP_1) | instid1(VALU_DEP_1)
	v_fmac_f32_e32 v127, v122, v98
	s_waitcnt vmcnt(0)
	v_fmac_f32_e32 v127, v123, v99
	s_waitcnt lgkmcnt(1)
	s_delay_alu instid0(VALU_DEP_1) | instskip(NEXT) | instid1(VALU_DEP_1)
	v_fmac_f32_e32 v127, v124, v100
	v_fmac_f32_e32 v127, v125, v101
	s_waitcnt lgkmcnt(0)
	s_delay_alu instid0(VALU_DEP_1) | instskip(NEXT) | instid1(VALU_DEP_1)
	v_fmac_f32_e32 v127, v126, v102
	v_sub_f32_e32 v95, v95, v127
	scratch_store_b32 off, v95, off offset:56
	v_cmpx_lt_u32_e32 13, v0
	s_cbranch_execz .LBB45_257
; %bb.256:
	scratch_load_b32 v95, off, off offset:52
	scratch_store_b32 off, v94, off offset:52
	s_waitcnt vmcnt(0)
	ds_store_b32 v93, v95
.LBB45_257:
	s_or_b32 exec_lo, exec_lo, s0
	s_waitcnt lgkmcnt(0)
	s_waitcnt_vscnt null, 0x0
	s_barrier
	buffer_gl0_inv
	s_clause 0x8
	scratch_load_b128 v[95:98], off, off offset:52
	scratch_load_b128 v[99:102], off, off offset:68
	;; [unrolled: 1-line block ×8, first 2 shown]
	scratch_load_b32 v135, off, off offset:180
	ds_load_2addr_b64 v[127:130], v94 offset0:31 offset1:32
	ds_load_2addr_b64 v[131:134], v94 offset0:33 offset1:34
	s_mov_b32 s0, exec_lo
	s_waitcnt vmcnt(8) lgkmcnt(1)
	v_fma_f32 v127, v96, v127, 0
	s_delay_alu instid0(VALU_DEP_1) | instskip(NEXT) | instid1(VALU_DEP_1)
	v_fmac_f32_e32 v127, v97, v128
	v_fmac_f32_e32 v127, v98, v129
	s_waitcnt vmcnt(7)
	s_delay_alu instid0(VALU_DEP_1) | instskip(SKIP_3) | instid1(VALU_DEP_1)
	v_fmac_f32_e32 v127, v99, v130
	ds_load_2addr_b64 v[96:99], v94 offset0:35 offset1:36
	s_waitcnt lgkmcnt(1)
	v_fmac_f32_e32 v127, v100, v131
	v_fmac_f32_e32 v127, v101, v132
	s_delay_alu instid0(VALU_DEP_1) | instskip(SKIP_1) | instid1(VALU_DEP_1)
	v_fmac_f32_e32 v127, v102, v133
	s_waitcnt vmcnt(6)
	v_fmac_f32_e32 v127, v103, v134
	ds_load_2addr_b64 v[100:103], v94 offset0:37 offset1:38
	s_waitcnt lgkmcnt(1)
	v_fmac_f32_e32 v127, v104, v96
	s_delay_alu instid0(VALU_DEP_1) | instskip(NEXT) | instid1(VALU_DEP_1)
	v_fmac_f32_e32 v127, v105, v97
	v_fmac_f32_e32 v127, v106, v98
	s_waitcnt vmcnt(5)
	s_delay_alu instid0(VALU_DEP_1) | instskip(SKIP_3) | instid1(VALU_DEP_1)
	v_fmac_f32_e32 v127, v107, v99
	ds_load_2addr_b64 v[96:99], v94 offset0:39 offset1:40
	s_waitcnt lgkmcnt(1)
	v_fmac_f32_e32 v127, v108, v100
	v_fmac_f32_e32 v127, v109, v101
	s_delay_alu instid0(VALU_DEP_1) | instskip(SKIP_1) | instid1(VALU_DEP_1)
	v_fmac_f32_e32 v127, v110, v102
	s_waitcnt vmcnt(4)
	v_fmac_f32_e32 v127, v111, v103
	ds_load_2addr_b64 v[100:103], v94 offset0:41 offset1:42
	s_waitcnt lgkmcnt(1)
	v_fmac_f32_e32 v127, v112, v96
	;; [unrolled: 17-line block ×3, first 2 shown]
	s_delay_alu instid0(VALU_DEP_1) | instskip(NEXT) | instid1(VALU_DEP_1)
	v_fmac_f32_e32 v127, v121, v97
	v_fmac_f32_e32 v127, v122, v98
	s_waitcnt vmcnt(1)
	s_delay_alu instid0(VALU_DEP_1) | instskip(SKIP_1) | instid1(VALU_DEP_1)
	v_fmac_f32_e32 v127, v123, v99
	s_waitcnt lgkmcnt(0)
	v_fmac_f32_e32 v127, v124, v100
	s_delay_alu instid0(VALU_DEP_1) | instskip(NEXT) | instid1(VALU_DEP_1)
	v_fmac_f32_e32 v127, v125, v101
	v_fmac_f32_e32 v127, v126, v102
	s_waitcnt vmcnt(0)
	s_delay_alu instid0(VALU_DEP_1) | instskip(NEXT) | instid1(VALU_DEP_1)
	v_fmac_f32_e32 v127, v135, v103
	v_sub_f32_e32 v94, v95, v127
	scratch_store_b32 off, v94, off offset:52
	v_cmpx_lt_u32_e32 12, v0
	s_cbranch_execz .LBB45_259
; %bb.258:
	scratch_load_b32 v94, off, off offset:48
	v_mov_b32_e32 v95, 0
	scratch_store_b32 off, v95, off offset:48
	s_waitcnt vmcnt(0)
	ds_store_b32 v93, v94
.LBB45_259:
	s_or_b32 exec_lo, exec_lo, s0
	s_waitcnt lgkmcnt(0)
	s_waitcnt_vscnt null, 0x0
	s_barrier
	buffer_gl0_inv
	s_clause 0x8
	scratch_load_b128 v[95:98], off, off offset:48
	scratch_load_b128 v[99:102], off, off offset:64
	;; [unrolled: 1-line block ×8, first 2 shown]
	scratch_load_b64 v[127:128], off, off offset:176
	v_mov_b32_e32 v94, 0
	ds_load_2addr_b32 v[129:130], v94 offset0:61 offset1:62
	ds_load_2addr_b32 v[131:132], v94 offset0:63 offset1:64
	;; [unrolled: 1-line block ×4, first 2 shown]
	s_mov_b32 s0, exec_lo
	s_waitcnt vmcnt(8) lgkmcnt(3)
	v_fma_f32 v129, v96, v129, 0
	s_delay_alu instid0(VALU_DEP_1) | instskip(SKIP_4) | instid1(VALU_DEP_1)
	v_fmac_f32_e32 v129, v97, v130
	ds_load_2addr_b32 v[96:97], v94 offset0:69 offset1:70
	s_waitcnt lgkmcnt(3)
	v_fmac_f32_e32 v129, v98, v131
	s_waitcnt vmcnt(7)
	v_fmac_f32_e32 v129, v99, v132
	ds_load_2addr_b32 v[98:99], v94 offset0:71 offset1:72
	s_waitcnt lgkmcnt(3)
	v_fmac_f32_e32 v129, v100, v133
	s_delay_alu instid0(VALU_DEP_1) | instskip(SKIP_1) | instid1(VALU_DEP_1)
	v_fmac_f32_e32 v129, v101, v134
	s_waitcnt lgkmcnt(2)
	v_fmac_f32_e32 v129, v102, v135
	s_waitcnt vmcnt(6)
	s_delay_alu instid0(VALU_DEP_1) | instskip(SKIP_4) | instid1(VALU_DEP_1)
	v_fmac_f32_e32 v129, v103, v136
	ds_load_2addr_b32 v[100:101], v94 offset0:73 offset1:74
	ds_load_2addr_b32 v[102:103], v94 offset0:75 offset1:76
	s_waitcnt lgkmcnt(3)
	v_fmac_f32_e32 v129, v104, v96
	v_fmac_f32_e32 v129, v105, v97
	ds_load_2addr_b32 v[96:97], v94 offset0:77 offset1:78
	s_waitcnt lgkmcnt(3)
	v_fmac_f32_e32 v129, v106, v98
	s_waitcnt vmcnt(5)
	s_delay_alu instid0(VALU_DEP_1) | instskip(SKIP_3) | instid1(VALU_DEP_1)
	v_fmac_f32_e32 v129, v107, v99
	ds_load_2addr_b32 v[98:99], v94 offset0:79 offset1:80
	s_waitcnt lgkmcnt(3)
	v_fmac_f32_e32 v129, v108, v100
	v_fmac_f32_e32 v129, v109, v101
	s_waitcnt lgkmcnt(2)
	s_delay_alu instid0(VALU_DEP_1) | instskip(SKIP_1) | instid1(VALU_DEP_1)
	v_fmac_f32_e32 v129, v110, v102
	s_waitcnt vmcnt(4)
	v_fmac_f32_e32 v129, v111, v103
	ds_load_2addr_b32 v[100:101], v94 offset0:81 offset1:82
	ds_load_2addr_b32 v[102:103], v94 offset0:83 offset1:84
	s_waitcnt lgkmcnt(3)
	v_fmac_f32_e32 v129, v112, v96
	s_delay_alu instid0(VALU_DEP_1) | instskip(SKIP_4) | instid1(VALU_DEP_1)
	v_fmac_f32_e32 v129, v113, v97
	ds_load_2addr_b32 v[96:97], v94 offset0:85 offset1:86
	s_waitcnt lgkmcnt(3)
	v_fmac_f32_e32 v129, v114, v98
	s_waitcnt vmcnt(3)
	v_fmac_f32_e32 v129, v115, v99
	ds_load_2addr_b32 v[98:99], v94 offset0:87 offset1:88
	s_waitcnt lgkmcnt(3)
	v_fmac_f32_e32 v129, v116, v100
	s_delay_alu instid0(VALU_DEP_1) | instskip(SKIP_1) | instid1(VALU_DEP_1)
	v_fmac_f32_e32 v129, v117, v101
	s_waitcnt lgkmcnt(2)
	v_fmac_f32_e32 v129, v118, v102
	s_waitcnt vmcnt(2)
	s_delay_alu instid0(VALU_DEP_1)
	v_fmac_f32_e32 v129, v119, v103
	ds_load_2addr_b32 v[100:101], v94 offset0:89 offset1:90
	ds_load_2addr_b32 v[102:103], v94 offset0:91 offset1:92
	s_waitcnt lgkmcnt(3)
	v_fmac_f32_e32 v129, v120, v96
	ds_load_b32 v96, v94 offset:372
	v_fmac_f32_e32 v129, v121, v97
	s_waitcnt lgkmcnt(3)
	s_delay_alu instid0(VALU_DEP_1) | instskip(SKIP_1) | instid1(VALU_DEP_1)
	v_fmac_f32_e32 v129, v122, v98
	s_waitcnt vmcnt(1)
	v_fmac_f32_e32 v129, v123, v99
	s_waitcnt lgkmcnt(2)
	s_delay_alu instid0(VALU_DEP_1) | instskip(NEXT) | instid1(VALU_DEP_1)
	v_fmac_f32_e32 v129, v124, v100
	v_fmac_f32_e32 v129, v125, v101
	s_waitcnt lgkmcnt(1)
	s_delay_alu instid0(VALU_DEP_1) | instskip(SKIP_1) | instid1(VALU_DEP_1)
	v_fmac_f32_e32 v129, v126, v102
	s_waitcnt vmcnt(0)
	v_fmac_f32_e32 v129, v127, v103
	s_waitcnt lgkmcnt(0)
	s_delay_alu instid0(VALU_DEP_1) | instskip(NEXT) | instid1(VALU_DEP_1)
	v_fmac_f32_e32 v129, v128, v96
	v_sub_f32_e32 v95, v95, v129
	scratch_store_b32 off, v95, off offset:48
	v_cmpx_lt_u32_e32 11, v0
	s_cbranch_execz .LBB45_261
; %bb.260:
	scratch_load_b32 v95, off, off offset:44
	scratch_store_b32 off, v94, off offset:44
	s_waitcnt vmcnt(0)
	ds_store_b32 v93, v95
.LBB45_261:
	s_or_b32 exec_lo, exec_lo, s0
	s_waitcnt lgkmcnt(0)
	s_waitcnt_vscnt null, 0x0
	s_barrier
	buffer_gl0_inv
	s_clause 0x8
	scratch_load_b128 v[95:98], off, off offset:44
	scratch_load_b128 v[99:102], off, off offset:60
	;; [unrolled: 1-line block ×8, first 2 shown]
	scratch_load_b96 v[135:137], off, off offset:172
	ds_load_b128 v[127:130], v94 offset:240
	ds_load_b128 v[131:134], v94 offset:256
	s_mov_b32 s0, exec_lo
	s_waitcnt vmcnt(8) lgkmcnt(1)
	v_fma_f32 v127, v96, v127, 0
	s_delay_alu instid0(VALU_DEP_1) | instskip(NEXT) | instid1(VALU_DEP_1)
	v_fmac_f32_e32 v127, v97, v128
	v_fmac_f32_e32 v127, v98, v129
	s_waitcnt vmcnt(7)
	s_delay_alu instid0(VALU_DEP_1) | instskip(SKIP_3) | instid1(VALU_DEP_1)
	v_fmac_f32_e32 v127, v99, v130
	ds_load_b128 v[96:99], v94 offset:272
	s_waitcnt lgkmcnt(1)
	v_fmac_f32_e32 v127, v100, v131
	v_fmac_f32_e32 v127, v101, v132
	s_delay_alu instid0(VALU_DEP_1) | instskip(SKIP_1) | instid1(VALU_DEP_1)
	v_fmac_f32_e32 v127, v102, v133
	s_waitcnt vmcnt(6)
	v_fmac_f32_e32 v127, v103, v134
	ds_load_b128 v[100:103], v94 offset:288
	s_waitcnt lgkmcnt(1)
	v_fmac_f32_e32 v127, v104, v96
	s_delay_alu instid0(VALU_DEP_1) | instskip(NEXT) | instid1(VALU_DEP_1)
	v_fmac_f32_e32 v127, v105, v97
	v_fmac_f32_e32 v127, v106, v98
	s_waitcnt vmcnt(5)
	s_delay_alu instid0(VALU_DEP_1) | instskip(SKIP_3) | instid1(VALU_DEP_1)
	v_fmac_f32_e32 v127, v107, v99
	ds_load_b128 v[96:99], v94 offset:304
	s_waitcnt lgkmcnt(1)
	v_fmac_f32_e32 v127, v108, v100
	v_fmac_f32_e32 v127, v109, v101
	s_delay_alu instid0(VALU_DEP_1) | instskip(SKIP_1) | instid1(VALU_DEP_1)
	v_fmac_f32_e32 v127, v110, v102
	s_waitcnt vmcnt(4)
	v_fmac_f32_e32 v127, v111, v103
	ds_load_b128 v[100:103], v94 offset:320
	s_waitcnt lgkmcnt(1)
	v_fmac_f32_e32 v127, v112, v96
	;; [unrolled: 17-line block ×3, first 2 shown]
	s_delay_alu instid0(VALU_DEP_1) | instskip(SKIP_3) | instid1(VALU_DEP_1)
	v_fmac_f32_e32 v127, v121, v97
	ds_load_b64 v[96:97], v94 offset:368
	v_fmac_f32_e32 v127, v122, v98
	s_waitcnt vmcnt(1)
	v_fmac_f32_e32 v127, v123, v99
	s_waitcnt lgkmcnt(1)
	s_delay_alu instid0(VALU_DEP_1) | instskip(NEXT) | instid1(VALU_DEP_1)
	v_fmac_f32_e32 v127, v124, v100
	v_fmac_f32_e32 v127, v125, v101
	s_delay_alu instid0(VALU_DEP_1) | instskip(SKIP_1) | instid1(VALU_DEP_1)
	v_fmac_f32_e32 v127, v126, v102
	s_waitcnt vmcnt(0)
	v_fmac_f32_e32 v127, v135, v103
	s_waitcnt lgkmcnt(0)
	s_delay_alu instid0(VALU_DEP_1) | instskip(NEXT) | instid1(VALU_DEP_1)
	v_fmac_f32_e32 v127, v136, v96
	v_fmac_f32_e32 v127, v137, v97
	s_delay_alu instid0(VALU_DEP_1)
	v_sub_f32_e32 v94, v95, v127
	scratch_store_b32 off, v94, off offset:44
	v_cmpx_lt_u32_e32 10, v0
	s_cbranch_execz .LBB45_263
; %bb.262:
	scratch_load_b32 v94, off, off offset:40
	v_mov_b32_e32 v95, 0
	scratch_store_b32 off, v95, off offset:40
	s_waitcnt vmcnt(0)
	ds_store_b32 v93, v94
.LBB45_263:
	s_or_b32 exec_lo, exec_lo, s0
	s_waitcnt lgkmcnt(0)
	s_waitcnt_vscnt null, 0x0
	s_barrier
	buffer_gl0_inv
	s_clause 0x8
	scratch_load_b128 v[95:98], off, off offset:40
	scratch_load_b128 v[99:102], off, off offset:56
	;; [unrolled: 1-line block ×9, first 2 shown]
	v_mov_b32_e32 v94, 0
	ds_load_2addr_b32 v[131:132], v94 offset0:59 offset1:60
	ds_load_2addr_b32 v[133:134], v94 offset0:61 offset1:62
	;; [unrolled: 1-line block ×4, first 2 shown]
	s_mov_b32 s0, exec_lo
	s_waitcnt vmcnt(8) lgkmcnt(3)
	v_fma_f32 v131, v96, v131, 0
	s_delay_alu instid0(VALU_DEP_1) | instskip(SKIP_4) | instid1(VALU_DEP_1)
	v_fmac_f32_e32 v131, v97, v132
	ds_load_2addr_b32 v[96:97], v94 offset0:67 offset1:68
	s_waitcnt lgkmcnt(3)
	v_fmac_f32_e32 v131, v98, v133
	s_waitcnt vmcnt(7)
	v_fmac_f32_e32 v131, v99, v134
	ds_load_2addr_b32 v[98:99], v94 offset0:69 offset1:70
	s_waitcnt lgkmcnt(3)
	v_fmac_f32_e32 v131, v100, v135
	s_delay_alu instid0(VALU_DEP_1) | instskip(SKIP_1) | instid1(VALU_DEP_1)
	v_fmac_f32_e32 v131, v101, v136
	s_waitcnt lgkmcnt(2)
	v_fmac_f32_e32 v131, v102, v137
	s_waitcnt vmcnt(6)
	s_delay_alu instid0(VALU_DEP_1) | instskip(SKIP_4) | instid1(VALU_DEP_1)
	v_fmac_f32_e32 v131, v103, v138
	ds_load_2addr_b32 v[100:101], v94 offset0:71 offset1:72
	ds_load_2addr_b32 v[102:103], v94 offset0:73 offset1:74
	s_waitcnt lgkmcnt(3)
	v_fmac_f32_e32 v131, v104, v96
	v_fmac_f32_e32 v131, v105, v97
	ds_load_2addr_b32 v[96:97], v94 offset0:75 offset1:76
	s_waitcnt lgkmcnt(3)
	v_fmac_f32_e32 v131, v106, v98
	s_waitcnt vmcnt(5)
	s_delay_alu instid0(VALU_DEP_1) | instskip(SKIP_3) | instid1(VALU_DEP_1)
	v_fmac_f32_e32 v131, v107, v99
	ds_load_2addr_b32 v[98:99], v94 offset0:77 offset1:78
	s_waitcnt lgkmcnt(3)
	v_fmac_f32_e32 v131, v108, v100
	v_fmac_f32_e32 v131, v109, v101
	s_waitcnt lgkmcnt(2)
	s_delay_alu instid0(VALU_DEP_1) | instskip(SKIP_1) | instid1(VALU_DEP_1)
	v_fmac_f32_e32 v131, v110, v102
	s_waitcnt vmcnt(4)
	v_fmac_f32_e32 v131, v111, v103
	ds_load_2addr_b32 v[100:101], v94 offset0:79 offset1:80
	ds_load_2addr_b32 v[102:103], v94 offset0:81 offset1:82
	s_waitcnt lgkmcnt(3)
	v_fmac_f32_e32 v131, v112, v96
	s_delay_alu instid0(VALU_DEP_1) | instskip(SKIP_4) | instid1(VALU_DEP_1)
	v_fmac_f32_e32 v131, v113, v97
	ds_load_2addr_b32 v[96:97], v94 offset0:83 offset1:84
	s_waitcnt lgkmcnt(3)
	v_fmac_f32_e32 v131, v114, v98
	s_waitcnt vmcnt(3)
	v_fmac_f32_e32 v131, v115, v99
	ds_load_2addr_b32 v[98:99], v94 offset0:85 offset1:86
	s_waitcnt lgkmcnt(3)
	v_fmac_f32_e32 v131, v116, v100
	s_delay_alu instid0(VALU_DEP_1) | instskip(SKIP_1) | instid1(VALU_DEP_1)
	v_fmac_f32_e32 v131, v117, v101
	s_waitcnt lgkmcnt(2)
	v_fmac_f32_e32 v131, v118, v102
	s_waitcnt vmcnt(2)
	s_delay_alu instid0(VALU_DEP_1) | instskip(SKIP_4) | instid1(VALU_DEP_1)
	v_fmac_f32_e32 v131, v119, v103
	ds_load_2addr_b32 v[100:101], v94 offset0:87 offset1:88
	ds_load_2addr_b32 v[102:103], v94 offset0:89 offset1:90
	s_waitcnt lgkmcnt(3)
	v_fmac_f32_e32 v131, v120, v96
	v_fmac_f32_e32 v131, v121, v97
	ds_load_2addr_b32 v[96:97], v94 offset0:91 offset1:92
	s_waitcnt lgkmcnt(3)
	v_fmac_f32_e32 v131, v122, v98
	ds_load_b32 v98, v94 offset:372
	s_waitcnt vmcnt(1)
	v_fmac_f32_e32 v131, v123, v99
	s_waitcnt lgkmcnt(3)
	s_delay_alu instid0(VALU_DEP_1) | instskip(NEXT) | instid1(VALU_DEP_1)
	v_fmac_f32_e32 v131, v124, v100
	v_fmac_f32_e32 v131, v125, v101
	s_waitcnt lgkmcnt(2)
	s_delay_alu instid0(VALU_DEP_1) | instskip(SKIP_1) | instid1(VALU_DEP_1)
	v_fmac_f32_e32 v131, v126, v102
	s_waitcnt vmcnt(0)
	v_fmac_f32_e32 v131, v127, v103
	s_waitcnt lgkmcnt(1)
	s_delay_alu instid0(VALU_DEP_1) | instskip(NEXT) | instid1(VALU_DEP_1)
	v_fmac_f32_e32 v131, v128, v96
	v_fmac_f32_e32 v131, v129, v97
	s_waitcnt lgkmcnt(0)
	s_delay_alu instid0(VALU_DEP_1) | instskip(NEXT) | instid1(VALU_DEP_1)
	v_fmac_f32_e32 v131, v130, v98
	v_sub_f32_e32 v95, v95, v131
	scratch_store_b32 off, v95, off offset:40
	v_cmpx_lt_u32_e32 9, v0
	s_cbranch_execz .LBB45_265
; %bb.264:
	scratch_load_b32 v95, off, off offset:36
	scratch_store_b32 off, v94, off offset:36
	s_waitcnt vmcnt(0)
	ds_store_b32 v93, v95
.LBB45_265:
	s_or_b32 exec_lo, exec_lo, s0
	s_waitcnt lgkmcnt(0)
	s_waitcnt_vscnt null, 0x0
	s_barrier
	buffer_gl0_inv
	s_clause 0x9
	scratch_load_b128 v[95:98], off, off offset:36
	scratch_load_b128 v[99:102], off, off offset:52
	scratch_load_b128 v[103:106], off, off offset:68
	scratch_load_b128 v[107:110], off, off offset:84
	scratch_load_b128 v[111:114], off, off offset:100
	scratch_load_b128 v[115:118], off, off offset:116
	scratch_load_b128 v[119:122], off, off offset:132
	scratch_load_b128 v[123:126], off, off offset:148
	scratch_load_b128 v[127:130], off, off offset:164
	scratch_load_b32 v139, off, off offset:180
	ds_load_2addr_b64 v[131:134], v94 offset0:29 offset1:30
	ds_load_2addr_b64 v[135:138], v94 offset0:31 offset1:32
	s_mov_b32 s0, exec_lo
	s_waitcnt vmcnt(9) lgkmcnt(1)
	v_fma_f32 v131, v96, v131, 0
	s_delay_alu instid0(VALU_DEP_1) | instskip(NEXT) | instid1(VALU_DEP_1)
	v_fmac_f32_e32 v131, v97, v132
	v_fmac_f32_e32 v131, v98, v133
	s_waitcnt vmcnt(8)
	s_delay_alu instid0(VALU_DEP_1) | instskip(SKIP_3) | instid1(VALU_DEP_1)
	v_fmac_f32_e32 v131, v99, v134
	ds_load_2addr_b64 v[96:99], v94 offset0:33 offset1:34
	s_waitcnt lgkmcnt(1)
	v_fmac_f32_e32 v131, v100, v135
	v_fmac_f32_e32 v131, v101, v136
	s_delay_alu instid0(VALU_DEP_1) | instskip(SKIP_1) | instid1(VALU_DEP_1)
	v_fmac_f32_e32 v131, v102, v137
	s_waitcnt vmcnt(7)
	v_fmac_f32_e32 v131, v103, v138
	ds_load_2addr_b64 v[100:103], v94 offset0:35 offset1:36
	s_waitcnt lgkmcnt(1)
	v_fmac_f32_e32 v131, v104, v96
	s_delay_alu instid0(VALU_DEP_1) | instskip(NEXT) | instid1(VALU_DEP_1)
	v_fmac_f32_e32 v131, v105, v97
	v_fmac_f32_e32 v131, v106, v98
	s_waitcnt vmcnt(6)
	s_delay_alu instid0(VALU_DEP_1) | instskip(SKIP_3) | instid1(VALU_DEP_1)
	v_fmac_f32_e32 v131, v107, v99
	ds_load_2addr_b64 v[96:99], v94 offset0:37 offset1:38
	s_waitcnt lgkmcnt(1)
	v_fmac_f32_e32 v131, v108, v100
	v_fmac_f32_e32 v131, v109, v101
	s_delay_alu instid0(VALU_DEP_1) | instskip(SKIP_1) | instid1(VALU_DEP_1)
	v_fmac_f32_e32 v131, v110, v102
	s_waitcnt vmcnt(5)
	v_fmac_f32_e32 v131, v111, v103
	ds_load_2addr_b64 v[100:103], v94 offset0:39 offset1:40
	s_waitcnt lgkmcnt(1)
	v_fmac_f32_e32 v131, v112, v96
	s_delay_alu instid0(VALU_DEP_1) | instskip(NEXT) | instid1(VALU_DEP_1)
	v_fmac_f32_e32 v131, v113, v97
	v_fmac_f32_e32 v131, v114, v98
	s_waitcnt vmcnt(4)
	s_delay_alu instid0(VALU_DEP_1) | instskip(SKIP_3) | instid1(VALU_DEP_1)
	v_fmac_f32_e32 v131, v115, v99
	ds_load_2addr_b64 v[96:99], v94 offset0:41 offset1:42
	s_waitcnt lgkmcnt(1)
	v_fmac_f32_e32 v131, v116, v100
	v_fmac_f32_e32 v131, v117, v101
	s_delay_alu instid0(VALU_DEP_1) | instskip(SKIP_1) | instid1(VALU_DEP_1)
	v_fmac_f32_e32 v131, v118, v102
	s_waitcnt vmcnt(3)
	v_fmac_f32_e32 v131, v119, v103
	ds_load_2addr_b64 v[100:103], v94 offset0:43 offset1:44
	s_waitcnt lgkmcnt(1)
	v_fmac_f32_e32 v131, v120, v96
	s_delay_alu instid0(VALU_DEP_1) | instskip(NEXT) | instid1(VALU_DEP_1)
	v_fmac_f32_e32 v131, v121, v97
	v_fmac_f32_e32 v131, v122, v98
	s_waitcnt vmcnt(2)
	s_delay_alu instid0(VALU_DEP_1) | instskip(SKIP_3) | instid1(VALU_DEP_1)
	v_fmac_f32_e32 v131, v123, v99
	ds_load_2addr_b64 v[96:99], v94 offset0:45 offset1:46
	s_waitcnt lgkmcnt(1)
	v_fmac_f32_e32 v131, v124, v100
	v_fmac_f32_e32 v131, v125, v101
	s_delay_alu instid0(VALU_DEP_1) | instskip(SKIP_1) | instid1(VALU_DEP_1)
	v_fmac_f32_e32 v131, v126, v102
	s_waitcnt vmcnt(1)
	v_fmac_f32_e32 v131, v127, v103
	s_waitcnt lgkmcnt(0)
	s_delay_alu instid0(VALU_DEP_1) | instskip(NEXT) | instid1(VALU_DEP_1)
	v_fmac_f32_e32 v131, v128, v96
	v_fmac_f32_e32 v131, v129, v97
	s_delay_alu instid0(VALU_DEP_1) | instskip(SKIP_1) | instid1(VALU_DEP_1)
	v_fmac_f32_e32 v131, v130, v98
	s_waitcnt vmcnt(0)
	v_fmac_f32_e32 v131, v139, v99
	s_delay_alu instid0(VALU_DEP_1)
	v_sub_f32_e32 v94, v95, v131
	scratch_store_b32 off, v94, off offset:36
	v_cmpx_lt_u32_e32 8, v0
	s_cbranch_execz .LBB45_267
; %bb.266:
	scratch_load_b32 v94, off, off offset:32
	v_mov_b32_e32 v95, 0
	scratch_store_b32 off, v95, off offset:32
	s_waitcnt vmcnt(0)
	ds_store_b32 v93, v94
.LBB45_267:
	s_or_b32 exec_lo, exec_lo, s0
	s_waitcnt lgkmcnt(0)
	s_waitcnt_vscnt null, 0x0
	s_barrier
	buffer_gl0_inv
	s_clause 0x9
	scratch_load_b128 v[95:98], off, off offset:32
	scratch_load_b128 v[99:102], off, off offset:48
	;; [unrolled: 1-line block ×9, first 2 shown]
	scratch_load_b64 v[131:132], off, off offset:176
	v_mov_b32_e32 v94, 0
	ds_load_2addr_b32 v[133:134], v94 offset0:57 offset1:58
	ds_load_2addr_b32 v[135:136], v94 offset0:59 offset1:60
	;; [unrolled: 1-line block ×4, first 2 shown]
	s_mov_b32 s0, exec_lo
	s_waitcnt vmcnt(9) lgkmcnt(3)
	v_fma_f32 v133, v96, v133, 0
	s_delay_alu instid0(VALU_DEP_1) | instskip(SKIP_4) | instid1(VALU_DEP_1)
	v_fmac_f32_e32 v133, v97, v134
	ds_load_2addr_b32 v[96:97], v94 offset0:65 offset1:66
	s_waitcnt lgkmcnt(3)
	v_fmac_f32_e32 v133, v98, v135
	s_waitcnt vmcnt(8)
	v_fmac_f32_e32 v133, v99, v136
	ds_load_2addr_b32 v[98:99], v94 offset0:67 offset1:68
	s_waitcnt lgkmcnt(3)
	v_fmac_f32_e32 v133, v100, v137
	s_delay_alu instid0(VALU_DEP_1) | instskip(SKIP_1) | instid1(VALU_DEP_1)
	v_fmac_f32_e32 v133, v101, v138
	s_waitcnt lgkmcnt(2)
	v_fmac_f32_e32 v133, v102, v139
	s_waitcnt vmcnt(7)
	s_delay_alu instid0(VALU_DEP_1) | instskip(SKIP_4) | instid1(VALU_DEP_1)
	v_fmac_f32_e32 v133, v103, v140
	ds_load_2addr_b32 v[100:101], v94 offset0:69 offset1:70
	ds_load_2addr_b32 v[102:103], v94 offset0:71 offset1:72
	s_waitcnt lgkmcnt(3)
	v_fmac_f32_e32 v133, v104, v96
	v_fmac_f32_e32 v133, v105, v97
	ds_load_2addr_b32 v[96:97], v94 offset0:73 offset1:74
	s_waitcnt lgkmcnt(3)
	v_fmac_f32_e32 v133, v106, v98
	s_waitcnt vmcnt(6)
	s_delay_alu instid0(VALU_DEP_1) | instskip(SKIP_3) | instid1(VALU_DEP_1)
	v_fmac_f32_e32 v133, v107, v99
	ds_load_2addr_b32 v[98:99], v94 offset0:75 offset1:76
	s_waitcnt lgkmcnt(3)
	v_fmac_f32_e32 v133, v108, v100
	v_fmac_f32_e32 v133, v109, v101
	s_waitcnt lgkmcnt(2)
	s_delay_alu instid0(VALU_DEP_1) | instskip(SKIP_1) | instid1(VALU_DEP_1)
	v_fmac_f32_e32 v133, v110, v102
	s_waitcnt vmcnt(5)
	v_fmac_f32_e32 v133, v111, v103
	ds_load_2addr_b32 v[100:101], v94 offset0:77 offset1:78
	ds_load_2addr_b32 v[102:103], v94 offset0:79 offset1:80
	s_waitcnt lgkmcnt(3)
	v_fmac_f32_e32 v133, v112, v96
	s_delay_alu instid0(VALU_DEP_1) | instskip(SKIP_4) | instid1(VALU_DEP_1)
	v_fmac_f32_e32 v133, v113, v97
	ds_load_2addr_b32 v[96:97], v94 offset0:81 offset1:82
	s_waitcnt lgkmcnt(3)
	v_fmac_f32_e32 v133, v114, v98
	s_waitcnt vmcnt(4)
	v_fmac_f32_e32 v133, v115, v99
	ds_load_2addr_b32 v[98:99], v94 offset0:83 offset1:84
	s_waitcnt lgkmcnt(3)
	v_fmac_f32_e32 v133, v116, v100
	s_delay_alu instid0(VALU_DEP_1) | instskip(SKIP_1) | instid1(VALU_DEP_1)
	v_fmac_f32_e32 v133, v117, v101
	s_waitcnt lgkmcnt(2)
	v_fmac_f32_e32 v133, v118, v102
	s_waitcnt vmcnt(3)
	s_delay_alu instid0(VALU_DEP_1) | instskip(SKIP_4) | instid1(VALU_DEP_1)
	v_fmac_f32_e32 v133, v119, v103
	ds_load_2addr_b32 v[100:101], v94 offset0:85 offset1:86
	ds_load_2addr_b32 v[102:103], v94 offset0:87 offset1:88
	s_waitcnt lgkmcnt(3)
	v_fmac_f32_e32 v133, v120, v96
	v_fmac_f32_e32 v133, v121, v97
	ds_load_2addr_b32 v[96:97], v94 offset0:89 offset1:90
	s_waitcnt lgkmcnt(3)
	v_fmac_f32_e32 v133, v122, v98
	s_waitcnt vmcnt(2)
	s_delay_alu instid0(VALU_DEP_1)
	v_fmac_f32_e32 v133, v123, v99
	ds_load_2addr_b32 v[98:99], v94 offset0:91 offset1:92
	s_waitcnt lgkmcnt(3)
	v_fmac_f32_e32 v133, v124, v100
	ds_load_b32 v100, v94 offset:372
	v_fmac_f32_e32 v133, v125, v101
	s_waitcnt lgkmcnt(3)
	s_delay_alu instid0(VALU_DEP_1) | instskip(SKIP_1) | instid1(VALU_DEP_1)
	v_fmac_f32_e32 v133, v126, v102
	s_waitcnt vmcnt(1)
	v_fmac_f32_e32 v133, v127, v103
	s_waitcnt lgkmcnt(2)
	s_delay_alu instid0(VALU_DEP_1) | instskip(NEXT) | instid1(VALU_DEP_1)
	v_fmac_f32_e32 v133, v128, v96
	v_fmac_f32_e32 v133, v129, v97
	s_waitcnt lgkmcnt(1)
	s_delay_alu instid0(VALU_DEP_1) | instskip(SKIP_1) | instid1(VALU_DEP_1)
	v_fmac_f32_e32 v133, v130, v98
	s_waitcnt vmcnt(0)
	v_fmac_f32_e32 v133, v131, v99
	s_waitcnt lgkmcnt(0)
	s_delay_alu instid0(VALU_DEP_1) | instskip(NEXT) | instid1(VALU_DEP_1)
	v_fmac_f32_e32 v133, v132, v100
	v_sub_f32_e32 v95, v95, v133
	scratch_store_b32 off, v95, off offset:32
	v_cmpx_lt_u32_e32 7, v0
	s_cbranch_execz .LBB45_269
; %bb.268:
	scratch_load_b32 v95, off, off offset:28
	scratch_store_b32 off, v94, off offset:28
	s_waitcnt vmcnt(0)
	ds_store_b32 v93, v95
.LBB45_269:
	s_or_b32 exec_lo, exec_lo, s0
	s_waitcnt lgkmcnt(0)
	s_waitcnt_vscnt null, 0x0
	s_barrier
	buffer_gl0_inv
	s_clause 0x9
	scratch_load_b128 v[95:98], off, off offset:28
	scratch_load_b128 v[99:102], off, off offset:44
	;; [unrolled: 1-line block ×9, first 2 shown]
	scratch_load_b96 v[139:141], off, off offset:172
	ds_load_b128 v[131:134], v94 offset:224
	ds_load_b128 v[135:138], v94 offset:240
	s_mov_b32 s0, exec_lo
	s_waitcnt vmcnt(9) lgkmcnt(1)
	v_fma_f32 v131, v96, v131, 0
	s_delay_alu instid0(VALU_DEP_1) | instskip(NEXT) | instid1(VALU_DEP_1)
	v_fmac_f32_e32 v131, v97, v132
	v_fmac_f32_e32 v131, v98, v133
	s_waitcnt vmcnt(8)
	s_delay_alu instid0(VALU_DEP_1) | instskip(SKIP_3) | instid1(VALU_DEP_1)
	v_fmac_f32_e32 v131, v99, v134
	ds_load_b128 v[96:99], v94 offset:256
	s_waitcnt lgkmcnt(1)
	v_fmac_f32_e32 v131, v100, v135
	v_fmac_f32_e32 v131, v101, v136
	s_delay_alu instid0(VALU_DEP_1) | instskip(SKIP_1) | instid1(VALU_DEP_1)
	v_fmac_f32_e32 v131, v102, v137
	s_waitcnt vmcnt(7)
	v_fmac_f32_e32 v131, v103, v138
	ds_load_b128 v[100:103], v94 offset:272
	s_waitcnt lgkmcnt(1)
	v_fmac_f32_e32 v131, v104, v96
	s_delay_alu instid0(VALU_DEP_1) | instskip(NEXT) | instid1(VALU_DEP_1)
	v_fmac_f32_e32 v131, v105, v97
	v_fmac_f32_e32 v131, v106, v98
	s_waitcnt vmcnt(6)
	s_delay_alu instid0(VALU_DEP_1) | instskip(SKIP_3) | instid1(VALU_DEP_1)
	v_fmac_f32_e32 v131, v107, v99
	ds_load_b128 v[96:99], v94 offset:288
	s_waitcnt lgkmcnt(1)
	v_fmac_f32_e32 v131, v108, v100
	v_fmac_f32_e32 v131, v109, v101
	s_delay_alu instid0(VALU_DEP_1) | instskip(SKIP_1) | instid1(VALU_DEP_1)
	v_fmac_f32_e32 v131, v110, v102
	s_waitcnt vmcnt(5)
	v_fmac_f32_e32 v131, v111, v103
	ds_load_b128 v[100:103], v94 offset:304
	s_waitcnt lgkmcnt(1)
	v_fmac_f32_e32 v131, v112, v96
	;; [unrolled: 17-line block ×3, first 2 shown]
	s_delay_alu instid0(VALU_DEP_1) | instskip(NEXT) | instid1(VALU_DEP_1)
	v_fmac_f32_e32 v131, v121, v97
	v_fmac_f32_e32 v131, v122, v98
	s_waitcnt vmcnt(2)
	s_delay_alu instid0(VALU_DEP_1) | instskip(SKIP_3) | instid1(VALU_DEP_1)
	v_fmac_f32_e32 v131, v123, v99
	ds_load_b128 v[96:99], v94 offset:352
	s_waitcnt lgkmcnt(1)
	v_fmac_f32_e32 v131, v124, v100
	v_fmac_f32_e32 v131, v125, v101
	ds_load_b64 v[100:101], v94 offset:368
	v_fmac_f32_e32 v131, v126, v102
	s_waitcnt vmcnt(1)
	s_delay_alu instid0(VALU_DEP_1) | instskip(SKIP_1) | instid1(VALU_DEP_1)
	v_fmac_f32_e32 v131, v127, v103
	s_waitcnt lgkmcnt(1)
	v_fmac_f32_e32 v131, v128, v96
	s_delay_alu instid0(VALU_DEP_1) | instskip(NEXT) | instid1(VALU_DEP_1)
	v_fmac_f32_e32 v131, v129, v97
	v_fmac_f32_e32 v131, v130, v98
	s_waitcnt vmcnt(0)
	s_delay_alu instid0(VALU_DEP_1) | instskip(SKIP_1) | instid1(VALU_DEP_1)
	v_fmac_f32_e32 v131, v139, v99
	s_waitcnt lgkmcnt(0)
	v_fmac_f32_e32 v131, v140, v100
	s_delay_alu instid0(VALU_DEP_1) | instskip(NEXT) | instid1(VALU_DEP_1)
	v_fmac_f32_e32 v131, v141, v101
	v_sub_f32_e32 v94, v95, v131
	scratch_store_b32 off, v94, off offset:28
	v_cmpx_lt_u32_e32 6, v0
	s_cbranch_execz .LBB45_271
; %bb.270:
	scratch_load_b32 v94, off, off offset:24
	v_mov_b32_e32 v95, 0
	scratch_store_b32 off, v95, off offset:24
	s_waitcnt vmcnt(0)
	ds_store_b32 v93, v94
.LBB45_271:
	s_or_b32 exec_lo, exec_lo, s0
	s_waitcnt lgkmcnt(0)
	s_waitcnt_vscnt null, 0x0
	s_barrier
	buffer_gl0_inv
	s_clause 0x9
	scratch_load_b128 v[95:98], off, off offset:24
	scratch_load_b128 v[99:102], off, off offset:40
	;; [unrolled: 1-line block ×10, first 2 shown]
	v_mov_b32_e32 v94, 0
	ds_load_2addr_b32 v[135:136], v94 offset0:55 offset1:56
	ds_load_2addr_b32 v[137:138], v94 offset0:57 offset1:58
	;; [unrolled: 1-line block ×4, first 2 shown]
	s_mov_b32 s0, exec_lo
	s_waitcnt vmcnt(9) lgkmcnt(3)
	v_fma_f32 v135, v96, v135, 0
	s_delay_alu instid0(VALU_DEP_1) | instskip(SKIP_4) | instid1(VALU_DEP_1)
	v_fmac_f32_e32 v135, v97, v136
	ds_load_2addr_b32 v[96:97], v94 offset0:63 offset1:64
	s_waitcnt lgkmcnt(3)
	v_fmac_f32_e32 v135, v98, v137
	s_waitcnt vmcnt(8)
	v_fmac_f32_e32 v135, v99, v138
	ds_load_2addr_b32 v[98:99], v94 offset0:65 offset1:66
	s_waitcnt lgkmcnt(3)
	v_fmac_f32_e32 v135, v100, v139
	s_delay_alu instid0(VALU_DEP_1) | instskip(SKIP_1) | instid1(VALU_DEP_1)
	v_fmac_f32_e32 v135, v101, v140
	s_waitcnt lgkmcnt(2)
	v_fmac_f32_e32 v135, v102, v141
	s_waitcnt vmcnt(7)
	s_delay_alu instid0(VALU_DEP_1) | instskip(SKIP_4) | instid1(VALU_DEP_1)
	v_fmac_f32_e32 v135, v103, v142
	ds_load_2addr_b32 v[100:101], v94 offset0:67 offset1:68
	ds_load_2addr_b32 v[102:103], v94 offset0:69 offset1:70
	s_waitcnt lgkmcnt(3)
	v_fmac_f32_e32 v135, v104, v96
	v_fmac_f32_e32 v135, v105, v97
	ds_load_2addr_b32 v[96:97], v94 offset0:71 offset1:72
	s_waitcnt lgkmcnt(3)
	v_fmac_f32_e32 v135, v106, v98
	s_waitcnt vmcnt(6)
	s_delay_alu instid0(VALU_DEP_1) | instskip(SKIP_3) | instid1(VALU_DEP_1)
	v_fmac_f32_e32 v135, v107, v99
	ds_load_2addr_b32 v[98:99], v94 offset0:73 offset1:74
	s_waitcnt lgkmcnt(3)
	v_fmac_f32_e32 v135, v108, v100
	v_fmac_f32_e32 v135, v109, v101
	s_waitcnt lgkmcnt(2)
	s_delay_alu instid0(VALU_DEP_1) | instskip(SKIP_1) | instid1(VALU_DEP_1)
	v_fmac_f32_e32 v135, v110, v102
	s_waitcnt vmcnt(5)
	v_fmac_f32_e32 v135, v111, v103
	ds_load_2addr_b32 v[100:101], v94 offset0:75 offset1:76
	ds_load_2addr_b32 v[102:103], v94 offset0:77 offset1:78
	s_waitcnt lgkmcnt(3)
	v_fmac_f32_e32 v135, v112, v96
	s_delay_alu instid0(VALU_DEP_1) | instskip(SKIP_4) | instid1(VALU_DEP_1)
	v_fmac_f32_e32 v135, v113, v97
	ds_load_2addr_b32 v[96:97], v94 offset0:79 offset1:80
	s_waitcnt lgkmcnt(3)
	v_fmac_f32_e32 v135, v114, v98
	s_waitcnt vmcnt(4)
	v_fmac_f32_e32 v135, v115, v99
	ds_load_2addr_b32 v[98:99], v94 offset0:81 offset1:82
	s_waitcnt lgkmcnt(3)
	v_fmac_f32_e32 v135, v116, v100
	s_delay_alu instid0(VALU_DEP_1) | instskip(SKIP_1) | instid1(VALU_DEP_1)
	v_fmac_f32_e32 v135, v117, v101
	s_waitcnt lgkmcnt(2)
	v_fmac_f32_e32 v135, v118, v102
	s_waitcnt vmcnt(3)
	s_delay_alu instid0(VALU_DEP_1) | instskip(SKIP_4) | instid1(VALU_DEP_1)
	v_fmac_f32_e32 v135, v119, v103
	ds_load_2addr_b32 v[100:101], v94 offset0:83 offset1:84
	ds_load_2addr_b32 v[102:103], v94 offset0:85 offset1:86
	s_waitcnt lgkmcnt(3)
	v_fmac_f32_e32 v135, v120, v96
	v_fmac_f32_e32 v135, v121, v97
	ds_load_2addr_b32 v[96:97], v94 offset0:87 offset1:88
	s_waitcnt lgkmcnt(3)
	v_fmac_f32_e32 v135, v122, v98
	s_waitcnt vmcnt(2)
	s_delay_alu instid0(VALU_DEP_1) | instskip(SKIP_3) | instid1(VALU_DEP_1)
	v_fmac_f32_e32 v135, v123, v99
	ds_load_2addr_b32 v[98:99], v94 offset0:89 offset1:90
	s_waitcnt lgkmcnt(3)
	v_fmac_f32_e32 v135, v124, v100
	v_fmac_f32_e32 v135, v125, v101
	s_waitcnt lgkmcnt(2)
	s_delay_alu instid0(VALU_DEP_1)
	v_fmac_f32_e32 v135, v126, v102
	ds_load_2addr_b32 v[100:101], v94 offset0:91 offset1:92
	ds_load_b32 v102, v94 offset:372
	s_waitcnt vmcnt(1)
	v_fmac_f32_e32 v135, v127, v103
	s_waitcnt lgkmcnt(3)
	s_delay_alu instid0(VALU_DEP_1) | instskip(NEXT) | instid1(VALU_DEP_1)
	v_fmac_f32_e32 v135, v128, v96
	v_fmac_f32_e32 v135, v129, v97
	s_waitcnt lgkmcnt(2)
	s_delay_alu instid0(VALU_DEP_1) | instskip(SKIP_1) | instid1(VALU_DEP_1)
	v_fmac_f32_e32 v135, v130, v98
	s_waitcnt vmcnt(0)
	v_fmac_f32_e32 v135, v131, v99
	s_waitcnt lgkmcnt(1)
	s_delay_alu instid0(VALU_DEP_1) | instskip(NEXT) | instid1(VALU_DEP_1)
	v_fmac_f32_e32 v135, v132, v100
	v_fmac_f32_e32 v135, v133, v101
	s_waitcnt lgkmcnt(0)
	s_delay_alu instid0(VALU_DEP_1) | instskip(NEXT) | instid1(VALU_DEP_1)
	v_fmac_f32_e32 v135, v134, v102
	v_sub_f32_e32 v95, v95, v135
	scratch_store_b32 off, v95, off offset:24
	v_cmpx_lt_u32_e32 5, v0
	s_cbranch_execz .LBB45_273
; %bb.272:
	scratch_load_b32 v95, off, off offset:20
	scratch_store_b32 off, v94, off offset:20
	s_waitcnt vmcnt(0)
	ds_store_b32 v93, v95
.LBB45_273:
	s_or_b32 exec_lo, exec_lo, s0
	s_waitcnt lgkmcnt(0)
	s_waitcnt_vscnt null, 0x0
	s_barrier
	buffer_gl0_inv
	s_clause 0xa
	scratch_load_b128 v[95:98], off, off offset:20
	scratch_load_b128 v[99:102], off, off offset:36
	;; [unrolled: 1-line block ×10, first 2 shown]
	scratch_load_b32 v143, off, off offset:180
	ds_load_2addr_b64 v[135:138], v94 offset0:27 offset1:28
	ds_load_2addr_b64 v[139:142], v94 offset0:29 offset1:30
	s_mov_b32 s0, exec_lo
	s_waitcnt vmcnt(10) lgkmcnt(1)
	v_fma_f32 v135, v96, v135, 0
	s_delay_alu instid0(VALU_DEP_1) | instskip(NEXT) | instid1(VALU_DEP_1)
	v_fmac_f32_e32 v135, v97, v136
	v_fmac_f32_e32 v135, v98, v137
	s_waitcnt vmcnt(9)
	s_delay_alu instid0(VALU_DEP_1) | instskip(SKIP_3) | instid1(VALU_DEP_1)
	v_fmac_f32_e32 v135, v99, v138
	ds_load_2addr_b64 v[96:99], v94 offset0:31 offset1:32
	s_waitcnt lgkmcnt(1)
	v_fmac_f32_e32 v135, v100, v139
	v_fmac_f32_e32 v135, v101, v140
	s_delay_alu instid0(VALU_DEP_1) | instskip(SKIP_1) | instid1(VALU_DEP_1)
	v_fmac_f32_e32 v135, v102, v141
	s_waitcnt vmcnt(8)
	v_fmac_f32_e32 v135, v103, v142
	ds_load_2addr_b64 v[100:103], v94 offset0:33 offset1:34
	s_waitcnt lgkmcnt(1)
	v_fmac_f32_e32 v135, v104, v96
	s_delay_alu instid0(VALU_DEP_1) | instskip(NEXT) | instid1(VALU_DEP_1)
	v_fmac_f32_e32 v135, v105, v97
	v_fmac_f32_e32 v135, v106, v98
	s_waitcnt vmcnt(7)
	s_delay_alu instid0(VALU_DEP_1) | instskip(SKIP_3) | instid1(VALU_DEP_1)
	v_fmac_f32_e32 v135, v107, v99
	ds_load_2addr_b64 v[96:99], v94 offset0:35 offset1:36
	s_waitcnt lgkmcnt(1)
	v_fmac_f32_e32 v135, v108, v100
	v_fmac_f32_e32 v135, v109, v101
	s_delay_alu instid0(VALU_DEP_1) | instskip(SKIP_1) | instid1(VALU_DEP_1)
	v_fmac_f32_e32 v135, v110, v102
	s_waitcnt vmcnt(6)
	v_fmac_f32_e32 v135, v111, v103
	ds_load_2addr_b64 v[100:103], v94 offset0:37 offset1:38
	s_waitcnt lgkmcnt(1)
	v_fmac_f32_e32 v135, v112, v96
	;; [unrolled: 17-line block ×4, first 2 shown]
	s_delay_alu instid0(VALU_DEP_1) | instskip(NEXT) | instid1(VALU_DEP_1)
	v_fmac_f32_e32 v135, v129, v97
	v_fmac_f32_e32 v135, v130, v98
	s_waitcnt vmcnt(1)
	s_delay_alu instid0(VALU_DEP_1) | instskip(SKIP_1) | instid1(VALU_DEP_1)
	v_fmac_f32_e32 v135, v131, v99
	s_waitcnt lgkmcnt(0)
	v_fmac_f32_e32 v135, v132, v100
	s_delay_alu instid0(VALU_DEP_1) | instskip(NEXT) | instid1(VALU_DEP_1)
	v_fmac_f32_e32 v135, v133, v101
	v_fmac_f32_e32 v135, v134, v102
	s_waitcnt vmcnt(0)
	s_delay_alu instid0(VALU_DEP_1) | instskip(NEXT) | instid1(VALU_DEP_1)
	v_fmac_f32_e32 v135, v143, v103
	v_sub_f32_e32 v94, v95, v135
	scratch_store_b32 off, v94, off offset:20
	v_cmpx_lt_u32_e32 4, v0
	s_cbranch_execz .LBB45_275
; %bb.274:
	scratch_load_b32 v94, off, off offset:16
	v_mov_b32_e32 v95, 0
	scratch_store_b32 off, v95, off offset:16
	s_waitcnt vmcnt(0)
	ds_store_b32 v93, v94
.LBB45_275:
	s_or_b32 exec_lo, exec_lo, s0
	s_waitcnt lgkmcnt(0)
	s_waitcnt_vscnt null, 0x0
	s_barrier
	buffer_gl0_inv
	s_clause 0xa
	scratch_load_b128 v[95:98], off, off offset:16
	scratch_load_b128 v[99:102], off, off offset:32
	;; [unrolled: 1-line block ×10, first 2 shown]
	scratch_load_b64 v[135:136], off, off offset:176
	v_mov_b32_e32 v94, 0
	ds_load_2addr_b32 v[137:138], v94 offset0:53 offset1:54
	ds_load_2addr_b32 v[139:140], v94 offset0:55 offset1:56
	;; [unrolled: 1-line block ×4, first 2 shown]
	s_mov_b32 s0, exec_lo
	s_waitcnt vmcnt(10) lgkmcnt(3)
	v_fma_f32 v137, v96, v137, 0
	s_delay_alu instid0(VALU_DEP_1) | instskip(SKIP_4) | instid1(VALU_DEP_1)
	v_fmac_f32_e32 v137, v97, v138
	ds_load_2addr_b32 v[96:97], v94 offset0:61 offset1:62
	s_waitcnt lgkmcnt(3)
	v_fmac_f32_e32 v137, v98, v139
	s_waitcnt vmcnt(9)
	v_fmac_f32_e32 v137, v99, v140
	ds_load_2addr_b32 v[98:99], v94 offset0:63 offset1:64
	s_waitcnt lgkmcnt(3)
	v_fmac_f32_e32 v137, v100, v141
	s_delay_alu instid0(VALU_DEP_1) | instskip(SKIP_1) | instid1(VALU_DEP_1)
	v_fmac_f32_e32 v137, v101, v142
	s_waitcnt lgkmcnt(2)
	v_fmac_f32_e32 v137, v102, v143
	s_waitcnt vmcnt(8)
	s_delay_alu instid0(VALU_DEP_1) | instskip(SKIP_4) | instid1(VALU_DEP_1)
	v_fmac_f32_e32 v137, v103, v144
	ds_load_2addr_b32 v[100:101], v94 offset0:65 offset1:66
	ds_load_2addr_b32 v[102:103], v94 offset0:67 offset1:68
	s_waitcnt lgkmcnt(3)
	v_fmac_f32_e32 v137, v104, v96
	v_fmac_f32_e32 v137, v105, v97
	ds_load_2addr_b32 v[96:97], v94 offset0:69 offset1:70
	s_waitcnt lgkmcnt(3)
	v_fmac_f32_e32 v137, v106, v98
	s_waitcnt vmcnt(7)
	s_delay_alu instid0(VALU_DEP_1) | instskip(SKIP_3) | instid1(VALU_DEP_1)
	v_fmac_f32_e32 v137, v107, v99
	ds_load_2addr_b32 v[98:99], v94 offset0:71 offset1:72
	s_waitcnt lgkmcnt(3)
	v_fmac_f32_e32 v137, v108, v100
	v_fmac_f32_e32 v137, v109, v101
	s_waitcnt lgkmcnt(2)
	s_delay_alu instid0(VALU_DEP_1) | instskip(SKIP_1) | instid1(VALU_DEP_1)
	v_fmac_f32_e32 v137, v110, v102
	s_waitcnt vmcnt(6)
	v_fmac_f32_e32 v137, v111, v103
	ds_load_2addr_b32 v[100:101], v94 offset0:73 offset1:74
	ds_load_2addr_b32 v[102:103], v94 offset0:75 offset1:76
	s_waitcnt lgkmcnt(3)
	v_fmac_f32_e32 v137, v112, v96
	s_delay_alu instid0(VALU_DEP_1) | instskip(SKIP_4) | instid1(VALU_DEP_1)
	v_fmac_f32_e32 v137, v113, v97
	ds_load_2addr_b32 v[96:97], v94 offset0:77 offset1:78
	s_waitcnt lgkmcnt(3)
	v_fmac_f32_e32 v137, v114, v98
	s_waitcnt vmcnt(5)
	v_fmac_f32_e32 v137, v115, v99
	ds_load_2addr_b32 v[98:99], v94 offset0:79 offset1:80
	s_waitcnt lgkmcnt(3)
	v_fmac_f32_e32 v137, v116, v100
	s_delay_alu instid0(VALU_DEP_1) | instskip(SKIP_1) | instid1(VALU_DEP_1)
	v_fmac_f32_e32 v137, v117, v101
	s_waitcnt lgkmcnt(2)
	v_fmac_f32_e32 v137, v118, v102
	s_waitcnt vmcnt(4)
	s_delay_alu instid0(VALU_DEP_1) | instskip(SKIP_4) | instid1(VALU_DEP_1)
	v_fmac_f32_e32 v137, v119, v103
	ds_load_2addr_b32 v[100:101], v94 offset0:81 offset1:82
	ds_load_2addr_b32 v[102:103], v94 offset0:83 offset1:84
	s_waitcnt lgkmcnt(3)
	v_fmac_f32_e32 v137, v120, v96
	v_fmac_f32_e32 v137, v121, v97
	ds_load_2addr_b32 v[96:97], v94 offset0:85 offset1:86
	s_waitcnt lgkmcnt(3)
	v_fmac_f32_e32 v137, v122, v98
	s_waitcnt vmcnt(3)
	s_delay_alu instid0(VALU_DEP_1) | instskip(SKIP_3) | instid1(VALU_DEP_1)
	v_fmac_f32_e32 v137, v123, v99
	ds_load_2addr_b32 v[98:99], v94 offset0:87 offset1:88
	s_waitcnt lgkmcnt(3)
	v_fmac_f32_e32 v137, v124, v100
	v_fmac_f32_e32 v137, v125, v101
	s_waitcnt lgkmcnt(2)
	s_delay_alu instid0(VALU_DEP_1) | instskip(SKIP_1) | instid1(VALU_DEP_1)
	v_fmac_f32_e32 v137, v126, v102
	s_waitcnt vmcnt(2)
	v_fmac_f32_e32 v137, v127, v103
	ds_load_2addr_b32 v[100:101], v94 offset0:89 offset1:90
	ds_load_2addr_b32 v[102:103], v94 offset0:91 offset1:92
	s_waitcnt lgkmcnt(3)
	v_fmac_f32_e32 v137, v128, v96
	ds_load_b32 v96, v94 offset:372
	v_fmac_f32_e32 v137, v129, v97
	s_waitcnt lgkmcnt(3)
	s_delay_alu instid0(VALU_DEP_1) | instskip(SKIP_1) | instid1(VALU_DEP_1)
	v_fmac_f32_e32 v137, v130, v98
	s_waitcnt vmcnt(1)
	v_fmac_f32_e32 v137, v131, v99
	s_waitcnt lgkmcnt(2)
	s_delay_alu instid0(VALU_DEP_1) | instskip(NEXT) | instid1(VALU_DEP_1)
	v_fmac_f32_e32 v137, v132, v100
	v_fmac_f32_e32 v137, v133, v101
	s_waitcnt lgkmcnt(1)
	s_delay_alu instid0(VALU_DEP_1) | instskip(SKIP_1) | instid1(VALU_DEP_1)
	v_fmac_f32_e32 v137, v134, v102
	s_waitcnt vmcnt(0)
	v_fmac_f32_e32 v137, v135, v103
	s_waitcnt lgkmcnt(0)
	s_delay_alu instid0(VALU_DEP_1) | instskip(NEXT) | instid1(VALU_DEP_1)
	v_fmac_f32_e32 v137, v136, v96
	v_sub_f32_e32 v95, v95, v137
	scratch_store_b32 off, v95, off offset:16
	v_cmpx_lt_u32_e32 3, v0
	s_cbranch_execz .LBB45_277
; %bb.276:
	scratch_load_b32 v95, off, off offset:12
	scratch_store_b32 off, v94, off offset:12
	s_waitcnt vmcnt(0)
	ds_store_b32 v93, v95
.LBB45_277:
	s_or_b32 exec_lo, exec_lo, s0
	s_waitcnt lgkmcnt(0)
	s_waitcnt_vscnt null, 0x0
	s_barrier
	buffer_gl0_inv
	s_clause 0xa
	scratch_load_b128 v[95:98], off, off offset:12
	scratch_load_b128 v[99:102], off, off offset:28
	;; [unrolled: 1-line block ×10, first 2 shown]
	scratch_load_b96 v[143:145], off, off offset:172
	ds_load_b128 v[135:138], v94 offset:208
	ds_load_b128 v[139:142], v94 offset:224
	s_mov_b32 s0, exec_lo
	s_waitcnt vmcnt(10) lgkmcnt(1)
	v_fma_f32 v135, v96, v135, 0
	s_delay_alu instid0(VALU_DEP_1) | instskip(NEXT) | instid1(VALU_DEP_1)
	v_fmac_f32_e32 v135, v97, v136
	v_fmac_f32_e32 v135, v98, v137
	s_waitcnt vmcnt(9)
	s_delay_alu instid0(VALU_DEP_1) | instskip(SKIP_3) | instid1(VALU_DEP_1)
	v_fmac_f32_e32 v135, v99, v138
	ds_load_b128 v[96:99], v94 offset:240
	s_waitcnt lgkmcnt(1)
	v_fmac_f32_e32 v135, v100, v139
	v_fmac_f32_e32 v135, v101, v140
	s_delay_alu instid0(VALU_DEP_1) | instskip(SKIP_1) | instid1(VALU_DEP_1)
	v_fmac_f32_e32 v135, v102, v141
	s_waitcnt vmcnt(8)
	v_fmac_f32_e32 v135, v103, v142
	ds_load_b128 v[100:103], v94 offset:256
	s_waitcnt lgkmcnt(1)
	v_fmac_f32_e32 v135, v104, v96
	s_delay_alu instid0(VALU_DEP_1) | instskip(NEXT) | instid1(VALU_DEP_1)
	v_fmac_f32_e32 v135, v105, v97
	v_fmac_f32_e32 v135, v106, v98
	s_waitcnt vmcnt(7)
	s_delay_alu instid0(VALU_DEP_1) | instskip(SKIP_3) | instid1(VALU_DEP_1)
	v_fmac_f32_e32 v135, v107, v99
	ds_load_b128 v[96:99], v94 offset:272
	s_waitcnt lgkmcnt(1)
	v_fmac_f32_e32 v135, v108, v100
	v_fmac_f32_e32 v135, v109, v101
	s_delay_alu instid0(VALU_DEP_1) | instskip(SKIP_1) | instid1(VALU_DEP_1)
	v_fmac_f32_e32 v135, v110, v102
	s_waitcnt vmcnt(6)
	v_fmac_f32_e32 v135, v111, v103
	ds_load_b128 v[100:103], v94 offset:288
	s_waitcnt lgkmcnt(1)
	v_fmac_f32_e32 v135, v112, v96
	;; [unrolled: 17-line block ×4, first 2 shown]
	s_delay_alu instid0(VALU_DEP_1) | instskip(SKIP_3) | instid1(VALU_DEP_1)
	v_fmac_f32_e32 v135, v129, v97
	ds_load_b64 v[96:97], v94 offset:368
	v_fmac_f32_e32 v135, v130, v98
	s_waitcnt vmcnt(1)
	v_fmac_f32_e32 v135, v131, v99
	s_waitcnt lgkmcnt(1)
	s_delay_alu instid0(VALU_DEP_1) | instskip(NEXT) | instid1(VALU_DEP_1)
	v_fmac_f32_e32 v135, v132, v100
	v_fmac_f32_e32 v135, v133, v101
	s_delay_alu instid0(VALU_DEP_1) | instskip(SKIP_1) | instid1(VALU_DEP_1)
	v_fmac_f32_e32 v135, v134, v102
	s_waitcnt vmcnt(0)
	v_fmac_f32_e32 v135, v143, v103
	s_waitcnt lgkmcnt(0)
	s_delay_alu instid0(VALU_DEP_1) | instskip(NEXT) | instid1(VALU_DEP_1)
	v_fmac_f32_e32 v135, v144, v96
	v_fmac_f32_e32 v135, v145, v97
	s_delay_alu instid0(VALU_DEP_1)
	v_sub_f32_e32 v94, v95, v135
	scratch_store_b32 off, v94, off offset:12
	v_cmpx_lt_u32_e32 2, v0
	s_cbranch_execz .LBB45_279
; %bb.278:
	scratch_load_b32 v94, off, off offset:8
	v_mov_b32_e32 v95, 0
	scratch_store_b32 off, v95, off offset:8
	s_waitcnt vmcnt(0)
	ds_store_b32 v93, v94
.LBB45_279:
	s_or_b32 exec_lo, exec_lo, s0
	s_waitcnt lgkmcnt(0)
	s_waitcnt_vscnt null, 0x0
	s_barrier
	buffer_gl0_inv
	s_clause 0xa
	scratch_load_b128 v[95:98], off, off offset:8
	scratch_load_b128 v[99:102], off, off offset:24
	;; [unrolled: 1-line block ×11, first 2 shown]
	v_mov_b32_e32 v94, 0
	ds_load_2addr_b32 v[139:140], v94 offset0:51 offset1:52
	ds_load_2addr_b32 v[141:142], v94 offset0:53 offset1:54
	;; [unrolled: 1-line block ×4, first 2 shown]
	s_mov_b32 s0, exec_lo
	s_waitcnt vmcnt(10) lgkmcnt(3)
	v_fma_f32 v139, v96, v139, 0
	s_delay_alu instid0(VALU_DEP_1) | instskip(SKIP_4) | instid1(VALU_DEP_1)
	v_fmac_f32_e32 v139, v97, v140
	ds_load_2addr_b32 v[96:97], v94 offset0:59 offset1:60
	s_waitcnt lgkmcnt(3)
	v_fmac_f32_e32 v139, v98, v141
	s_waitcnt vmcnt(9)
	v_fmac_f32_e32 v139, v99, v142
	ds_load_2addr_b32 v[98:99], v94 offset0:61 offset1:62
	s_waitcnt lgkmcnt(3)
	v_fmac_f32_e32 v139, v100, v143
	s_delay_alu instid0(VALU_DEP_1) | instskip(SKIP_1) | instid1(VALU_DEP_1)
	v_fmac_f32_e32 v139, v101, v144
	s_waitcnt lgkmcnt(2)
	v_fmac_f32_e32 v139, v102, v145
	s_waitcnt vmcnt(8)
	s_delay_alu instid0(VALU_DEP_1) | instskip(SKIP_4) | instid1(VALU_DEP_1)
	v_fmac_f32_e32 v139, v103, v146
	ds_load_2addr_b32 v[100:101], v94 offset0:63 offset1:64
	ds_load_2addr_b32 v[102:103], v94 offset0:65 offset1:66
	s_waitcnt lgkmcnt(3)
	v_fmac_f32_e32 v139, v104, v96
	v_fmac_f32_e32 v139, v105, v97
	ds_load_2addr_b32 v[96:97], v94 offset0:67 offset1:68
	s_waitcnt lgkmcnt(3)
	v_fmac_f32_e32 v139, v106, v98
	s_waitcnt vmcnt(7)
	s_delay_alu instid0(VALU_DEP_1) | instskip(SKIP_3) | instid1(VALU_DEP_1)
	v_fmac_f32_e32 v139, v107, v99
	ds_load_2addr_b32 v[98:99], v94 offset0:69 offset1:70
	s_waitcnt lgkmcnt(3)
	v_fmac_f32_e32 v139, v108, v100
	v_fmac_f32_e32 v139, v109, v101
	s_waitcnt lgkmcnt(2)
	s_delay_alu instid0(VALU_DEP_1) | instskip(SKIP_1) | instid1(VALU_DEP_1)
	v_fmac_f32_e32 v139, v110, v102
	s_waitcnt vmcnt(6)
	v_fmac_f32_e32 v139, v111, v103
	ds_load_2addr_b32 v[100:101], v94 offset0:71 offset1:72
	ds_load_2addr_b32 v[102:103], v94 offset0:73 offset1:74
	s_waitcnt lgkmcnt(3)
	v_fmac_f32_e32 v139, v112, v96
	s_delay_alu instid0(VALU_DEP_1) | instskip(SKIP_4) | instid1(VALU_DEP_1)
	v_fmac_f32_e32 v139, v113, v97
	ds_load_2addr_b32 v[96:97], v94 offset0:75 offset1:76
	s_waitcnt lgkmcnt(3)
	v_fmac_f32_e32 v139, v114, v98
	s_waitcnt vmcnt(5)
	v_fmac_f32_e32 v139, v115, v99
	ds_load_2addr_b32 v[98:99], v94 offset0:77 offset1:78
	s_waitcnt lgkmcnt(3)
	v_fmac_f32_e32 v139, v116, v100
	s_delay_alu instid0(VALU_DEP_1) | instskip(SKIP_1) | instid1(VALU_DEP_1)
	v_fmac_f32_e32 v139, v117, v101
	s_waitcnt lgkmcnt(2)
	v_fmac_f32_e32 v139, v118, v102
	s_waitcnt vmcnt(4)
	s_delay_alu instid0(VALU_DEP_1) | instskip(SKIP_4) | instid1(VALU_DEP_1)
	v_fmac_f32_e32 v139, v119, v103
	ds_load_2addr_b32 v[100:101], v94 offset0:79 offset1:80
	ds_load_2addr_b32 v[102:103], v94 offset0:81 offset1:82
	s_waitcnt lgkmcnt(3)
	v_fmac_f32_e32 v139, v120, v96
	v_fmac_f32_e32 v139, v121, v97
	ds_load_2addr_b32 v[96:97], v94 offset0:83 offset1:84
	s_waitcnt lgkmcnt(3)
	v_fmac_f32_e32 v139, v122, v98
	s_waitcnt vmcnt(3)
	s_delay_alu instid0(VALU_DEP_1) | instskip(SKIP_3) | instid1(VALU_DEP_1)
	v_fmac_f32_e32 v139, v123, v99
	ds_load_2addr_b32 v[98:99], v94 offset0:85 offset1:86
	s_waitcnt lgkmcnt(3)
	v_fmac_f32_e32 v139, v124, v100
	v_fmac_f32_e32 v139, v125, v101
	s_waitcnt lgkmcnt(2)
	s_delay_alu instid0(VALU_DEP_1) | instskip(SKIP_1) | instid1(VALU_DEP_1)
	v_fmac_f32_e32 v139, v126, v102
	s_waitcnt vmcnt(2)
	v_fmac_f32_e32 v139, v127, v103
	ds_load_2addr_b32 v[100:101], v94 offset0:87 offset1:88
	ds_load_2addr_b32 v[102:103], v94 offset0:89 offset1:90
	s_waitcnt lgkmcnt(3)
	v_fmac_f32_e32 v139, v128, v96
	s_delay_alu instid0(VALU_DEP_1)
	v_fmac_f32_e32 v139, v129, v97
	ds_load_2addr_b32 v[96:97], v94 offset0:91 offset1:92
	s_waitcnt lgkmcnt(3)
	v_fmac_f32_e32 v139, v130, v98
	ds_load_b32 v98, v94 offset:372
	s_waitcnt vmcnt(1)
	v_fmac_f32_e32 v139, v131, v99
	s_waitcnt lgkmcnt(3)
	s_delay_alu instid0(VALU_DEP_1) | instskip(NEXT) | instid1(VALU_DEP_1)
	v_fmac_f32_e32 v139, v132, v100
	v_fmac_f32_e32 v139, v133, v101
	s_waitcnt lgkmcnt(2)
	s_delay_alu instid0(VALU_DEP_1) | instskip(SKIP_1) | instid1(VALU_DEP_1)
	v_fmac_f32_e32 v139, v134, v102
	s_waitcnt vmcnt(0)
	v_fmac_f32_e32 v139, v135, v103
	s_waitcnt lgkmcnt(1)
	s_delay_alu instid0(VALU_DEP_1) | instskip(NEXT) | instid1(VALU_DEP_1)
	v_fmac_f32_e32 v139, v136, v96
	v_fmac_f32_e32 v139, v137, v97
	s_waitcnt lgkmcnt(0)
	s_delay_alu instid0(VALU_DEP_1) | instskip(NEXT) | instid1(VALU_DEP_1)
	v_fmac_f32_e32 v139, v138, v98
	v_sub_f32_e32 v95, v95, v139
	scratch_store_b32 off, v95, off offset:8
	v_cmpx_lt_u32_e32 1, v0
	s_cbranch_execz .LBB45_281
; %bb.280:
	scratch_load_b32 v95, off, off offset:4
	scratch_store_b32 off, v94, off offset:4
	s_waitcnt vmcnt(0)
	ds_store_b32 v93, v95
.LBB45_281:
	s_or_b32 exec_lo, exec_lo, s0
	s_waitcnt lgkmcnt(0)
	s_waitcnt_vscnt null, 0x0
	s_barrier
	buffer_gl0_inv
	s_clause 0xb
	scratch_load_b128 v[95:98], off, off offset:4
	scratch_load_b128 v[99:102], off, off offset:20
	scratch_load_b128 v[103:106], off, off offset:36
	scratch_load_b128 v[107:110], off, off offset:52
	scratch_load_b128 v[111:114], off, off offset:68
	scratch_load_b128 v[115:118], off, off offset:84
	scratch_load_b128 v[119:122], off, off offset:100
	scratch_load_b128 v[123:126], off, off offset:116
	scratch_load_b128 v[127:130], off, off offset:132
	scratch_load_b128 v[131:134], off, off offset:148
	scratch_load_b128 v[135:138], off, off offset:164
	scratch_load_b32 v147, off, off offset:180
	ds_load_2addr_b64 v[139:142], v94 offset0:25 offset1:26
	ds_load_2addr_b64 v[143:146], v94 offset0:27 offset1:28
	s_mov_b32 s0, exec_lo
	s_waitcnt vmcnt(11) lgkmcnt(1)
	v_fma_f32 v139, v96, v139, 0
	s_delay_alu instid0(VALU_DEP_1) | instskip(NEXT) | instid1(VALU_DEP_1)
	v_fmac_f32_e32 v139, v97, v140
	v_fmac_f32_e32 v139, v98, v141
	s_waitcnt vmcnt(10)
	s_delay_alu instid0(VALU_DEP_1) | instskip(SKIP_3) | instid1(VALU_DEP_1)
	v_fmac_f32_e32 v139, v99, v142
	ds_load_2addr_b64 v[96:99], v94 offset0:29 offset1:30
	s_waitcnt lgkmcnt(1)
	v_fmac_f32_e32 v139, v100, v143
	v_fmac_f32_e32 v139, v101, v144
	s_delay_alu instid0(VALU_DEP_1) | instskip(SKIP_1) | instid1(VALU_DEP_1)
	v_fmac_f32_e32 v139, v102, v145
	s_waitcnt vmcnt(9)
	v_fmac_f32_e32 v139, v103, v146
	ds_load_2addr_b64 v[100:103], v94 offset0:31 offset1:32
	s_waitcnt lgkmcnt(1)
	v_fmac_f32_e32 v139, v104, v96
	s_delay_alu instid0(VALU_DEP_1) | instskip(NEXT) | instid1(VALU_DEP_1)
	v_fmac_f32_e32 v139, v105, v97
	v_fmac_f32_e32 v139, v106, v98
	s_waitcnt vmcnt(8)
	s_delay_alu instid0(VALU_DEP_1) | instskip(SKIP_3) | instid1(VALU_DEP_1)
	v_fmac_f32_e32 v139, v107, v99
	ds_load_2addr_b64 v[96:99], v94 offset0:33 offset1:34
	s_waitcnt lgkmcnt(1)
	v_fmac_f32_e32 v139, v108, v100
	v_fmac_f32_e32 v139, v109, v101
	s_delay_alu instid0(VALU_DEP_1) | instskip(SKIP_1) | instid1(VALU_DEP_1)
	v_fmac_f32_e32 v139, v110, v102
	s_waitcnt vmcnt(7)
	v_fmac_f32_e32 v139, v111, v103
	ds_load_2addr_b64 v[100:103], v94 offset0:35 offset1:36
	s_waitcnt lgkmcnt(1)
	v_fmac_f32_e32 v139, v112, v96
	;; [unrolled: 17-line block ×4, first 2 shown]
	s_delay_alu instid0(VALU_DEP_1) | instskip(NEXT) | instid1(VALU_DEP_1)
	v_fmac_f32_e32 v139, v129, v97
	v_fmac_f32_e32 v139, v130, v98
	s_waitcnt vmcnt(2)
	s_delay_alu instid0(VALU_DEP_1) | instskip(SKIP_3) | instid1(VALU_DEP_1)
	v_fmac_f32_e32 v139, v131, v99
	ds_load_2addr_b64 v[96:99], v94 offset0:45 offset1:46
	s_waitcnt lgkmcnt(1)
	v_fmac_f32_e32 v139, v132, v100
	v_fmac_f32_e32 v139, v133, v101
	s_delay_alu instid0(VALU_DEP_1) | instskip(SKIP_1) | instid1(VALU_DEP_1)
	v_fmac_f32_e32 v139, v134, v102
	s_waitcnt vmcnt(1)
	v_fmac_f32_e32 v139, v135, v103
	s_waitcnt lgkmcnt(0)
	s_delay_alu instid0(VALU_DEP_1) | instskip(NEXT) | instid1(VALU_DEP_1)
	v_fmac_f32_e32 v139, v136, v96
	v_fmac_f32_e32 v139, v137, v97
	s_delay_alu instid0(VALU_DEP_1) | instskip(SKIP_1) | instid1(VALU_DEP_1)
	v_fmac_f32_e32 v139, v138, v98
	s_waitcnt vmcnt(0)
	v_fmac_f32_e32 v139, v147, v99
	s_delay_alu instid0(VALU_DEP_1)
	v_sub_f32_e32 v94, v95, v139
	scratch_store_b32 off, v94, off offset:4
	v_cmpx_ne_u32_e32 0, v0
	s_cbranch_execz .LBB45_283
; %bb.282:
	scratch_load_b32 v0, off, off
	v_mov_b32_e32 v94, 0
	scratch_store_b32 off, v94, off
	s_waitcnt vmcnt(0)
	ds_store_b32 v93, v0
.LBB45_283:
	s_or_b32 exec_lo, exec_lo, s0
	s_waitcnt lgkmcnt(0)
	s_waitcnt_vscnt null, 0x0
	s_barrier
	buffer_gl0_inv
	s_clause 0xb
	scratch_load_b128 v[95:98], off, off
	scratch_load_b128 v[99:102], off, off offset:16
	scratch_load_b128 v[103:106], off, off offset:32
	;; [unrolled: 1-line block ×10, first 2 shown]
	scratch_load_b64 v[93:94], off, off offset:176
	v_mov_b32_e32 v0, 0
	ds_load_2addr_b32 v[139:140], v0 offset0:49 offset1:50
	ds_load_2addr_b32 v[141:142], v0 offset0:51 offset1:52
	;; [unrolled: 1-line block ×4, first 2 shown]
	s_and_b32 vcc_lo, exec_lo, s16
	s_waitcnt vmcnt(11) lgkmcnt(3)
	v_fma_f32 v139, v96, v139, 0
	s_delay_alu instid0(VALU_DEP_1) | instskip(SKIP_4) | instid1(VALU_DEP_1)
	v_fmac_f32_e32 v139, v97, v140
	ds_load_2addr_b32 v[96:97], v0 offset0:57 offset1:58
	s_waitcnt lgkmcnt(3)
	v_fmac_f32_e32 v139, v98, v141
	s_waitcnt vmcnt(10)
	v_fmac_f32_e32 v139, v99, v142
	ds_load_2addr_b32 v[98:99], v0 offset0:59 offset1:60
	s_waitcnt lgkmcnt(3)
	v_fmac_f32_e32 v139, v100, v143
	s_delay_alu instid0(VALU_DEP_1) | instskip(SKIP_1) | instid1(VALU_DEP_1)
	v_fmac_f32_e32 v139, v101, v144
	s_waitcnt lgkmcnt(2)
	v_fmac_f32_e32 v139, v102, v145
	s_waitcnt vmcnt(9)
	s_delay_alu instid0(VALU_DEP_1) | instskip(SKIP_4) | instid1(VALU_DEP_1)
	v_fmac_f32_e32 v139, v103, v146
	ds_load_2addr_b32 v[100:101], v0 offset0:61 offset1:62
	ds_load_2addr_b32 v[102:103], v0 offset0:63 offset1:64
	s_waitcnt lgkmcnt(3)
	v_fmac_f32_e32 v139, v104, v96
	v_fmac_f32_e32 v139, v105, v97
	ds_load_2addr_b32 v[96:97], v0 offset0:65 offset1:66
	s_waitcnt lgkmcnt(3)
	v_fmac_f32_e32 v139, v106, v98
	s_waitcnt vmcnt(8)
	s_delay_alu instid0(VALU_DEP_1) | instskip(SKIP_3) | instid1(VALU_DEP_1)
	v_fmac_f32_e32 v139, v107, v99
	ds_load_2addr_b32 v[98:99], v0 offset0:67 offset1:68
	s_waitcnt lgkmcnt(3)
	v_fmac_f32_e32 v139, v108, v100
	v_fmac_f32_e32 v139, v109, v101
	s_waitcnt lgkmcnt(2)
	s_delay_alu instid0(VALU_DEP_1) | instskip(SKIP_1) | instid1(VALU_DEP_1)
	v_fmac_f32_e32 v139, v110, v102
	s_waitcnt vmcnt(7)
	v_fmac_f32_e32 v139, v111, v103
	ds_load_2addr_b32 v[100:101], v0 offset0:69 offset1:70
	ds_load_2addr_b32 v[102:103], v0 offset0:71 offset1:72
	s_waitcnt lgkmcnt(3)
	v_fmac_f32_e32 v139, v112, v96
	s_delay_alu instid0(VALU_DEP_1) | instskip(SKIP_4) | instid1(VALU_DEP_1)
	v_fmac_f32_e32 v139, v113, v97
	ds_load_2addr_b32 v[96:97], v0 offset0:73 offset1:74
	s_waitcnt lgkmcnt(3)
	v_fmac_f32_e32 v139, v114, v98
	s_waitcnt vmcnt(6)
	v_fmac_f32_e32 v139, v115, v99
	ds_load_2addr_b32 v[98:99], v0 offset0:75 offset1:76
	s_waitcnt lgkmcnt(3)
	v_fmac_f32_e32 v139, v116, v100
	s_delay_alu instid0(VALU_DEP_1) | instskip(SKIP_1) | instid1(VALU_DEP_1)
	v_fmac_f32_e32 v139, v117, v101
	s_waitcnt lgkmcnt(2)
	v_fmac_f32_e32 v139, v118, v102
	s_waitcnt vmcnt(5)
	s_delay_alu instid0(VALU_DEP_1) | instskip(SKIP_4) | instid1(VALU_DEP_1)
	v_fmac_f32_e32 v139, v119, v103
	ds_load_2addr_b32 v[100:101], v0 offset0:77 offset1:78
	ds_load_2addr_b32 v[102:103], v0 offset0:79 offset1:80
	s_waitcnt lgkmcnt(3)
	v_fmac_f32_e32 v139, v120, v96
	v_fmac_f32_e32 v139, v121, v97
	ds_load_2addr_b32 v[96:97], v0 offset0:81 offset1:82
	s_waitcnt lgkmcnt(3)
	v_fmac_f32_e32 v139, v122, v98
	s_waitcnt vmcnt(4)
	s_delay_alu instid0(VALU_DEP_1) | instskip(SKIP_3) | instid1(VALU_DEP_1)
	v_fmac_f32_e32 v139, v123, v99
	ds_load_2addr_b32 v[98:99], v0 offset0:83 offset1:84
	s_waitcnt lgkmcnt(3)
	v_fmac_f32_e32 v139, v124, v100
	v_fmac_f32_e32 v139, v125, v101
	s_waitcnt lgkmcnt(2)
	s_delay_alu instid0(VALU_DEP_1) | instskip(SKIP_1) | instid1(VALU_DEP_1)
	v_fmac_f32_e32 v139, v126, v102
	s_waitcnt vmcnt(3)
	v_fmac_f32_e32 v139, v127, v103
	ds_load_2addr_b32 v[100:101], v0 offset0:85 offset1:86
	ds_load_2addr_b32 v[102:103], v0 offset0:87 offset1:88
	s_waitcnt lgkmcnt(3)
	v_fmac_f32_e32 v139, v128, v96
	s_delay_alu instid0(VALU_DEP_1) | instskip(SKIP_4) | instid1(VALU_DEP_1)
	v_fmac_f32_e32 v139, v129, v97
	ds_load_2addr_b32 v[96:97], v0 offset0:89 offset1:90
	s_waitcnt lgkmcnt(3)
	v_fmac_f32_e32 v139, v130, v98
	s_waitcnt vmcnt(2)
	v_fmac_f32_e32 v139, v131, v99
	ds_load_2addr_b32 v[98:99], v0 offset0:91 offset1:92
	ds_load_b32 v0, v0 offset:372
	s_waitcnt lgkmcnt(4)
	v_fmac_f32_e32 v139, v132, v100
	s_delay_alu instid0(VALU_DEP_1) | instskip(SKIP_1) | instid1(VALU_DEP_1)
	v_fmac_f32_e32 v139, v133, v101
	s_waitcnt lgkmcnt(3)
	v_fmac_f32_e32 v139, v134, v102
	s_waitcnt vmcnt(1)
	s_delay_alu instid0(VALU_DEP_1) | instskip(SKIP_1) | instid1(VALU_DEP_1)
	v_fmac_f32_e32 v139, v135, v103
	s_waitcnt lgkmcnt(2)
	v_fmac_f32_e32 v139, v136, v96
	s_delay_alu instid0(VALU_DEP_1) | instskip(SKIP_1) | instid1(VALU_DEP_1)
	v_fmac_f32_e32 v139, v137, v97
	s_waitcnt lgkmcnt(1)
	v_fmac_f32_e32 v139, v138, v98
	s_waitcnt vmcnt(0)
	s_delay_alu instid0(VALU_DEP_1) | instskip(SKIP_1) | instid1(VALU_DEP_1)
	v_fmac_f32_e32 v139, v93, v99
	s_waitcnt lgkmcnt(0)
	v_fmac_f32_e32 v139, v94, v0
	s_delay_alu instid0(VALU_DEP_1)
	v_sub_f32_e32 v0, v95, v139
	scratch_store_b32 off, v0, off
	s_cbranch_vccz .LBB45_375
; %bb.284:
	v_dual_mov_b32 v95, s13 :: v_dual_mov_b32 v94, s12
	s_mov_b32 s0, exec_lo
	flat_load_b32 v0, v[94:95] offset:176
	s_waitcnt vmcnt(0) lgkmcnt(0)
	v_cmpx_ne_u32_e32 45, v0
	s_cbranch_execz .LBB45_286
; %bb.285:
	v_lshl_add_u32 v0, v0, 2, 0
	scratch_load_b32 v94, v0, off offset:-4
	s_waitcnt vmcnt(0)
	scratch_store_b32 off, v94, off offset:176
	scratch_store_b32 v0, v93, off offset:-4
.LBB45_286:
	s_or_b32 exec_lo, exec_lo, s0
	v_dual_mov_b32 v94, s13 :: v_dual_mov_b32 v93, s12
	s_mov_b32 s0, exec_lo
	flat_load_b32 v0, v[93:94] offset:172
	s_waitcnt vmcnt(0) lgkmcnt(0)
	v_cmpx_ne_u32_e32 44, v0
	s_cbranch_execz .LBB45_288
; %bb.287:
	v_lshl_add_u32 v0, v0, 2, 0
	scratch_load_b32 v93, v0, off offset:-4
	scratch_load_b32 v94, off, off offset:172
	s_waitcnt vmcnt(1)
	scratch_store_b32 off, v93, off offset:172
	s_waitcnt vmcnt(0)
	scratch_store_b32 v0, v94, off offset:-4
.LBB45_288:
	s_or_b32 exec_lo, exec_lo, s0
	v_dual_mov_b32 v94, s13 :: v_dual_mov_b32 v93, s12
	s_mov_b32 s0, exec_lo
	flat_load_b32 v0, v[93:94] offset:168
	s_waitcnt vmcnt(0) lgkmcnt(0)
	v_cmpx_ne_u32_e32 43, v0
	s_cbranch_execz .LBB45_290
; %bb.289:
	v_lshl_add_u32 v0, v0, 2, 0
	scratch_load_b32 v93, v0, off offset:-4
	scratch_load_b32 v94, off, off offset:168
	s_waitcnt vmcnt(1)
	scratch_store_b32 off, v93, off offset:168
	s_waitcnt vmcnt(0)
	scratch_store_b32 v0, v94, off offset:-4
.LBB45_290:
	;; [unrolled: 16-line block ×43, first 2 shown]
	s_or_b32 exec_lo, exec_lo, s0
	v_dual_mov_b32 v94, s13 :: v_dual_mov_b32 v93, s12
	s_mov_b32 s0, exec_lo
	flat_load_b32 v93, v[93:94]
	scratch_load_b32 v0, off, off
	s_waitcnt vmcnt(1) lgkmcnt(0)
	v_cmpx_ne_u32_e32 1, v93
	s_cbranch_execz .LBB45_374
; %bb.373:
	v_lshl_add_u32 v93, v93, 2, 0
	scratch_load_b32 v94, v93, off offset:-4
	s_waitcnt vmcnt(0)
	scratch_store_b32 off, v94, off
	scratch_store_b32 v93, v0, off offset:-4
	scratch_load_b32 v0, off, off
.LBB45_374:
	s_or_b32 exec_lo, exec_lo, s0
.LBB45_375:
	s_clause 0xb
	scratch_load_b128 v[93:96], off, off offset:4
	scratch_load_b128 v[97:100], off, off offset:20
	;; [unrolled: 1-line block ×11, first 2 shown]
	scratch_load_b32 v137, off, off offset:180
	s_waitcnt vmcnt(12)
	global_store_b32 v[1:2], v0, off
	s_waitcnt vmcnt(11)
	s_clause 0x3
	global_store_b32 v[3:4], v93, off
	global_store_b32 v[5:6], v94, off
	global_store_b32 v[7:8], v95, off
	global_store_b32 v[9:10], v96, off
	s_waitcnt vmcnt(10)
	s_clause 0x3
	global_store_b32 v[11:12], v97, off
	global_store_b32 v[13:14], v98, off
	global_store_b32 v[15:16], v99, off
	;; [unrolled: 6-line block ×11, first 2 shown]
	global_store_b32 v[91:92], v136, off
	s_waitcnt vmcnt(0)
	global_store_b32 v[51:52], v137, off
	s_endpgm
	.section	.rodata,"a",@progbits
	.p2align	6, 0x0
	.amdhsa_kernel _ZN9rocsolver6v33100L18getri_kernel_smallILi46EfPfEEvT1_iilPiilS4_bb
		.amdhsa_group_segment_fixed_size 376
		.amdhsa_private_segment_fixed_size 192
		.amdhsa_kernarg_size 60
		.amdhsa_user_sgpr_count 15
		.amdhsa_user_sgpr_dispatch_ptr 0
		.amdhsa_user_sgpr_queue_ptr 0
		.amdhsa_user_sgpr_kernarg_segment_ptr 1
		.amdhsa_user_sgpr_dispatch_id 0
		.amdhsa_user_sgpr_private_segment_size 0
		.amdhsa_wavefront_size32 1
		.amdhsa_uses_dynamic_stack 0
		.amdhsa_enable_private_segment 1
		.amdhsa_system_sgpr_workgroup_id_x 1
		.amdhsa_system_sgpr_workgroup_id_y 0
		.amdhsa_system_sgpr_workgroup_id_z 0
		.amdhsa_system_sgpr_workgroup_info 0
		.amdhsa_system_vgpr_workitem_id 0
		.amdhsa_next_free_vgpr 148
		.amdhsa_next_free_sgpr 18
		.amdhsa_reserve_vcc 1
		.amdhsa_float_round_mode_32 0
		.amdhsa_float_round_mode_16_64 0
		.amdhsa_float_denorm_mode_32 3
		.amdhsa_float_denorm_mode_16_64 3
		.amdhsa_dx10_clamp 1
		.amdhsa_ieee_mode 1
		.amdhsa_fp16_overflow 0
		.amdhsa_workgroup_processor_mode 1
		.amdhsa_memory_ordered 1
		.amdhsa_forward_progress 0
		.amdhsa_shared_vgpr_count 0
		.amdhsa_exception_fp_ieee_invalid_op 0
		.amdhsa_exception_fp_denorm_src 0
		.amdhsa_exception_fp_ieee_div_zero 0
		.amdhsa_exception_fp_ieee_overflow 0
		.amdhsa_exception_fp_ieee_underflow 0
		.amdhsa_exception_fp_ieee_inexact 0
		.amdhsa_exception_int_div_zero 0
	.end_amdhsa_kernel
	.section	.text._ZN9rocsolver6v33100L18getri_kernel_smallILi46EfPfEEvT1_iilPiilS4_bb,"axG",@progbits,_ZN9rocsolver6v33100L18getri_kernel_smallILi46EfPfEEvT1_iilPiilS4_bb,comdat
.Lfunc_end45:
	.size	_ZN9rocsolver6v33100L18getri_kernel_smallILi46EfPfEEvT1_iilPiilS4_bb, .Lfunc_end45-_ZN9rocsolver6v33100L18getri_kernel_smallILi46EfPfEEvT1_iilPiilS4_bb
                                        ; -- End function
	.section	.AMDGPU.csdata,"",@progbits
; Kernel info:
; codeLenInByte = 32848
; NumSgprs: 20
; NumVgprs: 148
; ScratchSize: 192
; MemoryBound: 0
; FloatMode: 240
; IeeeMode: 1
; LDSByteSize: 376 bytes/workgroup (compile time only)
; SGPRBlocks: 2
; VGPRBlocks: 18
; NumSGPRsForWavesPerEU: 20
; NumVGPRsForWavesPerEU: 148
; Occupancy: 9
; WaveLimiterHint : 1
; COMPUTE_PGM_RSRC2:SCRATCH_EN: 1
; COMPUTE_PGM_RSRC2:USER_SGPR: 15
; COMPUTE_PGM_RSRC2:TRAP_HANDLER: 0
; COMPUTE_PGM_RSRC2:TGID_X_EN: 1
; COMPUTE_PGM_RSRC2:TGID_Y_EN: 0
; COMPUTE_PGM_RSRC2:TGID_Z_EN: 0
; COMPUTE_PGM_RSRC2:TIDIG_COMP_CNT: 0
	.section	.text._ZN9rocsolver6v33100L18getri_kernel_smallILi47EfPfEEvT1_iilPiilS4_bb,"axG",@progbits,_ZN9rocsolver6v33100L18getri_kernel_smallILi47EfPfEEvT1_iilPiilS4_bb,comdat
	.globl	_ZN9rocsolver6v33100L18getri_kernel_smallILi47EfPfEEvT1_iilPiilS4_bb ; -- Begin function _ZN9rocsolver6v33100L18getri_kernel_smallILi47EfPfEEvT1_iilPiilS4_bb
	.p2align	8
	.type	_ZN9rocsolver6v33100L18getri_kernel_smallILi47EfPfEEvT1_iilPiilS4_bb,@function
_ZN9rocsolver6v33100L18getri_kernel_smallILi47EfPfEEvT1_iilPiilS4_bb: ; @_ZN9rocsolver6v33100L18getri_kernel_smallILi47EfPfEEvT1_iilPiilS4_bb
; %bb.0:
	s_mov_b32 s2, exec_lo
	v_cmpx_gt_u32_e32 47, v0
	s_cbranch_execz .LBB46_196
; %bb.1:
	s_clause 0x2
	s_load_b32 s17, s[0:1], 0x38
	s_load_b128 s[8:11], s[0:1], 0x10
	s_load_b128 s[4:7], s[0:1], 0x28
	s_mov_b32 s14, s15
                                        ; implicit-def: $sgpr12_sgpr13
	s_waitcnt lgkmcnt(0)
	s_bitcmp1_b32 s17, 8
	s_cselect_b32 s16, -1, 0
	s_bfe_u32 s2, s17, 0x10008
	s_ashr_i32 s15, s15, 31
	s_cmp_eq_u32 s2, 0
	s_cbranch_scc1 .LBB46_3
; %bb.2:
	s_load_b32 s2, s[0:1], 0x20
	s_mul_i32 s3, s14, s5
	s_mul_hi_u32 s5, s14, s4
	s_mul_i32 s12, s15, s4
	s_add_i32 s3, s5, s3
	s_mul_i32 s4, s14, s4
	s_add_i32 s5, s3, s12
	s_delay_alu instid0(SALU_CYCLE_1)
	s_lshl_b64 s[4:5], s[4:5], 2
	s_waitcnt lgkmcnt(0)
	s_ashr_i32 s3, s2, 31
	s_add_u32 s4, s10, s4
	s_addc_u32 s5, s11, s5
	s_lshl_b64 s[2:3], s[2:3], 2
	s_delay_alu instid0(SALU_CYCLE_1)
	s_add_u32 s12, s4, s2
	s_addc_u32 s13, s5, s3
.LBB46_3:
	s_load_b128 s[0:3], s[0:1], 0x0
	s_mul_i32 s4, s14, s9
	s_mul_hi_u32 s5, s14, s8
	s_mul_i32 s9, s15, s8
	s_add_i32 s5, s5, s4
	s_mul_i32 s4, s14, s8
	s_add_i32 s5, s5, s9
	v_lshlrev_b32_e32 v97, 2, v0
	s_lshl_b64 s[4:5], s[4:5], 2
	s_waitcnt lgkmcnt(0)
	v_add3_u32 v1, s3, s3, v0
	s_ashr_i32 s9, s2, 31
	s_mov_b32 s8, s2
	s_add_u32 s2, s0, s4
	s_addc_u32 s4, s1, s5
	v_add_nc_u32_e32 v7, s3, v1
	s_lshl_b64 s[0:1], s[8:9], 2
	v_ashrrev_i32_e32 v2, 31, v1
	s_add_u32 s0, s2, s0
	s_addc_u32 s1, s4, s1
	v_add_nc_u32_e32 v9, s3, v7
	v_add_co_u32 v3, s2, s0, v97
	s_mov_b32 s10, s3
	s_ashr_i32 s11, s3, 31
	s_delay_alu instid0(VALU_DEP_2) | instskip(SKIP_3) | instid1(VALU_DEP_4)
	v_add_nc_u32_e32 v11, s3, v9
	v_add_co_ci_u32_e64 v4, null, s1, 0, s2
	v_ashrrev_i32_e32 v8, 31, v7
	v_lshlrev_b64 v[1:2], 2, v[1:2]
	v_add_nc_u32_e32 v13, s3, v11
	s_lshl_b64 s[4:5], s[10:11], 2
	v_ashrrev_i32_e32 v10, 31, v9
	v_add_co_u32 v5, vcc_lo, v3, s4
	s_delay_alu instid0(VALU_DEP_3) | instskip(SKIP_3) | instid1(VALU_DEP_4)
	v_add_nc_u32_e32 v15, s3, v13
	v_add_co_ci_u32_e32 v6, vcc_lo, s5, v4, vcc_lo
	v_lshlrev_b64 v[42:43], 2, v[7:8]
	v_add_co_u32 v7, vcc_lo, s0, v1
	v_add_nc_u32_e32 v17, s3, v15
	v_add_co_ci_u32_e32 v8, vcc_lo, s1, v2, vcc_lo
	v_lshlrev_b64 v[1:2], 2, v[9:10]
	v_ashrrev_i32_e32 v12, 31, v11
	s_delay_alu instid0(VALU_DEP_4) | instskip(SKIP_3) | instid1(VALU_DEP_4)
	v_add_nc_u32_e32 v19, s3, v17
	v_add_co_u32 v9, vcc_lo, s0, v42
	v_ashrrev_i32_e32 v14, 31, v13
	v_add_co_ci_u32_e32 v10, vcc_lo, s1, v43, vcc_lo
	v_add_nc_u32_e32 v21, s3, v19
	v_lshlrev_b64 v[42:43], 2, v[11:12]
	v_add_co_u32 v11, vcc_lo, s0, v1
	v_add_co_ci_u32_e32 v12, vcc_lo, s1, v2, vcc_lo
	s_delay_alu instid0(VALU_DEP_4) | instskip(SKIP_3) | instid1(VALU_DEP_4)
	v_add_nc_u32_e32 v23, s3, v21
	v_lshlrev_b64 v[1:2], 2, v[13:14]
	v_ashrrev_i32_e32 v16, 31, v15
	v_add_co_u32 v13, vcc_lo, s0, v42
	v_add_nc_u32_e32 v25, s3, v23
	v_ashrrev_i32_e32 v18, 31, v17
	v_add_co_ci_u32_e32 v14, vcc_lo, s1, v43, vcc_lo
	v_lshlrev_b64 v[42:43], 2, v[15:16]
	s_delay_alu instid0(VALU_DEP_4) | instskip(SKIP_2) | instid1(VALU_DEP_3)
	v_add_nc_u32_e32 v27, s3, v25
	v_add_co_u32 v15, vcc_lo, s0, v1
	v_add_co_ci_u32_e32 v16, vcc_lo, s1, v2, vcc_lo
	v_add_nc_u32_e32 v29, s3, v27
	v_lshlrev_b64 v[1:2], 2, v[17:18]
	v_ashrrev_i32_e32 v20, 31, v19
	v_add_co_u32 v17, vcc_lo, s0, v42
	s_delay_alu instid0(VALU_DEP_4) | instskip(SKIP_3) | instid1(VALU_DEP_4)
	v_add_nc_u32_e32 v31, s3, v29
	v_ashrrev_i32_e32 v22, 31, v21
	v_add_co_ci_u32_e32 v18, vcc_lo, s1, v43, vcc_lo
	v_lshlrev_b64 v[42:43], 2, v[19:20]
	v_add_nc_u32_e32 v33, s3, v31
	v_add_co_u32 v19, vcc_lo, s0, v1
	v_add_co_ci_u32_e32 v20, vcc_lo, s1, v2, vcc_lo
	s_delay_alu instid0(VALU_DEP_3) | instskip(SKIP_3) | instid1(VALU_DEP_4)
	v_add_nc_u32_e32 v35, s3, v33
	v_lshlrev_b64 v[1:2], 2, v[21:22]
	v_ashrrev_i32_e32 v24, 31, v23
	v_add_co_u32 v21, vcc_lo, s0, v42
	v_add_nc_u32_e32 v37, s3, v35
	v_ashrrev_i32_e32 v26, 31, v25
	v_add_co_ci_u32_e32 v22, vcc_lo, s1, v43, vcc_lo
	v_lshlrev_b64 v[42:43], 2, v[23:24]
	s_delay_alu instid0(VALU_DEP_4) | instskip(SKIP_2) | instid1(VALU_DEP_3)
	v_add_nc_u32_e32 v39, s3, v37
	v_add_co_u32 v23, vcc_lo, s0, v1
	v_add_co_ci_u32_e32 v24, vcc_lo, s1, v2, vcc_lo
	v_add_nc_u32_e32 v41, s3, v39
	v_lshlrev_b64 v[1:2], 2, v[25:26]
	v_ashrrev_i32_e32 v28, 31, v27
	v_add_co_u32 v25, vcc_lo, s0, v42
	s_delay_alu instid0(VALU_DEP_4) | instskip(SKIP_3) | instid1(VALU_DEP_4)
	v_add_nc_u32_e32 v44, s3, v41
	v_ashrrev_i32_e32 v30, 31, v29
	v_add_co_ci_u32_e32 v26, vcc_lo, s1, v43, vcc_lo
	v_lshlrev_b64 v[42:43], 2, v[27:28]
	v_add_nc_u32_e32 v46, s3, v44
	v_add_co_u32 v27, vcc_lo, s0, v1
	v_add_co_ci_u32_e32 v28, vcc_lo, s1, v2, vcc_lo
	s_delay_alu instid0(VALU_DEP_3) | instskip(SKIP_3) | instid1(VALU_DEP_4)
	;; [unrolled: 25-line block ×4, first 2 shown]
	v_add_nc_u32_e32 v75, s3, v73
	v_lshlrev_b64 v[1:2], 2, v[46:47]
	v_ashrrev_i32_e32 v49, 31, v48
	v_add_co_u32 v45, vcc_lo, s0, v55
	v_add_nc_u32_e32 v77, s3, v75
	v_ashrrev_i32_e32 v51, 31, v50
	v_add_co_ci_u32_e32 v46, vcc_lo, s1, v56, vcc_lo
	v_lshlrev_b64 v[55:56], 2, v[48:49]
	s_delay_alu instid0(VALU_DEP_4) | instskip(SKIP_3) | instid1(VALU_DEP_4)
	v_add_nc_u32_e32 v79, s3, v77
	v_add_co_u32 v47, vcc_lo, s0, v1
	v_ashrrev_i32_e32 v53, 31, v52
	v_add_co_ci_u32_e32 v48, vcc_lo, s1, v2, vcc_lo
	v_add_nc_u32_e32 v81, s3, v79
	v_lshlrev_b64 v[1:2], 2, v[50:51]
	v_add_co_u32 v49, vcc_lo, s0, v55
	v_lshlrev_b64 v[68:69], 2, v[52:53]
	s_delay_alu instid0(VALU_DEP_4) | instskip(SKIP_3) | instid1(VALU_DEP_4)
	v_add_nc_u32_e32 v83, s3, v81
	v_ashrrev_i32_e32 v55, 31, v54
	v_add_co_ci_u32_e32 v50, vcc_lo, s1, v56, vcc_lo
	v_add_co_u32 v51, vcc_lo, s0, v1
	v_add_nc_u32_e32 v85, s3, v83
	v_add_co_ci_u32_e32 v52, vcc_lo, s1, v2, vcc_lo
	v_lshlrev_b64 v[1:2], 2, v[54:55]
	v_ashrrev_i32_e32 v58, 31, v57
	s_delay_alu instid0(VALU_DEP_4) | instskip(SKIP_3) | instid1(VALU_DEP_4)
	v_add_nc_u32_e32 v87, s3, v85
	v_add_co_u32 v55, vcc_lo, s0, v68
	v_ashrrev_i32_e32 v60, 31, v59
	v_add_co_ci_u32_e32 v56, vcc_lo, s1, v69, vcc_lo
	v_add_nc_u32_e32 v89, s3, v87
	v_lshlrev_b64 v[68:69], 2, v[57:58]
	v_add_co_u32 v57, vcc_lo, s0, v1
	v_add_co_ci_u32_e32 v58, vcc_lo, s1, v2, vcc_lo
	s_delay_alu instid0(VALU_DEP_4)
	v_add_nc_u32_e32 v91, s3, v89
	v_lshlrev_b64 v[1:2], 2, v[59:60]
	v_ashrrev_i32_e32 v62, 31, v61
	v_ashrrev_i32_e32 v64, 31, v63
	;; [unrolled: 1-line block ×3, first 2 shown]
	v_add_nc_u32_e32 v93, s3, v91
	v_ashrrev_i32_e32 v72, 31, v71
	v_ashrrev_i32_e32 v74, 31, v73
	;; [unrolled: 1-line block ×4, first 2 shown]
	v_add_nc_u32_e32 v95, s3, v93
	v_ashrrev_i32_e32 v80, 31, v79
	v_lshlrev_b64 v[73:74], 2, v[73:74]
	v_ashrrev_i32_e32 v82, 31, v81
	v_lshlrev_b64 v[77:78], 2, v[77:78]
	v_add_nc_u32_e32 v53, s3, v95
	v_ashrrev_i32_e32 v84, 31, v83
	v_ashrrev_i32_e32 v86, 31, v85
	v_lshlrev_b64 v[81:82], 2, v[81:82]
	v_ashrrev_i32_e32 v88, 31, v87
	v_ashrrev_i32_e32 v54, 31, v53
	v_ashrrev_i32_e32 v90, 31, v89
	v_lshlrev_b64 v[85:86], 2, v[85:86]
	v_ashrrev_i32_e32 v92, 31, v91
	v_ashrrev_i32_e32 v94, 31, v93
	v_lshlrev_b64 v[53:54], 2, v[53:54]
	v_lshlrev_b64 v[89:90], 2, v[89:90]
	v_ashrrev_i32_e32 v96, 31, v95
	global_load_b32 v98, v97, s[0:1]
	v_lshlrev_b64 v[93:94], 2, v[93:94]
	s_clause 0x7
	global_load_b32 v99, v[5:6], off
	global_load_b32 v100, v[7:8], off
	;; [unrolled: 1-line block ×8, first 2 shown]
	v_add_co_u32 v53, vcc_lo, s0, v53
	v_add_co_ci_u32_e32 v54, vcc_lo, s1, v54, vcc_lo
	v_add_co_u32 v59, vcc_lo, s0, v68
	v_add_co_ci_u32_e32 v60, vcc_lo, s1, v69, vcc_lo
	v_lshlrev_b64 v[68:69], 2, v[61:62]
	v_add_co_u32 v61, vcc_lo, s0, v1
	v_add_co_ci_u32_e32 v62, vcc_lo, s1, v2, vcc_lo
	v_lshlrev_b64 v[1:2], 2, v[63:64]
	s_delay_alu instid0(VALU_DEP_4)
	v_add_co_u32 v63, vcc_lo, s0, v68
	v_ashrrev_i32_e32 v68, 31, v67
	v_add_co_ci_u32_e32 v64, vcc_lo, s1, v69, vcc_lo
	v_lshlrev_b64 v[69:70], 2, v[65:66]
	v_add_co_u32 v65, vcc_lo, s0, v1
	v_add_co_ci_u32_e32 v66, vcc_lo, s1, v2, vcc_lo
	v_lshlrev_b64 v[1:2], 2, v[67:68]
	s_delay_alu instid0(VALU_DEP_4)
	v_add_co_u32 v67, vcc_lo, s0, v69
	v_add_co_ci_u32_e32 v68, vcc_lo, s1, v70, vcc_lo
	s_clause 0x7
	global_load_b32 v107, v[21:22], off
	global_load_b32 v108, v[23:24], off
	;; [unrolled: 1-line block ×8, first 2 shown]
	v_add_co_u32 v69, vcc_lo, s0, v1
	v_add_co_ci_u32_e32 v70, vcc_lo, s1, v2, vcc_lo
	v_lshlrev_b64 v[1:2], 2, v[71:72]
	s_clause 0xf
	global_load_b32 v115, v[37:38], off
	global_load_b32 v116, v[39:40], off
	;; [unrolled: 1-line block ×16, first 2 shown]
	s_bitcmp0_b32 s17, 0
	v_add_co_u32 v71, vcc_lo, s0, v1
	v_add_co_ci_u32_e32 v72, vcc_lo, s1, v2, vcc_lo
	v_lshlrev_b64 v[1:2], 2, v[75:76]
	v_add_co_u32 v73, vcc_lo, s0, v73
	v_add_co_ci_u32_e32 v74, vcc_lo, s1, v74, vcc_lo
	s_delay_alu instid0(VALU_DEP_3) | instskip(NEXT) | instid1(VALU_DEP_4)
	v_add_co_u32 v75, vcc_lo, s0, v1
	v_add_co_ci_u32_e32 v76, vcc_lo, s1, v2, vcc_lo
	v_lshlrev_b64 v[1:2], 2, v[79:80]
	v_add_co_u32 v77, vcc_lo, s0, v77
	v_add_co_ci_u32_e32 v78, vcc_lo, s1, v78, vcc_lo
	s_delay_alu instid0(VALU_DEP_3) | instskip(NEXT) | instid1(VALU_DEP_4)
	;; [unrolled: 6-line block ×3, first 2 shown]
	v_add_co_u32 v83, vcc_lo, s0, v1
	v_add_co_ci_u32_e32 v84, vcc_lo, s1, v2, vcc_lo
	v_lshlrev_b64 v[1:2], 2, v[87:88]
	v_add_co_u32 v85, vcc_lo, s0, v85
	v_add_co_ci_u32_e32 v86, vcc_lo, s1, v86, vcc_lo
	s_clause 0x7
	global_load_b32 v131, v[71:72], off
	global_load_b32 v132, v[73:74], off
	;; [unrolled: 1-line block ×8, first 2 shown]
	v_add_co_u32 v87, vcc_lo, s0, v1
	v_add_co_ci_u32_e32 v88, vcc_lo, s1, v2, vcc_lo
	v_lshlrev_b64 v[1:2], 2, v[91:92]
	v_add_co_u32 v89, vcc_lo, s0, v89
	v_add_co_ci_u32_e32 v90, vcc_lo, s1, v90, vcc_lo
	s_delay_alu instid0(VALU_DEP_3) | instskip(NEXT) | instid1(VALU_DEP_4)
	v_add_co_u32 v91, vcc_lo, s0, v1
	v_add_co_ci_u32_e32 v92, vcc_lo, s1, v2, vcc_lo
	v_lshlrev_b64 v[1:2], 2, v[95:96]
	v_add_co_u32 v93, vcc_lo, s0, v93
	v_add_co_ci_u32_e32 v94, vcc_lo, s1, v94, vcc_lo
	s_delay_alu instid0(VALU_DEP_3) | instskip(NEXT) | instid1(VALU_DEP_4)
	v_add_co_u32 v95, vcc_lo, s0, v1
	v_add_co_ci_u32_e32 v96, vcc_lo, s1, v2, vcc_lo
	s_clause 0x5
	global_load_b32 v139, v[87:88], off
	global_load_b32 v140, v[89:90], off
	;; [unrolled: 1-line block ×6, first 2 shown]
	s_mov_b32 s1, -1
	s_waitcnt vmcnt(43)
	scratch_store_b128 off, v[98:101], off
	s_waitcnt vmcnt(39)
	scratch_store_b128 off, v[102:105], off offset:16
	s_waitcnt vmcnt(35)
	scratch_store_b128 off, v[106:109], off offset:32
	;; [unrolled: 2-line block ×10, first 2 shown]
	s_waitcnt vmcnt(0)
	scratch_store_b96 off, v[142:144], off offset:176
	s_cbranch_scc1 .LBB46_194
; %bb.4:
	v_cmp_eq_u32_e64 s0, 0, v0
	s_delay_alu instid0(VALU_DEP_1)
	s_and_saveexec_b32 s1, s0
	s_cbranch_execz .LBB46_6
; %bb.5:
	v_mov_b32_e32 v1, 0
	ds_store_b32 v1, v1 offset:188
.LBB46_6:
	s_or_b32 exec_lo, exec_lo, s1
	s_waitcnt lgkmcnt(0)
	s_waitcnt_vscnt null, 0x0
	s_barrier
	buffer_gl0_inv
	scratch_load_b32 v1, v97, off
	s_mov_b32 s2, exec_lo
	s_waitcnt vmcnt(0)
	v_cmpx_eq_f32_e32 0, v1
	s_cbranch_execz .LBB46_10
; %bb.7:
	v_mov_b32_e32 v1, 0
	s_mov_b32 s3, 0
	ds_load_b32 v2, v1 offset:188
	s_waitcnt lgkmcnt(0)
	v_readfirstlane_b32 s1, v2
	v_add_nc_u32_e32 v2, 1, v0
	s_delay_alu instid0(VALU_DEP_2) | instskip(NEXT) | instid1(VALU_DEP_1)
	s_cmp_eq_u32 s1, 0
	v_cmp_gt_i32_e32 vcc_lo, s1, v2
	s_cselect_b32 s4, -1, 0
	s_delay_alu instid0(SALU_CYCLE_1) | instskip(NEXT) | instid1(SALU_CYCLE_1)
	s_or_b32 s4, s4, vcc_lo
	s_and_b32 exec_lo, exec_lo, s4
	s_cbranch_execz .LBB46_10
; %bb.8:
	v_mov_b32_e32 v98, s1
.LBB46_9:                               ; =>This Inner Loop Header: Depth=1
	ds_cmpstore_rtn_b32 v98, v1, v2, v98 offset:188
	s_waitcnt lgkmcnt(0)
	v_cmp_ne_u32_e32 vcc_lo, 0, v98
	v_cmp_le_i32_e64 s1, v98, v2
	s_delay_alu instid0(VALU_DEP_1) | instskip(NEXT) | instid1(SALU_CYCLE_1)
	s_and_b32 s1, vcc_lo, s1
	s_and_b32 s1, exec_lo, s1
	s_delay_alu instid0(SALU_CYCLE_1) | instskip(NEXT) | instid1(SALU_CYCLE_1)
	s_or_b32 s3, s1, s3
	s_and_not1_b32 exec_lo, exec_lo, s3
	s_cbranch_execnz .LBB46_9
.LBB46_10:
	s_or_b32 exec_lo, exec_lo, s2
	v_mov_b32_e32 v1, 0
	s_barrier
	buffer_gl0_inv
	ds_load_b32 v2, v1 offset:188
	s_and_saveexec_b32 s1, s0
	s_cbranch_execz .LBB46_12
; %bb.11:
	s_lshl_b64 s[2:3], s[14:15], 2
	s_delay_alu instid0(SALU_CYCLE_1)
	s_add_u32 s2, s6, s2
	s_addc_u32 s3, s7, s3
	s_waitcnt lgkmcnt(0)
	global_store_b32 v1, v2, s[2:3]
.LBB46_12:
	s_or_b32 exec_lo, exec_lo, s1
	s_waitcnt lgkmcnt(0)
	v_cmp_ne_u32_e32 vcc_lo, 0, v2
	s_mov_b32 s1, 0
	s_cbranch_vccnz .LBB46_194
; %bb.13:
	v_add_nc_u32_e32 v1, 0, v97
	scratch_load_b32 v2, v1, off
	s_waitcnt vmcnt(0)
	v_div_scale_f32 v98, null, v2, v2, 1.0
	v_div_scale_f32 v101, vcc_lo, 1.0, v2, 1.0
	s_delay_alu instid0(VALU_DEP_2) | instskip(SKIP_2) | instid1(VALU_DEP_1)
	v_rcp_f32_e32 v99, v98
	s_waitcnt_depctr 0xfff
	v_fma_f32 v100, -v98, v99, 1.0
	v_fmac_f32_e32 v99, v100, v99
	s_delay_alu instid0(VALU_DEP_1) | instskip(NEXT) | instid1(VALU_DEP_1)
	v_mul_f32_e32 v100, v101, v99
	v_fma_f32 v102, -v98, v100, v101
	s_delay_alu instid0(VALU_DEP_1) | instskip(NEXT) | instid1(VALU_DEP_1)
	v_fmac_f32_e32 v100, v102, v99
	v_fma_f32 v98, -v98, v100, v101
	s_delay_alu instid0(VALU_DEP_1) | instskip(NEXT) | instid1(VALU_DEP_1)
	v_div_fmas_f32 v98, v98, v99, v100
	v_div_fixup_f32 v2, v98, v2, 1.0
	scratch_store_b32 v1, v2, off
	scratch_load_b32 v98, off, off offset:4
	v_xor_b32_e32 v99, 0x80000000, v2
	v_add_nc_u32_e32 v2, 0xc0, v97
	s_waitcnt vmcnt(0)
	ds_store_2addr_b32 v97, v99, v98 offset1:48
	s_waitcnt lgkmcnt(0)
	s_waitcnt_vscnt null, 0x0
	s_barrier
	buffer_gl0_inv
	s_and_saveexec_b32 s1, s0
	s_cbranch_execz .LBB46_15
; %bb.14:
	scratch_load_b32 v98, v1, off
	ds_load_b32 v99, v2
	v_mov_b32_e32 v100, 0
	ds_load_b32 v100, v100 offset:4
	s_waitcnt vmcnt(0) lgkmcnt(1)
	v_fma_f32 v98, v98, v99, 0
	s_waitcnt lgkmcnt(0)
	s_delay_alu instid0(VALU_DEP_1)
	v_mul_f32_e32 v98, v98, v100
	scratch_store_b32 off, v98, off offset:4
.LBB46_15:
	s_or_b32 exec_lo, exec_lo, s1
	s_waitcnt_vscnt null, 0x0
	s_barrier
	buffer_gl0_inv
	scratch_load_b32 v98, off, off offset:8
	s_mov_b32 s1, exec_lo
	s_waitcnt vmcnt(0)
	ds_store_b32 v2, v98
	s_waitcnt lgkmcnt(0)
	s_barrier
	buffer_gl0_inv
	v_cmpx_gt_u32_e32 2, v0
	s_cbranch_execz .LBB46_17
; %bb.16:
	scratch_load_b32 v100, v1, off
	scratch_load_b32 v101, off, off offset:4
	ds_load_b32 v102, v2
	v_mov_b32_e32 v98, 0
	ds_load_2addr_b32 v[98:99], v98 offset0:2 offset1:49
	s_waitcnt vmcnt(1) lgkmcnt(1)
	v_fma_f32 v100, v100, v102, 0
	s_waitcnt vmcnt(0) lgkmcnt(0)
	s_delay_alu instid0(VALU_DEP_1) | instskip(NEXT) | instid1(VALU_DEP_1)
	v_fma_f32 v99, v101, v99, v100
	v_cndmask_b32_e64 v99, v100, v99, s0
	s_delay_alu instid0(VALU_DEP_1)
	v_mul_f32_e32 v98, v99, v98
	scratch_store_b32 off, v98, off offset:8
.LBB46_17:
	s_or_b32 exec_lo, exec_lo, s1
	s_waitcnt_vscnt null, 0x0
	s_barrier
	buffer_gl0_inv
	scratch_load_b32 v99, off, off offset:12
	v_add_nc_u32_e32 v98, -1, v0
	s_mov_b32 s0, exec_lo
	s_waitcnt vmcnt(0)
	ds_store_b32 v2, v99
	s_waitcnt lgkmcnt(0)
	s_barrier
	buffer_gl0_inv
	v_cmpx_gt_u32_e32 3, v0
	s_cbranch_execz .LBB46_21
; %bb.18:
	v_dual_mov_b32 v99, 0 :: v_dual_add_nc_u32 v100, -1, v0
	v_add_nc_u32_e32 v101, 0xc0, v97
	v_add_nc_u32_e32 v102, 0, v97
	s_mov_b32 s1, 0
.LBB46_19:                              ; =>This Inner Loop Header: Depth=1
	scratch_load_b32 v103, v102, off
	ds_load_b32 v104, v101
	v_add_nc_u32_e32 v100, 1, v100
	v_add_nc_u32_e32 v101, 4, v101
	v_add_nc_u32_e32 v102, 4, v102
	s_delay_alu instid0(VALU_DEP_3)
	v_cmp_lt_u32_e32 vcc_lo, 1, v100
	s_or_b32 s1, vcc_lo, s1
	s_waitcnt vmcnt(0) lgkmcnt(0)
	v_fmac_f32_e32 v99, v103, v104
	s_and_not1_b32 exec_lo, exec_lo, s1
	s_cbranch_execnz .LBB46_19
; %bb.20:
	s_or_b32 exec_lo, exec_lo, s1
	v_mov_b32_e32 v100, 0
	ds_load_b32 v100, v100 offset:12
	s_waitcnt lgkmcnt(0)
	v_mul_f32_e32 v99, v99, v100
	scratch_store_b32 off, v99, off offset:12
.LBB46_21:
	s_or_b32 exec_lo, exec_lo, s0
	s_waitcnt_vscnt null, 0x0
	s_barrier
	buffer_gl0_inv
	scratch_load_b32 v99, off, off offset:16
	s_mov_b32 s0, exec_lo
	s_waitcnt vmcnt(0)
	ds_store_b32 v2, v99
	s_waitcnt lgkmcnt(0)
	s_barrier
	buffer_gl0_inv
	v_cmpx_gt_u32_e32 4, v0
	s_cbranch_execz .LBB46_25
; %bb.22:
	v_dual_mov_b32 v99, 0 :: v_dual_add_nc_u32 v100, -1, v0
	v_add_nc_u32_e32 v101, 0xc0, v97
	v_add_nc_u32_e32 v102, 0, v97
	s_mov_b32 s1, 0
.LBB46_23:                              ; =>This Inner Loop Header: Depth=1
	scratch_load_b32 v103, v102, off
	ds_load_b32 v104, v101
	v_add_nc_u32_e32 v100, 1, v100
	v_add_nc_u32_e32 v101, 4, v101
	v_add_nc_u32_e32 v102, 4, v102
	s_delay_alu instid0(VALU_DEP_3)
	v_cmp_lt_u32_e32 vcc_lo, 2, v100
	s_or_b32 s1, vcc_lo, s1
	s_waitcnt vmcnt(0) lgkmcnt(0)
	v_fmac_f32_e32 v99, v103, v104
	s_and_not1_b32 exec_lo, exec_lo, s1
	s_cbranch_execnz .LBB46_23
; %bb.24:
	s_or_b32 exec_lo, exec_lo, s1
	v_mov_b32_e32 v100, 0
	ds_load_b32 v100, v100 offset:16
	s_waitcnt lgkmcnt(0)
	v_mul_f32_e32 v99, v99, v100
	scratch_store_b32 off, v99, off offset:16
.LBB46_25:
	s_or_b32 exec_lo, exec_lo, s0
	s_waitcnt_vscnt null, 0x0
	s_barrier
	buffer_gl0_inv
	scratch_load_b32 v99, off, off offset:20
	;; [unrolled: 39-line block ×21, first 2 shown]
	s_mov_b32 s0, exec_lo
	s_waitcnt vmcnt(0)
	ds_store_b32 v2, v99
	s_waitcnt lgkmcnt(0)
	s_barrier
	buffer_gl0_inv
	v_cmpx_gt_u32_e32 24, v0
	s_cbranch_execz .LBB46_105
; %bb.102:
	v_dual_mov_b32 v99, 0 :: v_dual_add_nc_u32 v100, -1, v0
	v_add_nc_u32_e32 v101, 0xc0, v97
	v_add_nc_u32_e32 v102, 0, v97
	s_mov_b32 s1, 0
.LBB46_103:                             ; =>This Inner Loop Header: Depth=1
	scratch_load_b32 v103, v102, off
	ds_load_b32 v104, v101
	v_add_nc_u32_e32 v100, 1, v100
	v_add_nc_u32_e32 v101, 4, v101
	v_add_nc_u32_e32 v102, 4, v102
	s_delay_alu instid0(VALU_DEP_3)
	v_cmp_lt_u32_e32 vcc_lo, 22, v100
	s_or_b32 s1, vcc_lo, s1
	s_waitcnt vmcnt(0) lgkmcnt(0)
	v_fmac_f32_e32 v99, v103, v104
	s_and_not1_b32 exec_lo, exec_lo, s1
	s_cbranch_execnz .LBB46_103
; %bb.104:
	s_or_b32 exec_lo, exec_lo, s1
	v_mov_b32_e32 v100, 0
	ds_load_b32 v100, v100 offset:96
	s_waitcnt lgkmcnt(0)
	v_mul_f32_e32 v99, v99, v100
	scratch_store_b32 off, v99, off offset:96
.LBB46_105:
	s_or_b32 exec_lo, exec_lo, s0
	s_waitcnt_vscnt null, 0x0
	s_barrier
	buffer_gl0_inv
	scratch_load_b32 v99, off, off offset:100
	s_mov_b32 s0, exec_lo
	s_waitcnt vmcnt(0)
	ds_store_b32 v2, v99
	s_waitcnt lgkmcnt(0)
	s_barrier
	buffer_gl0_inv
	v_cmpx_gt_u32_e32 25, v0
	s_cbranch_execz .LBB46_109
; %bb.106:
	v_dual_mov_b32 v99, 0 :: v_dual_add_nc_u32 v100, -1, v0
	v_add_nc_u32_e32 v101, 0xc0, v97
	v_add_nc_u32_e32 v102, 0, v97
	s_mov_b32 s1, 0
.LBB46_107:                             ; =>This Inner Loop Header: Depth=1
	scratch_load_b32 v103, v102, off
	ds_load_b32 v104, v101
	v_add_nc_u32_e32 v100, 1, v100
	v_add_nc_u32_e32 v101, 4, v101
	v_add_nc_u32_e32 v102, 4, v102
	s_delay_alu instid0(VALU_DEP_3)
	v_cmp_lt_u32_e32 vcc_lo, 23, v100
	s_or_b32 s1, vcc_lo, s1
	s_waitcnt vmcnt(0) lgkmcnt(0)
	v_fmac_f32_e32 v99, v103, v104
	s_and_not1_b32 exec_lo, exec_lo, s1
	s_cbranch_execnz .LBB46_107
; %bb.108:
	s_or_b32 exec_lo, exec_lo, s1
	v_mov_b32_e32 v100, 0
	ds_load_b32 v100, v100 offset:100
	s_waitcnt lgkmcnt(0)
	v_mul_f32_e32 v99, v99, v100
	scratch_store_b32 off, v99, off offset:100
.LBB46_109:
	s_or_b32 exec_lo, exec_lo, s0
	s_waitcnt_vscnt null, 0x0
	s_barrier
	buffer_gl0_inv
	scratch_load_b32 v99, off, off offset:104
	;; [unrolled: 39-line block ×21, first 2 shown]
	s_mov_b32 s0, exec_lo
	s_waitcnt vmcnt(0)
	ds_store_b32 v2, v99
	s_waitcnt lgkmcnt(0)
	s_barrier
	buffer_gl0_inv
	v_cmpx_gt_u32_e32 45, v0
	s_cbranch_execz .LBB46_189
; %bb.186:
	v_add_nc_u32_e32 v99, -1, v0
	v_add_nc_u32_e32 v100, 0xc0, v97
	v_add_nc_u32_e32 v101, 0, v97
	v_mov_b32_e32 v97, 0
	s_mov_b32 s1, 0
.LBB46_187:                             ; =>This Inner Loop Header: Depth=1
	scratch_load_b32 v102, v101, off
	ds_load_b32 v103, v100
	v_add_nc_u32_e32 v99, 1, v99
	v_add_nc_u32_e32 v100, 4, v100
	;; [unrolled: 1-line block ×3, first 2 shown]
	s_delay_alu instid0(VALU_DEP_3)
	v_cmp_lt_u32_e32 vcc_lo, 43, v99
	s_or_b32 s1, vcc_lo, s1
	s_waitcnt vmcnt(0) lgkmcnt(0)
	v_fmac_f32_e32 v97, v102, v103
	s_and_not1_b32 exec_lo, exec_lo, s1
	s_cbranch_execnz .LBB46_187
; %bb.188:
	s_or_b32 exec_lo, exec_lo, s1
	v_mov_b32_e32 v99, 0
	ds_load_b32 v99, v99 offset:180
	s_waitcnt lgkmcnt(0)
	v_mul_f32_e32 v97, v97, v99
	scratch_store_b32 off, v97, off offset:180
.LBB46_189:
	s_or_b32 exec_lo, exec_lo, s0
	s_waitcnt_vscnt null, 0x0
	s_barrier
	buffer_gl0_inv
	scratch_load_b32 v97, off, off offset:184
	s_mov_b32 s0, exec_lo
	s_waitcnt vmcnt(0)
	ds_store_b32 v2, v97
	s_waitcnt lgkmcnt(0)
	s_barrier
	buffer_gl0_inv
	v_cmpx_ne_u32_e32 46, v0
	s_cbranch_execz .LBB46_193
; %bb.190:
	v_mov_b32_e32 v97, 0
	s_mov_b32 s1, 0
.LBB46_191:                             ; =>This Inner Loop Header: Depth=1
	scratch_load_b32 v99, v1, off
	ds_load_b32 v100, v2
	v_add_nc_u32_e32 v98, 1, v98
	v_add_nc_u32_e32 v2, 4, v2
	;; [unrolled: 1-line block ×3, first 2 shown]
	s_waitcnt vmcnt(0) lgkmcnt(0)
	v_fmac_f32_e32 v97, v99, v100
	v_cmp_lt_u32_e32 vcc_lo, 44, v98
	s_or_b32 s1, vcc_lo, s1
	s_delay_alu instid0(SALU_CYCLE_1)
	s_and_not1_b32 exec_lo, exec_lo, s1
	s_cbranch_execnz .LBB46_191
; %bb.192:
	s_or_b32 exec_lo, exec_lo, s1
	v_mov_b32_e32 v1, 0
	ds_load_b32 v1, v1 offset:184
	s_waitcnt lgkmcnt(0)
	v_mul_f32_e32 v1, v97, v1
	scratch_store_b32 off, v1, off offset:184
.LBB46_193:
	s_or_b32 exec_lo, exec_lo, s0
	s_mov_b32 s1, -1
	s_waitcnt_vscnt null, 0x0
	s_barrier
	buffer_gl0_inv
.LBB46_194:
	s_and_b32 vcc_lo, exec_lo, s1
	s_cbranch_vccz .LBB46_196
; %bb.195:
	s_lshl_b64 s[0:1], s[14:15], 2
	v_mov_b32_e32 v1, 0
	s_add_u32 s0, s6, s0
	s_addc_u32 s1, s7, s1
	global_load_b32 v1, v1, s[0:1]
	s_waitcnt vmcnt(0)
	v_cmp_ne_u32_e32 vcc_lo, 0, v1
	s_cbranch_vccz .LBB46_197
.LBB46_196:
	s_endpgm
.LBB46_197:
	v_lshl_add_u32 v1, v0, 2, 0xc0
	s_mov_b32 s0, exec_lo
	v_cmpx_eq_u32_e32 46, v0
	s_cbranch_execz .LBB46_199
; %bb.198:
	scratch_load_b32 v2, off, off offset:180
	v_mov_b32_e32 v97, 0
	scratch_store_b32 off, v97, off offset:180
	s_waitcnt vmcnt(0)
	ds_store_b32 v1, v2
.LBB46_199:
	s_or_b32 exec_lo, exec_lo, s0
	s_waitcnt lgkmcnt(0)
	s_waitcnt_vscnt null, 0x0
	s_barrier
	buffer_gl0_inv
	scratch_load_b64 v[97:98], off, off offset:180
	v_mov_b32_e32 v2, 0
	s_mov_b32 s0, exec_lo
	ds_load_b32 v99, v2 offset:376
	s_waitcnt vmcnt(0) lgkmcnt(0)
	v_fma_f32 v98, v98, v99, 0
	s_delay_alu instid0(VALU_DEP_1)
	v_sub_f32_e32 v97, v97, v98
	scratch_store_b32 off, v97, off offset:180
	v_cmpx_lt_u32_e32 44, v0
	s_cbranch_execz .LBB46_201
; %bb.200:
	scratch_load_b32 v97, off, off offset:176
	scratch_store_b32 off, v2, off offset:176
	s_waitcnt vmcnt(0)
	ds_store_b32 v1, v97
.LBB46_201:
	s_or_b32 exec_lo, exec_lo, s0
	s_waitcnt lgkmcnt(0)
	s_waitcnt_vscnt null, 0x0
	s_barrier
	buffer_gl0_inv
	scratch_load_b96 v[97:99], off, off offset:176
	ds_load_2addr_b32 v[100:101], v2 offset0:93 offset1:94
	s_mov_b32 s0, exec_lo
	s_waitcnt vmcnt(0) lgkmcnt(0)
	v_fma_f32 v2, v98, v100, 0
	s_delay_alu instid0(VALU_DEP_1) | instskip(NEXT) | instid1(VALU_DEP_1)
	v_fmac_f32_e32 v2, v99, v101
	v_sub_f32_e32 v2, v97, v2
	scratch_store_b32 off, v2, off offset:176
	v_cmpx_lt_u32_e32 43, v0
	s_cbranch_execz .LBB46_203
; %bb.202:
	scratch_load_b32 v2, off, off offset:172
	v_mov_b32_e32 v97, 0
	scratch_store_b32 off, v97, off offset:172
	s_waitcnt vmcnt(0)
	ds_store_b32 v1, v2
.LBB46_203:
	s_or_b32 exec_lo, exec_lo, s0
	s_waitcnt lgkmcnt(0)
	s_waitcnt_vscnt null, 0x0
	s_barrier
	buffer_gl0_inv
	scratch_load_b128 v[97:100], off, off offset:172
	v_mov_b32_e32 v2, 0
	s_mov_b32 s0, exec_lo
	ds_load_b96 v[101:103], v2 offset:368
	s_waitcnt vmcnt(0) lgkmcnt(0)
	v_fma_f32 v98, v98, v101, 0
	s_delay_alu instid0(VALU_DEP_1) | instskip(NEXT) | instid1(VALU_DEP_1)
	v_fmac_f32_e32 v98, v99, v102
	v_fmac_f32_e32 v98, v100, v103
	s_delay_alu instid0(VALU_DEP_1)
	v_sub_f32_e32 v97, v97, v98
	scratch_store_b32 off, v97, off offset:172
	v_cmpx_lt_u32_e32 42, v0
	s_cbranch_execz .LBB46_205
; %bb.204:
	scratch_load_b32 v97, off, off offset:168
	scratch_store_b32 off, v2, off offset:168
	s_waitcnt vmcnt(0)
	ds_store_b32 v1, v97
.LBB46_205:
	s_or_b32 exec_lo, exec_lo, s0
	s_waitcnt lgkmcnt(0)
	s_waitcnt_vscnt null, 0x0
	s_barrier
	buffer_gl0_inv
	s_clause 0x1
	scratch_load_b128 v[97:100], off, off offset:168
	scratch_load_b32 v105, off, off offset:184
	ds_load_2addr_b32 v[101:102], v2 offset0:91 offset1:92
	ds_load_2addr_b32 v[103:104], v2 offset0:93 offset1:94
	s_mov_b32 s0, exec_lo
	s_waitcnt vmcnt(1) lgkmcnt(1)
	v_fma_f32 v2, v98, v101, 0
	s_delay_alu instid0(VALU_DEP_1) | instskip(SKIP_1) | instid1(VALU_DEP_1)
	v_fmac_f32_e32 v2, v99, v102
	s_waitcnt lgkmcnt(0)
	v_fmac_f32_e32 v2, v100, v103
	s_waitcnt vmcnt(0)
	s_delay_alu instid0(VALU_DEP_1) | instskip(NEXT) | instid1(VALU_DEP_1)
	v_fmac_f32_e32 v2, v105, v104
	v_sub_f32_e32 v2, v97, v2
	scratch_store_b32 off, v2, off offset:168
	v_cmpx_lt_u32_e32 41, v0
	s_cbranch_execz .LBB46_207
; %bb.206:
	scratch_load_b32 v2, off, off offset:164
	v_mov_b32_e32 v97, 0
	scratch_store_b32 off, v97, off offset:164
	s_waitcnt vmcnt(0)
	ds_store_b32 v1, v2
.LBB46_207:
	s_or_b32 exec_lo, exec_lo, s0
	s_waitcnt lgkmcnt(0)
	s_waitcnt_vscnt null, 0x0
	s_barrier
	buffer_gl0_inv
	s_clause 0x1
	scratch_load_b128 v[97:100], off, off offset:164
	scratch_load_b64 v[105:106], off, off offset:180
	v_mov_b32_e32 v2, 0
	ds_load_2addr_b64 v[101:104], v2 offset0:45 offset1:46
	ds_load_b32 v107, v2 offset:376
	s_mov_b32 s0, exec_lo
	s_waitcnt vmcnt(1) lgkmcnt(1)
	v_fma_f32 v98, v98, v101, 0
	s_delay_alu instid0(VALU_DEP_1) | instskip(NEXT) | instid1(VALU_DEP_1)
	v_fmac_f32_e32 v98, v99, v102
	v_fmac_f32_e32 v98, v100, v103
	s_waitcnt vmcnt(0)
	s_delay_alu instid0(VALU_DEP_1) | instskip(SKIP_1) | instid1(VALU_DEP_1)
	v_fmac_f32_e32 v98, v105, v104
	s_waitcnt lgkmcnt(0)
	v_fmac_f32_e32 v98, v106, v107
	s_delay_alu instid0(VALU_DEP_1)
	v_sub_f32_e32 v97, v97, v98
	scratch_store_b32 off, v97, off offset:164
	v_cmpx_lt_u32_e32 40, v0
	s_cbranch_execz .LBB46_209
; %bb.208:
	scratch_load_b32 v97, off, off offset:160
	scratch_store_b32 off, v2, off offset:160
	s_waitcnt vmcnt(0)
	ds_store_b32 v1, v97
.LBB46_209:
	s_or_b32 exec_lo, exec_lo, s0
	s_waitcnt lgkmcnt(0)
	s_waitcnt_vscnt null, 0x0
	s_barrier
	buffer_gl0_inv
	s_clause 0x1
	scratch_load_b128 v[97:100], off, off offset:160
	scratch_load_b96 v[101:103], off, off offset:176
	ds_load_2addr_b32 v[104:105], v2 offset0:89 offset1:90
	ds_load_2addr_b32 v[106:107], v2 offset0:91 offset1:92
	;; [unrolled: 1-line block ×3, first 2 shown]
	s_mov_b32 s0, exec_lo
	s_waitcnt vmcnt(1) lgkmcnt(2)
	v_fma_f32 v2, v98, v104, 0
	s_delay_alu instid0(VALU_DEP_1) | instskip(SKIP_1) | instid1(VALU_DEP_1)
	v_fmac_f32_e32 v2, v99, v105
	s_waitcnt lgkmcnt(1)
	v_fmac_f32_e32 v2, v100, v106
	s_waitcnt vmcnt(0)
	s_delay_alu instid0(VALU_DEP_1) | instskip(SKIP_1) | instid1(VALU_DEP_1)
	v_fmac_f32_e32 v2, v101, v107
	s_waitcnt lgkmcnt(0)
	v_fmac_f32_e32 v2, v102, v108
	s_delay_alu instid0(VALU_DEP_1) | instskip(NEXT) | instid1(VALU_DEP_1)
	v_fmac_f32_e32 v2, v103, v109
	v_sub_f32_e32 v2, v97, v2
	scratch_store_b32 off, v2, off offset:160
	v_cmpx_lt_u32_e32 39, v0
	s_cbranch_execz .LBB46_211
; %bb.210:
	scratch_load_b32 v2, off, off offset:156
	v_mov_b32_e32 v97, 0
	scratch_store_b32 off, v97, off offset:156
	s_waitcnt vmcnt(0)
	ds_store_b32 v1, v2
.LBB46_211:
	s_or_b32 exec_lo, exec_lo, s0
	s_waitcnt lgkmcnt(0)
	s_waitcnt_vscnt null, 0x0
	s_barrier
	buffer_gl0_inv
	s_clause 0x1
	scratch_load_b128 v[97:100], off, off offset:156
	scratch_load_b128 v[101:104], off, off offset:172
	v_mov_b32_e32 v2, 0
	ds_load_b128 v[105:108], v2 offset:352
	ds_load_b96 v[109:111], v2 offset:368
	s_mov_b32 s0, exec_lo
	s_waitcnt vmcnt(1) lgkmcnt(1)
	v_fma_f32 v98, v98, v105, 0
	s_delay_alu instid0(VALU_DEP_1) | instskip(NEXT) | instid1(VALU_DEP_1)
	v_fmac_f32_e32 v98, v99, v106
	v_fmac_f32_e32 v98, v100, v107
	s_waitcnt vmcnt(0)
	s_delay_alu instid0(VALU_DEP_1) | instskip(SKIP_1) | instid1(VALU_DEP_1)
	v_fmac_f32_e32 v98, v101, v108
	s_waitcnt lgkmcnt(0)
	v_fmac_f32_e32 v98, v102, v109
	s_delay_alu instid0(VALU_DEP_1) | instskip(NEXT) | instid1(VALU_DEP_1)
	v_fmac_f32_e32 v98, v103, v110
	v_fmac_f32_e32 v98, v104, v111
	s_delay_alu instid0(VALU_DEP_1)
	v_sub_f32_e32 v97, v97, v98
	scratch_store_b32 off, v97, off offset:156
	v_cmpx_lt_u32_e32 38, v0
	s_cbranch_execz .LBB46_213
; %bb.212:
	scratch_load_b32 v97, off, off offset:152
	scratch_store_b32 off, v2, off offset:152
	s_waitcnt vmcnt(0)
	ds_store_b32 v1, v97
.LBB46_213:
	s_or_b32 exec_lo, exec_lo, s0
	s_waitcnt lgkmcnt(0)
	s_waitcnt_vscnt null, 0x0
	s_barrier
	buffer_gl0_inv
	s_clause 0x2
	scratch_load_b128 v[97:100], off, off offset:152
	scratch_load_b128 v[101:104], off, off offset:168
	scratch_load_b32 v113, off, off offset:184
	ds_load_2addr_b32 v[105:106], v2 offset0:87 offset1:88
	ds_load_2addr_b32 v[107:108], v2 offset0:89 offset1:90
	;; [unrolled: 1-line block ×4, first 2 shown]
	s_mov_b32 s0, exec_lo
	s_waitcnt vmcnt(2) lgkmcnt(3)
	v_fma_f32 v2, v98, v105, 0
	s_delay_alu instid0(VALU_DEP_1) | instskip(SKIP_1) | instid1(VALU_DEP_1)
	v_fmac_f32_e32 v2, v99, v106
	s_waitcnt lgkmcnt(2)
	v_fmac_f32_e32 v2, v100, v107
	s_waitcnt vmcnt(1)
	s_delay_alu instid0(VALU_DEP_1) | instskip(SKIP_1) | instid1(VALU_DEP_1)
	v_fmac_f32_e32 v2, v101, v108
	s_waitcnt lgkmcnt(1)
	v_fmac_f32_e32 v2, v102, v109
	s_delay_alu instid0(VALU_DEP_1) | instskip(SKIP_1) | instid1(VALU_DEP_1)
	v_fmac_f32_e32 v2, v103, v110
	s_waitcnt lgkmcnt(0)
	v_fmac_f32_e32 v2, v104, v111
	s_waitcnt vmcnt(0)
	s_delay_alu instid0(VALU_DEP_1) | instskip(NEXT) | instid1(VALU_DEP_1)
	v_fmac_f32_e32 v2, v113, v112
	v_sub_f32_e32 v2, v97, v2
	scratch_store_b32 off, v2, off offset:152
	v_cmpx_lt_u32_e32 37, v0
	s_cbranch_execz .LBB46_215
; %bb.214:
	scratch_load_b32 v2, off, off offset:148
	v_mov_b32_e32 v97, 0
	scratch_store_b32 off, v97, off offset:148
	s_waitcnt vmcnt(0)
	ds_store_b32 v1, v2
.LBB46_215:
	s_or_b32 exec_lo, exec_lo, s0
	s_waitcnt lgkmcnt(0)
	s_waitcnt_vscnt null, 0x0
	s_barrier
	buffer_gl0_inv
	s_clause 0x2
	scratch_load_b128 v[97:100], off, off offset:148
	scratch_load_b128 v[101:104], off, off offset:164
	scratch_load_b64 v[113:114], off, off offset:180
	v_mov_b32_e32 v2, 0
	ds_load_2addr_b64 v[105:108], v2 offset0:43 offset1:44
	ds_load_2addr_b64 v[109:112], v2 offset0:45 offset1:46
	s_mov_b32 s0, exec_lo
	s_waitcnt vmcnt(2) lgkmcnt(1)
	v_fma_f32 v98, v98, v105, 0
	s_delay_alu instid0(VALU_DEP_1) | instskip(SKIP_3) | instid1(VALU_DEP_1)
	v_fmac_f32_e32 v98, v99, v106
	ds_load_b32 v99, v2 offset:376
	v_fmac_f32_e32 v98, v100, v107
	s_waitcnt vmcnt(1)
	v_fmac_f32_e32 v98, v101, v108
	s_waitcnt lgkmcnt(1)
	s_delay_alu instid0(VALU_DEP_1) | instskip(NEXT) | instid1(VALU_DEP_1)
	v_fmac_f32_e32 v98, v102, v109
	v_fmac_f32_e32 v98, v103, v110
	s_delay_alu instid0(VALU_DEP_1) | instskip(SKIP_1) | instid1(VALU_DEP_1)
	v_fmac_f32_e32 v98, v104, v111
	s_waitcnt vmcnt(0)
	v_fmac_f32_e32 v98, v113, v112
	s_waitcnt lgkmcnt(0)
	s_delay_alu instid0(VALU_DEP_1) | instskip(NEXT) | instid1(VALU_DEP_1)
	v_fmac_f32_e32 v98, v114, v99
	v_sub_f32_e32 v97, v97, v98
	scratch_store_b32 off, v97, off offset:148
	v_cmpx_lt_u32_e32 36, v0
	s_cbranch_execz .LBB46_217
; %bb.216:
	scratch_load_b32 v97, off, off offset:144
	scratch_store_b32 off, v2, off offset:144
	s_waitcnt vmcnt(0)
	ds_store_b32 v1, v97
.LBB46_217:
	s_or_b32 exec_lo, exec_lo, s0
	s_waitcnt lgkmcnt(0)
	s_waitcnt_vscnt null, 0x0
	s_barrier
	buffer_gl0_inv
	s_clause 0x2
	scratch_load_b128 v[97:100], off, off offset:144
	scratch_load_b128 v[101:104], off, off offset:160
	scratch_load_b96 v[105:107], off, off offset:176
	ds_load_2addr_b32 v[108:109], v2 offset0:85 offset1:86
	ds_load_2addr_b32 v[110:111], v2 offset0:87 offset1:88
	;; [unrolled: 1-line block ×4, first 2 shown]
	s_mov_b32 s0, exec_lo
	s_waitcnt vmcnt(2) lgkmcnt(3)
	v_fma_f32 v108, v98, v108, 0
	s_delay_alu instid0(VALU_DEP_1) | instskip(SKIP_4) | instid1(VALU_DEP_1)
	v_fmac_f32_e32 v108, v99, v109
	ds_load_2addr_b32 v[98:99], v2 offset0:93 offset1:94
	s_waitcnt lgkmcnt(3)
	v_fmac_f32_e32 v108, v100, v110
	s_waitcnt vmcnt(1)
	v_fmac_f32_e32 v108, v101, v111
	s_waitcnt lgkmcnt(2)
	s_delay_alu instid0(VALU_DEP_1) | instskip(NEXT) | instid1(VALU_DEP_1)
	v_fmac_f32_e32 v108, v102, v112
	v_fmac_f32_e32 v108, v103, v113
	s_waitcnt lgkmcnt(1)
	s_delay_alu instid0(VALU_DEP_1) | instskip(SKIP_1) | instid1(VALU_DEP_1)
	v_fmac_f32_e32 v108, v104, v114
	s_waitcnt vmcnt(0)
	v_fmac_f32_e32 v108, v105, v115
	s_waitcnt lgkmcnt(0)
	s_delay_alu instid0(VALU_DEP_1) | instskip(NEXT) | instid1(VALU_DEP_1)
	v_fmac_f32_e32 v108, v106, v98
	v_fmac_f32_e32 v108, v107, v99
	s_delay_alu instid0(VALU_DEP_1)
	v_sub_f32_e32 v2, v97, v108
	scratch_store_b32 off, v2, off offset:144
	v_cmpx_lt_u32_e32 35, v0
	s_cbranch_execz .LBB46_219
; %bb.218:
	scratch_load_b32 v2, off, off offset:140
	v_mov_b32_e32 v97, 0
	scratch_store_b32 off, v97, off offset:140
	s_waitcnt vmcnt(0)
	ds_store_b32 v1, v2
.LBB46_219:
	s_or_b32 exec_lo, exec_lo, s0
	s_waitcnt lgkmcnt(0)
	s_waitcnt_vscnt null, 0x0
	s_barrier
	buffer_gl0_inv
	s_clause 0x2
	scratch_load_b128 v[97:100], off, off offset:140
	scratch_load_b128 v[101:104], off, off offset:156
	;; [unrolled: 1-line block ×3, first 2 shown]
	v_mov_b32_e32 v2, 0
	ds_load_b128 v[109:112], v2 offset:336
	ds_load_b128 v[113:116], v2 offset:352
	s_mov_b32 s0, exec_lo
	s_waitcnt vmcnt(2) lgkmcnt(1)
	v_fma_f32 v109, v98, v109, 0
	s_delay_alu instid0(VALU_DEP_1) | instskip(NEXT) | instid1(VALU_DEP_1)
	v_fmac_f32_e32 v109, v99, v110
	v_fmac_f32_e32 v109, v100, v111
	ds_load_b96 v[98:100], v2 offset:368
	s_waitcnt vmcnt(1)
	v_fmac_f32_e32 v109, v101, v112
	s_waitcnt lgkmcnt(1)
	s_delay_alu instid0(VALU_DEP_1) | instskip(NEXT) | instid1(VALU_DEP_1)
	v_fmac_f32_e32 v109, v102, v113
	v_fmac_f32_e32 v109, v103, v114
	s_delay_alu instid0(VALU_DEP_1) | instskip(SKIP_1) | instid1(VALU_DEP_1)
	v_fmac_f32_e32 v109, v104, v115
	s_waitcnt vmcnt(0)
	v_fmac_f32_e32 v109, v105, v116
	s_waitcnt lgkmcnt(0)
	s_delay_alu instid0(VALU_DEP_1) | instskip(NEXT) | instid1(VALU_DEP_1)
	v_fmac_f32_e32 v109, v106, v98
	v_fmac_f32_e32 v109, v107, v99
	s_delay_alu instid0(VALU_DEP_1) | instskip(NEXT) | instid1(VALU_DEP_1)
	v_fmac_f32_e32 v109, v108, v100
	v_sub_f32_e32 v97, v97, v109
	scratch_store_b32 off, v97, off offset:140
	v_cmpx_lt_u32_e32 34, v0
	s_cbranch_execz .LBB46_221
; %bb.220:
	scratch_load_b32 v97, off, off offset:136
	scratch_store_b32 off, v2, off offset:136
	s_waitcnt vmcnt(0)
	ds_store_b32 v1, v97
.LBB46_221:
	s_or_b32 exec_lo, exec_lo, s0
	s_waitcnt lgkmcnt(0)
	s_waitcnt_vscnt null, 0x0
	s_barrier
	buffer_gl0_inv
	s_clause 0x3
	scratch_load_b128 v[97:100], off, off offset:136
	scratch_load_b128 v[101:104], off, off offset:152
	;; [unrolled: 1-line block ×3, first 2 shown]
	scratch_load_b32 v117, off, off offset:184
	ds_load_2addr_b32 v[109:110], v2 offset0:83 offset1:84
	ds_load_2addr_b32 v[111:112], v2 offset0:85 offset1:86
	;; [unrolled: 1-line block ×4, first 2 shown]
	s_mov_b32 s0, exec_lo
	s_waitcnt vmcnt(3) lgkmcnt(3)
	v_fma_f32 v109, v98, v109, 0
	s_delay_alu instid0(VALU_DEP_1) | instskip(SKIP_4) | instid1(VALU_DEP_1)
	v_fmac_f32_e32 v109, v99, v110
	ds_load_2addr_b32 v[98:99], v2 offset0:91 offset1:92
	s_waitcnt lgkmcnt(3)
	v_fmac_f32_e32 v109, v100, v111
	s_waitcnt vmcnt(2)
	v_fmac_f32_e32 v109, v101, v112
	ds_load_2addr_b32 v[100:101], v2 offset0:93 offset1:94
	s_waitcnt lgkmcnt(3)
	v_fmac_f32_e32 v109, v102, v113
	s_delay_alu instid0(VALU_DEP_1) | instskip(SKIP_1) | instid1(VALU_DEP_1)
	v_fmac_f32_e32 v109, v103, v114
	s_waitcnt lgkmcnt(2)
	v_fmac_f32_e32 v109, v104, v115
	s_waitcnt vmcnt(1)
	s_delay_alu instid0(VALU_DEP_1) | instskip(SKIP_1) | instid1(VALU_DEP_1)
	v_fmac_f32_e32 v109, v105, v116
	s_waitcnt lgkmcnt(1)
	v_fmac_f32_e32 v109, v106, v98
	s_delay_alu instid0(VALU_DEP_1) | instskip(SKIP_1) | instid1(VALU_DEP_1)
	v_fmac_f32_e32 v109, v107, v99
	s_waitcnt lgkmcnt(0)
	v_fmac_f32_e32 v109, v108, v100
	s_waitcnt vmcnt(0)
	s_delay_alu instid0(VALU_DEP_1) | instskip(NEXT) | instid1(VALU_DEP_1)
	v_fmac_f32_e32 v109, v117, v101
	v_sub_f32_e32 v2, v97, v109
	scratch_store_b32 off, v2, off offset:136
	v_cmpx_lt_u32_e32 33, v0
	s_cbranch_execz .LBB46_223
; %bb.222:
	scratch_load_b32 v2, off, off offset:132
	v_mov_b32_e32 v97, 0
	scratch_store_b32 off, v97, off offset:132
	s_waitcnt vmcnt(0)
	ds_store_b32 v1, v2
.LBB46_223:
	s_or_b32 exec_lo, exec_lo, s0
	s_waitcnt lgkmcnt(0)
	s_waitcnt_vscnt null, 0x0
	s_barrier
	buffer_gl0_inv
	s_clause 0x3
	scratch_load_b128 v[97:100], off, off offset:132
	scratch_load_b128 v[101:104], off, off offset:148
	;; [unrolled: 1-line block ×3, first 2 shown]
	scratch_load_b64 v[117:118], off, off offset:180
	v_mov_b32_e32 v2, 0
	ds_load_2addr_b64 v[109:112], v2 offset0:41 offset1:42
	ds_load_2addr_b64 v[113:116], v2 offset0:43 offset1:44
	s_mov_b32 s0, exec_lo
	s_waitcnt vmcnt(3) lgkmcnt(1)
	v_fma_f32 v109, v98, v109, 0
	s_delay_alu instid0(VALU_DEP_1) | instskip(NEXT) | instid1(VALU_DEP_1)
	v_fmac_f32_e32 v109, v99, v110
	v_fmac_f32_e32 v109, v100, v111
	s_waitcnt vmcnt(2)
	s_delay_alu instid0(VALU_DEP_1)
	v_fmac_f32_e32 v109, v101, v112
	ds_load_2addr_b64 v[98:101], v2 offset0:45 offset1:46
	s_waitcnt lgkmcnt(1)
	v_fmac_f32_e32 v109, v102, v113
	ds_load_b32 v102, v2 offset:376
	v_fmac_f32_e32 v109, v103, v114
	s_delay_alu instid0(VALU_DEP_1) | instskip(SKIP_1) | instid1(VALU_DEP_1)
	v_fmac_f32_e32 v109, v104, v115
	s_waitcnt vmcnt(1)
	v_fmac_f32_e32 v109, v105, v116
	s_waitcnt lgkmcnt(1)
	s_delay_alu instid0(VALU_DEP_1) | instskip(NEXT) | instid1(VALU_DEP_1)
	v_fmac_f32_e32 v109, v106, v98
	v_fmac_f32_e32 v109, v107, v99
	s_delay_alu instid0(VALU_DEP_1) | instskip(SKIP_1) | instid1(VALU_DEP_1)
	v_fmac_f32_e32 v109, v108, v100
	s_waitcnt vmcnt(0)
	v_fmac_f32_e32 v109, v117, v101
	s_waitcnt lgkmcnt(0)
	s_delay_alu instid0(VALU_DEP_1) | instskip(NEXT) | instid1(VALU_DEP_1)
	v_fmac_f32_e32 v109, v118, v102
	v_sub_f32_e32 v97, v97, v109
	scratch_store_b32 off, v97, off offset:132
	v_cmpx_lt_u32_e32 32, v0
	s_cbranch_execz .LBB46_225
; %bb.224:
	scratch_load_b32 v97, off, off offset:128
	scratch_store_b32 off, v2, off offset:128
	s_waitcnt vmcnt(0)
	ds_store_b32 v1, v97
.LBB46_225:
	s_or_b32 exec_lo, exec_lo, s0
	s_waitcnt lgkmcnt(0)
	s_waitcnt_vscnt null, 0x0
	s_barrier
	buffer_gl0_inv
	s_clause 0x3
	scratch_load_b128 v[97:100], off, off offset:128
	scratch_load_b128 v[101:104], off, off offset:144
	;; [unrolled: 1-line block ×3, first 2 shown]
	scratch_load_b96 v[109:111], off, off offset:176
	ds_load_2addr_b32 v[112:113], v2 offset0:81 offset1:82
	ds_load_2addr_b32 v[114:115], v2 offset0:83 offset1:84
	;; [unrolled: 1-line block ×4, first 2 shown]
	s_mov_b32 s0, exec_lo
	s_waitcnt vmcnt(3) lgkmcnt(3)
	v_fma_f32 v112, v98, v112, 0
	s_delay_alu instid0(VALU_DEP_1) | instskip(SKIP_4) | instid1(VALU_DEP_1)
	v_fmac_f32_e32 v112, v99, v113
	ds_load_2addr_b32 v[98:99], v2 offset0:89 offset1:90
	s_waitcnt lgkmcnt(3)
	v_fmac_f32_e32 v112, v100, v114
	s_waitcnt vmcnt(2)
	v_fmac_f32_e32 v112, v101, v115
	ds_load_2addr_b32 v[100:101], v2 offset0:91 offset1:92
	s_waitcnt lgkmcnt(3)
	v_fmac_f32_e32 v112, v102, v116
	s_delay_alu instid0(VALU_DEP_1) | instskip(SKIP_4) | instid1(VALU_DEP_1)
	v_fmac_f32_e32 v112, v103, v117
	ds_load_2addr_b32 v[102:103], v2 offset0:93 offset1:94
	s_waitcnt lgkmcnt(3)
	v_fmac_f32_e32 v112, v104, v118
	s_waitcnt vmcnt(1)
	v_fmac_f32_e32 v112, v105, v119
	s_waitcnt lgkmcnt(2)
	s_delay_alu instid0(VALU_DEP_1) | instskip(NEXT) | instid1(VALU_DEP_1)
	v_fmac_f32_e32 v112, v106, v98
	v_fmac_f32_e32 v112, v107, v99
	s_waitcnt lgkmcnt(1)
	s_delay_alu instid0(VALU_DEP_1) | instskip(SKIP_1) | instid1(VALU_DEP_1)
	v_fmac_f32_e32 v112, v108, v100
	s_waitcnt vmcnt(0)
	v_fmac_f32_e32 v112, v109, v101
	s_waitcnt lgkmcnt(0)
	s_delay_alu instid0(VALU_DEP_1) | instskip(NEXT) | instid1(VALU_DEP_1)
	v_fmac_f32_e32 v112, v110, v102
	v_fmac_f32_e32 v112, v111, v103
	s_delay_alu instid0(VALU_DEP_1)
	v_sub_f32_e32 v2, v97, v112
	scratch_store_b32 off, v2, off offset:128
	v_cmpx_lt_u32_e32 31, v0
	s_cbranch_execz .LBB46_227
; %bb.226:
	scratch_load_b32 v2, off, off offset:124
	v_mov_b32_e32 v97, 0
	scratch_store_b32 off, v97, off offset:124
	s_waitcnt vmcnt(0)
	ds_store_b32 v1, v2
.LBB46_227:
	s_or_b32 exec_lo, exec_lo, s0
	s_waitcnt lgkmcnt(0)
	s_waitcnt_vscnt null, 0x0
	s_barrier
	buffer_gl0_inv
	s_clause 0x3
	scratch_load_b128 v[97:100], off, off offset:124
	scratch_load_b128 v[101:104], off, off offset:140
	;; [unrolled: 1-line block ×4, first 2 shown]
	v_mov_b32_e32 v2, 0
	ds_load_b128 v[113:116], v2 offset:320
	ds_load_b128 v[117:120], v2 offset:336
	s_mov_b32 s0, exec_lo
	s_waitcnt vmcnt(3) lgkmcnt(1)
	v_fma_f32 v113, v98, v113, 0
	s_delay_alu instid0(VALU_DEP_1) | instskip(NEXT) | instid1(VALU_DEP_1)
	v_fmac_f32_e32 v113, v99, v114
	v_fmac_f32_e32 v113, v100, v115
	s_waitcnt vmcnt(2)
	s_delay_alu instid0(VALU_DEP_1) | instskip(SKIP_3) | instid1(VALU_DEP_1)
	v_fmac_f32_e32 v113, v101, v116
	ds_load_b128 v[98:101], v2 offset:352
	s_waitcnt lgkmcnt(1)
	v_fmac_f32_e32 v113, v102, v117
	v_fmac_f32_e32 v113, v103, v118
	s_delay_alu instid0(VALU_DEP_1) | instskip(SKIP_4) | instid1(VALU_DEP_1)
	v_fmac_f32_e32 v113, v104, v119
	ds_load_b96 v[102:104], v2 offset:368
	s_waitcnt vmcnt(1)
	v_fmac_f32_e32 v113, v105, v120
	s_waitcnt lgkmcnt(1)
	v_fmac_f32_e32 v113, v106, v98
	s_delay_alu instid0(VALU_DEP_1) | instskip(NEXT) | instid1(VALU_DEP_1)
	v_fmac_f32_e32 v113, v107, v99
	v_fmac_f32_e32 v113, v108, v100
	s_waitcnt vmcnt(0)
	s_delay_alu instid0(VALU_DEP_1) | instskip(SKIP_1) | instid1(VALU_DEP_1)
	v_fmac_f32_e32 v113, v109, v101
	s_waitcnt lgkmcnt(0)
	v_fmac_f32_e32 v113, v110, v102
	s_delay_alu instid0(VALU_DEP_1) | instskip(NEXT) | instid1(VALU_DEP_1)
	v_fmac_f32_e32 v113, v111, v103
	v_fmac_f32_e32 v113, v112, v104
	s_delay_alu instid0(VALU_DEP_1)
	v_sub_f32_e32 v97, v97, v113
	scratch_store_b32 off, v97, off offset:124
	v_cmpx_lt_u32_e32 30, v0
	s_cbranch_execz .LBB46_229
; %bb.228:
	scratch_load_b32 v97, off, off offset:120
	scratch_store_b32 off, v2, off offset:120
	s_waitcnt vmcnt(0)
	ds_store_b32 v1, v97
.LBB46_229:
	s_or_b32 exec_lo, exec_lo, s0
	s_waitcnt lgkmcnt(0)
	s_waitcnt_vscnt null, 0x0
	s_barrier
	buffer_gl0_inv
	s_clause 0x4
	scratch_load_b128 v[97:100], off, off offset:120
	scratch_load_b128 v[101:104], off, off offset:136
	;; [unrolled: 1-line block ×4, first 2 shown]
	scratch_load_b32 v121, off, off offset:184
	ds_load_2addr_b32 v[113:114], v2 offset0:79 offset1:80
	ds_load_2addr_b32 v[115:116], v2 offset0:81 offset1:82
	;; [unrolled: 1-line block ×4, first 2 shown]
	s_mov_b32 s0, exec_lo
	s_waitcnt vmcnt(4) lgkmcnt(3)
	v_fma_f32 v113, v98, v113, 0
	s_delay_alu instid0(VALU_DEP_1) | instskip(SKIP_4) | instid1(VALU_DEP_1)
	v_fmac_f32_e32 v113, v99, v114
	ds_load_2addr_b32 v[98:99], v2 offset0:87 offset1:88
	s_waitcnt lgkmcnt(3)
	v_fmac_f32_e32 v113, v100, v115
	s_waitcnt vmcnt(3)
	v_fmac_f32_e32 v113, v101, v116
	ds_load_2addr_b32 v[100:101], v2 offset0:89 offset1:90
	s_waitcnt lgkmcnt(3)
	v_fmac_f32_e32 v113, v102, v117
	s_delay_alu instid0(VALU_DEP_1) | instskip(SKIP_1) | instid1(VALU_DEP_1)
	v_fmac_f32_e32 v113, v103, v118
	s_waitcnt lgkmcnt(2)
	v_fmac_f32_e32 v113, v104, v119
	s_waitcnt vmcnt(2)
	s_delay_alu instid0(VALU_DEP_1) | instskip(SKIP_4) | instid1(VALU_DEP_1)
	v_fmac_f32_e32 v113, v105, v120
	ds_load_2addr_b32 v[102:103], v2 offset0:91 offset1:92
	ds_load_2addr_b32 v[104:105], v2 offset0:93 offset1:94
	s_waitcnt lgkmcnt(3)
	v_fmac_f32_e32 v113, v106, v98
	v_fmac_f32_e32 v113, v107, v99
	s_waitcnt lgkmcnt(2)
	s_delay_alu instid0(VALU_DEP_1) | instskip(SKIP_1) | instid1(VALU_DEP_1)
	v_fmac_f32_e32 v113, v108, v100
	s_waitcnt vmcnt(1)
	v_fmac_f32_e32 v113, v109, v101
	s_waitcnt lgkmcnt(1)
	s_delay_alu instid0(VALU_DEP_1) | instskip(NEXT) | instid1(VALU_DEP_1)
	v_fmac_f32_e32 v113, v110, v102
	v_fmac_f32_e32 v113, v111, v103
	s_waitcnt lgkmcnt(0)
	s_delay_alu instid0(VALU_DEP_1) | instskip(SKIP_1) | instid1(VALU_DEP_1)
	v_fmac_f32_e32 v113, v112, v104
	s_waitcnt vmcnt(0)
	v_fmac_f32_e32 v113, v121, v105
	s_delay_alu instid0(VALU_DEP_1)
	v_sub_f32_e32 v2, v97, v113
	scratch_store_b32 off, v2, off offset:120
	v_cmpx_lt_u32_e32 29, v0
	s_cbranch_execz .LBB46_231
; %bb.230:
	scratch_load_b32 v2, off, off offset:116
	v_mov_b32_e32 v97, 0
	scratch_store_b32 off, v97, off offset:116
	s_waitcnt vmcnt(0)
	ds_store_b32 v1, v2
.LBB46_231:
	s_or_b32 exec_lo, exec_lo, s0
	s_waitcnt lgkmcnt(0)
	s_waitcnt_vscnt null, 0x0
	s_barrier
	buffer_gl0_inv
	s_clause 0x4
	scratch_load_b128 v[97:100], off, off offset:116
	scratch_load_b128 v[101:104], off, off offset:132
	;; [unrolled: 1-line block ×4, first 2 shown]
	scratch_load_b64 v[121:122], off, off offset:180
	v_mov_b32_e32 v2, 0
	ds_load_2addr_b64 v[113:116], v2 offset0:39 offset1:40
	ds_load_2addr_b64 v[117:120], v2 offset0:41 offset1:42
	s_mov_b32 s0, exec_lo
	s_waitcnt vmcnt(4) lgkmcnt(1)
	v_fma_f32 v113, v98, v113, 0
	s_delay_alu instid0(VALU_DEP_1) | instskip(NEXT) | instid1(VALU_DEP_1)
	v_fmac_f32_e32 v113, v99, v114
	v_fmac_f32_e32 v113, v100, v115
	s_waitcnt vmcnt(3)
	s_delay_alu instid0(VALU_DEP_1) | instskip(SKIP_3) | instid1(VALU_DEP_1)
	v_fmac_f32_e32 v113, v101, v116
	ds_load_2addr_b64 v[98:101], v2 offset0:43 offset1:44
	s_waitcnt lgkmcnt(1)
	v_fmac_f32_e32 v113, v102, v117
	v_fmac_f32_e32 v113, v103, v118
	s_delay_alu instid0(VALU_DEP_1) | instskip(SKIP_1) | instid1(VALU_DEP_1)
	v_fmac_f32_e32 v113, v104, v119
	s_waitcnt vmcnt(2)
	v_fmac_f32_e32 v113, v105, v120
	ds_load_2addr_b64 v[102:105], v2 offset0:45 offset1:46
	s_waitcnt lgkmcnt(1)
	v_fmac_f32_e32 v113, v106, v98
	ds_load_b32 v98, v2 offset:376
	v_fmac_f32_e32 v113, v107, v99
	s_delay_alu instid0(VALU_DEP_1) | instskip(SKIP_1) | instid1(VALU_DEP_1)
	v_fmac_f32_e32 v113, v108, v100
	s_waitcnt vmcnt(1)
	v_fmac_f32_e32 v113, v109, v101
	s_waitcnt lgkmcnt(1)
	s_delay_alu instid0(VALU_DEP_1) | instskip(NEXT) | instid1(VALU_DEP_1)
	v_fmac_f32_e32 v113, v110, v102
	v_fmac_f32_e32 v113, v111, v103
	s_delay_alu instid0(VALU_DEP_1) | instskip(SKIP_1) | instid1(VALU_DEP_1)
	v_fmac_f32_e32 v113, v112, v104
	s_waitcnt vmcnt(0)
	v_fmac_f32_e32 v113, v121, v105
	s_waitcnt lgkmcnt(0)
	s_delay_alu instid0(VALU_DEP_1) | instskip(NEXT) | instid1(VALU_DEP_1)
	v_fmac_f32_e32 v113, v122, v98
	v_sub_f32_e32 v97, v97, v113
	scratch_store_b32 off, v97, off offset:116
	v_cmpx_lt_u32_e32 28, v0
	s_cbranch_execz .LBB46_233
; %bb.232:
	scratch_load_b32 v97, off, off offset:112
	scratch_store_b32 off, v2, off offset:112
	s_waitcnt vmcnt(0)
	ds_store_b32 v1, v97
.LBB46_233:
	s_or_b32 exec_lo, exec_lo, s0
	s_waitcnt lgkmcnt(0)
	s_waitcnt_vscnt null, 0x0
	s_barrier
	buffer_gl0_inv
	s_clause 0x4
	scratch_load_b128 v[97:100], off, off offset:112
	scratch_load_b128 v[101:104], off, off offset:128
	;; [unrolled: 1-line block ×4, first 2 shown]
	scratch_load_b96 v[113:115], off, off offset:176
	ds_load_2addr_b32 v[116:117], v2 offset0:77 offset1:78
	ds_load_2addr_b32 v[118:119], v2 offset0:79 offset1:80
	;; [unrolled: 1-line block ×4, first 2 shown]
	s_mov_b32 s0, exec_lo
	s_waitcnt vmcnt(4) lgkmcnt(3)
	v_fma_f32 v116, v98, v116, 0
	s_delay_alu instid0(VALU_DEP_1) | instskip(SKIP_4) | instid1(VALU_DEP_1)
	v_fmac_f32_e32 v116, v99, v117
	ds_load_2addr_b32 v[98:99], v2 offset0:85 offset1:86
	s_waitcnt lgkmcnt(3)
	v_fmac_f32_e32 v116, v100, v118
	s_waitcnt vmcnt(3)
	v_fmac_f32_e32 v116, v101, v119
	ds_load_2addr_b32 v[100:101], v2 offset0:87 offset1:88
	s_waitcnt lgkmcnt(3)
	v_fmac_f32_e32 v116, v102, v120
	s_delay_alu instid0(VALU_DEP_1) | instskip(SKIP_1) | instid1(VALU_DEP_1)
	v_fmac_f32_e32 v116, v103, v121
	s_waitcnt lgkmcnt(2)
	v_fmac_f32_e32 v116, v104, v122
	s_waitcnt vmcnt(2)
	s_delay_alu instid0(VALU_DEP_1) | instskip(SKIP_4) | instid1(VALU_DEP_1)
	v_fmac_f32_e32 v116, v105, v123
	ds_load_2addr_b32 v[102:103], v2 offset0:89 offset1:90
	ds_load_2addr_b32 v[104:105], v2 offset0:91 offset1:92
	s_waitcnt lgkmcnt(3)
	v_fmac_f32_e32 v116, v106, v98
	v_fmac_f32_e32 v116, v107, v99
	ds_load_2addr_b32 v[98:99], v2 offset0:93 offset1:94
	s_waitcnt lgkmcnt(3)
	v_fmac_f32_e32 v116, v108, v100
	s_waitcnt vmcnt(1)
	s_delay_alu instid0(VALU_DEP_1) | instskip(SKIP_1) | instid1(VALU_DEP_1)
	v_fmac_f32_e32 v116, v109, v101
	s_waitcnt lgkmcnt(2)
	v_fmac_f32_e32 v116, v110, v102
	s_delay_alu instid0(VALU_DEP_1) | instskip(SKIP_1) | instid1(VALU_DEP_1)
	v_fmac_f32_e32 v116, v111, v103
	s_waitcnt lgkmcnt(1)
	v_fmac_f32_e32 v116, v112, v104
	s_waitcnt vmcnt(0)
	s_delay_alu instid0(VALU_DEP_1) | instskip(SKIP_1) | instid1(VALU_DEP_1)
	v_fmac_f32_e32 v116, v113, v105
	s_waitcnt lgkmcnt(0)
	v_fmac_f32_e32 v116, v114, v98
	s_delay_alu instid0(VALU_DEP_1) | instskip(NEXT) | instid1(VALU_DEP_1)
	v_fmac_f32_e32 v116, v115, v99
	v_sub_f32_e32 v2, v97, v116
	scratch_store_b32 off, v2, off offset:112
	v_cmpx_lt_u32_e32 27, v0
	s_cbranch_execz .LBB46_235
; %bb.234:
	scratch_load_b32 v2, off, off offset:108
	v_mov_b32_e32 v97, 0
	scratch_store_b32 off, v97, off offset:108
	s_waitcnt vmcnt(0)
	ds_store_b32 v1, v2
.LBB46_235:
	s_or_b32 exec_lo, exec_lo, s0
	s_waitcnt lgkmcnt(0)
	s_waitcnt_vscnt null, 0x0
	s_barrier
	buffer_gl0_inv
	s_clause 0x4
	scratch_load_b128 v[97:100], off, off offset:108
	scratch_load_b128 v[101:104], off, off offset:124
	;; [unrolled: 1-line block ×5, first 2 shown]
	v_mov_b32_e32 v2, 0
	ds_load_b128 v[117:120], v2 offset:304
	ds_load_b128 v[121:124], v2 offset:320
	s_mov_b32 s0, exec_lo
	s_waitcnt vmcnt(4) lgkmcnt(1)
	v_fma_f32 v117, v98, v117, 0
	s_delay_alu instid0(VALU_DEP_1) | instskip(NEXT) | instid1(VALU_DEP_1)
	v_fmac_f32_e32 v117, v99, v118
	v_fmac_f32_e32 v117, v100, v119
	s_waitcnt vmcnt(3)
	s_delay_alu instid0(VALU_DEP_1) | instskip(SKIP_3) | instid1(VALU_DEP_1)
	v_fmac_f32_e32 v117, v101, v120
	ds_load_b128 v[98:101], v2 offset:336
	s_waitcnt lgkmcnt(1)
	v_fmac_f32_e32 v117, v102, v121
	v_fmac_f32_e32 v117, v103, v122
	s_delay_alu instid0(VALU_DEP_1) | instskip(SKIP_1) | instid1(VALU_DEP_1)
	v_fmac_f32_e32 v117, v104, v123
	s_waitcnt vmcnt(2)
	v_fmac_f32_e32 v117, v105, v124
	ds_load_b128 v[102:105], v2 offset:352
	s_waitcnt lgkmcnt(1)
	v_fmac_f32_e32 v117, v106, v98
	s_delay_alu instid0(VALU_DEP_1) | instskip(NEXT) | instid1(VALU_DEP_1)
	v_fmac_f32_e32 v117, v107, v99
	v_fmac_f32_e32 v117, v108, v100
	ds_load_b96 v[98:100], v2 offset:368
	s_waitcnt vmcnt(1)
	v_fmac_f32_e32 v117, v109, v101
	s_waitcnt lgkmcnt(1)
	s_delay_alu instid0(VALU_DEP_1) | instskip(NEXT) | instid1(VALU_DEP_1)
	v_fmac_f32_e32 v117, v110, v102
	v_fmac_f32_e32 v117, v111, v103
	s_delay_alu instid0(VALU_DEP_1) | instskip(SKIP_1) | instid1(VALU_DEP_1)
	v_fmac_f32_e32 v117, v112, v104
	s_waitcnt vmcnt(0)
	v_fmac_f32_e32 v117, v113, v105
	s_waitcnt lgkmcnt(0)
	s_delay_alu instid0(VALU_DEP_1) | instskip(NEXT) | instid1(VALU_DEP_1)
	v_fmac_f32_e32 v117, v114, v98
	v_fmac_f32_e32 v117, v115, v99
	s_delay_alu instid0(VALU_DEP_1) | instskip(NEXT) | instid1(VALU_DEP_1)
	v_fmac_f32_e32 v117, v116, v100
	v_sub_f32_e32 v97, v97, v117
	scratch_store_b32 off, v97, off offset:108
	v_cmpx_lt_u32_e32 26, v0
	s_cbranch_execz .LBB46_237
; %bb.236:
	scratch_load_b32 v97, off, off offset:104
	scratch_store_b32 off, v2, off offset:104
	s_waitcnt vmcnt(0)
	ds_store_b32 v1, v97
.LBB46_237:
	s_or_b32 exec_lo, exec_lo, s0
	s_waitcnt lgkmcnt(0)
	s_waitcnt_vscnt null, 0x0
	s_barrier
	buffer_gl0_inv
	s_clause 0x5
	scratch_load_b128 v[97:100], off, off offset:104
	scratch_load_b128 v[101:104], off, off offset:120
	;; [unrolled: 1-line block ×5, first 2 shown]
	scratch_load_b32 v125, off, off offset:184
	ds_load_2addr_b32 v[117:118], v2 offset0:75 offset1:76
	ds_load_2addr_b32 v[119:120], v2 offset0:77 offset1:78
	;; [unrolled: 1-line block ×4, first 2 shown]
	s_mov_b32 s0, exec_lo
	s_waitcnt vmcnt(5) lgkmcnt(3)
	v_fma_f32 v117, v98, v117, 0
	s_delay_alu instid0(VALU_DEP_1) | instskip(SKIP_4) | instid1(VALU_DEP_1)
	v_fmac_f32_e32 v117, v99, v118
	ds_load_2addr_b32 v[98:99], v2 offset0:83 offset1:84
	s_waitcnt lgkmcnt(3)
	v_fmac_f32_e32 v117, v100, v119
	s_waitcnt vmcnt(4)
	v_fmac_f32_e32 v117, v101, v120
	ds_load_2addr_b32 v[100:101], v2 offset0:85 offset1:86
	s_waitcnt lgkmcnt(3)
	v_fmac_f32_e32 v117, v102, v121
	s_delay_alu instid0(VALU_DEP_1) | instskip(SKIP_1) | instid1(VALU_DEP_1)
	v_fmac_f32_e32 v117, v103, v122
	s_waitcnt lgkmcnt(2)
	v_fmac_f32_e32 v117, v104, v123
	s_waitcnt vmcnt(3)
	s_delay_alu instid0(VALU_DEP_1) | instskip(SKIP_4) | instid1(VALU_DEP_1)
	v_fmac_f32_e32 v117, v105, v124
	ds_load_2addr_b32 v[102:103], v2 offset0:87 offset1:88
	ds_load_2addr_b32 v[104:105], v2 offset0:89 offset1:90
	s_waitcnt lgkmcnt(3)
	v_fmac_f32_e32 v117, v106, v98
	v_fmac_f32_e32 v117, v107, v99
	ds_load_2addr_b32 v[98:99], v2 offset0:91 offset1:92
	s_waitcnt lgkmcnt(3)
	v_fmac_f32_e32 v117, v108, v100
	s_waitcnt vmcnt(2)
	s_delay_alu instid0(VALU_DEP_1) | instskip(SKIP_3) | instid1(VALU_DEP_1)
	v_fmac_f32_e32 v117, v109, v101
	ds_load_2addr_b32 v[100:101], v2 offset0:93 offset1:94
	s_waitcnt lgkmcnt(3)
	v_fmac_f32_e32 v117, v110, v102
	v_fmac_f32_e32 v117, v111, v103
	s_waitcnt lgkmcnt(2)
	s_delay_alu instid0(VALU_DEP_1) | instskip(SKIP_1) | instid1(VALU_DEP_1)
	v_fmac_f32_e32 v117, v112, v104
	s_waitcnt vmcnt(1)
	v_fmac_f32_e32 v117, v113, v105
	s_waitcnt lgkmcnt(1)
	s_delay_alu instid0(VALU_DEP_1) | instskip(NEXT) | instid1(VALU_DEP_1)
	v_fmac_f32_e32 v117, v114, v98
	v_fmac_f32_e32 v117, v115, v99
	s_waitcnt lgkmcnt(0)
	s_delay_alu instid0(VALU_DEP_1) | instskip(SKIP_1) | instid1(VALU_DEP_1)
	v_fmac_f32_e32 v117, v116, v100
	s_waitcnt vmcnt(0)
	v_fmac_f32_e32 v117, v125, v101
	s_delay_alu instid0(VALU_DEP_1)
	v_sub_f32_e32 v2, v97, v117
	scratch_store_b32 off, v2, off offset:104
	v_cmpx_lt_u32_e32 25, v0
	s_cbranch_execz .LBB46_239
; %bb.238:
	scratch_load_b32 v2, off, off offset:100
	v_mov_b32_e32 v97, 0
	scratch_store_b32 off, v97, off offset:100
	s_waitcnt vmcnt(0)
	ds_store_b32 v1, v2
.LBB46_239:
	s_or_b32 exec_lo, exec_lo, s0
	s_waitcnt lgkmcnt(0)
	s_waitcnt_vscnt null, 0x0
	s_barrier
	buffer_gl0_inv
	s_clause 0x5
	scratch_load_b128 v[97:100], off, off offset:100
	scratch_load_b128 v[101:104], off, off offset:116
	scratch_load_b128 v[105:108], off, off offset:132
	scratch_load_b128 v[109:112], off, off offset:148
	scratch_load_b128 v[113:116], off, off offset:164
	scratch_load_b64 v[125:126], off, off offset:180
	v_mov_b32_e32 v2, 0
	ds_load_2addr_b64 v[117:120], v2 offset0:37 offset1:38
	ds_load_2addr_b64 v[121:124], v2 offset0:39 offset1:40
	s_mov_b32 s0, exec_lo
	s_waitcnt vmcnt(5) lgkmcnt(1)
	v_fma_f32 v117, v98, v117, 0
	s_delay_alu instid0(VALU_DEP_1) | instskip(NEXT) | instid1(VALU_DEP_1)
	v_fmac_f32_e32 v117, v99, v118
	v_fmac_f32_e32 v117, v100, v119
	s_waitcnt vmcnt(4)
	s_delay_alu instid0(VALU_DEP_1) | instskip(SKIP_3) | instid1(VALU_DEP_1)
	v_fmac_f32_e32 v117, v101, v120
	ds_load_2addr_b64 v[98:101], v2 offset0:41 offset1:42
	s_waitcnt lgkmcnt(1)
	v_fmac_f32_e32 v117, v102, v121
	v_fmac_f32_e32 v117, v103, v122
	s_delay_alu instid0(VALU_DEP_1) | instskip(SKIP_1) | instid1(VALU_DEP_1)
	v_fmac_f32_e32 v117, v104, v123
	s_waitcnt vmcnt(3)
	v_fmac_f32_e32 v117, v105, v124
	ds_load_2addr_b64 v[102:105], v2 offset0:43 offset1:44
	s_waitcnt lgkmcnt(1)
	v_fmac_f32_e32 v117, v106, v98
	s_delay_alu instid0(VALU_DEP_1) | instskip(NEXT) | instid1(VALU_DEP_1)
	v_fmac_f32_e32 v117, v107, v99
	v_fmac_f32_e32 v117, v108, v100
	s_waitcnt vmcnt(2)
	s_delay_alu instid0(VALU_DEP_1)
	v_fmac_f32_e32 v117, v109, v101
	ds_load_2addr_b64 v[98:101], v2 offset0:45 offset1:46
	s_waitcnt lgkmcnt(1)
	v_fmac_f32_e32 v117, v110, v102
	ds_load_b32 v102, v2 offset:376
	v_fmac_f32_e32 v117, v111, v103
	s_delay_alu instid0(VALU_DEP_1) | instskip(SKIP_1) | instid1(VALU_DEP_1)
	v_fmac_f32_e32 v117, v112, v104
	s_waitcnt vmcnt(1)
	v_fmac_f32_e32 v117, v113, v105
	s_waitcnt lgkmcnt(1)
	s_delay_alu instid0(VALU_DEP_1) | instskip(NEXT) | instid1(VALU_DEP_1)
	v_fmac_f32_e32 v117, v114, v98
	v_fmac_f32_e32 v117, v115, v99
	s_delay_alu instid0(VALU_DEP_1) | instskip(SKIP_1) | instid1(VALU_DEP_1)
	v_fmac_f32_e32 v117, v116, v100
	s_waitcnt vmcnt(0)
	v_fmac_f32_e32 v117, v125, v101
	s_waitcnt lgkmcnt(0)
	s_delay_alu instid0(VALU_DEP_1) | instskip(NEXT) | instid1(VALU_DEP_1)
	v_fmac_f32_e32 v117, v126, v102
	v_sub_f32_e32 v97, v97, v117
	scratch_store_b32 off, v97, off offset:100
	v_cmpx_lt_u32_e32 24, v0
	s_cbranch_execz .LBB46_241
; %bb.240:
	scratch_load_b32 v97, off, off offset:96
	scratch_store_b32 off, v2, off offset:96
	s_waitcnt vmcnt(0)
	ds_store_b32 v1, v97
.LBB46_241:
	s_or_b32 exec_lo, exec_lo, s0
	s_waitcnt lgkmcnt(0)
	s_waitcnt_vscnt null, 0x0
	s_barrier
	buffer_gl0_inv
	s_clause 0x5
	scratch_load_b128 v[97:100], off, off offset:96
	scratch_load_b128 v[101:104], off, off offset:112
	;; [unrolled: 1-line block ×5, first 2 shown]
	scratch_load_b96 v[117:119], off, off offset:176
	ds_load_2addr_b32 v[120:121], v2 offset0:73 offset1:74
	ds_load_2addr_b32 v[122:123], v2 offset0:75 offset1:76
	;; [unrolled: 1-line block ×4, first 2 shown]
	s_mov_b32 s0, exec_lo
	s_waitcnt vmcnt(5) lgkmcnt(3)
	v_fma_f32 v120, v98, v120, 0
	s_delay_alu instid0(VALU_DEP_1) | instskip(SKIP_4) | instid1(VALU_DEP_1)
	v_fmac_f32_e32 v120, v99, v121
	ds_load_2addr_b32 v[98:99], v2 offset0:81 offset1:82
	s_waitcnt lgkmcnt(3)
	v_fmac_f32_e32 v120, v100, v122
	s_waitcnt vmcnt(4)
	v_fmac_f32_e32 v120, v101, v123
	ds_load_2addr_b32 v[100:101], v2 offset0:83 offset1:84
	s_waitcnt lgkmcnt(3)
	v_fmac_f32_e32 v120, v102, v124
	s_delay_alu instid0(VALU_DEP_1) | instskip(SKIP_1) | instid1(VALU_DEP_1)
	v_fmac_f32_e32 v120, v103, v125
	s_waitcnt lgkmcnt(2)
	v_fmac_f32_e32 v120, v104, v126
	s_waitcnt vmcnt(3)
	s_delay_alu instid0(VALU_DEP_1) | instskip(SKIP_4) | instid1(VALU_DEP_1)
	v_fmac_f32_e32 v120, v105, v127
	ds_load_2addr_b32 v[102:103], v2 offset0:85 offset1:86
	ds_load_2addr_b32 v[104:105], v2 offset0:87 offset1:88
	s_waitcnt lgkmcnt(3)
	v_fmac_f32_e32 v120, v106, v98
	v_fmac_f32_e32 v120, v107, v99
	ds_load_2addr_b32 v[98:99], v2 offset0:89 offset1:90
	s_waitcnt lgkmcnt(3)
	v_fmac_f32_e32 v120, v108, v100
	s_waitcnt vmcnt(2)
	s_delay_alu instid0(VALU_DEP_1) | instskip(SKIP_3) | instid1(VALU_DEP_1)
	v_fmac_f32_e32 v120, v109, v101
	ds_load_2addr_b32 v[100:101], v2 offset0:91 offset1:92
	s_waitcnt lgkmcnt(3)
	v_fmac_f32_e32 v120, v110, v102
	v_fmac_f32_e32 v120, v111, v103
	ds_load_2addr_b32 v[102:103], v2 offset0:93 offset1:94
	s_waitcnt lgkmcnt(3)
	v_fmac_f32_e32 v120, v112, v104
	s_waitcnt vmcnt(1)
	s_delay_alu instid0(VALU_DEP_1) | instskip(SKIP_1) | instid1(VALU_DEP_1)
	v_fmac_f32_e32 v120, v113, v105
	s_waitcnt lgkmcnt(2)
	v_fmac_f32_e32 v120, v114, v98
	s_delay_alu instid0(VALU_DEP_1) | instskip(SKIP_1) | instid1(VALU_DEP_1)
	v_fmac_f32_e32 v120, v115, v99
	s_waitcnt lgkmcnt(1)
	v_fmac_f32_e32 v120, v116, v100
	s_waitcnt vmcnt(0)
	s_delay_alu instid0(VALU_DEP_1) | instskip(SKIP_1) | instid1(VALU_DEP_1)
	v_fmac_f32_e32 v120, v117, v101
	s_waitcnt lgkmcnt(0)
	v_fmac_f32_e32 v120, v118, v102
	s_delay_alu instid0(VALU_DEP_1) | instskip(NEXT) | instid1(VALU_DEP_1)
	v_fmac_f32_e32 v120, v119, v103
	v_sub_f32_e32 v2, v97, v120
	scratch_store_b32 off, v2, off offset:96
	v_cmpx_lt_u32_e32 23, v0
	s_cbranch_execz .LBB46_243
; %bb.242:
	scratch_load_b32 v2, off, off offset:92
	v_mov_b32_e32 v97, 0
	scratch_store_b32 off, v97, off offset:92
	s_waitcnt vmcnt(0)
	ds_store_b32 v1, v2
.LBB46_243:
	s_or_b32 exec_lo, exec_lo, s0
	s_waitcnt lgkmcnt(0)
	s_waitcnt_vscnt null, 0x0
	s_barrier
	buffer_gl0_inv
	s_clause 0x5
	scratch_load_b128 v[97:100], off, off offset:92
	scratch_load_b128 v[101:104], off, off offset:108
	;; [unrolled: 1-line block ×6, first 2 shown]
	v_mov_b32_e32 v2, 0
	ds_load_b128 v[121:124], v2 offset:288
	ds_load_b128 v[125:128], v2 offset:304
	s_mov_b32 s0, exec_lo
	s_waitcnt vmcnt(5) lgkmcnt(1)
	v_fma_f32 v121, v98, v121, 0
	s_delay_alu instid0(VALU_DEP_1) | instskip(NEXT) | instid1(VALU_DEP_1)
	v_fmac_f32_e32 v121, v99, v122
	v_fmac_f32_e32 v121, v100, v123
	s_waitcnt vmcnt(4)
	s_delay_alu instid0(VALU_DEP_1) | instskip(SKIP_3) | instid1(VALU_DEP_1)
	v_fmac_f32_e32 v121, v101, v124
	ds_load_b128 v[98:101], v2 offset:320
	s_waitcnt lgkmcnt(1)
	v_fmac_f32_e32 v121, v102, v125
	v_fmac_f32_e32 v121, v103, v126
	s_delay_alu instid0(VALU_DEP_1) | instskip(SKIP_1) | instid1(VALU_DEP_1)
	v_fmac_f32_e32 v121, v104, v127
	s_waitcnt vmcnt(3)
	v_fmac_f32_e32 v121, v105, v128
	ds_load_b128 v[102:105], v2 offset:336
	s_waitcnt lgkmcnt(1)
	v_fmac_f32_e32 v121, v106, v98
	s_delay_alu instid0(VALU_DEP_1) | instskip(NEXT) | instid1(VALU_DEP_1)
	v_fmac_f32_e32 v121, v107, v99
	v_fmac_f32_e32 v121, v108, v100
	s_waitcnt vmcnt(2)
	s_delay_alu instid0(VALU_DEP_1) | instskip(SKIP_3) | instid1(VALU_DEP_1)
	v_fmac_f32_e32 v121, v109, v101
	ds_load_b128 v[98:101], v2 offset:352
	s_waitcnt lgkmcnt(1)
	v_fmac_f32_e32 v121, v110, v102
	v_fmac_f32_e32 v121, v111, v103
	s_delay_alu instid0(VALU_DEP_1) | instskip(SKIP_4) | instid1(VALU_DEP_1)
	v_fmac_f32_e32 v121, v112, v104
	ds_load_b96 v[102:104], v2 offset:368
	s_waitcnt vmcnt(1)
	v_fmac_f32_e32 v121, v113, v105
	s_waitcnt lgkmcnt(1)
	v_fmac_f32_e32 v121, v114, v98
	s_delay_alu instid0(VALU_DEP_1) | instskip(NEXT) | instid1(VALU_DEP_1)
	v_fmac_f32_e32 v121, v115, v99
	v_fmac_f32_e32 v121, v116, v100
	s_waitcnt vmcnt(0)
	s_delay_alu instid0(VALU_DEP_1) | instskip(SKIP_1) | instid1(VALU_DEP_1)
	v_fmac_f32_e32 v121, v117, v101
	s_waitcnt lgkmcnt(0)
	v_fmac_f32_e32 v121, v118, v102
	s_delay_alu instid0(VALU_DEP_1) | instskip(NEXT) | instid1(VALU_DEP_1)
	v_fmac_f32_e32 v121, v119, v103
	v_fmac_f32_e32 v121, v120, v104
	s_delay_alu instid0(VALU_DEP_1)
	v_sub_f32_e32 v97, v97, v121
	scratch_store_b32 off, v97, off offset:92
	v_cmpx_lt_u32_e32 22, v0
	s_cbranch_execz .LBB46_245
; %bb.244:
	scratch_load_b32 v97, off, off offset:88
	scratch_store_b32 off, v2, off offset:88
	s_waitcnt vmcnt(0)
	ds_store_b32 v1, v97
.LBB46_245:
	s_or_b32 exec_lo, exec_lo, s0
	s_waitcnt lgkmcnt(0)
	s_waitcnt_vscnt null, 0x0
	s_barrier
	buffer_gl0_inv
	s_clause 0x6
	scratch_load_b128 v[97:100], off, off offset:88
	scratch_load_b128 v[101:104], off, off offset:104
	;; [unrolled: 1-line block ×6, first 2 shown]
	scratch_load_b32 v129, off, off offset:184
	ds_load_2addr_b32 v[121:122], v2 offset0:71 offset1:72
	ds_load_2addr_b32 v[123:124], v2 offset0:73 offset1:74
	;; [unrolled: 1-line block ×4, first 2 shown]
	s_mov_b32 s0, exec_lo
	s_waitcnt vmcnt(6) lgkmcnt(3)
	v_fma_f32 v121, v98, v121, 0
	s_delay_alu instid0(VALU_DEP_1) | instskip(SKIP_4) | instid1(VALU_DEP_1)
	v_fmac_f32_e32 v121, v99, v122
	ds_load_2addr_b32 v[98:99], v2 offset0:79 offset1:80
	s_waitcnt lgkmcnt(3)
	v_fmac_f32_e32 v121, v100, v123
	s_waitcnt vmcnt(5)
	v_fmac_f32_e32 v121, v101, v124
	ds_load_2addr_b32 v[100:101], v2 offset0:81 offset1:82
	s_waitcnt lgkmcnt(3)
	v_fmac_f32_e32 v121, v102, v125
	s_delay_alu instid0(VALU_DEP_1) | instskip(SKIP_1) | instid1(VALU_DEP_1)
	v_fmac_f32_e32 v121, v103, v126
	s_waitcnt lgkmcnt(2)
	v_fmac_f32_e32 v121, v104, v127
	s_waitcnt vmcnt(4)
	s_delay_alu instid0(VALU_DEP_1) | instskip(SKIP_4) | instid1(VALU_DEP_1)
	v_fmac_f32_e32 v121, v105, v128
	ds_load_2addr_b32 v[102:103], v2 offset0:83 offset1:84
	ds_load_2addr_b32 v[104:105], v2 offset0:85 offset1:86
	s_waitcnt lgkmcnt(3)
	v_fmac_f32_e32 v121, v106, v98
	v_fmac_f32_e32 v121, v107, v99
	ds_load_2addr_b32 v[98:99], v2 offset0:87 offset1:88
	s_waitcnt lgkmcnt(3)
	v_fmac_f32_e32 v121, v108, v100
	s_waitcnt vmcnt(3)
	s_delay_alu instid0(VALU_DEP_1) | instskip(SKIP_3) | instid1(VALU_DEP_1)
	v_fmac_f32_e32 v121, v109, v101
	ds_load_2addr_b32 v[100:101], v2 offset0:89 offset1:90
	s_waitcnt lgkmcnt(3)
	v_fmac_f32_e32 v121, v110, v102
	v_fmac_f32_e32 v121, v111, v103
	s_waitcnt lgkmcnt(2)
	s_delay_alu instid0(VALU_DEP_1) | instskip(SKIP_1) | instid1(VALU_DEP_1)
	v_fmac_f32_e32 v121, v112, v104
	s_waitcnt vmcnt(2)
	v_fmac_f32_e32 v121, v113, v105
	ds_load_2addr_b32 v[102:103], v2 offset0:91 offset1:92
	ds_load_2addr_b32 v[104:105], v2 offset0:93 offset1:94
	s_waitcnt lgkmcnt(3)
	v_fmac_f32_e32 v121, v114, v98
	s_delay_alu instid0(VALU_DEP_1) | instskip(SKIP_1) | instid1(VALU_DEP_1)
	v_fmac_f32_e32 v121, v115, v99
	s_waitcnt lgkmcnt(2)
	v_fmac_f32_e32 v121, v116, v100
	s_waitcnt vmcnt(1)
	s_delay_alu instid0(VALU_DEP_1) | instskip(SKIP_1) | instid1(VALU_DEP_1)
	v_fmac_f32_e32 v121, v117, v101
	s_waitcnt lgkmcnt(1)
	v_fmac_f32_e32 v121, v118, v102
	s_delay_alu instid0(VALU_DEP_1) | instskip(SKIP_1) | instid1(VALU_DEP_1)
	v_fmac_f32_e32 v121, v119, v103
	s_waitcnt lgkmcnt(0)
	v_fmac_f32_e32 v121, v120, v104
	s_waitcnt vmcnt(0)
	s_delay_alu instid0(VALU_DEP_1) | instskip(NEXT) | instid1(VALU_DEP_1)
	v_fmac_f32_e32 v121, v129, v105
	v_sub_f32_e32 v2, v97, v121
	scratch_store_b32 off, v2, off offset:88
	v_cmpx_lt_u32_e32 21, v0
	s_cbranch_execz .LBB46_247
; %bb.246:
	scratch_load_b32 v2, off, off offset:84
	v_mov_b32_e32 v97, 0
	scratch_store_b32 off, v97, off offset:84
	s_waitcnt vmcnt(0)
	ds_store_b32 v1, v2
.LBB46_247:
	s_or_b32 exec_lo, exec_lo, s0
	s_waitcnt lgkmcnt(0)
	s_waitcnt_vscnt null, 0x0
	s_barrier
	buffer_gl0_inv
	s_clause 0x6
	scratch_load_b128 v[97:100], off, off offset:84
	scratch_load_b128 v[101:104], off, off offset:100
	;; [unrolled: 1-line block ×6, first 2 shown]
	scratch_load_b64 v[129:130], off, off offset:180
	v_mov_b32_e32 v2, 0
	ds_load_2addr_b64 v[121:124], v2 offset0:35 offset1:36
	ds_load_2addr_b64 v[125:128], v2 offset0:37 offset1:38
	s_mov_b32 s0, exec_lo
	s_waitcnt vmcnt(6) lgkmcnt(1)
	v_fma_f32 v121, v98, v121, 0
	s_delay_alu instid0(VALU_DEP_1) | instskip(NEXT) | instid1(VALU_DEP_1)
	v_fmac_f32_e32 v121, v99, v122
	v_fmac_f32_e32 v121, v100, v123
	s_waitcnt vmcnt(5)
	s_delay_alu instid0(VALU_DEP_1) | instskip(SKIP_3) | instid1(VALU_DEP_1)
	v_fmac_f32_e32 v121, v101, v124
	ds_load_2addr_b64 v[98:101], v2 offset0:39 offset1:40
	s_waitcnt lgkmcnt(1)
	v_fmac_f32_e32 v121, v102, v125
	v_fmac_f32_e32 v121, v103, v126
	s_delay_alu instid0(VALU_DEP_1) | instskip(SKIP_1) | instid1(VALU_DEP_1)
	v_fmac_f32_e32 v121, v104, v127
	s_waitcnt vmcnt(4)
	v_fmac_f32_e32 v121, v105, v128
	ds_load_2addr_b64 v[102:105], v2 offset0:41 offset1:42
	s_waitcnt lgkmcnt(1)
	v_fmac_f32_e32 v121, v106, v98
	s_delay_alu instid0(VALU_DEP_1) | instskip(NEXT) | instid1(VALU_DEP_1)
	v_fmac_f32_e32 v121, v107, v99
	v_fmac_f32_e32 v121, v108, v100
	s_waitcnt vmcnt(3)
	s_delay_alu instid0(VALU_DEP_1) | instskip(SKIP_3) | instid1(VALU_DEP_1)
	v_fmac_f32_e32 v121, v109, v101
	ds_load_2addr_b64 v[98:101], v2 offset0:43 offset1:44
	s_waitcnt lgkmcnt(1)
	v_fmac_f32_e32 v121, v110, v102
	v_fmac_f32_e32 v121, v111, v103
	s_delay_alu instid0(VALU_DEP_1) | instskip(SKIP_1) | instid1(VALU_DEP_1)
	v_fmac_f32_e32 v121, v112, v104
	s_waitcnt vmcnt(2)
	v_fmac_f32_e32 v121, v113, v105
	ds_load_2addr_b64 v[102:105], v2 offset0:45 offset1:46
	s_waitcnt lgkmcnt(1)
	v_fmac_f32_e32 v121, v114, v98
	ds_load_b32 v98, v2 offset:376
	v_fmac_f32_e32 v121, v115, v99
	s_delay_alu instid0(VALU_DEP_1) | instskip(SKIP_1) | instid1(VALU_DEP_1)
	v_fmac_f32_e32 v121, v116, v100
	s_waitcnt vmcnt(1)
	v_fmac_f32_e32 v121, v117, v101
	s_waitcnt lgkmcnt(1)
	s_delay_alu instid0(VALU_DEP_1) | instskip(NEXT) | instid1(VALU_DEP_1)
	v_fmac_f32_e32 v121, v118, v102
	v_fmac_f32_e32 v121, v119, v103
	s_delay_alu instid0(VALU_DEP_1) | instskip(SKIP_1) | instid1(VALU_DEP_1)
	v_fmac_f32_e32 v121, v120, v104
	s_waitcnt vmcnt(0)
	v_fmac_f32_e32 v121, v129, v105
	s_waitcnt lgkmcnt(0)
	s_delay_alu instid0(VALU_DEP_1) | instskip(NEXT) | instid1(VALU_DEP_1)
	v_fmac_f32_e32 v121, v130, v98
	v_sub_f32_e32 v97, v97, v121
	scratch_store_b32 off, v97, off offset:84
	v_cmpx_lt_u32_e32 20, v0
	s_cbranch_execz .LBB46_249
; %bb.248:
	scratch_load_b32 v97, off, off offset:80
	scratch_store_b32 off, v2, off offset:80
	s_waitcnt vmcnt(0)
	ds_store_b32 v1, v97
.LBB46_249:
	s_or_b32 exec_lo, exec_lo, s0
	s_waitcnt lgkmcnt(0)
	s_waitcnt_vscnt null, 0x0
	s_barrier
	buffer_gl0_inv
	s_clause 0x6
	scratch_load_b128 v[97:100], off, off offset:80
	scratch_load_b128 v[101:104], off, off offset:96
	;; [unrolled: 1-line block ×6, first 2 shown]
	scratch_load_b96 v[121:123], off, off offset:176
	ds_load_2addr_b32 v[124:125], v2 offset0:69 offset1:70
	ds_load_2addr_b32 v[126:127], v2 offset0:71 offset1:72
	;; [unrolled: 1-line block ×4, first 2 shown]
	s_mov_b32 s0, exec_lo
	s_waitcnt vmcnt(6) lgkmcnt(3)
	v_fma_f32 v124, v98, v124, 0
	s_delay_alu instid0(VALU_DEP_1) | instskip(SKIP_4) | instid1(VALU_DEP_1)
	v_fmac_f32_e32 v124, v99, v125
	ds_load_2addr_b32 v[98:99], v2 offset0:77 offset1:78
	s_waitcnt lgkmcnt(3)
	v_fmac_f32_e32 v124, v100, v126
	s_waitcnt vmcnt(5)
	v_fmac_f32_e32 v124, v101, v127
	ds_load_2addr_b32 v[100:101], v2 offset0:79 offset1:80
	s_waitcnt lgkmcnt(3)
	v_fmac_f32_e32 v124, v102, v128
	s_delay_alu instid0(VALU_DEP_1) | instskip(SKIP_1) | instid1(VALU_DEP_1)
	v_fmac_f32_e32 v124, v103, v129
	s_waitcnt lgkmcnt(2)
	v_fmac_f32_e32 v124, v104, v130
	s_waitcnt vmcnt(4)
	s_delay_alu instid0(VALU_DEP_1) | instskip(SKIP_4) | instid1(VALU_DEP_1)
	v_fmac_f32_e32 v124, v105, v131
	ds_load_2addr_b32 v[102:103], v2 offset0:81 offset1:82
	ds_load_2addr_b32 v[104:105], v2 offset0:83 offset1:84
	s_waitcnt lgkmcnt(3)
	v_fmac_f32_e32 v124, v106, v98
	v_fmac_f32_e32 v124, v107, v99
	ds_load_2addr_b32 v[98:99], v2 offset0:85 offset1:86
	s_waitcnt lgkmcnt(3)
	v_fmac_f32_e32 v124, v108, v100
	s_waitcnt vmcnt(3)
	s_delay_alu instid0(VALU_DEP_1) | instskip(SKIP_3) | instid1(VALU_DEP_1)
	v_fmac_f32_e32 v124, v109, v101
	ds_load_2addr_b32 v[100:101], v2 offset0:87 offset1:88
	s_waitcnt lgkmcnt(3)
	v_fmac_f32_e32 v124, v110, v102
	v_fmac_f32_e32 v124, v111, v103
	s_waitcnt lgkmcnt(2)
	s_delay_alu instid0(VALU_DEP_1) | instskip(SKIP_1) | instid1(VALU_DEP_1)
	v_fmac_f32_e32 v124, v112, v104
	s_waitcnt vmcnt(2)
	v_fmac_f32_e32 v124, v113, v105
	ds_load_2addr_b32 v[102:103], v2 offset0:89 offset1:90
	ds_load_2addr_b32 v[104:105], v2 offset0:91 offset1:92
	s_waitcnt lgkmcnt(3)
	v_fmac_f32_e32 v124, v114, v98
	s_delay_alu instid0(VALU_DEP_1) | instskip(SKIP_4) | instid1(VALU_DEP_1)
	v_fmac_f32_e32 v124, v115, v99
	ds_load_2addr_b32 v[98:99], v2 offset0:93 offset1:94
	s_waitcnt lgkmcnt(3)
	v_fmac_f32_e32 v124, v116, v100
	s_waitcnt vmcnt(1)
	v_fmac_f32_e32 v124, v117, v101
	s_waitcnt lgkmcnt(2)
	s_delay_alu instid0(VALU_DEP_1) | instskip(NEXT) | instid1(VALU_DEP_1)
	v_fmac_f32_e32 v124, v118, v102
	v_fmac_f32_e32 v124, v119, v103
	s_waitcnt lgkmcnt(1)
	s_delay_alu instid0(VALU_DEP_1) | instskip(SKIP_1) | instid1(VALU_DEP_1)
	v_fmac_f32_e32 v124, v120, v104
	s_waitcnt vmcnt(0)
	v_fmac_f32_e32 v124, v121, v105
	s_waitcnt lgkmcnt(0)
	s_delay_alu instid0(VALU_DEP_1) | instskip(NEXT) | instid1(VALU_DEP_1)
	v_fmac_f32_e32 v124, v122, v98
	v_fmac_f32_e32 v124, v123, v99
	s_delay_alu instid0(VALU_DEP_1)
	v_sub_f32_e32 v2, v97, v124
	scratch_store_b32 off, v2, off offset:80
	v_cmpx_lt_u32_e32 19, v0
	s_cbranch_execz .LBB46_251
; %bb.250:
	scratch_load_b32 v2, off, off offset:76
	v_mov_b32_e32 v97, 0
	scratch_store_b32 off, v97, off offset:76
	s_waitcnt vmcnt(0)
	ds_store_b32 v1, v2
.LBB46_251:
	s_or_b32 exec_lo, exec_lo, s0
	s_waitcnt lgkmcnt(0)
	s_waitcnt_vscnt null, 0x0
	s_barrier
	buffer_gl0_inv
	s_clause 0x6
	scratch_load_b128 v[97:100], off, off offset:76
	scratch_load_b128 v[101:104], off, off offset:92
	;; [unrolled: 1-line block ×7, first 2 shown]
	v_mov_b32_e32 v2, 0
	ds_load_b128 v[125:128], v2 offset:272
	ds_load_b128 v[129:132], v2 offset:288
	s_mov_b32 s0, exec_lo
	s_waitcnt vmcnt(6) lgkmcnt(1)
	v_fma_f32 v125, v98, v125, 0
	s_delay_alu instid0(VALU_DEP_1) | instskip(NEXT) | instid1(VALU_DEP_1)
	v_fmac_f32_e32 v125, v99, v126
	v_fmac_f32_e32 v125, v100, v127
	s_waitcnt vmcnt(5)
	s_delay_alu instid0(VALU_DEP_1) | instskip(SKIP_3) | instid1(VALU_DEP_1)
	v_fmac_f32_e32 v125, v101, v128
	ds_load_b128 v[98:101], v2 offset:304
	s_waitcnt lgkmcnt(1)
	v_fmac_f32_e32 v125, v102, v129
	v_fmac_f32_e32 v125, v103, v130
	s_delay_alu instid0(VALU_DEP_1) | instskip(SKIP_1) | instid1(VALU_DEP_1)
	v_fmac_f32_e32 v125, v104, v131
	s_waitcnt vmcnt(4)
	v_fmac_f32_e32 v125, v105, v132
	ds_load_b128 v[102:105], v2 offset:320
	s_waitcnt lgkmcnt(1)
	v_fmac_f32_e32 v125, v106, v98
	s_delay_alu instid0(VALU_DEP_1) | instskip(NEXT) | instid1(VALU_DEP_1)
	v_fmac_f32_e32 v125, v107, v99
	v_fmac_f32_e32 v125, v108, v100
	s_waitcnt vmcnt(3)
	s_delay_alu instid0(VALU_DEP_1) | instskip(SKIP_3) | instid1(VALU_DEP_1)
	v_fmac_f32_e32 v125, v109, v101
	ds_load_b128 v[98:101], v2 offset:336
	s_waitcnt lgkmcnt(1)
	v_fmac_f32_e32 v125, v110, v102
	v_fmac_f32_e32 v125, v111, v103
	s_delay_alu instid0(VALU_DEP_1) | instskip(SKIP_1) | instid1(VALU_DEP_1)
	v_fmac_f32_e32 v125, v112, v104
	s_waitcnt vmcnt(2)
	v_fmac_f32_e32 v125, v113, v105
	ds_load_b128 v[102:105], v2 offset:352
	s_waitcnt lgkmcnt(1)
	v_fmac_f32_e32 v125, v114, v98
	s_delay_alu instid0(VALU_DEP_1) | instskip(NEXT) | instid1(VALU_DEP_1)
	v_fmac_f32_e32 v125, v115, v99
	v_fmac_f32_e32 v125, v116, v100
	ds_load_b96 v[98:100], v2 offset:368
	s_waitcnt vmcnt(1)
	v_fmac_f32_e32 v125, v117, v101
	s_waitcnt lgkmcnt(1)
	s_delay_alu instid0(VALU_DEP_1) | instskip(NEXT) | instid1(VALU_DEP_1)
	v_fmac_f32_e32 v125, v118, v102
	v_fmac_f32_e32 v125, v119, v103
	s_delay_alu instid0(VALU_DEP_1) | instskip(SKIP_1) | instid1(VALU_DEP_1)
	v_fmac_f32_e32 v125, v120, v104
	s_waitcnt vmcnt(0)
	v_fmac_f32_e32 v125, v121, v105
	s_waitcnt lgkmcnt(0)
	s_delay_alu instid0(VALU_DEP_1) | instskip(NEXT) | instid1(VALU_DEP_1)
	v_fmac_f32_e32 v125, v122, v98
	v_fmac_f32_e32 v125, v123, v99
	s_delay_alu instid0(VALU_DEP_1) | instskip(NEXT) | instid1(VALU_DEP_1)
	v_fmac_f32_e32 v125, v124, v100
	v_sub_f32_e32 v97, v97, v125
	scratch_store_b32 off, v97, off offset:76
	v_cmpx_lt_u32_e32 18, v0
	s_cbranch_execz .LBB46_253
; %bb.252:
	scratch_load_b32 v97, off, off offset:72
	scratch_store_b32 off, v2, off offset:72
	s_waitcnt vmcnt(0)
	ds_store_b32 v1, v97
.LBB46_253:
	s_or_b32 exec_lo, exec_lo, s0
	s_waitcnt lgkmcnt(0)
	s_waitcnt_vscnt null, 0x0
	s_barrier
	buffer_gl0_inv
	s_clause 0x7
	scratch_load_b128 v[97:100], off, off offset:72
	scratch_load_b128 v[101:104], off, off offset:88
	scratch_load_b128 v[105:108], off, off offset:104
	scratch_load_b128 v[109:112], off, off offset:120
	scratch_load_b128 v[113:116], off, off offset:136
	scratch_load_b128 v[117:120], off, off offset:152
	scratch_load_b128 v[121:124], off, off offset:168
	scratch_load_b32 v133, off, off offset:184
	ds_load_2addr_b32 v[125:126], v2 offset0:67 offset1:68
	ds_load_2addr_b32 v[127:128], v2 offset0:69 offset1:70
	;; [unrolled: 1-line block ×4, first 2 shown]
	s_mov_b32 s0, exec_lo
	s_waitcnt vmcnt(7) lgkmcnt(3)
	v_fma_f32 v125, v98, v125, 0
	s_delay_alu instid0(VALU_DEP_1) | instskip(SKIP_4) | instid1(VALU_DEP_1)
	v_fmac_f32_e32 v125, v99, v126
	ds_load_2addr_b32 v[98:99], v2 offset0:75 offset1:76
	s_waitcnt lgkmcnt(3)
	v_fmac_f32_e32 v125, v100, v127
	s_waitcnt vmcnt(6)
	v_fmac_f32_e32 v125, v101, v128
	ds_load_2addr_b32 v[100:101], v2 offset0:77 offset1:78
	s_waitcnt lgkmcnt(3)
	v_fmac_f32_e32 v125, v102, v129
	s_delay_alu instid0(VALU_DEP_1) | instskip(SKIP_1) | instid1(VALU_DEP_1)
	v_fmac_f32_e32 v125, v103, v130
	s_waitcnt lgkmcnt(2)
	v_fmac_f32_e32 v125, v104, v131
	s_waitcnt vmcnt(5)
	s_delay_alu instid0(VALU_DEP_1) | instskip(SKIP_4) | instid1(VALU_DEP_1)
	v_fmac_f32_e32 v125, v105, v132
	ds_load_2addr_b32 v[102:103], v2 offset0:79 offset1:80
	ds_load_2addr_b32 v[104:105], v2 offset0:81 offset1:82
	s_waitcnt lgkmcnt(3)
	v_fmac_f32_e32 v125, v106, v98
	v_fmac_f32_e32 v125, v107, v99
	ds_load_2addr_b32 v[98:99], v2 offset0:83 offset1:84
	s_waitcnt lgkmcnt(3)
	v_fmac_f32_e32 v125, v108, v100
	s_waitcnt vmcnt(4)
	s_delay_alu instid0(VALU_DEP_1) | instskip(SKIP_3) | instid1(VALU_DEP_1)
	v_fmac_f32_e32 v125, v109, v101
	ds_load_2addr_b32 v[100:101], v2 offset0:85 offset1:86
	s_waitcnt lgkmcnt(3)
	v_fmac_f32_e32 v125, v110, v102
	v_fmac_f32_e32 v125, v111, v103
	s_waitcnt lgkmcnt(2)
	s_delay_alu instid0(VALU_DEP_1) | instskip(SKIP_1) | instid1(VALU_DEP_1)
	v_fmac_f32_e32 v125, v112, v104
	s_waitcnt vmcnt(3)
	v_fmac_f32_e32 v125, v113, v105
	ds_load_2addr_b32 v[102:103], v2 offset0:87 offset1:88
	ds_load_2addr_b32 v[104:105], v2 offset0:89 offset1:90
	s_waitcnt lgkmcnt(3)
	v_fmac_f32_e32 v125, v114, v98
	s_delay_alu instid0(VALU_DEP_1) | instskip(SKIP_4) | instid1(VALU_DEP_1)
	v_fmac_f32_e32 v125, v115, v99
	ds_load_2addr_b32 v[98:99], v2 offset0:91 offset1:92
	s_waitcnt lgkmcnt(3)
	v_fmac_f32_e32 v125, v116, v100
	s_waitcnt vmcnt(2)
	v_fmac_f32_e32 v125, v117, v101
	ds_load_2addr_b32 v[100:101], v2 offset0:93 offset1:94
	s_waitcnt lgkmcnt(3)
	v_fmac_f32_e32 v125, v118, v102
	s_delay_alu instid0(VALU_DEP_1) | instskip(SKIP_1) | instid1(VALU_DEP_1)
	v_fmac_f32_e32 v125, v119, v103
	s_waitcnt lgkmcnt(2)
	v_fmac_f32_e32 v125, v120, v104
	s_waitcnt vmcnt(1)
	s_delay_alu instid0(VALU_DEP_1) | instskip(SKIP_1) | instid1(VALU_DEP_1)
	v_fmac_f32_e32 v125, v121, v105
	s_waitcnt lgkmcnt(1)
	v_fmac_f32_e32 v125, v122, v98
	s_delay_alu instid0(VALU_DEP_1) | instskip(SKIP_1) | instid1(VALU_DEP_1)
	v_fmac_f32_e32 v125, v123, v99
	s_waitcnt lgkmcnt(0)
	v_fmac_f32_e32 v125, v124, v100
	s_waitcnt vmcnt(0)
	s_delay_alu instid0(VALU_DEP_1) | instskip(NEXT) | instid1(VALU_DEP_1)
	v_fmac_f32_e32 v125, v133, v101
	v_sub_f32_e32 v2, v97, v125
	scratch_store_b32 off, v2, off offset:72
	v_cmpx_lt_u32_e32 17, v0
	s_cbranch_execz .LBB46_255
; %bb.254:
	scratch_load_b32 v2, off, off offset:68
	v_mov_b32_e32 v97, 0
	scratch_store_b32 off, v97, off offset:68
	s_waitcnt vmcnt(0)
	ds_store_b32 v1, v2
.LBB46_255:
	s_or_b32 exec_lo, exec_lo, s0
	s_waitcnt lgkmcnt(0)
	s_waitcnt_vscnt null, 0x0
	s_barrier
	buffer_gl0_inv
	s_clause 0x7
	scratch_load_b128 v[97:100], off, off offset:68
	scratch_load_b128 v[101:104], off, off offset:84
	;; [unrolled: 1-line block ×7, first 2 shown]
	scratch_load_b64 v[133:134], off, off offset:180
	v_mov_b32_e32 v2, 0
	ds_load_2addr_b64 v[125:128], v2 offset0:33 offset1:34
	ds_load_2addr_b64 v[129:132], v2 offset0:35 offset1:36
	s_mov_b32 s0, exec_lo
	s_waitcnt vmcnt(7) lgkmcnt(1)
	v_fma_f32 v125, v98, v125, 0
	s_delay_alu instid0(VALU_DEP_1) | instskip(NEXT) | instid1(VALU_DEP_1)
	v_fmac_f32_e32 v125, v99, v126
	v_fmac_f32_e32 v125, v100, v127
	s_waitcnt vmcnt(6)
	s_delay_alu instid0(VALU_DEP_1) | instskip(SKIP_3) | instid1(VALU_DEP_1)
	v_fmac_f32_e32 v125, v101, v128
	ds_load_2addr_b64 v[98:101], v2 offset0:37 offset1:38
	s_waitcnt lgkmcnt(1)
	v_fmac_f32_e32 v125, v102, v129
	v_fmac_f32_e32 v125, v103, v130
	s_delay_alu instid0(VALU_DEP_1) | instskip(SKIP_1) | instid1(VALU_DEP_1)
	v_fmac_f32_e32 v125, v104, v131
	s_waitcnt vmcnt(5)
	v_fmac_f32_e32 v125, v105, v132
	ds_load_2addr_b64 v[102:105], v2 offset0:39 offset1:40
	s_waitcnt lgkmcnt(1)
	v_fmac_f32_e32 v125, v106, v98
	s_delay_alu instid0(VALU_DEP_1) | instskip(NEXT) | instid1(VALU_DEP_1)
	v_fmac_f32_e32 v125, v107, v99
	v_fmac_f32_e32 v125, v108, v100
	s_waitcnt vmcnt(4)
	s_delay_alu instid0(VALU_DEP_1) | instskip(SKIP_3) | instid1(VALU_DEP_1)
	v_fmac_f32_e32 v125, v109, v101
	ds_load_2addr_b64 v[98:101], v2 offset0:41 offset1:42
	s_waitcnt lgkmcnt(1)
	v_fmac_f32_e32 v125, v110, v102
	v_fmac_f32_e32 v125, v111, v103
	s_delay_alu instid0(VALU_DEP_1) | instskip(SKIP_1) | instid1(VALU_DEP_1)
	v_fmac_f32_e32 v125, v112, v104
	s_waitcnt vmcnt(3)
	v_fmac_f32_e32 v125, v113, v105
	ds_load_2addr_b64 v[102:105], v2 offset0:43 offset1:44
	s_waitcnt lgkmcnt(1)
	v_fmac_f32_e32 v125, v114, v98
	s_delay_alu instid0(VALU_DEP_1) | instskip(NEXT) | instid1(VALU_DEP_1)
	v_fmac_f32_e32 v125, v115, v99
	v_fmac_f32_e32 v125, v116, v100
	s_waitcnt vmcnt(2)
	s_delay_alu instid0(VALU_DEP_1)
	v_fmac_f32_e32 v125, v117, v101
	ds_load_2addr_b64 v[98:101], v2 offset0:45 offset1:46
	s_waitcnt lgkmcnt(1)
	v_fmac_f32_e32 v125, v118, v102
	ds_load_b32 v102, v2 offset:376
	v_fmac_f32_e32 v125, v119, v103
	s_delay_alu instid0(VALU_DEP_1) | instskip(SKIP_1) | instid1(VALU_DEP_1)
	v_fmac_f32_e32 v125, v120, v104
	s_waitcnt vmcnt(1)
	v_fmac_f32_e32 v125, v121, v105
	s_waitcnt lgkmcnt(1)
	s_delay_alu instid0(VALU_DEP_1) | instskip(NEXT) | instid1(VALU_DEP_1)
	v_fmac_f32_e32 v125, v122, v98
	v_fmac_f32_e32 v125, v123, v99
	s_delay_alu instid0(VALU_DEP_1) | instskip(SKIP_1) | instid1(VALU_DEP_1)
	v_fmac_f32_e32 v125, v124, v100
	s_waitcnt vmcnt(0)
	v_fmac_f32_e32 v125, v133, v101
	s_waitcnt lgkmcnt(0)
	s_delay_alu instid0(VALU_DEP_1) | instskip(NEXT) | instid1(VALU_DEP_1)
	v_fmac_f32_e32 v125, v134, v102
	v_sub_f32_e32 v97, v97, v125
	scratch_store_b32 off, v97, off offset:68
	v_cmpx_lt_u32_e32 16, v0
	s_cbranch_execz .LBB46_257
; %bb.256:
	scratch_load_b32 v97, off, off offset:64
	scratch_store_b32 off, v2, off offset:64
	s_waitcnt vmcnt(0)
	ds_store_b32 v1, v97
.LBB46_257:
	s_or_b32 exec_lo, exec_lo, s0
	s_waitcnt lgkmcnt(0)
	s_waitcnt_vscnt null, 0x0
	s_barrier
	buffer_gl0_inv
	s_clause 0x7
	scratch_load_b128 v[97:100], off, off offset:64
	scratch_load_b128 v[101:104], off, off offset:80
	;; [unrolled: 1-line block ×7, first 2 shown]
	scratch_load_b96 v[125:127], off, off offset:176
	ds_load_2addr_b32 v[128:129], v2 offset0:65 offset1:66
	ds_load_2addr_b32 v[130:131], v2 offset0:67 offset1:68
	;; [unrolled: 1-line block ×4, first 2 shown]
	s_mov_b32 s0, exec_lo
	s_waitcnt vmcnt(7) lgkmcnt(3)
	v_fma_f32 v128, v98, v128, 0
	s_delay_alu instid0(VALU_DEP_1) | instskip(SKIP_4) | instid1(VALU_DEP_1)
	v_fmac_f32_e32 v128, v99, v129
	ds_load_2addr_b32 v[98:99], v2 offset0:73 offset1:74
	s_waitcnt lgkmcnt(3)
	v_fmac_f32_e32 v128, v100, v130
	s_waitcnt vmcnt(6)
	v_fmac_f32_e32 v128, v101, v131
	ds_load_2addr_b32 v[100:101], v2 offset0:75 offset1:76
	s_waitcnt lgkmcnt(3)
	v_fmac_f32_e32 v128, v102, v132
	s_delay_alu instid0(VALU_DEP_1) | instskip(SKIP_1) | instid1(VALU_DEP_1)
	v_fmac_f32_e32 v128, v103, v133
	s_waitcnt lgkmcnt(2)
	v_fmac_f32_e32 v128, v104, v134
	s_waitcnt vmcnt(5)
	s_delay_alu instid0(VALU_DEP_1) | instskip(SKIP_4) | instid1(VALU_DEP_1)
	v_fmac_f32_e32 v128, v105, v135
	ds_load_2addr_b32 v[102:103], v2 offset0:77 offset1:78
	ds_load_2addr_b32 v[104:105], v2 offset0:79 offset1:80
	s_waitcnt lgkmcnt(3)
	v_fmac_f32_e32 v128, v106, v98
	v_fmac_f32_e32 v128, v107, v99
	ds_load_2addr_b32 v[98:99], v2 offset0:81 offset1:82
	s_waitcnt lgkmcnt(3)
	v_fmac_f32_e32 v128, v108, v100
	s_waitcnt vmcnt(4)
	s_delay_alu instid0(VALU_DEP_1) | instskip(SKIP_3) | instid1(VALU_DEP_1)
	v_fmac_f32_e32 v128, v109, v101
	ds_load_2addr_b32 v[100:101], v2 offset0:83 offset1:84
	s_waitcnt lgkmcnt(3)
	v_fmac_f32_e32 v128, v110, v102
	v_fmac_f32_e32 v128, v111, v103
	s_waitcnt lgkmcnt(2)
	s_delay_alu instid0(VALU_DEP_1) | instskip(SKIP_1) | instid1(VALU_DEP_1)
	v_fmac_f32_e32 v128, v112, v104
	s_waitcnt vmcnt(3)
	v_fmac_f32_e32 v128, v113, v105
	ds_load_2addr_b32 v[102:103], v2 offset0:85 offset1:86
	ds_load_2addr_b32 v[104:105], v2 offset0:87 offset1:88
	s_waitcnt lgkmcnt(3)
	v_fmac_f32_e32 v128, v114, v98
	s_delay_alu instid0(VALU_DEP_1) | instskip(SKIP_4) | instid1(VALU_DEP_1)
	v_fmac_f32_e32 v128, v115, v99
	ds_load_2addr_b32 v[98:99], v2 offset0:89 offset1:90
	s_waitcnt lgkmcnt(3)
	v_fmac_f32_e32 v128, v116, v100
	s_waitcnt vmcnt(2)
	v_fmac_f32_e32 v128, v117, v101
	ds_load_2addr_b32 v[100:101], v2 offset0:91 offset1:92
	s_waitcnt lgkmcnt(3)
	v_fmac_f32_e32 v128, v118, v102
	s_delay_alu instid0(VALU_DEP_1) | instskip(SKIP_4) | instid1(VALU_DEP_1)
	v_fmac_f32_e32 v128, v119, v103
	ds_load_2addr_b32 v[102:103], v2 offset0:93 offset1:94
	s_waitcnt lgkmcnt(3)
	v_fmac_f32_e32 v128, v120, v104
	s_waitcnt vmcnt(1)
	v_fmac_f32_e32 v128, v121, v105
	s_waitcnt lgkmcnt(2)
	s_delay_alu instid0(VALU_DEP_1) | instskip(NEXT) | instid1(VALU_DEP_1)
	v_fmac_f32_e32 v128, v122, v98
	v_fmac_f32_e32 v128, v123, v99
	s_waitcnt lgkmcnt(1)
	s_delay_alu instid0(VALU_DEP_1) | instskip(SKIP_1) | instid1(VALU_DEP_1)
	v_fmac_f32_e32 v128, v124, v100
	s_waitcnt vmcnt(0)
	v_fmac_f32_e32 v128, v125, v101
	s_waitcnt lgkmcnt(0)
	s_delay_alu instid0(VALU_DEP_1) | instskip(NEXT) | instid1(VALU_DEP_1)
	v_fmac_f32_e32 v128, v126, v102
	v_fmac_f32_e32 v128, v127, v103
	s_delay_alu instid0(VALU_DEP_1)
	v_sub_f32_e32 v2, v97, v128
	scratch_store_b32 off, v2, off offset:64
	v_cmpx_lt_u32_e32 15, v0
	s_cbranch_execz .LBB46_259
; %bb.258:
	scratch_load_b32 v2, off, off offset:60
	v_mov_b32_e32 v97, 0
	scratch_store_b32 off, v97, off offset:60
	s_waitcnt vmcnt(0)
	ds_store_b32 v1, v2
.LBB46_259:
	s_or_b32 exec_lo, exec_lo, s0
	s_waitcnt lgkmcnt(0)
	s_waitcnt_vscnt null, 0x0
	s_barrier
	buffer_gl0_inv
	s_clause 0x7
	scratch_load_b128 v[97:100], off, off offset:60
	scratch_load_b128 v[101:104], off, off offset:76
	;; [unrolled: 1-line block ×8, first 2 shown]
	v_mov_b32_e32 v2, 0
	ds_load_b128 v[129:132], v2 offset:256
	ds_load_b128 v[133:136], v2 offset:272
	s_mov_b32 s0, exec_lo
	s_waitcnt vmcnt(7) lgkmcnt(1)
	v_fma_f32 v129, v98, v129, 0
	s_delay_alu instid0(VALU_DEP_1) | instskip(NEXT) | instid1(VALU_DEP_1)
	v_fmac_f32_e32 v129, v99, v130
	v_fmac_f32_e32 v129, v100, v131
	s_waitcnt vmcnt(6)
	s_delay_alu instid0(VALU_DEP_1) | instskip(SKIP_3) | instid1(VALU_DEP_1)
	v_fmac_f32_e32 v129, v101, v132
	ds_load_b128 v[98:101], v2 offset:288
	s_waitcnt lgkmcnt(1)
	v_fmac_f32_e32 v129, v102, v133
	v_fmac_f32_e32 v129, v103, v134
	s_delay_alu instid0(VALU_DEP_1) | instskip(SKIP_1) | instid1(VALU_DEP_1)
	v_fmac_f32_e32 v129, v104, v135
	s_waitcnt vmcnt(5)
	v_fmac_f32_e32 v129, v105, v136
	ds_load_b128 v[102:105], v2 offset:304
	s_waitcnt lgkmcnt(1)
	v_fmac_f32_e32 v129, v106, v98
	s_delay_alu instid0(VALU_DEP_1) | instskip(NEXT) | instid1(VALU_DEP_1)
	v_fmac_f32_e32 v129, v107, v99
	v_fmac_f32_e32 v129, v108, v100
	s_waitcnt vmcnt(4)
	s_delay_alu instid0(VALU_DEP_1) | instskip(SKIP_3) | instid1(VALU_DEP_1)
	v_fmac_f32_e32 v129, v109, v101
	ds_load_b128 v[98:101], v2 offset:320
	s_waitcnt lgkmcnt(1)
	v_fmac_f32_e32 v129, v110, v102
	v_fmac_f32_e32 v129, v111, v103
	s_delay_alu instid0(VALU_DEP_1) | instskip(SKIP_1) | instid1(VALU_DEP_1)
	v_fmac_f32_e32 v129, v112, v104
	s_waitcnt vmcnt(3)
	v_fmac_f32_e32 v129, v113, v105
	ds_load_b128 v[102:105], v2 offset:336
	s_waitcnt lgkmcnt(1)
	v_fmac_f32_e32 v129, v114, v98
	s_delay_alu instid0(VALU_DEP_1) | instskip(NEXT) | instid1(VALU_DEP_1)
	v_fmac_f32_e32 v129, v115, v99
	v_fmac_f32_e32 v129, v116, v100
	s_waitcnt vmcnt(2)
	s_delay_alu instid0(VALU_DEP_1) | instskip(SKIP_3) | instid1(VALU_DEP_1)
	v_fmac_f32_e32 v129, v117, v101
	ds_load_b128 v[98:101], v2 offset:352
	s_waitcnt lgkmcnt(1)
	v_fmac_f32_e32 v129, v118, v102
	v_fmac_f32_e32 v129, v119, v103
	s_delay_alu instid0(VALU_DEP_1) | instskip(SKIP_4) | instid1(VALU_DEP_1)
	v_fmac_f32_e32 v129, v120, v104
	ds_load_b96 v[102:104], v2 offset:368
	s_waitcnt vmcnt(1)
	v_fmac_f32_e32 v129, v121, v105
	s_waitcnt lgkmcnt(1)
	v_fmac_f32_e32 v129, v122, v98
	s_delay_alu instid0(VALU_DEP_1) | instskip(NEXT) | instid1(VALU_DEP_1)
	v_fmac_f32_e32 v129, v123, v99
	v_fmac_f32_e32 v129, v124, v100
	s_waitcnt vmcnt(0)
	s_delay_alu instid0(VALU_DEP_1) | instskip(SKIP_1) | instid1(VALU_DEP_1)
	v_fmac_f32_e32 v129, v125, v101
	s_waitcnt lgkmcnt(0)
	v_fmac_f32_e32 v129, v126, v102
	s_delay_alu instid0(VALU_DEP_1) | instskip(NEXT) | instid1(VALU_DEP_1)
	v_fmac_f32_e32 v129, v127, v103
	v_fmac_f32_e32 v129, v128, v104
	s_delay_alu instid0(VALU_DEP_1)
	v_sub_f32_e32 v97, v97, v129
	scratch_store_b32 off, v97, off offset:60
	v_cmpx_lt_u32_e32 14, v0
	s_cbranch_execz .LBB46_261
; %bb.260:
	scratch_load_b32 v97, off, off offset:56
	scratch_store_b32 off, v2, off offset:56
	s_waitcnt vmcnt(0)
	ds_store_b32 v1, v97
.LBB46_261:
	s_or_b32 exec_lo, exec_lo, s0
	s_waitcnt lgkmcnt(0)
	s_waitcnt_vscnt null, 0x0
	s_barrier
	buffer_gl0_inv
	s_clause 0x8
	scratch_load_b128 v[97:100], off, off offset:56
	scratch_load_b128 v[101:104], off, off offset:72
	;; [unrolled: 1-line block ×8, first 2 shown]
	scratch_load_b32 v137, off, off offset:184
	ds_load_2addr_b32 v[129:130], v2 offset0:63 offset1:64
	ds_load_2addr_b32 v[131:132], v2 offset0:65 offset1:66
	ds_load_2addr_b32 v[133:134], v2 offset0:67 offset1:68
	ds_load_2addr_b32 v[135:136], v2 offset0:69 offset1:70
	s_mov_b32 s0, exec_lo
	s_waitcnt vmcnt(8) lgkmcnt(3)
	v_fma_f32 v129, v98, v129, 0
	s_delay_alu instid0(VALU_DEP_1) | instskip(SKIP_4) | instid1(VALU_DEP_1)
	v_fmac_f32_e32 v129, v99, v130
	ds_load_2addr_b32 v[98:99], v2 offset0:71 offset1:72
	s_waitcnt lgkmcnt(3)
	v_fmac_f32_e32 v129, v100, v131
	s_waitcnt vmcnt(7)
	v_fmac_f32_e32 v129, v101, v132
	ds_load_2addr_b32 v[100:101], v2 offset0:73 offset1:74
	s_waitcnt lgkmcnt(3)
	v_fmac_f32_e32 v129, v102, v133
	s_delay_alu instid0(VALU_DEP_1) | instskip(SKIP_1) | instid1(VALU_DEP_1)
	v_fmac_f32_e32 v129, v103, v134
	s_waitcnt lgkmcnt(2)
	v_fmac_f32_e32 v129, v104, v135
	s_waitcnt vmcnt(6)
	s_delay_alu instid0(VALU_DEP_1) | instskip(SKIP_4) | instid1(VALU_DEP_1)
	v_fmac_f32_e32 v129, v105, v136
	ds_load_2addr_b32 v[102:103], v2 offset0:75 offset1:76
	ds_load_2addr_b32 v[104:105], v2 offset0:77 offset1:78
	s_waitcnt lgkmcnt(3)
	v_fmac_f32_e32 v129, v106, v98
	v_fmac_f32_e32 v129, v107, v99
	ds_load_2addr_b32 v[98:99], v2 offset0:79 offset1:80
	s_waitcnt lgkmcnt(3)
	v_fmac_f32_e32 v129, v108, v100
	s_waitcnt vmcnt(5)
	s_delay_alu instid0(VALU_DEP_1) | instskip(SKIP_3) | instid1(VALU_DEP_1)
	v_fmac_f32_e32 v129, v109, v101
	ds_load_2addr_b32 v[100:101], v2 offset0:81 offset1:82
	s_waitcnt lgkmcnt(3)
	v_fmac_f32_e32 v129, v110, v102
	v_fmac_f32_e32 v129, v111, v103
	s_waitcnt lgkmcnt(2)
	s_delay_alu instid0(VALU_DEP_1) | instskip(SKIP_1) | instid1(VALU_DEP_1)
	v_fmac_f32_e32 v129, v112, v104
	s_waitcnt vmcnt(4)
	v_fmac_f32_e32 v129, v113, v105
	ds_load_2addr_b32 v[102:103], v2 offset0:83 offset1:84
	ds_load_2addr_b32 v[104:105], v2 offset0:85 offset1:86
	s_waitcnt lgkmcnt(3)
	v_fmac_f32_e32 v129, v114, v98
	s_delay_alu instid0(VALU_DEP_1) | instskip(SKIP_4) | instid1(VALU_DEP_1)
	v_fmac_f32_e32 v129, v115, v99
	ds_load_2addr_b32 v[98:99], v2 offset0:87 offset1:88
	s_waitcnt lgkmcnt(3)
	v_fmac_f32_e32 v129, v116, v100
	s_waitcnt vmcnt(3)
	v_fmac_f32_e32 v129, v117, v101
	ds_load_2addr_b32 v[100:101], v2 offset0:89 offset1:90
	s_waitcnt lgkmcnt(3)
	v_fmac_f32_e32 v129, v118, v102
	s_delay_alu instid0(VALU_DEP_1) | instskip(SKIP_1) | instid1(VALU_DEP_1)
	v_fmac_f32_e32 v129, v119, v103
	s_waitcnt lgkmcnt(2)
	v_fmac_f32_e32 v129, v120, v104
	s_waitcnt vmcnt(2)
	s_delay_alu instid0(VALU_DEP_1) | instskip(SKIP_4) | instid1(VALU_DEP_1)
	v_fmac_f32_e32 v129, v121, v105
	ds_load_2addr_b32 v[102:103], v2 offset0:91 offset1:92
	ds_load_2addr_b32 v[104:105], v2 offset0:93 offset1:94
	s_waitcnt lgkmcnt(3)
	v_fmac_f32_e32 v129, v122, v98
	v_fmac_f32_e32 v129, v123, v99
	s_waitcnt lgkmcnt(2)
	s_delay_alu instid0(VALU_DEP_1) | instskip(SKIP_1) | instid1(VALU_DEP_1)
	v_fmac_f32_e32 v129, v124, v100
	s_waitcnt vmcnt(1)
	v_fmac_f32_e32 v129, v125, v101
	s_waitcnt lgkmcnt(1)
	s_delay_alu instid0(VALU_DEP_1) | instskip(NEXT) | instid1(VALU_DEP_1)
	v_fmac_f32_e32 v129, v126, v102
	v_fmac_f32_e32 v129, v127, v103
	s_waitcnt lgkmcnt(0)
	s_delay_alu instid0(VALU_DEP_1) | instskip(SKIP_1) | instid1(VALU_DEP_1)
	v_fmac_f32_e32 v129, v128, v104
	s_waitcnt vmcnt(0)
	v_fmac_f32_e32 v129, v137, v105
	s_delay_alu instid0(VALU_DEP_1)
	v_sub_f32_e32 v2, v97, v129
	scratch_store_b32 off, v2, off offset:56
	v_cmpx_lt_u32_e32 13, v0
	s_cbranch_execz .LBB46_263
; %bb.262:
	scratch_load_b32 v2, off, off offset:52
	v_mov_b32_e32 v97, 0
	scratch_store_b32 off, v97, off offset:52
	s_waitcnt vmcnt(0)
	ds_store_b32 v1, v2
.LBB46_263:
	s_or_b32 exec_lo, exec_lo, s0
	s_waitcnt lgkmcnt(0)
	s_waitcnt_vscnt null, 0x0
	s_barrier
	buffer_gl0_inv
	s_clause 0x8
	scratch_load_b128 v[97:100], off, off offset:52
	scratch_load_b128 v[101:104], off, off offset:68
	;; [unrolled: 1-line block ×8, first 2 shown]
	scratch_load_b64 v[137:138], off, off offset:180
	v_mov_b32_e32 v2, 0
	ds_load_2addr_b64 v[129:132], v2 offset0:31 offset1:32
	ds_load_2addr_b64 v[133:136], v2 offset0:33 offset1:34
	s_mov_b32 s0, exec_lo
	s_waitcnt vmcnt(8) lgkmcnt(1)
	v_fma_f32 v129, v98, v129, 0
	s_delay_alu instid0(VALU_DEP_1) | instskip(NEXT) | instid1(VALU_DEP_1)
	v_fmac_f32_e32 v129, v99, v130
	v_fmac_f32_e32 v129, v100, v131
	s_waitcnt vmcnt(7)
	s_delay_alu instid0(VALU_DEP_1) | instskip(SKIP_3) | instid1(VALU_DEP_1)
	v_fmac_f32_e32 v129, v101, v132
	ds_load_2addr_b64 v[98:101], v2 offset0:35 offset1:36
	s_waitcnt lgkmcnt(1)
	v_fmac_f32_e32 v129, v102, v133
	v_fmac_f32_e32 v129, v103, v134
	s_delay_alu instid0(VALU_DEP_1) | instskip(SKIP_1) | instid1(VALU_DEP_1)
	v_fmac_f32_e32 v129, v104, v135
	s_waitcnt vmcnt(6)
	v_fmac_f32_e32 v129, v105, v136
	ds_load_2addr_b64 v[102:105], v2 offset0:37 offset1:38
	s_waitcnt lgkmcnt(1)
	v_fmac_f32_e32 v129, v106, v98
	s_delay_alu instid0(VALU_DEP_1) | instskip(NEXT) | instid1(VALU_DEP_1)
	v_fmac_f32_e32 v129, v107, v99
	v_fmac_f32_e32 v129, v108, v100
	s_waitcnt vmcnt(5)
	s_delay_alu instid0(VALU_DEP_1) | instskip(SKIP_3) | instid1(VALU_DEP_1)
	v_fmac_f32_e32 v129, v109, v101
	ds_load_2addr_b64 v[98:101], v2 offset0:39 offset1:40
	s_waitcnt lgkmcnt(1)
	v_fmac_f32_e32 v129, v110, v102
	v_fmac_f32_e32 v129, v111, v103
	s_delay_alu instid0(VALU_DEP_1) | instskip(SKIP_1) | instid1(VALU_DEP_1)
	v_fmac_f32_e32 v129, v112, v104
	s_waitcnt vmcnt(4)
	v_fmac_f32_e32 v129, v113, v105
	ds_load_2addr_b64 v[102:105], v2 offset0:41 offset1:42
	s_waitcnt lgkmcnt(1)
	v_fmac_f32_e32 v129, v114, v98
	;; [unrolled: 17-line block ×3, first 2 shown]
	ds_load_b32 v98, v2 offset:376
	v_fmac_f32_e32 v129, v123, v99
	s_delay_alu instid0(VALU_DEP_1) | instskip(SKIP_1) | instid1(VALU_DEP_1)
	v_fmac_f32_e32 v129, v124, v100
	s_waitcnt vmcnt(1)
	v_fmac_f32_e32 v129, v125, v101
	s_waitcnt lgkmcnt(1)
	s_delay_alu instid0(VALU_DEP_1) | instskip(NEXT) | instid1(VALU_DEP_1)
	v_fmac_f32_e32 v129, v126, v102
	v_fmac_f32_e32 v129, v127, v103
	s_delay_alu instid0(VALU_DEP_1) | instskip(SKIP_1) | instid1(VALU_DEP_1)
	v_fmac_f32_e32 v129, v128, v104
	s_waitcnt vmcnt(0)
	v_fmac_f32_e32 v129, v137, v105
	s_waitcnt lgkmcnt(0)
	s_delay_alu instid0(VALU_DEP_1) | instskip(NEXT) | instid1(VALU_DEP_1)
	v_fmac_f32_e32 v129, v138, v98
	v_sub_f32_e32 v97, v97, v129
	scratch_store_b32 off, v97, off offset:52
	v_cmpx_lt_u32_e32 12, v0
	s_cbranch_execz .LBB46_265
; %bb.264:
	scratch_load_b32 v97, off, off offset:48
	scratch_store_b32 off, v2, off offset:48
	s_waitcnt vmcnt(0)
	ds_store_b32 v1, v97
.LBB46_265:
	s_or_b32 exec_lo, exec_lo, s0
	s_waitcnt lgkmcnt(0)
	s_waitcnt_vscnt null, 0x0
	s_barrier
	buffer_gl0_inv
	s_clause 0x8
	scratch_load_b128 v[97:100], off, off offset:48
	scratch_load_b128 v[101:104], off, off offset:64
	scratch_load_b128 v[105:108], off, off offset:80
	scratch_load_b128 v[109:112], off, off offset:96
	scratch_load_b128 v[113:116], off, off offset:112
	scratch_load_b128 v[117:120], off, off offset:128
	scratch_load_b128 v[121:124], off, off offset:144
	scratch_load_b128 v[125:128], off, off offset:160
	scratch_load_b96 v[129:131], off, off offset:176
	ds_load_2addr_b32 v[132:133], v2 offset0:61 offset1:62
	ds_load_2addr_b32 v[134:135], v2 offset0:63 offset1:64
	;; [unrolled: 1-line block ×4, first 2 shown]
	s_mov_b32 s0, exec_lo
	s_waitcnt vmcnt(8) lgkmcnt(3)
	v_fma_f32 v132, v98, v132, 0
	s_delay_alu instid0(VALU_DEP_1) | instskip(SKIP_4) | instid1(VALU_DEP_1)
	v_fmac_f32_e32 v132, v99, v133
	ds_load_2addr_b32 v[98:99], v2 offset0:69 offset1:70
	s_waitcnt lgkmcnt(3)
	v_fmac_f32_e32 v132, v100, v134
	s_waitcnt vmcnt(7)
	v_fmac_f32_e32 v132, v101, v135
	ds_load_2addr_b32 v[100:101], v2 offset0:71 offset1:72
	s_waitcnt lgkmcnt(3)
	v_fmac_f32_e32 v132, v102, v136
	s_delay_alu instid0(VALU_DEP_1) | instskip(SKIP_1) | instid1(VALU_DEP_1)
	v_fmac_f32_e32 v132, v103, v137
	s_waitcnt lgkmcnt(2)
	v_fmac_f32_e32 v132, v104, v138
	s_waitcnt vmcnt(6)
	s_delay_alu instid0(VALU_DEP_1) | instskip(SKIP_4) | instid1(VALU_DEP_1)
	v_fmac_f32_e32 v132, v105, v139
	ds_load_2addr_b32 v[102:103], v2 offset0:73 offset1:74
	ds_load_2addr_b32 v[104:105], v2 offset0:75 offset1:76
	s_waitcnt lgkmcnt(3)
	v_fmac_f32_e32 v132, v106, v98
	v_fmac_f32_e32 v132, v107, v99
	ds_load_2addr_b32 v[98:99], v2 offset0:77 offset1:78
	s_waitcnt lgkmcnt(3)
	v_fmac_f32_e32 v132, v108, v100
	s_waitcnt vmcnt(5)
	s_delay_alu instid0(VALU_DEP_1) | instskip(SKIP_3) | instid1(VALU_DEP_1)
	v_fmac_f32_e32 v132, v109, v101
	ds_load_2addr_b32 v[100:101], v2 offset0:79 offset1:80
	s_waitcnt lgkmcnt(3)
	v_fmac_f32_e32 v132, v110, v102
	v_fmac_f32_e32 v132, v111, v103
	s_waitcnt lgkmcnt(2)
	s_delay_alu instid0(VALU_DEP_1) | instskip(SKIP_1) | instid1(VALU_DEP_1)
	v_fmac_f32_e32 v132, v112, v104
	s_waitcnt vmcnt(4)
	v_fmac_f32_e32 v132, v113, v105
	ds_load_2addr_b32 v[102:103], v2 offset0:81 offset1:82
	ds_load_2addr_b32 v[104:105], v2 offset0:83 offset1:84
	s_waitcnt lgkmcnt(3)
	v_fmac_f32_e32 v132, v114, v98
	s_delay_alu instid0(VALU_DEP_1) | instskip(SKIP_4) | instid1(VALU_DEP_1)
	v_fmac_f32_e32 v132, v115, v99
	ds_load_2addr_b32 v[98:99], v2 offset0:85 offset1:86
	s_waitcnt lgkmcnt(3)
	v_fmac_f32_e32 v132, v116, v100
	s_waitcnt vmcnt(3)
	v_fmac_f32_e32 v132, v117, v101
	ds_load_2addr_b32 v[100:101], v2 offset0:87 offset1:88
	s_waitcnt lgkmcnt(3)
	v_fmac_f32_e32 v132, v118, v102
	s_delay_alu instid0(VALU_DEP_1) | instskip(SKIP_1) | instid1(VALU_DEP_1)
	v_fmac_f32_e32 v132, v119, v103
	s_waitcnt lgkmcnt(2)
	v_fmac_f32_e32 v132, v120, v104
	s_waitcnt vmcnt(2)
	s_delay_alu instid0(VALU_DEP_1) | instskip(SKIP_4) | instid1(VALU_DEP_1)
	v_fmac_f32_e32 v132, v121, v105
	ds_load_2addr_b32 v[102:103], v2 offset0:89 offset1:90
	ds_load_2addr_b32 v[104:105], v2 offset0:91 offset1:92
	s_waitcnt lgkmcnt(3)
	v_fmac_f32_e32 v132, v122, v98
	v_fmac_f32_e32 v132, v123, v99
	ds_load_2addr_b32 v[98:99], v2 offset0:93 offset1:94
	s_waitcnt lgkmcnt(3)
	v_fmac_f32_e32 v132, v124, v100
	s_waitcnt vmcnt(1)
	s_delay_alu instid0(VALU_DEP_1) | instskip(SKIP_1) | instid1(VALU_DEP_1)
	v_fmac_f32_e32 v132, v125, v101
	s_waitcnt lgkmcnt(2)
	v_fmac_f32_e32 v132, v126, v102
	s_delay_alu instid0(VALU_DEP_1) | instskip(SKIP_1) | instid1(VALU_DEP_1)
	v_fmac_f32_e32 v132, v127, v103
	s_waitcnt lgkmcnt(1)
	v_fmac_f32_e32 v132, v128, v104
	s_waitcnt vmcnt(0)
	s_delay_alu instid0(VALU_DEP_1) | instskip(SKIP_1) | instid1(VALU_DEP_1)
	v_fmac_f32_e32 v132, v129, v105
	s_waitcnt lgkmcnt(0)
	v_fmac_f32_e32 v132, v130, v98
	s_delay_alu instid0(VALU_DEP_1) | instskip(NEXT) | instid1(VALU_DEP_1)
	v_fmac_f32_e32 v132, v131, v99
	v_sub_f32_e32 v2, v97, v132
	scratch_store_b32 off, v2, off offset:48
	v_cmpx_lt_u32_e32 11, v0
	s_cbranch_execz .LBB46_267
; %bb.266:
	scratch_load_b32 v2, off, off offset:44
	v_mov_b32_e32 v97, 0
	scratch_store_b32 off, v97, off offset:44
	s_waitcnt vmcnt(0)
	ds_store_b32 v1, v2
.LBB46_267:
	s_or_b32 exec_lo, exec_lo, s0
	s_waitcnt lgkmcnt(0)
	s_waitcnt_vscnt null, 0x0
	s_barrier
	buffer_gl0_inv
	s_clause 0x8
	scratch_load_b128 v[97:100], off, off offset:44
	scratch_load_b128 v[101:104], off, off offset:60
	;; [unrolled: 1-line block ×9, first 2 shown]
	v_mov_b32_e32 v2, 0
	ds_load_b128 v[133:136], v2 offset:240
	ds_load_b128 v[137:140], v2 offset:256
	s_mov_b32 s0, exec_lo
	s_waitcnt vmcnt(8) lgkmcnt(1)
	v_fma_f32 v133, v98, v133, 0
	s_delay_alu instid0(VALU_DEP_1) | instskip(NEXT) | instid1(VALU_DEP_1)
	v_fmac_f32_e32 v133, v99, v134
	v_fmac_f32_e32 v133, v100, v135
	s_waitcnt vmcnt(7)
	s_delay_alu instid0(VALU_DEP_1) | instskip(SKIP_3) | instid1(VALU_DEP_1)
	v_fmac_f32_e32 v133, v101, v136
	ds_load_b128 v[98:101], v2 offset:272
	s_waitcnt lgkmcnt(1)
	v_fmac_f32_e32 v133, v102, v137
	v_fmac_f32_e32 v133, v103, v138
	s_delay_alu instid0(VALU_DEP_1) | instskip(SKIP_1) | instid1(VALU_DEP_1)
	v_fmac_f32_e32 v133, v104, v139
	s_waitcnt vmcnt(6)
	v_fmac_f32_e32 v133, v105, v140
	ds_load_b128 v[102:105], v2 offset:288
	s_waitcnt lgkmcnt(1)
	v_fmac_f32_e32 v133, v106, v98
	s_delay_alu instid0(VALU_DEP_1) | instskip(NEXT) | instid1(VALU_DEP_1)
	v_fmac_f32_e32 v133, v107, v99
	v_fmac_f32_e32 v133, v108, v100
	s_waitcnt vmcnt(5)
	s_delay_alu instid0(VALU_DEP_1) | instskip(SKIP_3) | instid1(VALU_DEP_1)
	v_fmac_f32_e32 v133, v109, v101
	ds_load_b128 v[98:101], v2 offset:304
	s_waitcnt lgkmcnt(1)
	v_fmac_f32_e32 v133, v110, v102
	v_fmac_f32_e32 v133, v111, v103
	s_delay_alu instid0(VALU_DEP_1) | instskip(SKIP_1) | instid1(VALU_DEP_1)
	v_fmac_f32_e32 v133, v112, v104
	s_waitcnt vmcnt(4)
	v_fmac_f32_e32 v133, v113, v105
	ds_load_b128 v[102:105], v2 offset:320
	s_waitcnt lgkmcnt(1)
	v_fmac_f32_e32 v133, v114, v98
	;; [unrolled: 17-line block ×3, first 2 shown]
	s_delay_alu instid0(VALU_DEP_1) | instskip(NEXT) | instid1(VALU_DEP_1)
	v_fmac_f32_e32 v133, v123, v99
	v_fmac_f32_e32 v133, v124, v100
	ds_load_b96 v[98:100], v2 offset:368
	s_waitcnt vmcnt(1)
	v_fmac_f32_e32 v133, v125, v101
	s_waitcnt lgkmcnt(1)
	s_delay_alu instid0(VALU_DEP_1) | instskip(NEXT) | instid1(VALU_DEP_1)
	v_fmac_f32_e32 v133, v126, v102
	v_fmac_f32_e32 v133, v127, v103
	s_delay_alu instid0(VALU_DEP_1) | instskip(SKIP_1) | instid1(VALU_DEP_1)
	v_fmac_f32_e32 v133, v128, v104
	s_waitcnt vmcnt(0)
	v_fmac_f32_e32 v133, v129, v105
	s_waitcnt lgkmcnt(0)
	s_delay_alu instid0(VALU_DEP_1) | instskip(NEXT) | instid1(VALU_DEP_1)
	v_fmac_f32_e32 v133, v130, v98
	v_fmac_f32_e32 v133, v131, v99
	s_delay_alu instid0(VALU_DEP_1) | instskip(NEXT) | instid1(VALU_DEP_1)
	v_fmac_f32_e32 v133, v132, v100
	v_sub_f32_e32 v97, v97, v133
	scratch_store_b32 off, v97, off offset:44
	v_cmpx_lt_u32_e32 10, v0
	s_cbranch_execz .LBB46_269
; %bb.268:
	scratch_load_b32 v97, off, off offset:40
	scratch_store_b32 off, v2, off offset:40
	s_waitcnt vmcnt(0)
	ds_store_b32 v1, v97
.LBB46_269:
	s_or_b32 exec_lo, exec_lo, s0
	s_waitcnt lgkmcnt(0)
	s_waitcnt_vscnt null, 0x0
	s_barrier
	buffer_gl0_inv
	s_clause 0x9
	scratch_load_b128 v[97:100], off, off offset:40
	scratch_load_b128 v[101:104], off, off offset:56
	scratch_load_b128 v[105:108], off, off offset:72
	scratch_load_b128 v[109:112], off, off offset:88
	scratch_load_b128 v[113:116], off, off offset:104
	scratch_load_b128 v[117:120], off, off offset:120
	scratch_load_b128 v[121:124], off, off offset:136
	scratch_load_b128 v[125:128], off, off offset:152
	scratch_load_b128 v[129:132], off, off offset:168
	scratch_load_b32 v141, off, off offset:184
	ds_load_2addr_b32 v[133:134], v2 offset0:59 offset1:60
	ds_load_2addr_b32 v[135:136], v2 offset0:61 offset1:62
	ds_load_2addr_b32 v[137:138], v2 offset0:63 offset1:64
	ds_load_2addr_b32 v[139:140], v2 offset0:65 offset1:66
	s_mov_b32 s0, exec_lo
	s_waitcnt vmcnt(9) lgkmcnt(3)
	v_fma_f32 v133, v98, v133, 0
	s_delay_alu instid0(VALU_DEP_1) | instskip(SKIP_4) | instid1(VALU_DEP_1)
	v_fmac_f32_e32 v133, v99, v134
	ds_load_2addr_b32 v[98:99], v2 offset0:67 offset1:68
	s_waitcnt lgkmcnt(3)
	v_fmac_f32_e32 v133, v100, v135
	s_waitcnt vmcnt(8)
	v_fmac_f32_e32 v133, v101, v136
	ds_load_2addr_b32 v[100:101], v2 offset0:69 offset1:70
	s_waitcnt lgkmcnt(3)
	v_fmac_f32_e32 v133, v102, v137
	s_delay_alu instid0(VALU_DEP_1) | instskip(SKIP_1) | instid1(VALU_DEP_1)
	v_fmac_f32_e32 v133, v103, v138
	s_waitcnt lgkmcnt(2)
	v_fmac_f32_e32 v133, v104, v139
	s_waitcnt vmcnt(7)
	s_delay_alu instid0(VALU_DEP_1) | instskip(SKIP_4) | instid1(VALU_DEP_1)
	v_fmac_f32_e32 v133, v105, v140
	ds_load_2addr_b32 v[102:103], v2 offset0:71 offset1:72
	ds_load_2addr_b32 v[104:105], v2 offset0:73 offset1:74
	s_waitcnt lgkmcnt(3)
	v_fmac_f32_e32 v133, v106, v98
	v_fmac_f32_e32 v133, v107, v99
	ds_load_2addr_b32 v[98:99], v2 offset0:75 offset1:76
	s_waitcnt lgkmcnt(3)
	v_fmac_f32_e32 v133, v108, v100
	s_waitcnt vmcnt(6)
	s_delay_alu instid0(VALU_DEP_1) | instskip(SKIP_3) | instid1(VALU_DEP_1)
	v_fmac_f32_e32 v133, v109, v101
	ds_load_2addr_b32 v[100:101], v2 offset0:77 offset1:78
	s_waitcnt lgkmcnt(3)
	v_fmac_f32_e32 v133, v110, v102
	v_fmac_f32_e32 v133, v111, v103
	s_waitcnt lgkmcnt(2)
	s_delay_alu instid0(VALU_DEP_1) | instskip(SKIP_1) | instid1(VALU_DEP_1)
	v_fmac_f32_e32 v133, v112, v104
	s_waitcnt vmcnt(5)
	v_fmac_f32_e32 v133, v113, v105
	ds_load_2addr_b32 v[102:103], v2 offset0:79 offset1:80
	ds_load_2addr_b32 v[104:105], v2 offset0:81 offset1:82
	s_waitcnt lgkmcnt(3)
	v_fmac_f32_e32 v133, v114, v98
	s_delay_alu instid0(VALU_DEP_1) | instskip(SKIP_4) | instid1(VALU_DEP_1)
	v_fmac_f32_e32 v133, v115, v99
	ds_load_2addr_b32 v[98:99], v2 offset0:83 offset1:84
	s_waitcnt lgkmcnt(3)
	v_fmac_f32_e32 v133, v116, v100
	s_waitcnt vmcnt(4)
	v_fmac_f32_e32 v133, v117, v101
	ds_load_2addr_b32 v[100:101], v2 offset0:85 offset1:86
	s_waitcnt lgkmcnt(3)
	v_fmac_f32_e32 v133, v118, v102
	s_delay_alu instid0(VALU_DEP_1) | instskip(SKIP_1) | instid1(VALU_DEP_1)
	v_fmac_f32_e32 v133, v119, v103
	s_waitcnt lgkmcnt(2)
	v_fmac_f32_e32 v133, v120, v104
	s_waitcnt vmcnt(3)
	s_delay_alu instid0(VALU_DEP_1) | instskip(SKIP_4) | instid1(VALU_DEP_1)
	v_fmac_f32_e32 v133, v121, v105
	ds_load_2addr_b32 v[102:103], v2 offset0:87 offset1:88
	ds_load_2addr_b32 v[104:105], v2 offset0:89 offset1:90
	s_waitcnt lgkmcnt(3)
	v_fmac_f32_e32 v133, v122, v98
	v_fmac_f32_e32 v133, v123, v99
	ds_load_2addr_b32 v[98:99], v2 offset0:91 offset1:92
	s_waitcnt lgkmcnt(3)
	v_fmac_f32_e32 v133, v124, v100
	s_waitcnt vmcnt(2)
	s_delay_alu instid0(VALU_DEP_1) | instskip(SKIP_3) | instid1(VALU_DEP_1)
	v_fmac_f32_e32 v133, v125, v101
	ds_load_2addr_b32 v[100:101], v2 offset0:93 offset1:94
	s_waitcnt lgkmcnt(3)
	v_fmac_f32_e32 v133, v126, v102
	v_fmac_f32_e32 v133, v127, v103
	s_waitcnt lgkmcnt(2)
	s_delay_alu instid0(VALU_DEP_1) | instskip(SKIP_1) | instid1(VALU_DEP_1)
	v_fmac_f32_e32 v133, v128, v104
	s_waitcnt vmcnt(1)
	v_fmac_f32_e32 v133, v129, v105
	s_waitcnt lgkmcnt(1)
	s_delay_alu instid0(VALU_DEP_1) | instskip(NEXT) | instid1(VALU_DEP_1)
	v_fmac_f32_e32 v133, v130, v98
	v_fmac_f32_e32 v133, v131, v99
	s_waitcnt lgkmcnt(0)
	s_delay_alu instid0(VALU_DEP_1) | instskip(SKIP_1) | instid1(VALU_DEP_1)
	v_fmac_f32_e32 v133, v132, v100
	s_waitcnt vmcnt(0)
	v_fmac_f32_e32 v133, v141, v101
	s_delay_alu instid0(VALU_DEP_1)
	v_sub_f32_e32 v2, v97, v133
	scratch_store_b32 off, v2, off offset:40
	v_cmpx_lt_u32_e32 9, v0
	s_cbranch_execz .LBB46_271
; %bb.270:
	scratch_load_b32 v2, off, off offset:36
	v_mov_b32_e32 v97, 0
	scratch_store_b32 off, v97, off offset:36
	s_waitcnt vmcnt(0)
	ds_store_b32 v1, v2
.LBB46_271:
	s_or_b32 exec_lo, exec_lo, s0
	s_waitcnt lgkmcnt(0)
	s_waitcnt_vscnt null, 0x0
	s_barrier
	buffer_gl0_inv
	s_clause 0x9
	scratch_load_b128 v[97:100], off, off offset:36
	scratch_load_b128 v[101:104], off, off offset:52
	;; [unrolled: 1-line block ×9, first 2 shown]
	scratch_load_b64 v[141:142], off, off offset:180
	v_mov_b32_e32 v2, 0
	ds_load_2addr_b64 v[133:136], v2 offset0:29 offset1:30
	ds_load_2addr_b64 v[137:140], v2 offset0:31 offset1:32
	s_mov_b32 s0, exec_lo
	s_waitcnt vmcnt(9) lgkmcnt(1)
	v_fma_f32 v133, v98, v133, 0
	s_delay_alu instid0(VALU_DEP_1) | instskip(NEXT) | instid1(VALU_DEP_1)
	v_fmac_f32_e32 v133, v99, v134
	v_fmac_f32_e32 v133, v100, v135
	s_waitcnt vmcnt(8)
	s_delay_alu instid0(VALU_DEP_1) | instskip(SKIP_3) | instid1(VALU_DEP_1)
	v_fmac_f32_e32 v133, v101, v136
	ds_load_2addr_b64 v[98:101], v2 offset0:33 offset1:34
	s_waitcnt lgkmcnt(1)
	v_fmac_f32_e32 v133, v102, v137
	v_fmac_f32_e32 v133, v103, v138
	s_delay_alu instid0(VALU_DEP_1) | instskip(SKIP_1) | instid1(VALU_DEP_1)
	v_fmac_f32_e32 v133, v104, v139
	s_waitcnt vmcnt(7)
	v_fmac_f32_e32 v133, v105, v140
	ds_load_2addr_b64 v[102:105], v2 offset0:35 offset1:36
	s_waitcnt lgkmcnt(1)
	v_fmac_f32_e32 v133, v106, v98
	s_delay_alu instid0(VALU_DEP_1) | instskip(NEXT) | instid1(VALU_DEP_1)
	v_fmac_f32_e32 v133, v107, v99
	v_fmac_f32_e32 v133, v108, v100
	s_waitcnt vmcnt(6)
	s_delay_alu instid0(VALU_DEP_1) | instskip(SKIP_3) | instid1(VALU_DEP_1)
	v_fmac_f32_e32 v133, v109, v101
	ds_load_2addr_b64 v[98:101], v2 offset0:37 offset1:38
	s_waitcnt lgkmcnt(1)
	v_fmac_f32_e32 v133, v110, v102
	v_fmac_f32_e32 v133, v111, v103
	s_delay_alu instid0(VALU_DEP_1) | instskip(SKIP_1) | instid1(VALU_DEP_1)
	v_fmac_f32_e32 v133, v112, v104
	s_waitcnt vmcnt(5)
	v_fmac_f32_e32 v133, v113, v105
	ds_load_2addr_b64 v[102:105], v2 offset0:39 offset1:40
	s_waitcnt lgkmcnt(1)
	v_fmac_f32_e32 v133, v114, v98
	;; [unrolled: 17-line block ×3, first 2 shown]
	s_delay_alu instid0(VALU_DEP_1) | instskip(NEXT) | instid1(VALU_DEP_1)
	v_fmac_f32_e32 v133, v123, v99
	v_fmac_f32_e32 v133, v124, v100
	s_waitcnt vmcnt(2)
	s_delay_alu instid0(VALU_DEP_1)
	v_fmac_f32_e32 v133, v125, v101
	ds_load_2addr_b64 v[98:101], v2 offset0:45 offset1:46
	s_waitcnt lgkmcnt(1)
	v_fmac_f32_e32 v133, v126, v102
	ds_load_b32 v102, v2 offset:376
	v_fmac_f32_e32 v133, v127, v103
	s_delay_alu instid0(VALU_DEP_1) | instskip(SKIP_1) | instid1(VALU_DEP_1)
	v_fmac_f32_e32 v133, v128, v104
	s_waitcnt vmcnt(1)
	v_fmac_f32_e32 v133, v129, v105
	s_waitcnt lgkmcnt(1)
	s_delay_alu instid0(VALU_DEP_1) | instskip(NEXT) | instid1(VALU_DEP_1)
	v_fmac_f32_e32 v133, v130, v98
	v_fmac_f32_e32 v133, v131, v99
	s_delay_alu instid0(VALU_DEP_1) | instskip(SKIP_1) | instid1(VALU_DEP_1)
	v_fmac_f32_e32 v133, v132, v100
	s_waitcnt vmcnt(0)
	v_fmac_f32_e32 v133, v141, v101
	s_waitcnt lgkmcnt(0)
	s_delay_alu instid0(VALU_DEP_1) | instskip(NEXT) | instid1(VALU_DEP_1)
	v_fmac_f32_e32 v133, v142, v102
	v_sub_f32_e32 v97, v97, v133
	scratch_store_b32 off, v97, off offset:36
	v_cmpx_lt_u32_e32 8, v0
	s_cbranch_execz .LBB46_273
; %bb.272:
	scratch_load_b32 v97, off, off offset:32
	scratch_store_b32 off, v2, off offset:32
	s_waitcnt vmcnt(0)
	ds_store_b32 v1, v97
.LBB46_273:
	s_or_b32 exec_lo, exec_lo, s0
	s_waitcnt lgkmcnt(0)
	s_waitcnt_vscnt null, 0x0
	s_barrier
	buffer_gl0_inv
	s_clause 0x9
	scratch_load_b128 v[97:100], off, off offset:32
	scratch_load_b128 v[101:104], off, off offset:48
	scratch_load_b128 v[105:108], off, off offset:64
	scratch_load_b128 v[109:112], off, off offset:80
	scratch_load_b128 v[113:116], off, off offset:96
	scratch_load_b128 v[117:120], off, off offset:112
	scratch_load_b128 v[121:124], off, off offset:128
	scratch_load_b128 v[125:128], off, off offset:144
	scratch_load_b128 v[129:132], off, off offset:160
	scratch_load_b96 v[133:135], off, off offset:176
	ds_load_2addr_b32 v[136:137], v2 offset0:57 offset1:58
	ds_load_2addr_b32 v[138:139], v2 offset0:59 offset1:60
	;; [unrolled: 1-line block ×3, first 2 shown]
	s_mov_b32 s0, exec_lo
	s_waitcnt vmcnt(9) lgkmcnt(2)
	v_fma_f32 v136, v98, v136, 0
	s_delay_alu instid0(VALU_DEP_1) | instskip(SKIP_4) | instid1(VALU_DEP_1)
	v_fmac_f32_e32 v136, v99, v137
	ds_load_2addr_b32 v[98:99], v2 offset0:63 offset1:64
	s_waitcnt lgkmcnt(2)
	v_fmac_f32_e32 v136, v100, v138
	s_waitcnt vmcnt(8)
	v_fmac_f32_e32 v136, v101, v139
	ds_load_2addr_b32 v[100:101], v2 offset0:65 offset1:66
	s_waitcnt lgkmcnt(2)
	v_fmac_f32_e32 v136, v102, v140
	s_delay_alu instid0(VALU_DEP_1) | instskip(SKIP_4) | instid1(VALU_DEP_1)
	v_fmac_f32_e32 v136, v103, v141
	ds_load_2addr_b32 v[102:103], v2 offset0:67 offset1:68
	s_waitcnt lgkmcnt(2)
	v_fmac_f32_e32 v136, v104, v98
	s_waitcnt vmcnt(7)
	v_fmac_f32_e32 v136, v105, v99
	ds_load_2addr_b32 v[98:99], v2 offset0:69 offset1:70
	s_waitcnt lgkmcnt(2)
	v_fmac_f32_e32 v136, v106, v100
	;; [unrolled: 10-line block ×8, first 2 shown]
	s_delay_alu instid0(VALU_DEP_1) | instskip(SKIP_1) | instid1(VALU_DEP_1)
	v_fmac_f32_e32 v136, v131, v101
	s_waitcnt lgkmcnt(1)
	v_fmac_f32_e32 v136, v132, v102
	s_waitcnt vmcnt(0)
	s_delay_alu instid0(VALU_DEP_1) | instskip(SKIP_1) | instid1(VALU_DEP_1)
	v_fmac_f32_e32 v136, v133, v103
	s_waitcnt lgkmcnt(0)
	v_fmac_f32_e32 v136, v134, v98
	s_delay_alu instid0(VALU_DEP_1) | instskip(NEXT) | instid1(VALU_DEP_1)
	v_fmac_f32_e32 v136, v135, v99
	v_sub_f32_e32 v2, v97, v136
	scratch_store_b32 off, v2, off offset:32
	v_cmpx_lt_u32_e32 7, v0
	s_cbranch_execz .LBB46_275
; %bb.274:
	scratch_load_b32 v2, off, off offset:28
	v_mov_b32_e32 v97, 0
	scratch_store_b32 off, v97, off offset:28
	s_waitcnt vmcnt(0)
	ds_store_b32 v1, v2
.LBB46_275:
	s_or_b32 exec_lo, exec_lo, s0
	s_waitcnt lgkmcnt(0)
	s_waitcnt_vscnt null, 0x0
	s_barrier
	buffer_gl0_inv
	s_clause 0x9
	scratch_load_b128 v[97:100], off, off offset:28
	scratch_load_b128 v[101:104], off, off offset:44
	scratch_load_b128 v[105:108], off, off offset:60
	scratch_load_b128 v[109:112], off, off offset:76
	scratch_load_b128 v[113:116], off, off offset:92
	scratch_load_b128 v[117:120], off, off offset:108
	scratch_load_b128 v[121:124], off, off offset:124
	scratch_load_b128 v[125:128], off, off offset:140
	scratch_load_b128 v[129:132], off, off offset:156
	scratch_load_b128 v[133:136], off, off offset:172
	v_mov_b32_e32 v2, 0
	ds_load_b128 v[137:140], v2 offset:224
	ds_load_b128 v[141:144], v2 offset:240
	s_mov_b32 s0, exec_lo
	s_waitcnt vmcnt(9) lgkmcnt(1)
	v_fma_f32 v137, v98, v137, 0
	s_delay_alu instid0(VALU_DEP_1) | instskip(NEXT) | instid1(VALU_DEP_1)
	v_fmac_f32_e32 v137, v99, v138
	v_fmac_f32_e32 v137, v100, v139
	s_waitcnt vmcnt(8)
	s_delay_alu instid0(VALU_DEP_1) | instskip(SKIP_3) | instid1(VALU_DEP_1)
	v_fmac_f32_e32 v137, v101, v140
	ds_load_b128 v[98:101], v2 offset:256
	s_waitcnt lgkmcnt(1)
	v_fmac_f32_e32 v137, v102, v141
	v_fmac_f32_e32 v137, v103, v142
	s_delay_alu instid0(VALU_DEP_1) | instskip(SKIP_1) | instid1(VALU_DEP_1)
	v_fmac_f32_e32 v137, v104, v143
	s_waitcnt vmcnt(7)
	v_fmac_f32_e32 v137, v105, v144
	ds_load_b128 v[102:105], v2 offset:272
	s_waitcnt lgkmcnt(1)
	v_fmac_f32_e32 v137, v106, v98
	s_delay_alu instid0(VALU_DEP_1) | instskip(NEXT) | instid1(VALU_DEP_1)
	v_fmac_f32_e32 v137, v107, v99
	v_fmac_f32_e32 v137, v108, v100
	s_waitcnt vmcnt(6)
	s_delay_alu instid0(VALU_DEP_1) | instskip(SKIP_3) | instid1(VALU_DEP_1)
	v_fmac_f32_e32 v137, v109, v101
	ds_load_b128 v[98:101], v2 offset:288
	s_waitcnt lgkmcnt(1)
	v_fmac_f32_e32 v137, v110, v102
	v_fmac_f32_e32 v137, v111, v103
	s_delay_alu instid0(VALU_DEP_1) | instskip(SKIP_1) | instid1(VALU_DEP_1)
	v_fmac_f32_e32 v137, v112, v104
	s_waitcnt vmcnt(5)
	v_fmac_f32_e32 v137, v113, v105
	ds_load_b128 v[102:105], v2 offset:304
	s_waitcnt lgkmcnt(1)
	v_fmac_f32_e32 v137, v114, v98
	;; [unrolled: 17-line block ×3, first 2 shown]
	s_delay_alu instid0(VALU_DEP_1) | instskip(NEXT) | instid1(VALU_DEP_1)
	v_fmac_f32_e32 v137, v123, v99
	v_fmac_f32_e32 v137, v124, v100
	s_waitcnt vmcnt(2)
	s_delay_alu instid0(VALU_DEP_1) | instskip(SKIP_3) | instid1(VALU_DEP_1)
	v_fmac_f32_e32 v137, v125, v101
	ds_load_b128 v[98:101], v2 offset:352
	s_waitcnt lgkmcnt(1)
	v_fmac_f32_e32 v137, v126, v102
	v_fmac_f32_e32 v137, v127, v103
	s_delay_alu instid0(VALU_DEP_1) | instskip(SKIP_4) | instid1(VALU_DEP_1)
	v_fmac_f32_e32 v137, v128, v104
	ds_load_b96 v[102:104], v2 offset:368
	s_waitcnt vmcnt(1)
	v_fmac_f32_e32 v137, v129, v105
	s_waitcnt lgkmcnt(1)
	v_fmac_f32_e32 v137, v130, v98
	s_delay_alu instid0(VALU_DEP_1) | instskip(NEXT) | instid1(VALU_DEP_1)
	v_fmac_f32_e32 v137, v131, v99
	v_fmac_f32_e32 v137, v132, v100
	s_waitcnt vmcnt(0)
	s_delay_alu instid0(VALU_DEP_1) | instskip(SKIP_1) | instid1(VALU_DEP_1)
	v_fmac_f32_e32 v137, v133, v101
	s_waitcnt lgkmcnt(0)
	v_fmac_f32_e32 v137, v134, v102
	s_delay_alu instid0(VALU_DEP_1) | instskip(NEXT) | instid1(VALU_DEP_1)
	v_fmac_f32_e32 v137, v135, v103
	v_fmac_f32_e32 v137, v136, v104
	s_delay_alu instid0(VALU_DEP_1)
	v_sub_f32_e32 v97, v97, v137
	scratch_store_b32 off, v97, off offset:28
	v_cmpx_lt_u32_e32 6, v0
	s_cbranch_execz .LBB46_277
; %bb.276:
	scratch_load_b32 v97, off, off offset:24
	scratch_store_b32 off, v2, off offset:24
	s_waitcnt vmcnt(0)
	ds_store_b32 v1, v97
.LBB46_277:
	s_or_b32 exec_lo, exec_lo, s0
	s_waitcnt lgkmcnt(0)
	s_waitcnt_vscnt null, 0x0
	s_barrier
	buffer_gl0_inv
	s_clause 0xa
	scratch_load_b128 v[97:100], off, off offset:24
	scratch_load_b128 v[101:104], off, off offset:40
	;; [unrolled: 1-line block ×10, first 2 shown]
	scratch_load_b32 v145, off, off offset:184
	ds_load_2addr_b32 v[137:138], v2 offset0:55 offset1:56
	ds_load_2addr_b32 v[139:140], v2 offset0:57 offset1:58
	;; [unrolled: 1-line block ×4, first 2 shown]
	s_mov_b32 s0, exec_lo
	s_waitcnt vmcnt(10) lgkmcnt(3)
	v_fma_f32 v137, v98, v137, 0
	s_delay_alu instid0(VALU_DEP_1) | instskip(SKIP_4) | instid1(VALU_DEP_1)
	v_fmac_f32_e32 v137, v99, v138
	ds_load_2addr_b32 v[98:99], v2 offset0:63 offset1:64
	s_waitcnt lgkmcnt(3)
	v_fmac_f32_e32 v137, v100, v139
	s_waitcnt vmcnt(9)
	v_fmac_f32_e32 v137, v101, v140
	ds_load_2addr_b32 v[100:101], v2 offset0:65 offset1:66
	s_waitcnt lgkmcnt(3)
	v_fmac_f32_e32 v137, v102, v141
	s_delay_alu instid0(VALU_DEP_1) | instskip(SKIP_1) | instid1(VALU_DEP_1)
	v_fmac_f32_e32 v137, v103, v142
	s_waitcnt lgkmcnt(2)
	v_fmac_f32_e32 v137, v104, v143
	s_waitcnt vmcnt(8)
	s_delay_alu instid0(VALU_DEP_1) | instskip(SKIP_4) | instid1(VALU_DEP_1)
	v_fmac_f32_e32 v137, v105, v144
	ds_load_2addr_b32 v[102:103], v2 offset0:67 offset1:68
	ds_load_2addr_b32 v[104:105], v2 offset0:69 offset1:70
	s_waitcnt lgkmcnt(3)
	v_fmac_f32_e32 v137, v106, v98
	v_fmac_f32_e32 v137, v107, v99
	ds_load_2addr_b32 v[98:99], v2 offset0:71 offset1:72
	s_waitcnt lgkmcnt(3)
	v_fmac_f32_e32 v137, v108, v100
	s_waitcnt vmcnt(7)
	s_delay_alu instid0(VALU_DEP_1) | instskip(SKIP_3) | instid1(VALU_DEP_1)
	v_fmac_f32_e32 v137, v109, v101
	ds_load_2addr_b32 v[100:101], v2 offset0:73 offset1:74
	s_waitcnt lgkmcnt(3)
	v_fmac_f32_e32 v137, v110, v102
	v_fmac_f32_e32 v137, v111, v103
	s_waitcnt lgkmcnt(2)
	s_delay_alu instid0(VALU_DEP_1) | instskip(SKIP_1) | instid1(VALU_DEP_1)
	v_fmac_f32_e32 v137, v112, v104
	s_waitcnt vmcnt(6)
	v_fmac_f32_e32 v137, v113, v105
	ds_load_2addr_b32 v[102:103], v2 offset0:75 offset1:76
	ds_load_2addr_b32 v[104:105], v2 offset0:77 offset1:78
	s_waitcnt lgkmcnt(3)
	v_fmac_f32_e32 v137, v114, v98
	s_delay_alu instid0(VALU_DEP_1) | instskip(SKIP_4) | instid1(VALU_DEP_1)
	v_fmac_f32_e32 v137, v115, v99
	ds_load_2addr_b32 v[98:99], v2 offset0:79 offset1:80
	s_waitcnt lgkmcnt(3)
	v_fmac_f32_e32 v137, v116, v100
	s_waitcnt vmcnt(5)
	v_fmac_f32_e32 v137, v117, v101
	ds_load_2addr_b32 v[100:101], v2 offset0:81 offset1:82
	s_waitcnt lgkmcnt(3)
	v_fmac_f32_e32 v137, v118, v102
	s_delay_alu instid0(VALU_DEP_1) | instskip(SKIP_1) | instid1(VALU_DEP_1)
	v_fmac_f32_e32 v137, v119, v103
	s_waitcnt lgkmcnt(2)
	v_fmac_f32_e32 v137, v120, v104
	s_waitcnt vmcnt(4)
	s_delay_alu instid0(VALU_DEP_1) | instskip(SKIP_4) | instid1(VALU_DEP_1)
	v_fmac_f32_e32 v137, v121, v105
	ds_load_2addr_b32 v[102:103], v2 offset0:83 offset1:84
	ds_load_2addr_b32 v[104:105], v2 offset0:85 offset1:86
	s_waitcnt lgkmcnt(3)
	v_fmac_f32_e32 v137, v122, v98
	v_fmac_f32_e32 v137, v123, v99
	ds_load_2addr_b32 v[98:99], v2 offset0:87 offset1:88
	s_waitcnt lgkmcnt(3)
	v_fmac_f32_e32 v137, v124, v100
	s_waitcnt vmcnt(3)
	s_delay_alu instid0(VALU_DEP_1) | instskip(SKIP_3) | instid1(VALU_DEP_1)
	v_fmac_f32_e32 v137, v125, v101
	ds_load_2addr_b32 v[100:101], v2 offset0:89 offset1:90
	s_waitcnt lgkmcnt(3)
	v_fmac_f32_e32 v137, v126, v102
	v_fmac_f32_e32 v137, v127, v103
	s_waitcnt lgkmcnt(2)
	s_delay_alu instid0(VALU_DEP_1) | instskip(SKIP_1) | instid1(VALU_DEP_1)
	v_fmac_f32_e32 v137, v128, v104
	s_waitcnt vmcnt(2)
	v_fmac_f32_e32 v137, v129, v105
	ds_load_2addr_b32 v[102:103], v2 offset0:91 offset1:92
	ds_load_2addr_b32 v[104:105], v2 offset0:93 offset1:94
	s_waitcnt lgkmcnt(3)
	v_fmac_f32_e32 v137, v130, v98
	s_delay_alu instid0(VALU_DEP_1) | instskip(SKIP_1) | instid1(VALU_DEP_1)
	v_fmac_f32_e32 v137, v131, v99
	s_waitcnt lgkmcnt(2)
	v_fmac_f32_e32 v137, v132, v100
	s_waitcnt vmcnt(1)
	s_delay_alu instid0(VALU_DEP_1) | instskip(SKIP_1) | instid1(VALU_DEP_1)
	v_fmac_f32_e32 v137, v133, v101
	s_waitcnt lgkmcnt(1)
	v_fmac_f32_e32 v137, v134, v102
	s_delay_alu instid0(VALU_DEP_1) | instskip(SKIP_1) | instid1(VALU_DEP_1)
	v_fmac_f32_e32 v137, v135, v103
	s_waitcnt lgkmcnt(0)
	v_fmac_f32_e32 v137, v136, v104
	s_waitcnt vmcnt(0)
	s_delay_alu instid0(VALU_DEP_1) | instskip(NEXT) | instid1(VALU_DEP_1)
	v_fmac_f32_e32 v137, v145, v105
	v_sub_f32_e32 v2, v97, v137
	scratch_store_b32 off, v2, off offset:24
	v_cmpx_lt_u32_e32 5, v0
	s_cbranch_execz .LBB46_279
; %bb.278:
	scratch_load_b32 v2, off, off offset:20
	v_mov_b32_e32 v97, 0
	scratch_store_b32 off, v97, off offset:20
	s_waitcnt vmcnt(0)
	ds_store_b32 v1, v2
.LBB46_279:
	s_or_b32 exec_lo, exec_lo, s0
	s_waitcnt lgkmcnt(0)
	s_waitcnt_vscnt null, 0x0
	s_barrier
	buffer_gl0_inv
	s_clause 0xa
	scratch_load_b128 v[97:100], off, off offset:20
	scratch_load_b128 v[101:104], off, off offset:36
	;; [unrolled: 1-line block ×10, first 2 shown]
	scratch_load_b64 v[145:146], off, off offset:180
	v_mov_b32_e32 v2, 0
	ds_load_2addr_b64 v[137:140], v2 offset0:27 offset1:28
	ds_load_2addr_b64 v[141:144], v2 offset0:29 offset1:30
	s_mov_b32 s0, exec_lo
	s_waitcnt vmcnt(10) lgkmcnt(1)
	v_fma_f32 v137, v98, v137, 0
	s_delay_alu instid0(VALU_DEP_1) | instskip(NEXT) | instid1(VALU_DEP_1)
	v_fmac_f32_e32 v137, v99, v138
	v_fmac_f32_e32 v137, v100, v139
	s_waitcnt vmcnt(9)
	s_delay_alu instid0(VALU_DEP_1) | instskip(SKIP_3) | instid1(VALU_DEP_1)
	v_fmac_f32_e32 v137, v101, v140
	ds_load_2addr_b64 v[98:101], v2 offset0:31 offset1:32
	s_waitcnt lgkmcnt(1)
	v_fmac_f32_e32 v137, v102, v141
	v_fmac_f32_e32 v137, v103, v142
	s_delay_alu instid0(VALU_DEP_1) | instskip(SKIP_1) | instid1(VALU_DEP_1)
	v_fmac_f32_e32 v137, v104, v143
	s_waitcnt vmcnt(8)
	v_fmac_f32_e32 v137, v105, v144
	ds_load_2addr_b64 v[102:105], v2 offset0:33 offset1:34
	s_waitcnt lgkmcnt(1)
	v_fmac_f32_e32 v137, v106, v98
	s_delay_alu instid0(VALU_DEP_1) | instskip(NEXT) | instid1(VALU_DEP_1)
	v_fmac_f32_e32 v137, v107, v99
	v_fmac_f32_e32 v137, v108, v100
	s_waitcnt vmcnt(7)
	s_delay_alu instid0(VALU_DEP_1) | instskip(SKIP_3) | instid1(VALU_DEP_1)
	v_fmac_f32_e32 v137, v109, v101
	ds_load_2addr_b64 v[98:101], v2 offset0:35 offset1:36
	s_waitcnt lgkmcnt(1)
	v_fmac_f32_e32 v137, v110, v102
	v_fmac_f32_e32 v137, v111, v103
	s_delay_alu instid0(VALU_DEP_1) | instskip(SKIP_1) | instid1(VALU_DEP_1)
	v_fmac_f32_e32 v137, v112, v104
	s_waitcnt vmcnt(6)
	v_fmac_f32_e32 v137, v113, v105
	ds_load_2addr_b64 v[102:105], v2 offset0:37 offset1:38
	s_waitcnt lgkmcnt(1)
	v_fmac_f32_e32 v137, v114, v98
	;; [unrolled: 17-line block ×4, first 2 shown]
	ds_load_b32 v98, v2 offset:376
	v_fmac_f32_e32 v137, v131, v99
	s_delay_alu instid0(VALU_DEP_1) | instskip(SKIP_1) | instid1(VALU_DEP_1)
	v_fmac_f32_e32 v137, v132, v100
	s_waitcnt vmcnt(1)
	v_fmac_f32_e32 v137, v133, v101
	s_waitcnt lgkmcnt(1)
	s_delay_alu instid0(VALU_DEP_1) | instskip(NEXT) | instid1(VALU_DEP_1)
	v_fmac_f32_e32 v137, v134, v102
	v_fmac_f32_e32 v137, v135, v103
	s_delay_alu instid0(VALU_DEP_1) | instskip(SKIP_1) | instid1(VALU_DEP_1)
	v_fmac_f32_e32 v137, v136, v104
	s_waitcnt vmcnt(0)
	v_fmac_f32_e32 v137, v145, v105
	s_waitcnt lgkmcnt(0)
	s_delay_alu instid0(VALU_DEP_1) | instskip(NEXT) | instid1(VALU_DEP_1)
	v_fmac_f32_e32 v137, v146, v98
	v_sub_f32_e32 v97, v97, v137
	scratch_store_b32 off, v97, off offset:20
	v_cmpx_lt_u32_e32 4, v0
	s_cbranch_execz .LBB46_281
; %bb.280:
	scratch_load_b32 v97, off, off offset:16
	scratch_store_b32 off, v2, off offset:16
	s_waitcnt vmcnt(0)
	ds_store_b32 v1, v97
.LBB46_281:
	s_or_b32 exec_lo, exec_lo, s0
	s_waitcnt lgkmcnt(0)
	s_waitcnt_vscnt null, 0x0
	s_barrier
	buffer_gl0_inv
	s_clause 0xa
	scratch_load_b128 v[97:100], off, off offset:16
	scratch_load_b128 v[101:104], off, off offset:32
	;; [unrolled: 1-line block ×10, first 2 shown]
	scratch_load_b96 v[137:139], off, off offset:176
	ds_load_2addr_b32 v[140:141], v2 offset0:53 offset1:54
	ds_load_2addr_b32 v[142:143], v2 offset0:55 offset1:56
	;; [unrolled: 1-line block ×4, first 2 shown]
	s_mov_b32 s0, exec_lo
	s_waitcnt vmcnt(10) lgkmcnt(3)
	v_fma_f32 v140, v98, v140, 0
	s_delay_alu instid0(VALU_DEP_1) | instskip(SKIP_4) | instid1(VALU_DEP_1)
	v_fmac_f32_e32 v140, v99, v141
	ds_load_2addr_b32 v[98:99], v2 offset0:61 offset1:62
	s_waitcnt lgkmcnt(3)
	v_fmac_f32_e32 v140, v100, v142
	s_waitcnt vmcnt(9)
	v_fmac_f32_e32 v140, v101, v143
	ds_load_2addr_b32 v[100:101], v2 offset0:63 offset1:64
	s_waitcnt lgkmcnt(3)
	v_fmac_f32_e32 v140, v102, v144
	s_delay_alu instid0(VALU_DEP_1) | instskip(SKIP_1) | instid1(VALU_DEP_1)
	v_fmac_f32_e32 v140, v103, v145
	s_waitcnt lgkmcnt(2)
	v_fmac_f32_e32 v140, v104, v146
	s_waitcnt vmcnt(8)
	s_delay_alu instid0(VALU_DEP_1) | instskip(SKIP_4) | instid1(VALU_DEP_1)
	v_fmac_f32_e32 v140, v105, v147
	ds_load_2addr_b32 v[102:103], v2 offset0:65 offset1:66
	ds_load_2addr_b32 v[104:105], v2 offset0:67 offset1:68
	s_waitcnt lgkmcnt(3)
	v_fmac_f32_e32 v140, v106, v98
	v_fmac_f32_e32 v140, v107, v99
	ds_load_2addr_b32 v[98:99], v2 offset0:69 offset1:70
	s_waitcnt lgkmcnt(3)
	v_fmac_f32_e32 v140, v108, v100
	s_waitcnt vmcnt(7)
	s_delay_alu instid0(VALU_DEP_1) | instskip(SKIP_3) | instid1(VALU_DEP_1)
	v_fmac_f32_e32 v140, v109, v101
	ds_load_2addr_b32 v[100:101], v2 offset0:71 offset1:72
	s_waitcnt lgkmcnt(3)
	v_fmac_f32_e32 v140, v110, v102
	v_fmac_f32_e32 v140, v111, v103
	s_waitcnt lgkmcnt(2)
	s_delay_alu instid0(VALU_DEP_1) | instskip(SKIP_1) | instid1(VALU_DEP_1)
	v_fmac_f32_e32 v140, v112, v104
	s_waitcnt vmcnt(6)
	v_fmac_f32_e32 v140, v113, v105
	ds_load_2addr_b32 v[102:103], v2 offset0:73 offset1:74
	ds_load_2addr_b32 v[104:105], v2 offset0:75 offset1:76
	s_waitcnt lgkmcnt(3)
	v_fmac_f32_e32 v140, v114, v98
	s_delay_alu instid0(VALU_DEP_1) | instskip(SKIP_4) | instid1(VALU_DEP_1)
	v_fmac_f32_e32 v140, v115, v99
	ds_load_2addr_b32 v[98:99], v2 offset0:77 offset1:78
	s_waitcnt lgkmcnt(3)
	v_fmac_f32_e32 v140, v116, v100
	s_waitcnt vmcnt(5)
	v_fmac_f32_e32 v140, v117, v101
	ds_load_2addr_b32 v[100:101], v2 offset0:79 offset1:80
	s_waitcnt lgkmcnt(3)
	v_fmac_f32_e32 v140, v118, v102
	s_delay_alu instid0(VALU_DEP_1) | instskip(SKIP_1) | instid1(VALU_DEP_1)
	v_fmac_f32_e32 v140, v119, v103
	s_waitcnt lgkmcnt(2)
	v_fmac_f32_e32 v140, v120, v104
	s_waitcnt vmcnt(4)
	s_delay_alu instid0(VALU_DEP_1) | instskip(SKIP_4) | instid1(VALU_DEP_1)
	v_fmac_f32_e32 v140, v121, v105
	ds_load_2addr_b32 v[102:103], v2 offset0:81 offset1:82
	ds_load_2addr_b32 v[104:105], v2 offset0:83 offset1:84
	s_waitcnt lgkmcnt(3)
	v_fmac_f32_e32 v140, v122, v98
	v_fmac_f32_e32 v140, v123, v99
	ds_load_2addr_b32 v[98:99], v2 offset0:85 offset1:86
	s_waitcnt lgkmcnt(3)
	v_fmac_f32_e32 v140, v124, v100
	s_waitcnt vmcnt(3)
	s_delay_alu instid0(VALU_DEP_1) | instskip(SKIP_3) | instid1(VALU_DEP_1)
	v_fmac_f32_e32 v140, v125, v101
	ds_load_2addr_b32 v[100:101], v2 offset0:87 offset1:88
	s_waitcnt lgkmcnt(3)
	v_fmac_f32_e32 v140, v126, v102
	v_fmac_f32_e32 v140, v127, v103
	s_waitcnt lgkmcnt(2)
	s_delay_alu instid0(VALU_DEP_1) | instskip(SKIP_1) | instid1(VALU_DEP_1)
	v_fmac_f32_e32 v140, v128, v104
	s_waitcnt vmcnt(2)
	v_fmac_f32_e32 v140, v129, v105
	ds_load_2addr_b32 v[102:103], v2 offset0:89 offset1:90
	ds_load_2addr_b32 v[104:105], v2 offset0:91 offset1:92
	s_waitcnt lgkmcnt(3)
	v_fmac_f32_e32 v140, v130, v98
	s_delay_alu instid0(VALU_DEP_1) | instskip(SKIP_4) | instid1(VALU_DEP_1)
	v_fmac_f32_e32 v140, v131, v99
	ds_load_2addr_b32 v[98:99], v2 offset0:93 offset1:94
	s_waitcnt lgkmcnt(3)
	v_fmac_f32_e32 v140, v132, v100
	s_waitcnt vmcnt(1)
	v_fmac_f32_e32 v140, v133, v101
	s_waitcnt lgkmcnt(2)
	s_delay_alu instid0(VALU_DEP_1) | instskip(NEXT) | instid1(VALU_DEP_1)
	v_fmac_f32_e32 v140, v134, v102
	v_fmac_f32_e32 v140, v135, v103
	s_waitcnt lgkmcnt(1)
	s_delay_alu instid0(VALU_DEP_1) | instskip(SKIP_1) | instid1(VALU_DEP_1)
	v_fmac_f32_e32 v140, v136, v104
	s_waitcnt vmcnt(0)
	v_fmac_f32_e32 v140, v137, v105
	s_waitcnt lgkmcnt(0)
	s_delay_alu instid0(VALU_DEP_1) | instskip(NEXT) | instid1(VALU_DEP_1)
	v_fmac_f32_e32 v140, v138, v98
	v_fmac_f32_e32 v140, v139, v99
	s_delay_alu instid0(VALU_DEP_1)
	v_sub_f32_e32 v2, v97, v140
	scratch_store_b32 off, v2, off offset:16
	v_cmpx_lt_u32_e32 3, v0
	s_cbranch_execz .LBB46_283
; %bb.282:
	scratch_load_b32 v2, off, off offset:12
	v_mov_b32_e32 v97, 0
	scratch_store_b32 off, v97, off offset:12
	s_waitcnt vmcnt(0)
	ds_store_b32 v1, v2
.LBB46_283:
	s_or_b32 exec_lo, exec_lo, s0
	s_waitcnt lgkmcnt(0)
	s_waitcnt_vscnt null, 0x0
	s_barrier
	buffer_gl0_inv
	s_clause 0xa
	scratch_load_b128 v[97:100], off, off offset:12
	scratch_load_b128 v[101:104], off, off offset:28
	scratch_load_b128 v[105:108], off, off offset:44
	scratch_load_b128 v[109:112], off, off offset:60
	scratch_load_b128 v[113:116], off, off offset:76
	scratch_load_b128 v[117:120], off, off offset:92
	scratch_load_b128 v[121:124], off, off offset:108
	scratch_load_b128 v[125:128], off, off offset:124
	scratch_load_b128 v[129:132], off, off offset:140
	scratch_load_b128 v[133:136], off, off offset:156
	scratch_load_b128 v[137:140], off, off offset:172
	v_mov_b32_e32 v2, 0
	ds_load_b128 v[141:144], v2 offset:208
	ds_load_b128 v[145:148], v2 offset:224
	s_mov_b32 s0, exec_lo
	s_waitcnt vmcnt(10) lgkmcnt(1)
	v_fma_f32 v141, v98, v141, 0
	s_delay_alu instid0(VALU_DEP_1) | instskip(NEXT) | instid1(VALU_DEP_1)
	v_fmac_f32_e32 v141, v99, v142
	v_fmac_f32_e32 v141, v100, v143
	s_waitcnt vmcnt(9)
	s_delay_alu instid0(VALU_DEP_1) | instskip(SKIP_3) | instid1(VALU_DEP_1)
	v_fmac_f32_e32 v141, v101, v144
	ds_load_b128 v[98:101], v2 offset:240
	s_waitcnt lgkmcnt(1)
	v_fmac_f32_e32 v141, v102, v145
	v_fmac_f32_e32 v141, v103, v146
	s_delay_alu instid0(VALU_DEP_1) | instskip(SKIP_1) | instid1(VALU_DEP_1)
	v_fmac_f32_e32 v141, v104, v147
	s_waitcnt vmcnt(8)
	v_fmac_f32_e32 v141, v105, v148
	ds_load_b128 v[102:105], v2 offset:256
	s_waitcnt lgkmcnt(1)
	v_fmac_f32_e32 v141, v106, v98
	s_delay_alu instid0(VALU_DEP_1) | instskip(NEXT) | instid1(VALU_DEP_1)
	v_fmac_f32_e32 v141, v107, v99
	v_fmac_f32_e32 v141, v108, v100
	s_waitcnt vmcnt(7)
	s_delay_alu instid0(VALU_DEP_1) | instskip(SKIP_3) | instid1(VALU_DEP_1)
	v_fmac_f32_e32 v141, v109, v101
	ds_load_b128 v[98:101], v2 offset:272
	s_waitcnt lgkmcnt(1)
	v_fmac_f32_e32 v141, v110, v102
	v_fmac_f32_e32 v141, v111, v103
	s_delay_alu instid0(VALU_DEP_1) | instskip(SKIP_1) | instid1(VALU_DEP_1)
	v_fmac_f32_e32 v141, v112, v104
	s_waitcnt vmcnt(6)
	v_fmac_f32_e32 v141, v113, v105
	ds_load_b128 v[102:105], v2 offset:288
	s_waitcnt lgkmcnt(1)
	v_fmac_f32_e32 v141, v114, v98
	;; [unrolled: 17-line block ×4, first 2 shown]
	s_delay_alu instid0(VALU_DEP_1) | instskip(NEXT) | instid1(VALU_DEP_1)
	v_fmac_f32_e32 v141, v131, v99
	v_fmac_f32_e32 v141, v132, v100
	ds_load_b96 v[98:100], v2 offset:368
	s_waitcnt vmcnt(1)
	v_fmac_f32_e32 v141, v133, v101
	s_waitcnt lgkmcnt(1)
	s_delay_alu instid0(VALU_DEP_1) | instskip(NEXT) | instid1(VALU_DEP_1)
	v_fmac_f32_e32 v141, v134, v102
	v_fmac_f32_e32 v141, v135, v103
	s_delay_alu instid0(VALU_DEP_1) | instskip(SKIP_1) | instid1(VALU_DEP_1)
	v_fmac_f32_e32 v141, v136, v104
	s_waitcnt vmcnt(0)
	v_fmac_f32_e32 v141, v137, v105
	s_waitcnt lgkmcnt(0)
	s_delay_alu instid0(VALU_DEP_1) | instskip(NEXT) | instid1(VALU_DEP_1)
	v_fmac_f32_e32 v141, v138, v98
	v_fmac_f32_e32 v141, v139, v99
	s_delay_alu instid0(VALU_DEP_1) | instskip(NEXT) | instid1(VALU_DEP_1)
	v_fmac_f32_e32 v141, v140, v100
	v_sub_f32_e32 v97, v97, v141
	scratch_store_b32 off, v97, off offset:12
	v_cmpx_lt_u32_e32 2, v0
	s_cbranch_execz .LBB46_285
; %bb.284:
	scratch_load_b32 v97, off, off offset:8
	scratch_store_b32 off, v2, off offset:8
	s_waitcnt vmcnt(0)
	ds_store_b32 v1, v97
.LBB46_285:
	s_or_b32 exec_lo, exec_lo, s0
	s_waitcnt lgkmcnt(0)
	s_waitcnt_vscnt null, 0x0
	s_barrier
	buffer_gl0_inv
	s_clause 0xb
	scratch_load_b128 v[97:100], off, off offset:8
	scratch_load_b128 v[101:104], off, off offset:24
	;; [unrolled: 1-line block ×11, first 2 shown]
	scratch_load_b32 v149, off, off offset:184
	ds_load_2addr_b32 v[141:142], v2 offset0:51 offset1:52
	ds_load_2addr_b32 v[143:144], v2 offset0:53 offset1:54
	;; [unrolled: 1-line block ×4, first 2 shown]
	s_mov_b32 s0, exec_lo
	s_waitcnt vmcnt(11) lgkmcnt(3)
	v_fma_f32 v141, v98, v141, 0
	s_delay_alu instid0(VALU_DEP_1) | instskip(SKIP_4) | instid1(VALU_DEP_1)
	v_fmac_f32_e32 v141, v99, v142
	ds_load_2addr_b32 v[98:99], v2 offset0:59 offset1:60
	s_waitcnt lgkmcnt(3)
	v_fmac_f32_e32 v141, v100, v143
	s_waitcnt vmcnt(10)
	v_fmac_f32_e32 v141, v101, v144
	ds_load_2addr_b32 v[100:101], v2 offset0:61 offset1:62
	s_waitcnt lgkmcnt(3)
	v_fmac_f32_e32 v141, v102, v145
	s_delay_alu instid0(VALU_DEP_1) | instskip(SKIP_1) | instid1(VALU_DEP_1)
	v_fmac_f32_e32 v141, v103, v146
	s_waitcnt lgkmcnt(2)
	v_fmac_f32_e32 v141, v104, v147
	s_waitcnt vmcnt(9)
	s_delay_alu instid0(VALU_DEP_1) | instskip(SKIP_4) | instid1(VALU_DEP_1)
	v_fmac_f32_e32 v141, v105, v148
	ds_load_2addr_b32 v[102:103], v2 offset0:63 offset1:64
	ds_load_2addr_b32 v[104:105], v2 offset0:65 offset1:66
	s_waitcnt lgkmcnt(3)
	v_fmac_f32_e32 v141, v106, v98
	v_fmac_f32_e32 v141, v107, v99
	ds_load_2addr_b32 v[98:99], v2 offset0:67 offset1:68
	s_waitcnt lgkmcnt(3)
	v_fmac_f32_e32 v141, v108, v100
	s_waitcnt vmcnt(8)
	s_delay_alu instid0(VALU_DEP_1) | instskip(SKIP_3) | instid1(VALU_DEP_1)
	v_fmac_f32_e32 v141, v109, v101
	ds_load_2addr_b32 v[100:101], v2 offset0:69 offset1:70
	s_waitcnt lgkmcnt(3)
	v_fmac_f32_e32 v141, v110, v102
	v_fmac_f32_e32 v141, v111, v103
	s_waitcnt lgkmcnt(2)
	s_delay_alu instid0(VALU_DEP_1) | instskip(SKIP_1) | instid1(VALU_DEP_1)
	v_fmac_f32_e32 v141, v112, v104
	s_waitcnt vmcnt(7)
	v_fmac_f32_e32 v141, v113, v105
	ds_load_2addr_b32 v[102:103], v2 offset0:71 offset1:72
	ds_load_2addr_b32 v[104:105], v2 offset0:73 offset1:74
	s_waitcnt lgkmcnt(3)
	v_fmac_f32_e32 v141, v114, v98
	s_delay_alu instid0(VALU_DEP_1) | instskip(SKIP_4) | instid1(VALU_DEP_1)
	v_fmac_f32_e32 v141, v115, v99
	ds_load_2addr_b32 v[98:99], v2 offset0:75 offset1:76
	s_waitcnt lgkmcnt(3)
	v_fmac_f32_e32 v141, v116, v100
	s_waitcnt vmcnt(6)
	v_fmac_f32_e32 v141, v117, v101
	ds_load_2addr_b32 v[100:101], v2 offset0:77 offset1:78
	s_waitcnt lgkmcnt(3)
	v_fmac_f32_e32 v141, v118, v102
	s_delay_alu instid0(VALU_DEP_1) | instskip(SKIP_1) | instid1(VALU_DEP_1)
	v_fmac_f32_e32 v141, v119, v103
	s_waitcnt lgkmcnt(2)
	v_fmac_f32_e32 v141, v120, v104
	s_waitcnt vmcnt(5)
	s_delay_alu instid0(VALU_DEP_1) | instskip(SKIP_4) | instid1(VALU_DEP_1)
	v_fmac_f32_e32 v141, v121, v105
	ds_load_2addr_b32 v[102:103], v2 offset0:79 offset1:80
	ds_load_2addr_b32 v[104:105], v2 offset0:81 offset1:82
	s_waitcnt lgkmcnt(3)
	v_fmac_f32_e32 v141, v122, v98
	v_fmac_f32_e32 v141, v123, v99
	ds_load_2addr_b32 v[98:99], v2 offset0:83 offset1:84
	s_waitcnt lgkmcnt(3)
	v_fmac_f32_e32 v141, v124, v100
	s_waitcnt vmcnt(4)
	s_delay_alu instid0(VALU_DEP_1) | instskip(SKIP_3) | instid1(VALU_DEP_1)
	v_fmac_f32_e32 v141, v125, v101
	ds_load_2addr_b32 v[100:101], v2 offset0:85 offset1:86
	s_waitcnt lgkmcnt(3)
	v_fmac_f32_e32 v141, v126, v102
	v_fmac_f32_e32 v141, v127, v103
	s_waitcnt lgkmcnt(2)
	s_delay_alu instid0(VALU_DEP_1) | instskip(SKIP_1) | instid1(VALU_DEP_1)
	v_fmac_f32_e32 v141, v128, v104
	s_waitcnt vmcnt(3)
	v_fmac_f32_e32 v141, v129, v105
	ds_load_2addr_b32 v[102:103], v2 offset0:87 offset1:88
	ds_load_2addr_b32 v[104:105], v2 offset0:89 offset1:90
	s_waitcnt lgkmcnt(3)
	v_fmac_f32_e32 v141, v130, v98
	s_delay_alu instid0(VALU_DEP_1) | instskip(SKIP_4) | instid1(VALU_DEP_1)
	v_fmac_f32_e32 v141, v131, v99
	ds_load_2addr_b32 v[98:99], v2 offset0:91 offset1:92
	s_waitcnt lgkmcnt(3)
	v_fmac_f32_e32 v141, v132, v100
	s_waitcnt vmcnt(2)
	v_fmac_f32_e32 v141, v133, v101
	ds_load_2addr_b32 v[100:101], v2 offset0:93 offset1:94
	s_waitcnt lgkmcnt(3)
	v_fmac_f32_e32 v141, v134, v102
	s_delay_alu instid0(VALU_DEP_1) | instskip(SKIP_1) | instid1(VALU_DEP_1)
	v_fmac_f32_e32 v141, v135, v103
	s_waitcnt lgkmcnt(2)
	v_fmac_f32_e32 v141, v136, v104
	s_waitcnt vmcnt(1)
	s_delay_alu instid0(VALU_DEP_1) | instskip(SKIP_1) | instid1(VALU_DEP_1)
	v_fmac_f32_e32 v141, v137, v105
	s_waitcnt lgkmcnt(1)
	v_fmac_f32_e32 v141, v138, v98
	s_delay_alu instid0(VALU_DEP_1) | instskip(SKIP_1) | instid1(VALU_DEP_1)
	v_fmac_f32_e32 v141, v139, v99
	s_waitcnt lgkmcnt(0)
	v_fmac_f32_e32 v141, v140, v100
	s_waitcnt vmcnt(0)
	s_delay_alu instid0(VALU_DEP_1) | instskip(NEXT) | instid1(VALU_DEP_1)
	v_fmac_f32_e32 v141, v149, v101
	v_sub_f32_e32 v2, v97, v141
	scratch_store_b32 off, v2, off offset:8
	v_cmpx_lt_u32_e32 1, v0
	s_cbranch_execz .LBB46_287
; %bb.286:
	scratch_load_b32 v2, off, off offset:4
	v_mov_b32_e32 v97, 0
	scratch_store_b32 off, v97, off offset:4
	s_waitcnt vmcnt(0)
	ds_store_b32 v1, v2
.LBB46_287:
	s_or_b32 exec_lo, exec_lo, s0
	s_waitcnt lgkmcnt(0)
	s_waitcnt_vscnt null, 0x0
	s_barrier
	buffer_gl0_inv
	s_clause 0xb
	scratch_load_b128 v[98:101], off, off offset:4
	scratch_load_b128 v[102:105], off, off offset:20
	;; [unrolled: 1-line block ×11, first 2 shown]
	scratch_load_b64 v[150:151], off, off offset:180
	v_mov_b32_e32 v97, 0
	ds_load_2addr_b64 v[142:145], v97 offset0:25 offset1:26
	ds_load_2addr_b64 v[146:149], v97 offset0:27 offset1:28
	s_mov_b32 s0, exec_lo
	s_waitcnt vmcnt(11) lgkmcnt(1)
	v_fma_f32 v2, v99, v142, 0
	s_delay_alu instid0(VALU_DEP_1) | instskip(NEXT) | instid1(VALU_DEP_1)
	v_fmac_f32_e32 v2, v100, v143
	v_fmac_f32_e32 v2, v101, v144
	s_waitcnt vmcnt(10)
	s_delay_alu instid0(VALU_DEP_1) | instskip(SKIP_3) | instid1(VALU_DEP_1)
	v_fmac_f32_e32 v2, v102, v145
	ds_load_2addr_b64 v[99:102], v97 offset0:29 offset1:30
	s_waitcnt lgkmcnt(1)
	v_fmac_f32_e32 v2, v103, v146
	v_fmac_f32_e32 v2, v104, v147
	s_delay_alu instid0(VALU_DEP_1) | instskip(SKIP_1) | instid1(VALU_DEP_1)
	v_fmac_f32_e32 v2, v105, v148
	s_waitcnt vmcnt(9)
	v_fmac_f32_e32 v2, v106, v149
	ds_load_2addr_b64 v[103:106], v97 offset0:31 offset1:32
	s_waitcnt lgkmcnt(1)
	v_fmac_f32_e32 v2, v107, v99
	s_delay_alu instid0(VALU_DEP_1) | instskip(NEXT) | instid1(VALU_DEP_1)
	v_fmac_f32_e32 v2, v108, v100
	v_fmac_f32_e32 v2, v109, v101
	s_waitcnt vmcnt(8)
	s_delay_alu instid0(VALU_DEP_1) | instskip(SKIP_3) | instid1(VALU_DEP_1)
	v_fmac_f32_e32 v2, v110, v102
	ds_load_2addr_b64 v[99:102], v97 offset0:33 offset1:34
	s_waitcnt lgkmcnt(1)
	v_fmac_f32_e32 v2, v111, v103
	v_fmac_f32_e32 v2, v112, v104
	s_delay_alu instid0(VALU_DEP_1) | instskip(SKIP_1) | instid1(VALU_DEP_1)
	v_fmac_f32_e32 v2, v113, v105
	s_waitcnt vmcnt(7)
	v_fmac_f32_e32 v2, v114, v106
	ds_load_2addr_b64 v[103:106], v97 offset0:35 offset1:36
	s_waitcnt lgkmcnt(1)
	v_fmac_f32_e32 v2, v115, v99
	;; [unrolled: 17-line block ×4, first 2 shown]
	s_delay_alu instid0(VALU_DEP_1) | instskip(NEXT) | instid1(VALU_DEP_1)
	v_fmac_f32_e32 v2, v132, v100
	v_fmac_f32_e32 v2, v133, v101
	s_waitcnt vmcnt(2)
	s_delay_alu instid0(VALU_DEP_1)
	v_fmac_f32_e32 v2, v134, v102
	ds_load_2addr_b64 v[99:102], v97 offset0:45 offset1:46
	s_waitcnt lgkmcnt(1)
	v_fmac_f32_e32 v2, v135, v103
	ds_load_b32 v103, v97 offset:376
	v_fmac_f32_e32 v2, v136, v104
	s_delay_alu instid0(VALU_DEP_1) | instskip(SKIP_1) | instid1(VALU_DEP_1)
	v_fmac_f32_e32 v2, v137, v105
	s_waitcnt vmcnt(1)
	v_fmac_f32_e32 v2, v138, v106
	s_waitcnt lgkmcnt(1)
	s_delay_alu instid0(VALU_DEP_1) | instskip(NEXT) | instid1(VALU_DEP_1)
	v_fmac_f32_e32 v2, v139, v99
	v_fmac_f32_e32 v2, v140, v100
	s_delay_alu instid0(VALU_DEP_1) | instskip(SKIP_1) | instid1(VALU_DEP_1)
	v_fmac_f32_e32 v2, v141, v101
	s_waitcnt vmcnt(0)
	v_fmac_f32_e32 v2, v150, v102
	s_waitcnt lgkmcnt(0)
	s_delay_alu instid0(VALU_DEP_1) | instskip(NEXT) | instid1(VALU_DEP_1)
	v_fmac_f32_e32 v2, v151, v103
	v_sub_f32_e32 v2, v98, v2
	scratch_store_b32 off, v2, off offset:4
	v_cmpx_ne_u32_e32 0, v0
	s_cbranch_execz .LBB46_289
; %bb.288:
	scratch_load_b32 v0, off, off
	scratch_store_b32 off, v97, off
	s_waitcnt vmcnt(0)
	ds_store_b32 v1, v0
.LBB46_289:
	s_or_b32 exec_lo, exec_lo, s0
	s_waitcnt lgkmcnt(0)
	s_waitcnt_vscnt null, 0x0
	s_barrier
	buffer_gl0_inv
	s_clause 0xb
	scratch_load_b128 v[98:101], off, off
	scratch_load_b128 v[102:105], off, off offset:16
	scratch_load_b128 v[106:109], off, off offset:32
	;; [unrolled: 1-line block ×10, first 2 shown]
	scratch_load_b96 v[0:2], off, off offset:176
	ds_load_2addr_b32 v[142:143], v97 offset0:49 offset1:50
	ds_load_2addr_b32 v[144:145], v97 offset0:51 offset1:52
	;; [unrolled: 1-line block ×4, first 2 shown]
	s_and_b32 vcc_lo, exec_lo, s16
	s_waitcnt vmcnt(11) lgkmcnt(3)
	v_fma_f32 v142, v99, v142, 0
	s_delay_alu instid0(VALU_DEP_1) | instskip(SKIP_4) | instid1(VALU_DEP_1)
	v_fmac_f32_e32 v142, v100, v143
	ds_load_2addr_b32 v[99:100], v97 offset0:57 offset1:58
	s_waitcnt lgkmcnt(3)
	v_fmac_f32_e32 v142, v101, v144
	s_waitcnt vmcnt(10)
	v_fmac_f32_e32 v142, v102, v145
	ds_load_2addr_b32 v[101:102], v97 offset0:59 offset1:60
	s_waitcnt lgkmcnt(3)
	v_fmac_f32_e32 v142, v103, v146
	s_delay_alu instid0(VALU_DEP_1) | instskip(SKIP_1) | instid1(VALU_DEP_1)
	v_fmac_f32_e32 v142, v104, v147
	s_waitcnt lgkmcnt(2)
	v_fmac_f32_e32 v142, v105, v148
	s_waitcnt vmcnt(9)
	s_delay_alu instid0(VALU_DEP_1) | instskip(SKIP_4) | instid1(VALU_DEP_1)
	v_fmac_f32_e32 v142, v106, v149
	ds_load_2addr_b32 v[103:104], v97 offset0:61 offset1:62
	ds_load_2addr_b32 v[105:106], v97 offset0:63 offset1:64
	s_waitcnt lgkmcnt(3)
	v_fmac_f32_e32 v142, v107, v99
	v_fmac_f32_e32 v142, v108, v100
	ds_load_2addr_b32 v[99:100], v97 offset0:65 offset1:66
	s_waitcnt lgkmcnt(3)
	v_fmac_f32_e32 v142, v109, v101
	s_waitcnt vmcnt(8)
	s_delay_alu instid0(VALU_DEP_1) | instskip(SKIP_3) | instid1(VALU_DEP_1)
	v_fmac_f32_e32 v142, v110, v102
	ds_load_2addr_b32 v[101:102], v97 offset0:67 offset1:68
	s_waitcnt lgkmcnt(3)
	v_fmac_f32_e32 v142, v111, v103
	v_fmac_f32_e32 v142, v112, v104
	s_waitcnt lgkmcnt(2)
	s_delay_alu instid0(VALU_DEP_1) | instskip(SKIP_1) | instid1(VALU_DEP_1)
	v_fmac_f32_e32 v142, v113, v105
	s_waitcnt vmcnt(7)
	v_fmac_f32_e32 v142, v114, v106
	ds_load_2addr_b32 v[103:104], v97 offset0:69 offset1:70
	ds_load_2addr_b32 v[105:106], v97 offset0:71 offset1:72
	s_waitcnt lgkmcnt(3)
	v_fmac_f32_e32 v142, v115, v99
	s_delay_alu instid0(VALU_DEP_1) | instskip(SKIP_4) | instid1(VALU_DEP_1)
	v_fmac_f32_e32 v142, v116, v100
	ds_load_2addr_b32 v[99:100], v97 offset0:73 offset1:74
	s_waitcnt lgkmcnt(3)
	v_fmac_f32_e32 v142, v117, v101
	s_waitcnt vmcnt(6)
	v_fmac_f32_e32 v142, v118, v102
	ds_load_2addr_b32 v[101:102], v97 offset0:75 offset1:76
	s_waitcnt lgkmcnt(3)
	v_fmac_f32_e32 v142, v119, v103
	s_delay_alu instid0(VALU_DEP_1) | instskip(SKIP_1) | instid1(VALU_DEP_1)
	v_fmac_f32_e32 v142, v120, v104
	s_waitcnt lgkmcnt(2)
	v_fmac_f32_e32 v142, v121, v105
	s_waitcnt vmcnt(5)
	s_delay_alu instid0(VALU_DEP_1) | instskip(SKIP_4) | instid1(VALU_DEP_1)
	v_fmac_f32_e32 v142, v122, v106
	ds_load_2addr_b32 v[103:104], v97 offset0:77 offset1:78
	ds_load_2addr_b32 v[105:106], v97 offset0:79 offset1:80
	s_waitcnt lgkmcnt(3)
	v_fmac_f32_e32 v142, v123, v99
	v_fmac_f32_e32 v142, v124, v100
	ds_load_2addr_b32 v[99:100], v97 offset0:81 offset1:82
	s_waitcnt lgkmcnt(3)
	v_fmac_f32_e32 v142, v125, v101
	s_waitcnt vmcnt(4)
	s_delay_alu instid0(VALU_DEP_1) | instskip(SKIP_3) | instid1(VALU_DEP_1)
	v_fmac_f32_e32 v142, v126, v102
	ds_load_2addr_b32 v[101:102], v97 offset0:83 offset1:84
	s_waitcnt lgkmcnt(3)
	v_fmac_f32_e32 v142, v127, v103
	v_fmac_f32_e32 v142, v128, v104
	s_waitcnt lgkmcnt(2)
	s_delay_alu instid0(VALU_DEP_1) | instskip(SKIP_1) | instid1(VALU_DEP_1)
	v_fmac_f32_e32 v142, v129, v105
	s_waitcnt vmcnt(3)
	v_fmac_f32_e32 v142, v130, v106
	ds_load_2addr_b32 v[103:104], v97 offset0:85 offset1:86
	ds_load_2addr_b32 v[105:106], v97 offset0:87 offset1:88
	s_waitcnt lgkmcnt(3)
	v_fmac_f32_e32 v142, v131, v99
	s_delay_alu instid0(VALU_DEP_1) | instskip(SKIP_4) | instid1(VALU_DEP_1)
	v_fmac_f32_e32 v142, v132, v100
	ds_load_2addr_b32 v[99:100], v97 offset0:89 offset1:90
	s_waitcnt lgkmcnt(3)
	v_fmac_f32_e32 v142, v133, v101
	s_waitcnt vmcnt(2)
	v_fmac_f32_e32 v142, v134, v102
	ds_load_2addr_b32 v[101:102], v97 offset0:91 offset1:92
	s_waitcnt lgkmcnt(3)
	v_fmac_f32_e32 v142, v135, v103
	s_delay_alu instid0(VALU_DEP_1) | instskip(SKIP_4) | instid1(VALU_DEP_1)
	v_fmac_f32_e32 v142, v136, v104
	ds_load_2addr_b32 v[103:104], v97 offset0:93 offset1:94
	s_waitcnt lgkmcnt(3)
	v_fmac_f32_e32 v142, v137, v105
	s_waitcnt vmcnt(1)
	v_fmac_f32_e32 v142, v138, v106
	s_waitcnt lgkmcnt(2)
	s_delay_alu instid0(VALU_DEP_1) | instskip(NEXT) | instid1(VALU_DEP_1)
	v_fmac_f32_e32 v142, v139, v99
	v_fmac_f32_e32 v142, v140, v100
	s_waitcnt lgkmcnt(1)
	s_delay_alu instid0(VALU_DEP_1) | instskip(SKIP_1) | instid1(VALU_DEP_1)
	v_fmac_f32_e32 v142, v141, v101
	s_waitcnt vmcnt(0)
	v_fmac_f32_e32 v142, v0, v102
	s_waitcnt lgkmcnt(0)
	s_delay_alu instid0(VALU_DEP_1) | instskip(NEXT) | instid1(VALU_DEP_1)
	v_fmac_f32_e32 v142, v1, v103
	v_fmac_f32_e32 v142, v2, v104
	s_delay_alu instid0(VALU_DEP_1)
	v_sub_f32_e32 v0, v98, v142
	scratch_store_b32 off, v0, off
	s_cbranch_vccz .LBB46_383
; %bb.290:
	v_dual_mov_b32 v98, s13 :: v_dual_mov_b32 v97, s12
	s_mov_b32 s0, exec_lo
	flat_load_b32 v0, v[97:98] offset:180
	s_waitcnt vmcnt(0) lgkmcnt(0)
	v_cmpx_ne_u32_e32 46, v0
	s_cbranch_execz .LBB46_292
; %bb.291:
	v_lshl_add_u32 v0, v0, 2, 0
	scratch_load_b32 v2, v0, off offset:-4
	s_waitcnt vmcnt(0)
	scratch_store_b32 off, v2, off offset:180
	scratch_store_b32 v0, v1, off offset:-4
.LBB46_292:
	s_or_b32 exec_lo, exec_lo, s0
	v_dual_mov_b32 v0, s12 :: v_dual_mov_b32 v1, s13
	s_mov_b32 s0, exec_lo
	flat_load_b32 v0, v[0:1] offset:176
	s_waitcnt vmcnt(0) lgkmcnt(0)
	v_cmpx_ne_u32_e32 45, v0
	s_cbranch_execz .LBB46_294
; %bb.293:
	v_lshl_add_u32 v0, v0, 2, 0
	scratch_load_b32 v1, v0, off offset:-4
	scratch_load_b32 v2, off, off offset:176
	s_waitcnt vmcnt(1)
	scratch_store_b32 off, v1, off offset:176
	s_waitcnt vmcnt(0)
	scratch_store_b32 v0, v2, off offset:-4
.LBB46_294:
	s_or_b32 exec_lo, exec_lo, s0
	v_dual_mov_b32 v0, s12 :: v_dual_mov_b32 v1, s13
	s_mov_b32 s0, exec_lo
	flat_load_b32 v0, v[0:1] offset:172
	s_waitcnt vmcnt(0) lgkmcnt(0)
	v_cmpx_ne_u32_e32 44, v0
	s_cbranch_execz .LBB46_296
; %bb.295:
	v_lshl_add_u32 v0, v0, 2, 0
	scratch_load_b32 v1, v0, off offset:-4
	scratch_load_b32 v2, off, off offset:172
	s_waitcnt vmcnt(1)
	scratch_store_b32 off, v1, off offset:172
	s_waitcnt vmcnt(0)
	scratch_store_b32 v0, v2, off offset:-4
.LBB46_296:
	;; [unrolled: 16-line block ×44, first 2 shown]
	s_or_b32 exec_lo, exec_lo, s0
	v_dual_mov_b32 v0, s12 :: v_dual_mov_b32 v1, s13
	s_mov_b32 s0, exec_lo
	flat_load_b32 v1, v[0:1]
	scratch_load_b32 v0, off, off
	s_waitcnt vmcnt(1) lgkmcnt(0)
	v_cmpx_ne_u32_e32 1, v1
	s_cbranch_execz .LBB46_382
; %bb.381:
	v_lshl_add_u32 v1, v1, 2, 0
	scratch_load_b32 v2, v1, off offset:-4
	s_waitcnt vmcnt(0)
	scratch_store_b32 off, v2, off
	scratch_store_b32 v1, v0, off offset:-4
	scratch_load_b32 v0, off, off
.LBB46_382:
	s_or_b32 exec_lo, exec_lo, s0
.LBB46_383:
	s_clause 0xb
	scratch_load_b128 v[97:100], off, off offset:4
	scratch_load_b128 v[101:104], off, off offset:20
	scratch_load_b128 v[105:108], off, off offset:36
	scratch_load_b128 v[109:112], off, off offset:52
	scratch_load_b128 v[113:116], off, off offset:68
	scratch_load_b128 v[117:120], off, off offset:84
	scratch_load_b128 v[121:124], off, off offset:100
	scratch_load_b128 v[125:128], off, off offset:116
	scratch_load_b128 v[129:132], off, off offset:132
	scratch_load_b128 v[133:136], off, off offset:148
	scratch_load_b128 v[137:140], off, off offset:164
	scratch_load_b64 v[1:2], off, off offset:180
	s_waitcnt vmcnt(12)
	global_store_b32 v[3:4], v0, off
	s_waitcnt vmcnt(11)
	s_clause 0x3
	global_store_b32 v[5:6], v97, off
	global_store_b32 v[7:8], v98, off
	global_store_b32 v[9:10], v99, off
	global_store_b32 v[11:12], v100, off
	s_waitcnt vmcnt(10)
	s_clause 0x3
	global_store_b32 v[13:14], v101, off
	global_store_b32 v[15:16], v102, off
	global_store_b32 v[17:18], v103, off
	;; [unrolled: 6-line block ×11, first 2 shown]
	global_store_b32 v[93:94], v140, off
	s_waitcnt vmcnt(0)
	s_clause 0x1
	global_store_b32 v[95:96], v1, off
	global_store_b32 v[53:54], v2, off
	s_endpgm
	.section	.rodata,"a",@progbits
	.p2align	6, 0x0
	.amdhsa_kernel _ZN9rocsolver6v33100L18getri_kernel_smallILi47EfPfEEvT1_iilPiilS4_bb
		.amdhsa_group_segment_fixed_size 380
		.amdhsa_private_segment_fixed_size 192
		.amdhsa_kernarg_size 60
		.amdhsa_user_sgpr_count 15
		.amdhsa_user_sgpr_dispatch_ptr 0
		.amdhsa_user_sgpr_queue_ptr 0
		.amdhsa_user_sgpr_kernarg_segment_ptr 1
		.amdhsa_user_sgpr_dispatch_id 0
		.amdhsa_user_sgpr_private_segment_size 0
		.amdhsa_wavefront_size32 1
		.amdhsa_uses_dynamic_stack 0
		.amdhsa_enable_private_segment 1
		.amdhsa_system_sgpr_workgroup_id_x 1
		.amdhsa_system_sgpr_workgroup_id_y 0
		.amdhsa_system_sgpr_workgroup_id_z 0
		.amdhsa_system_sgpr_workgroup_info 0
		.amdhsa_system_vgpr_workitem_id 0
		.amdhsa_next_free_vgpr 152
		.amdhsa_next_free_sgpr 18
		.amdhsa_reserve_vcc 1
		.amdhsa_float_round_mode_32 0
		.amdhsa_float_round_mode_16_64 0
		.amdhsa_float_denorm_mode_32 3
		.amdhsa_float_denorm_mode_16_64 3
		.amdhsa_dx10_clamp 1
		.amdhsa_ieee_mode 1
		.amdhsa_fp16_overflow 0
		.amdhsa_workgroup_processor_mode 1
		.amdhsa_memory_ordered 1
		.amdhsa_forward_progress 0
		.amdhsa_shared_vgpr_count 0
		.amdhsa_exception_fp_ieee_invalid_op 0
		.amdhsa_exception_fp_denorm_src 0
		.amdhsa_exception_fp_ieee_div_zero 0
		.amdhsa_exception_fp_ieee_overflow 0
		.amdhsa_exception_fp_ieee_underflow 0
		.amdhsa_exception_fp_ieee_inexact 0
		.amdhsa_exception_int_div_zero 0
	.end_amdhsa_kernel
	.section	.text._ZN9rocsolver6v33100L18getri_kernel_smallILi47EfPfEEvT1_iilPiilS4_bb,"axG",@progbits,_ZN9rocsolver6v33100L18getri_kernel_smallILi47EfPfEEvT1_iilPiilS4_bb,comdat
.Lfunc_end46:
	.size	_ZN9rocsolver6v33100L18getri_kernel_smallILi47EfPfEEvT1_iilPiilS4_bb, .Lfunc_end46-_ZN9rocsolver6v33100L18getri_kernel_smallILi47EfPfEEvT1_iilPiilS4_bb
                                        ; -- End function
	.section	.AMDGPU.csdata,"",@progbits
; Kernel info:
; codeLenInByte = 33800
; NumSgprs: 20
; NumVgprs: 152
; ScratchSize: 192
; MemoryBound: 0
; FloatMode: 240
; IeeeMode: 1
; LDSByteSize: 380 bytes/workgroup (compile time only)
; SGPRBlocks: 2
; VGPRBlocks: 18
; NumSGPRsForWavesPerEU: 20
; NumVGPRsForWavesPerEU: 152
; Occupancy: 9
; WaveLimiterHint : 1
; COMPUTE_PGM_RSRC2:SCRATCH_EN: 1
; COMPUTE_PGM_RSRC2:USER_SGPR: 15
; COMPUTE_PGM_RSRC2:TRAP_HANDLER: 0
; COMPUTE_PGM_RSRC2:TGID_X_EN: 1
; COMPUTE_PGM_RSRC2:TGID_Y_EN: 0
; COMPUTE_PGM_RSRC2:TGID_Z_EN: 0
; COMPUTE_PGM_RSRC2:TIDIG_COMP_CNT: 0
	.section	.text._ZN9rocsolver6v33100L18getri_kernel_smallILi48EfPfEEvT1_iilPiilS4_bb,"axG",@progbits,_ZN9rocsolver6v33100L18getri_kernel_smallILi48EfPfEEvT1_iilPiilS4_bb,comdat
	.globl	_ZN9rocsolver6v33100L18getri_kernel_smallILi48EfPfEEvT1_iilPiilS4_bb ; -- Begin function _ZN9rocsolver6v33100L18getri_kernel_smallILi48EfPfEEvT1_iilPiilS4_bb
	.p2align	8
	.type	_ZN9rocsolver6v33100L18getri_kernel_smallILi48EfPfEEvT1_iilPiilS4_bb,@function
_ZN9rocsolver6v33100L18getri_kernel_smallILi48EfPfEEvT1_iilPiilS4_bb: ; @_ZN9rocsolver6v33100L18getri_kernel_smallILi48EfPfEEvT1_iilPiilS4_bb
; %bb.0:
	s_mov_b32 s2, exec_lo
	v_cmpx_gt_u32_e32 48, v0
	s_cbranch_execz .LBB47_200
; %bb.1:
	s_clause 0x2
	s_load_b32 s17, s[0:1], 0x38
	s_load_b128 s[8:11], s[0:1], 0x10
	s_load_b128 s[4:7], s[0:1], 0x28
	s_mov_b32 s14, s15
                                        ; implicit-def: $sgpr12_sgpr13
	s_waitcnt lgkmcnt(0)
	s_bitcmp1_b32 s17, 8
	s_cselect_b32 s16, -1, 0
	s_bfe_u32 s2, s17, 0x10008
	s_ashr_i32 s15, s15, 31
	s_cmp_eq_u32 s2, 0
	s_cbranch_scc1 .LBB47_3
; %bb.2:
	s_load_b32 s2, s[0:1], 0x20
	s_mul_i32 s3, s14, s5
	s_mul_hi_u32 s5, s14, s4
	s_mul_i32 s12, s15, s4
	s_add_i32 s3, s5, s3
	s_mul_i32 s4, s14, s4
	s_add_i32 s5, s3, s12
	s_delay_alu instid0(SALU_CYCLE_1)
	s_lshl_b64 s[4:5], s[4:5], 2
	s_waitcnt lgkmcnt(0)
	s_ashr_i32 s3, s2, 31
	s_add_u32 s4, s10, s4
	s_addc_u32 s5, s11, s5
	s_lshl_b64 s[2:3], s[2:3], 2
	s_delay_alu instid0(SALU_CYCLE_1)
	s_add_u32 s12, s4, s2
	s_addc_u32 s13, s5, s3
.LBB47_3:
	s_load_b128 s[0:3], s[0:1], 0x0
	s_mul_i32 s4, s14, s9
	s_mul_hi_u32 s5, s14, s8
	s_mul_i32 s9, s15, s8
	s_add_i32 s5, s5, s4
	s_mul_i32 s4, s14, s8
	s_add_i32 s5, s5, s9
	v_lshlrev_b32_e32 v3, 2, v0
	s_lshl_b64 s[4:5], s[4:5], 2
	s_waitcnt lgkmcnt(0)
	v_add3_u32 v1, s3, s3, v0
	s_ashr_i32 s9, s2, 31
	s_mov_b32 s8, s2
	s_add_u32 s2, s0, s4
	s_addc_u32 s4, s1, s5
	v_add_nc_u32_e32 v8, s3, v1
	s_lshl_b64 s[0:1], s[8:9], 2
	v_ashrrev_i32_e32 v2, 31, v1
	s_add_u32 s0, s2, s0
	s_addc_u32 s1, s4, s1
	v_add_nc_u32_e32 v10, s3, v8
	v_add_co_u32 v4, s2, s0, v3
	s_mov_b32 s10, s3
	s_ashr_i32 s11, s3, 31
	s_delay_alu instid0(VALU_DEP_2) | instskip(SKIP_3) | instid1(VALU_DEP_4)
	v_add_nc_u32_e32 v12, s3, v10
	v_add_co_ci_u32_e64 v5, null, s1, 0, s2
	v_ashrrev_i32_e32 v9, 31, v8
	v_lshlrev_b64 v[1:2], 2, v[1:2]
	v_add_nc_u32_e32 v14, s3, v12
	s_lshl_b64 s[4:5], s[10:11], 2
	v_ashrrev_i32_e32 v11, 31, v10
	v_add_co_u32 v6, vcc_lo, v4, s4
	s_delay_alu instid0(VALU_DEP_3) | instskip(SKIP_3) | instid1(VALU_DEP_4)
	v_add_nc_u32_e32 v16, s3, v14
	v_add_co_ci_u32_e32 v7, vcc_lo, s5, v5, vcc_lo
	v_lshlrev_b64 v[45:46], 2, v[8:9]
	v_add_co_u32 v8, vcc_lo, s0, v1
	v_add_nc_u32_e32 v18, s3, v16
	v_add_co_ci_u32_e32 v9, vcc_lo, s1, v2, vcc_lo
	v_lshlrev_b64 v[1:2], 2, v[10:11]
	v_ashrrev_i32_e32 v13, 31, v12
	s_delay_alu instid0(VALU_DEP_4) | instskip(SKIP_3) | instid1(VALU_DEP_4)
	v_add_nc_u32_e32 v20, s3, v18
	v_add_co_u32 v10, vcc_lo, s0, v45
	v_ashrrev_i32_e32 v15, 31, v14
	v_add_co_ci_u32_e32 v11, vcc_lo, s1, v46, vcc_lo
	v_add_nc_u32_e32 v22, s3, v20
	v_lshlrev_b64 v[45:46], 2, v[12:13]
	v_add_co_u32 v12, vcc_lo, s0, v1
	v_add_co_ci_u32_e32 v13, vcc_lo, s1, v2, vcc_lo
	s_delay_alu instid0(VALU_DEP_4) | instskip(SKIP_3) | instid1(VALU_DEP_4)
	v_add_nc_u32_e32 v24, s3, v22
	v_lshlrev_b64 v[1:2], 2, v[14:15]
	v_ashrrev_i32_e32 v17, 31, v16
	v_add_co_u32 v14, vcc_lo, s0, v45
	v_add_nc_u32_e32 v26, s3, v24
	v_ashrrev_i32_e32 v19, 31, v18
	v_add_co_ci_u32_e32 v15, vcc_lo, s1, v46, vcc_lo
	v_lshlrev_b64 v[45:46], 2, v[16:17]
	s_delay_alu instid0(VALU_DEP_4) | instskip(SKIP_2) | instid1(VALU_DEP_3)
	v_add_nc_u32_e32 v28, s3, v26
	v_add_co_u32 v16, vcc_lo, s0, v1
	v_add_co_ci_u32_e32 v17, vcc_lo, s1, v2, vcc_lo
	v_add_nc_u32_e32 v30, s3, v28
	v_lshlrev_b64 v[1:2], 2, v[18:19]
	v_ashrrev_i32_e32 v21, 31, v20
	v_add_co_u32 v18, vcc_lo, s0, v45
	s_delay_alu instid0(VALU_DEP_4) | instskip(SKIP_3) | instid1(VALU_DEP_4)
	v_add_nc_u32_e32 v32, s3, v30
	v_ashrrev_i32_e32 v23, 31, v22
	v_add_co_ci_u32_e32 v19, vcc_lo, s1, v46, vcc_lo
	v_lshlrev_b64 v[45:46], 2, v[20:21]
	v_add_nc_u32_e32 v34, s3, v32
	v_add_co_u32 v20, vcc_lo, s0, v1
	v_add_co_ci_u32_e32 v21, vcc_lo, s1, v2, vcc_lo
	s_delay_alu instid0(VALU_DEP_3) | instskip(SKIP_3) | instid1(VALU_DEP_4)
	v_add_nc_u32_e32 v36, s3, v34
	v_lshlrev_b64 v[1:2], 2, v[22:23]
	v_ashrrev_i32_e32 v25, 31, v24
	v_add_co_u32 v22, vcc_lo, s0, v45
	v_add_nc_u32_e32 v38, s3, v36
	v_ashrrev_i32_e32 v27, 31, v26
	v_add_co_ci_u32_e32 v23, vcc_lo, s1, v46, vcc_lo
	v_lshlrev_b64 v[45:46], 2, v[24:25]
	s_delay_alu instid0(VALU_DEP_4) | instskip(SKIP_2) | instid1(VALU_DEP_3)
	v_add_nc_u32_e32 v40, s3, v38
	v_add_co_u32 v24, vcc_lo, s0, v1
	v_add_co_ci_u32_e32 v25, vcc_lo, s1, v2, vcc_lo
	v_add_nc_u32_e32 v42, s3, v40
	v_lshlrev_b64 v[1:2], 2, v[26:27]
	v_ashrrev_i32_e32 v29, 31, v28
	v_add_co_u32 v26, vcc_lo, s0, v45
	s_delay_alu instid0(VALU_DEP_4) | instskip(SKIP_3) | instid1(VALU_DEP_4)
	v_add_nc_u32_e32 v44, s3, v42
	v_ashrrev_i32_e32 v31, 31, v30
	v_add_co_ci_u32_e32 v27, vcc_lo, s1, v46, vcc_lo
	v_lshlrev_b64 v[45:46], 2, v[28:29]
	v_add_nc_u32_e32 v47, s3, v44
	v_add_co_u32 v28, vcc_lo, s0, v1
	v_add_co_ci_u32_e32 v29, vcc_lo, s1, v2, vcc_lo
	s_delay_alu instid0(VALU_DEP_3) | instskip(SKIP_3) | instid1(VALU_DEP_4)
	;; [unrolled: 25-line block ×4, first 2 shown]
	v_add_nc_u32_e32 v76, s3, v74
	v_lshlrev_b64 v[1:2], 2, v[47:48]
	v_ashrrev_i32_e32 v50, 31, v49
	v_add_co_u32 v46, vcc_lo, s0, v56
	v_add_nc_u32_e32 v78, s3, v76
	v_ashrrev_i32_e32 v52, 31, v51
	v_add_co_ci_u32_e32 v47, vcc_lo, s1, v57, vcc_lo
	v_lshlrev_b64 v[56:57], 2, v[49:50]
	s_delay_alu instid0(VALU_DEP_4) | instskip(SKIP_3) | instid1(VALU_DEP_4)
	v_add_nc_u32_e32 v80, s3, v78
	v_add_co_u32 v48, vcc_lo, s0, v1
	v_ashrrev_i32_e32 v54, 31, v53
	v_add_co_ci_u32_e32 v49, vcc_lo, s1, v2, vcc_lo
	v_add_nc_u32_e32 v82, s3, v80
	v_lshlrev_b64 v[1:2], 2, v[51:52]
	v_add_co_u32 v50, vcc_lo, s0, v56
	v_lshlrev_b64 v[69:70], 2, v[53:54]
	s_delay_alu instid0(VALU_DEP_4) | instskip(SKIP_3) | instid1(VALU_DEP_4)
	v_add_nc_u32_e32 v84, s3, v82
	v_ashrrev_i32_e32 v56, 31, v55
	v_add_co_ci_u32_e32 v51, vcc_lo, s1, v57, vcc_lo
	v_add_co_u32 v52, vcc_lo, s0, v1
	v_add_nc_u32_e32 v86, s3, v84
	v_add_co_ci_u32_e32 v53, vcc_lo, s1, v2, vcc_lo
	v_lshlrev_b64 v[1:2], 2, v[55:56]
	v_ashrrev_i32_e32 v59, 31, v58
	s_delay_alu instid0(VALU_DEP_4) | instskip(SKIP_3) | instid1(VALU_DEP_4)
	v_add_nc_u32_e32 v88, s3, v86
	v_add_co_u32 v56, vcc_lo, s0, v69
	v_ashrrev_i32_e32 v61, 31, v60
	v_add_co_ci_u32_e32 v57, vcc_lo, s1, v70, vcc_lo
	v_add_nc_u32_e32 v90, s3, v88
	v_lshlrev_b64 v[69:70], 2, v[58:59]
	v_add_co_u32 v58, vcc_lo, s0, v1
	v_add_co_ci_u32_e32 v59, vcc_lo, s1, v2, vcc_lo
	s_delay_alu instid0(VALU_DEP_4)
	v_add_nc_u32_e32 v92, s3, v90
	v_lshlrev_b64 v[1:2], 2, v[60:61]
	v_ashrrev_i32_e32 v63, 31, v62
	v_ashrrev_i32_e32 v65, 31, v64
	;; [unrolled: 1-line block ×3, first 2 shown]
	v_add_nc_u32_e32 v94, s3, v92
	v_ashrrev_i32_e32 v73, 31, v72
	v_ashrrev_i32_e32 v75, 31, v74
	v_ashrrev_i32_e32 v77, 31, v76
	v_ashrrev_i32_e32 v79, 31, v78
	v_add_nc_u32_e32 v96, s3, v94
	v_ashrrev_i32_e32 v81, 31, v80
	v_lshlrev_b64 v[74:75], 2, v[74:75]
	v_ashrrev_i32_e32 v83, 31, v82
	v_lshlrev_b64 v[78:79], 2, v[78:79]
	v_add_nc_u32_e32 v98, s3, v96
	v_ashrrev_i32_e32 v85, 31, v84
	v_ashrrev_i32_e32 v87, 31, v86
	v_lshlrev_b64 v[82:83], 2, v[82:83]
	v_ashrrev_i32_e32 v89, 31, v88
	v_add_nc_u32_e32 v54, s3, v98
	v_ashrrev_i32_e32 v91, 31, v90
	v_lshlrev_b64 v[86:87], 2, v[86:87]
	v_ashrrev_i32_e32 v93, 31, v92
	v_ashrrev_i32_e32 v95, 31, v94
	;; [unrolled: 1-line block ×3, first 2 shown]
	v_lshlrev_b64 v[90:91], 2, v[90:91]
	v_ashrrev_i32_e32 v97, 31, v96
	v_ashrrev_i32_e32 v99, 31, v98
	v_lshlrev_b64 v[94:95], 2, v[94:95]
	v_lshlrev_b64 v[54:55], 2, v[54:55]
	s_clause 0x8
	global_load_b32 v100, v3, s[0:1]
	global_load_b32 v101, v[6:7], off
	global_load_b32 v102, v[8:9], off
	;; [unrolled: 1-line block ×8, first 2 shown]
	v_lshlrev_b64 v[98:99], 2, v[98:99]
	s_clause 0xf
	global_load_b32 v109, v[22:23], off
	global_load_b32 v110, v[24:25], off
	;; [unrolled: 1-line block ×16, first 2 shown]
	v_add_co_u32 v54, vcc_lo, s0, v54
	v_add_co_ci_u32_e32 v55, vcc_lo, s1, v55, vcc_lo
	v_add_co_u32 v60, vcc_lo, s0, v69
	v_add_co_ci_u32_e32 v61, vcc_lo, s1, v70, vcc_lo
	v_lshlrev_b64 v[69:70], 2, v[62:63]
	v_add_co_u32 v62, vcc_lo, s0, v1
	v_add_co_ci_u32_e32 v63, vcc_lo, s1, v2, vcc_lo
	v_lshlrev_b64 v[1:2], 2, v[64:65]
	s_delay_alu instid0(VALU_DEP_4)
	v_add_co_u32 v64, vcc_lo, s0, v69
	v_ashrrev_i32_e32 v69, 31, v68
	v_add_co_ci_u32_e32 v65, vcc_lo, s1, v70, vcc_lo
	v_lshlrev_b64 v[70:71], 2, v[66:67]
	v_add_co_u32 v66, vcc_lo, s0, v1
	v_add_co_ci_u32_e32 v67, vcc_lo, s1, v2, vcc_lo
	v_lshlrev_b64 v[1:2], 2, v[68:69]
	s_delay_alu instid0(VALU_DEP_4) | instskip(SKIP_2) | instid1(VALU_DEP_3)
	v_add_co_u32 v68, vcc_lo, s0, v70
	v_add_co_ci_u32_e32 v69, vcc_lo, s1, v71, vcc_lo
	s_bitcmp0_b32 s17, 0
	v_add_co_u32 v70, vcc_lo, s0, v1
	s_delay_alu instid0(VALU_DEP_4)
	v_add_co_ci_u32_e32 v71, vcc_lo, s1, v2, vcc_lo
	v_lshlrev_b64 v[1:2], 2, v[72:73]
	s_clause 0x7
	global_load_b32 v125, v[56:57], off
	global_load_b32 v126, v[58:59], off
	;; [unrolled: 1-line block ×8, first 2 shown]
	v_add_co_u32 v72, vcc_lo, s0, v1
	v_add_co_ci_u32_e32 v73, vcc_lo, s1, v2, vcc_lo
	v_lshlrev_b64 v[1:2], 2, v[76:77]
	v_add_co_u32 v74, vcc_lo, s0, v74
	v_add_co_ci_u32_e32 v75, vcc_lo, s1, v75, vcc_lo
	s_delay_alu instid0(VALU_DEP_3) | instskip(NEXT) | instid1(VALU_DEP_4)
	v_add_co_u32 v76, vcc_lo, s0, v1
	v_add_co_ci_u32_e32 v77, vcc_lo, s1, v2, vcc_lo
	v_lshlrev_b64 v[1:2], 2, v[80:81]
	v_add_co_u32 v78, vcc_lo, s0, v78
	v_add_co_ci_u32_e32 v79, vcc_lo, s1, v79, vcc_lo
	s_delay_alu instid0(VALU_DEP_3) | instskip(NEXT) | instid1(VALU_DEP_4)
	;; [unrolled: 6-line block ×3, first 2 shown]
	v_add_co_u32 v84, vcc_lo, s0, v1
	v_add_co_ci_u32_e32 v85, vcc_lo, s1, v2, vcc_lo
	v_lshlrev_b64 v[1:2], 2, v[88:89]
	v_add_co_u32 v86, vcc_lo, s0, v86
	v_add_co_ci_u32_e32 v87, vcc_lo, s1, v87, vcc_lo
	s_clause 0x7
	global_load_b32 v133, v[72:73], off
	global_load_b32 v134, v[74:75], off
	;; [unrolled: 1-line block ×8, first 2 shown]
	v_add_co_u32 v88, vcc_lo, s0, v1
	v_add_co_ci_u32_e32 v89, vcc_lo, s1, v2, vcc_lo
	v_lshlrev_b64 v[1:2], 2, v[92:93]
	v_add_co_u32 v90, vcc_lo, s0, v90
	v_add_co_ci_u32_e32 v91, vcc_lo, s1, v91, vcc_lo
	s_delay_alu instid0(VALU_DEP_3) | instskip(NEXT) | instid1(VALU_DEP_4)
	v_add_co_u32 v92, vcc_lo, s0, v1
	v_add_co_ci_u32_e32 v93, vcc_lo, s1, v2, vcc_lo
	v_lshlrev_b64 v[1:2], 2, v[96:97]
	v_add_co_u32 v94, vcc_lo, s0, v94
	v_add_co_ci_u32_e32 v95, vcc_lo, s1, v95, vcc_lo
	s_delay_alu instid0(VALU_DEP_3) | instskip(NEXT) | instid1(VALU_DEP_4)
	v_add_co_u32 v96, vcc_lo, s0, v1
	v_add_co_ci_u32_e32 v97, vcc_lo, s1, v2, vcc_lo
	v_add_co_u32 v98, vcc_lo, s0, v98
	v_add_co_ci_u32_e32 v99, vcc_lo, s1, v99, vcc_lo
	s_clause 0x6
	global_load_b32 v141, v[88:89], off
	global_load_b32 v142, v[90:91], off
	;; [unrolled: 1-line block ×7, first 2 shown]
	s_mov_b32 s1, -1
	s_waitcnt vmcnt(44)
	scratch_store_b128 off, v[100:103], off
	s_waitcnt vmcnt(40)
	scratch_store_b128 off, v[104:107], off offset:16
	s_waitcnt vmcnt(36)
	scratch_store_b128 off, v[108:111], off offset:32
	;; [unrolled: 2-line block ×11, first 2 shown]
	s_cbranch_scc1 .LBB47_198
; %bb.4:
	v_cmp_eq_u32_e64 s0, 0, v0
	s_delay_alu instid0(VALU_DEP_1)
	s_and_saveexec_b32 s1, s0
	s_cbranch_execz .LBB47_6
; %bb.5:
	v_mov_b32_e32 v1, 0
	ds_store_b32 v1, v1 offset:384
.LBB47_6:
	s_or_b32 exec_lo, exec_lo, s1
	s_waitcnt lgkmcnt(0)
	s_waitcnt_vscnt null, 0x0
	s_barrier
	buffer_gl0_inv
	scratch_load_b32 v1, v3, off
	s_mov_b32 s2, exec_lo
	s_waitcnt vmcnt(0)
	v_cmpx_eq_f32_e32 0, v1
	s_cbranch_execz .LBB47_10
; %bb.7:
	v_mov_b32_e32 v1, 0
	s_mov_b32 s3, 0
	ds_load_b32 v2, v1 offset:384
	s_waitcnt lgkmcnt(0)
	v_readfirstlane_b32 s1, v2
	v_add_nc_u32_e32 v2, 1, v0
	s_delay_alu instid0(VALU_DEP_2) | instskip(NEXT) | instid1(VALU_DEP_1)
	s_cmp_eq_u32 s1, 0
	v_cmp_gt_i32_e32 vcc_lo, s1, v2
	s_cselect_b32 s4, -1, 0
	s_delay_alu instid0(SALU_CYCLE_1) | instskip(NEXT) | instid1(SALU_CYCLE_1)
	s_or_b32 s4, s4, vcc_lo
	s_and_b32 exec_lo, exec_lo, s4
	s_cbranch_execz .LBB47_10
; %bb.8:
	v_mov_b32_e32 v100, s1
.LBB47_9:                               ; =>This Inner Loop Header: Depth=1
	ds_cmpstore_rtn_b32 v100, v1, v2, v100 offset:384
	s_waitcnt lgkmcnt(0)
	v_cmp_ne_u32_e32 vcc_lo, 0, v100
	v_cmp_le_i32_e64 s1, v100, v2
	s_delay_alu instid0(VALU_DEP_1) | instskip(NEXT) | instid1(SALU_CYCLE_1)
	s_and_b32 s1, vcc_lo, s1
	s_and_b32 s1, exec_lo, s1
	s_delay_alu instid0(SALU_CYCLE_1) | instskip(NEXT) | instid1(SALU_CYCLE_1)
	s_or_b32 s3, s1, s3
	s_and_not1_b32 exec_lo, exec_lo, s3
	s_cbranch_execnz .LBB47_9
.LBB47_10:
	s_or_b32 exec_lo, exec_lo, s2
	v_mov_b32_e32 v1, 0
	s_barrier
	buffer_gl0_inv
	ds_load_b32 v2, v1 offset:384
	s_and_saveexec_b32 s1, s0
	s_cbranch_execz .LBB47_12
; %bb.11:
	s_lshl_b64 s[2:3], s[14:15], 2
	s_delay_alu instid0(SALU_CYCLE_1)
	s_add_u32 s2, s6, s2
	s_addc_u32 s3, s7, s3
	s_waitcnt lgkmcnt(0)
	global_store_b32 v1, v2, s[2:3]
.LBB47_12:
	s_or_b32 exec_lo, exec_lo, s1
	s_waitcnt lgkmcnt(0)
	v_cmp_ne_u32_e32 vcc_lo, 0, v2
	s_mov_b32 s1, 0
	s_cbranch_vccnz .LBB47_198
; %bb.13:
	v_add_nc_u32_e32 v1, 0, v3
	scratch_load_b32 v2, v1, off
	s_waitcnt vmcnt(0)
	v_div_scale_f32 v100, null, v2, v2, 1.0
	v_div_scale_f32 v103, vcc_lo, 1.0, v2, 1.0
	s_delay_alu instid0(VALU_DEP_2) | instskip(SKIP_2) | instid1(VALU_DEP_1)
	v_rcp_f32_e32 v101, v100
	s_waitcnt_depctr 0xfff
	v_fma_f32 v102, -v100, v101, 1.0
	v_fmac_f32_e32 v101, v102, v101
	s_delay_alu instid0(VALU_DEP_1) | instskip(NEXT) | instid1(VALU_DEP_1)
	v_mul_f32_e32 v102, v103, v101
	v_fma_f32 v104, -v100, v102, v103
	s_delay_alu instid0(VALU_DEP_1) | instskip(NEXT) | instid1(VALU_DEP_1)
	v_fmac_f32_e32 v102, v104, v101
	v_fma_f32 v100, -v100, v102, v103
	s_delay_alu instid0(VALU_DEP_1) | instskip(NEXT) | instid1(VALU_DEP_1)
	v_div_fmas_f32 v100, v100, v101, v102
	v_div_fixup_f32 v2, v100, v2, 1.0
	scratch_store_b32 v1, v2, off
	scratch_load_b32 v100, off, off offset:4
	v_xor_b32_e32 v101, 0x80000000, v2
	v_add_nc_u32_e32 v2, 0xc0, v3
	s_waitcnt vmcnt(0)
	ds_store_2addr_b32 v3, v101, v100 offset1:48
	s_waitcnt lgkmcnt(0)
	s_waitcnt_vscnt null, 0x0
	s_barrier
	buffer_gl0_inv
	s_and_saveexec_b32 s1, s0
	s_cbranch_execz .LBB47_15
; %bb.14:
	scratch_load_b32 v100, v1, off
	ds_load_b32 v101, v2
	v_mov_b32_e32 v102, 0
	ds_load_b32 v102, v102 offset:4
	s_waitcnt vmcnt(0) lgkmcnt(1)
	v_fma_f32 v100, v100, v101, 0
	s_waitcnt lgkmcnt(0)
	s_delay_alu instid0(VALU_DEP_1)
	v_mul_f32_e32 v100, v100, v102
	scratch_store_b32 off, v100, off offset:4
.LBB47_15:
	s_or_b32 exec_lo, exec_lo, s1
	s_waitcnt_vscnt null, 0x0
	s_barrier
	buffer_gl0_inv
	scratch_load_b32 v100, off, off offset:8
	s_mov_b32 s1, exec_lo
	s_waitcnt vmcnt(0)
	ds_store_b32 v2, v100
	s_waitcnt lgkmcnt(0)
	s_barrier
	buffer_gl0_inv
	v_cmpx_gt_u32_e32 2, v0
	s_cbranch_execz .LBB47_17
; %bb.16:
	scratch_load_b32 v102, v1, off
	scratch_load_b32 v103, off, off offset:4
	ds_load_b32 v104, v2
	v_mov_b32_e32 v100, 0
	ds_load_2addr_b32 v[100:101], v100 offset0:2 offset1:49
	s_waitcnt vmcnt(1) lgkmcnt(1)
	v_fma_f32 v102, v102, v104, 0
	s_waitcnt vmcnt(0) lgkmcnt(0)
	s_delay_alu instid0(VALU_DEP_1) | instskip(NEXT) | instid1(VALU_DEP_1)
	v_fma_f32 v101, v103, v101, v102
	v_cndmask_b32_e64 v101, v102, v101, s0
	s_delay_alu instid0(VALU_DEP_1)
	v_mul_f32_e32 v100, v101, v100
	scratch_store_b32 off, v100, off offset:8
.LBB47_17:
	s_or_b32 exec_lo, exec_lo, s1
	s_waitcnt_vscnt null, 0x0
	s_barrier
	buffer_gl0_inv
	scratch_load_b32 v101, off, off offset:12
	v_add_nc_u32_e32 v100, -1, v0
	s_mov_b32 s0, exec_lo
	s_waitcnt vmcnt(0)
	ds_store_b32 v2, v101
	s_waitcnt lgkmcnt(0)
	s_barrier
	buffer_gl0_inv
	v_cmpx_gt_u32_e32 3, v0
	s_cbranch_execz .LBB47_21
; %bb.18:
	v_dual_mov_b32 v101, 0 :: v_dual_add_nc_u32 v102, -1, v0
	v_add_nc_u32_e32 v103, 0xc0, v3
	v_add_nc_u32_e32 v104, 0, v3
	s_mov_b32 s1, 0
.LBB47_19:                              ; =>This Inner Loop Header: Depth=1
	scratch_load_b32 v105, v104, off
	ds_load_b32 v106, v103
	v_add_nc_u32_e32 v102, 1, v102
	v_add_nc_u32_e32 v103, 4, v103
	v_add_nc_u32_e32 v104, 4, v104
	s_delay_alu instid0(VALU_DEP_3)
	v_cmp_lt_u32_e32 vcc_lo, 1, v102
	s_or_b32 s1, vcc_lo, s1
	s_waitcnt vmcnt(0) lgkmcnt(0)
	v_fmac_f32_e32 v101, v105, v106
	s_and_not1_b32 exec_lo, exec_lo, s1
	s_cbranch_execnz .LBB47_19
; %bb.20:
	s_or_b32 exec_lo, exec_lo, s1
	v_mov_b32_e32 v102, 0
	ds_load_b32 v102, v102 offset:12
	s_waitcnt lgkmcnt(0)
	v_mul_f32_e32 v101, v101, v102
	scratch_store_b32 off, v101, off offset:12
.LBB47_21:
	s_or_b32 exec_lo, exec_lo, s0
	s_waitcnt_vscnt null, 0x0
	s_barrier
	buffer_gl0_inv
	scratch_load_b32 v101, off, off offset:16
	s_mov_b32 s0, exec_lo
	s_waitcnt vmcnt(0)
	ds_store_b32 v2, v101
	s_waitcnt lgkmcnt(0)
	s_barrier
	buffer_gl0_inv
	v_cmpx_gt_u32_e32 4, v0
	s_cbranch_execz .LBB47_25
; %bb.22:
	v_dual_mov_b32 v101, 0 :: v_dual_add_nc_u32 v102, -1, v0
	v_add_nc_u32_e32 v103, 0xc0, v3
	v_add_nc_u32_e32 v104, 0, v3
	s_mov_b32 s1, 0
.LBB47_23:                              ; =>This Inner Loop Header: Depth=1
	scratch_load_b32 v105, v104, off
	ds_load_b32 v106, v103
	v_add_nc_u32_e32 v102, 1, v102
	v_add_nc_u32_e32 v103, 4, v103
	v_add_nc_u32_e32 v104, 4, v104
	s_delay_alu instid0(VALU_DEP_3)
	v_cmp_lt_u32_e32 vcc_lo, 2, v102
	s_or_b32 s1, vcc_lo, s1
	s_waitcnt vmcnt(0) lgkmcnt(0)
	v_fmac_f32_e32 v101, v105, v106
	s_and_not1_b32 exec_lo, exec_lo, s1
	s_cbranch_execnz .LBB47_23
; %bb.24:
	s_or_b32 exec_lo, exec_lo, s1
	v_mov_b32_e32 v102, 0
	ds_load_b32 v102, v102 offset:16
	s_waitcnt lgkmcnt(0)
	v_mul_f32_e32 v101, v101, v102
	scratch_store_b32 off, v101, off offset:16
.LBB47_25:
	s_or_b32 exec_lo, exec_lo, s0
	s_waitcnt_vscnt null, 0x0
	s_barrier
	buffer_gl0_inv
	scratch_load_b32 v101, off, off offset:20
	;; [unrolled: 39-line block ×21, first 2 shown]
	s_mov_b32 s0, exec_lo
	s_waitcnt vmcnt(0)
	ds_store_b32 v2, v101
	s_waitcnt lgkmcnt(0)
	s_barrier
	buffer_gl0_inv
	v_cmpx_gt_u32_e32 24, v0
	s_cbranch_execz .LBB47_105
; %bb.102:
	v_dual_mov_b32 v101, 0 :: v_dual_add_nc_u32 v102, -1, v0
	v_add_nc_u32_e32 v103, 0xc0, v3
	v_add_nc_u32_e32 v104, 0, v3
	s_mov_b32 s1, 0
.LBB47_103:                             ; =>This Inner Loop Header: Depth=1
	scratch_load_b32 v105, v104, off
	ds_load_b32 v106, v103
	v_add_nc_u32_e32 v102, 1, v102
	v_add_nc_u32_e32 v103, 4, v103
	v_add_nc_u32_e32 v104, 4, v104
	s_delay_alu instid0(VALU_DEP_3)
	v_cmp_lt_u32_e32 vcc_lo, 22, v102
	s_or_b32 s1, vcc_lo, s1
	s_waitcnt vmcnt(0) lgkmcnt(0)
	v_fmac_f32_e32 v101, v105, v106
	s_and_not1_b32 exec_lo, exec_lo, s1
	s_cbranch_execnz .LBB47_103
; %bb.104:
	s_or_b32 exec_lo, exec_lo, s1
	v_mov_b32_e32 v102, 0
	ds_load_b32 v102, v102 offset:96
	s_waitcnt lgkmcnt(0)
	v_mul_f32_e32 v101, v101, v102
	scratch_store_b32 off, v101, off offset:96
.LBB47_105:
	s_or_b32 exec_lo, exec_lo, s0
	s_waitcnt_vscnt null, 0x0
	s_barrier
	buffer_gl0_inv
	scratch_load_b32 v101, off, off offset:100
	s_mov_b32 s0, exec_lo
	s_waitcnt vmcnt(0)
	ds_store_b32 v2, v101
	s_waitcnt lgkmcnt(0)
	s_barrier
	buffer_gl0_inv
	v_cmpx_gt_u32_e32 25, v0
	s_cbranch_execz .LBB47_109
; %bb.106:
	v_dual_mov_b32 v101, 0 :: v_dual_add_nc_u32 v102, -1, v0
	v_add_nc_u32_e32 v103, 0xc0, v3
	v_add_nc_u32_e32 v104, 0, v3
	s_mov_b32 s1, 0
.LBB47_107:                             ; =>This Inner Loop Header: Depth=1
	scratch_load_b32 v105, v104, off
	ds_load_b32 v106, v103
	v_add_nc_u32_e32 v102, 1, v102
	v_add_nc_u32_e32 v103, 4, v103
	v_add_nc_u32_e32 v104, 4, v104
	s_delay_alu instid0(VALU_DEP_3)
	v_cmp_lt_u32_e32 vcc_lo, 23, v102
	s_or_b32 s1, vcc_lo, s1
	s_waitcnt vmcnt(0) lgkmcnt(0)
	v_fmac_f32_e32 v101, v105, v106
	s_and_not1_b32 exec_lo, exec_lo, s1
	s_cbranch_execnz .LBB47_107
; %bb.108:
	s_or_b32 exec_lo, exec_lo, s1
	v_mov_b32_e32 v102, 0
	ds_load_b32 v102, v102 offset:100
	s_waitcnt lgkmcnt(0)
	v_mul_f32_e32 v101, v101, v102
	scratch_store_b32 off, v101, off offset:100
.LBB47_109:
	s_or_b32 exec_lo, exec_lo, s0
	s_waitcnt_vscnt null, 0x0
	s_barrier
	buffer_gl0_inv
	scratch_load_b32 v101, off, off offset:104
	;; [unrolled: 39-line block ×22, first 2 shown]
	s_mov_b32 s0, exec_lo
	s_waitcnt vmcnt(0)
	ds_store_b32 v2, v101
	s_waitcnt lgkmcnt(0)
	s_barrier
	buffer_gl0_inv
	v_cmpx_gt_u32_e32 46, v0
	s_cbranch_execz .LBB47_193
; %bb.190:
	v_add_nc_u32_e32 v101, -1, v0
	v_add_nc_u32_e32 v102, 0xc0, v3
	v_add_nc_u32_e32 v103, 0, v3
	v_mov_b32_e32 v3, 0
	s_mov_b32 s1, 0
.LBB47_191:                             ; =>This Inner Loop Header: Depth=1
	scratch_load_b32 v104, v103, off
	ds_load_b32 v105, v102
	v_add_nc_u32_e32 v101, 1, v101
	v_add_nc_u32_e32 v102, 4, v102
	;; [unrolled: 1-line block ×3, first 2 shown]
	s_delay_alu instid0(VALU_DEP_3)
	v_cmp_lt_u32_e32 vcc_lo, 44, v101
	s_or_b32 s1, vcc_lo, s1
	s_waitcnt vmcnt(0) lgkmcnt(0)
	v_fmac_f32_e32 v3, v104, v105
	s_and_not1_b32 exec_lo, exec_lo, s1
	s_cbranch_execnz .LBB47_191
; %bb.192:
	s_or_b32 exec_lo, exec_lo, s1
	v_mov_b32_e32 v101, 0
	ds_load_b32 v101, v101 offset:184
	s_waitcnt lgkmcnt(0)
	v_mul_f32_e32 v3, v3, v101
	scratch_store_b32 off, v3, off offset:184
.LBB47_193:
	s_or_b32 exec_lo, exec_lo, s0
	s_waitcnt_vscnt null, 0x0
	s_barrier
	buffer_gl0_inv
	scratch_load_b32 v3, off, off offset:188
	s_mov_b32 s0, exec_lo
	s_waitcnt vmcnt(0)
	ds_store_b32 v2, v3
	s_waitcnt lgkmcnt(0)
	s_barrier
	buffer_gl0_inv
	v_cmpx_ne_u32_e32 47, v0
	s_cbranch_execz .LBB47_197
; %bb.194:
	v_mov_b32_e32 v3, 0
	s_mov_b32 s1, 0
.LBB47_195:                             ; =>This Inner Loop Header: Depth=1
	scratch_load_b32 v101, v1, off
	ds_load_b32 v102, v2
	v_add_nc_u32_e32 v100, 1, v100
	v_add_nc_u32_e32 v2, 4, v2
	;; [unrolled: 1-line block ×3, first 2 shown]
	s_waitcnt vmcnt(0) lgkmcnt(0)
	v_fmac_f32_e32 v3, v101, v102
	v_cmp_lt_u32_e32 vcc_lo, 45, v100
	s_or_b32 s1, vcc_lo, s1
	s_delay_alu instid0(SALU_CYCLE_1)
	s_and_not1_b32 exec_lo, exec_lo, s1
	s_cbranch_execnz .LBB47_195
; %bb.196:
	s_or_b32 exec_lo, exec_lo, s1
	v_mov_b32_e32 v1, 0
	ds_load_b32 v1, v1 offset:188
	s_waitcnt lgkmcnt(0)
	v_mul_f32_e32 v1, v3, v1
	scratch_store_b32 off, v1, off offset:188
.LBB47_197:
	s_or_b32 exec_lo, exec_lo, s0
	s_mov_b32 s1, -1
	s_waitcnt_vscnt null, 0x0
	s_barrier
	buffer_gl0_inv
.LBB47_198:
	s_and_b32 vcc_lo, exec_lo, s1
	s_cbranch_vccz .LBB47_200
; %bb.199:
	s_lshl_b64 s[0:1], s[14:15], 2
	v_mov_b32_e32 v1, 0
	s_add_u32 s0, s6, s0
	s_addc_u32 s1, s7, s1
	global_load_b32 v1, v1, s[0:1]
	s_waitcnt vmcnt(0)
	v_cmp_ne_u32_e32 vcc_lo, 0, v1
	s_cbranch_vccz .LBB47_201
.LBB47_200:
	s_endpgm
.LBB47_201:
	v_lshl_add_u32 v1, v0, 2, 0xc0
	s_mov_b32 s0, exec_lo
	v_cmpx_eq_u32_e32 47, v0
	s_cbranch_execz .LBB47_203
; %bb.202:
	scratch_load_b32 v2, off, off offset:184
	v_mov_b32_e32 v3, 0
	scratch_store_b32 off, v3, off offset:184
	s_waitcnt vmcnt(0)
	ds_store_b32 v1, v2
.LBB47_203:
	s_or_b32 exec_lo, exec_lo, s0
	s_waitcnt lgkmcnt(0)
	s_waitcnt_vscnt null, 0x0
	s_barrier
	buffer_gl0_inv
	scratch_load_b64 v[100:101], off, off offset:184
	v_mov_b32_e32 v2, 0
	s_mov_b32 s0, exec_lo
	ds_load_b32 v3, v2 offset:380
	s_waitcnt vmcnt(0) lgkmcnt(0)
	v_fma_f32 v3, v101, v3, 0
	s_delay_alu instid0(VALU_DEP_1)
	v_sub_f32_e32 v3, v100, v3
	scratch_store_b32 off, v3, off offset:184
	v_cmpx_lt_u32_e32 45, v0
	s_cbranch_execz .LBB47_205
; %bb.204:
	scratch_load_b32 v3, off, off offset:180
	scratch_store_b32 off, v2, off offset:180
	s_waitcnt vmcnt(0)
	ds_store_b32 v1, v3
.LBB47_205:
	s_or_b32 exec_lo, exec_lo, s0
	s_waitcnt lgkmcnt(0)
	s_waitcnt_vscnt null, 0x0
	s_barrier
	buffer_gl0_inv
	scratch_load_b96 v[100:102], off, off offset:180
	ds_load_b64 v[2:3], v2 offset:376
	s_mov_b32 s0, exec_lo
	s_waitcnt vmcnt(0) lgkmcnt(0)
	v_fma_f32 v2, v101, v2, 0
	s_delay_alu instid0(VALU_DEP_1) | instskip(NEXT) | instid1(VALU_DEP_1)
	v_fmac_f32_e32 v2, v102, v3
	v_sub_f32_e32 v2, v100, v2
	scratch_store_b32 off, v2, off offset:180
	v_cmpx_lt_u32_e32 44, v0
	s_cbranch_execz .LBB47_207
; %bb.206:
	scratch_load_b32 v2, off, off offset:176
	v_mov_b32_e32 v3, 0
	scratch_store_b32 off, v3, off offset:176
	s_waitcnt vmcnt(0)
	ds_store_b32 v1, v2
.LBB47_207:
	s_or_b32 exec_lo, exec_lo, s0
	s_waitcnt lgkmcnt(0)
	s_waitcnt_vscnt null, 0x0
	s_barrier
	buffer_gl0_inv
	scratch_load_b128 v[100:103], off, off offset:176
	v_mov_b32_e32 v2, 0
	ds_load_2addr_b32 v[104:105], v2 offset0:93 offset1:94
	ds_load_b32 v3, v2 offset:380
	s_mov_b32 s0, exec_lo
	s_waitcnt vmcnt(0) lgkmcnt(1)
	v_fma_f32 v101, v101, v104, 0
	s_delay_alu instid0(VALU_DEP_1) | instskip(SKIP_1) | instid1(VALU_DEP_1)
	v_fmac_f32_e32 v101, v102, v105
	s_waitcnt lgkmcnt(0)
	v_fmac_f32_e32 v101, v103, v3
	s_delay_alu instid0(VALU_DEP_1)
	v_sub_f32_e32 v3, v100, v101
	scratch_store_b32 off, v3, off offset:176
	v_cmpx_lt_u32_e32 43, v0
	s_cbranch_execz .LBB47_209
; %bb.208:
	scratch_load_b32 v3, off, off offset:172
	scratch_store_b32 off, v2, off offset:172
	s_waitcnt vmcnt(0)
	ds_store_b32 v1, v3
.LBB47_209:
	s_or_b32 exec_lo, exec_lo, s0
	s_waitcnt lgkmcnt(0)
	s_waitcnt_vscnt null, 0x0
	s_barrier
	buffer_gl0_inv
	s_clause 0x1
	scratch_load_b128 v[100:103], off, off offset:172
	scratch_load_b32 v3, off, off offset:188
	ds_load_b128 v[104:107], v2 offset:368
	s_mov_b32 s0, exec_lo
	s_waitcnt vmcnt(1) lgkmcnt(0)
	v_fma_f32 v2, v101, v104, 0
	s_delay_alu instid0(VALU_DEP_1) | instskip(NEXT) | instid1(VALU_DEP_1)
	v_fmac_f32_e32 v2, v102, v105
	v_fmac_f32_e32 v2, v103, v106
	s_waitcnt vmcnt(0)
	s_delay_alu instid0(VALU_DEP_1) | instskip(NEXT) | instid1(VALU_DEP_1)
	v_fmac_f32_e32 v2, v3, v107
	v_sub_f32_e32 v2, v100, v2
	scratch_store_b32 off, v2, off offset:172
	v_cmpx_lt_u32_e32 42, v0
	s_cbranch_execz .LBB47_211
; %bb.210:
	scratch_load_b32 v2, off, off offset:168
	v_mov_b32_e32 v3, 0
	scratch_store_b32 off, v3, off offset:168
	s_waitcnt vmcnt(0)
	ds_store_b32 v1, v2
.LBB47_211:
	s_or_b32 exec_lo, exec_lo, s0
	s_waitcnt lgkmcnt(0)
	s_waitcnt_vscnt null, 0x0
	s_barrier
	buffer_gl0_inv
	s_clause 0x1
	scratch_load_b128 v[100:103], off, off offset:168
	scratch_load_b64 v[104:105], off, off offset:184
	v_mov_b32_e32 v2, 0
	ds_load_2addr_b32 v[106:107], v2 offset0:91 offset1:92
	ds_load_2addr_b32 v[108:109], v2 offset0:93 offset1:94
	ds_load_b32 v3, v2 offset:380
	s_mov_b32 s0, exec_lo
	s_waitcnt vmcnt(1) lgkmcnt(2)
	v_fma_f32 v101, v101, v106, 0
	s_delay_alu instid0(VALU_DEP_1) | instskip(SKIP_1) | instid1(VALU_DEP_1)
	v_fmac_f32_e32 v101, v102, v107
	s_waitcnt lgkmcnt(1)
	v_fmac_f32_e32 v101, v103, v108
	s_waitcnt vmcnt(0)
	s_delay_alu instid0(VALU_DEP_1) | instskip(SKIP_1) | instid1(VALU_DEP_1)
	v_fmac_f32_e32 v101, v104, v109
	s_waitcnt lgkmcnt(0)
	v_fmac_f32_e32 v101, v105, v3
	s_delay_alu instid0(VALU_DEP_1)
	v_sub_f32_e32 v3, v100, v101
	scratch_store_b32 off, v3, off offset:168
	v_cmpx_lt_u32_e32 41, v0
	s_cbranch_execz .LBB47_213
; %bb.212:
	scratch_load_b32 v3, off, off offset:164
	scratch_store_b32 off, v2, off offset:164
	s_waitcnt vmcnt(0)
	ds_store_b32 v1, v3
.LBB47_213:
	s_or_b32 exec_lo, exec_lo, s0
	s_waitcnt lgkmcnt(0)
	s_waitcnt_vscnt null, 0x0
	s_barrier
	buffer_gl0_inv
	s_clause 0x1
	scratch_load_b128 v[100:103], off, off offset:164
	scratch_load_b96 v[108:110], off, off offset:180
	ds_load_2addr_b64 v[104:107], v2 offset0:45 offset1:46
	ds_load_b64 v[2:3], v2 offset:376
	s_mov_b32 s0, exec_lo
	s_waitcnt vmcnt(1) lgkmcnt(1)
	v_fma_f32 v101, v101, v104, 0
	s_delay_alu instid0(VALU_DEP_1) | instskip(NEXT) | instid1(VALU_DEP_1)
	v_fmac_f32_e32 v101, v102, v105
	v_fmac_f32_e32 v101, v103, v106
	s_waitcnt vmcnt(0)
	s_delay_alu instid0(VALU_DEP_1) | instskip(SKIP_1) | instid1(VALU_DEP_1)
	v_fmac_f32_e32 v101, v108, v107
	s_waitcnt lgkmcnt(0)
	v_fmac_f32_e32 v101, v109, v2
	s_delay_alu instid0(VALU_DEP_1) | instskip(NEXT) | instid1(VALU_DEP_1)
	v_fmac_f32_e32 v101, v110, v3
	v_sub_f32_e32 v2, v100, v101
	scratch_store_b32 off, v2, off offset:164
	v_cmpx_lt_u32_e32 40, v0
	s_cbranch_execz .LBB47_215
; %bb.214:
	scratch_load_b32 v2, off, off offset:160
	v_mov_b32_e32 v3, 0
	scratch_store_b32 off, v3, off offset:160
	s_waitcnt vmcnt(0)
	ds_store_b32 v1, v2
.LBB47_215:
	s_or_b32 exec_lo, exec_lo, s0
	s_waitcnt lgkmcnt(0)
	s_waitcnt_vscnt null, 0x0
	s_barrier
	buffer_gl0_inv
	s_clause 0x1
	scratch_load_b128 v[100:103], off, off offset:160
	scratch_load_b128 v[104:107], off, off offset:176
	v_mov_b32_e32 v2, 0
	ds_load_2addr_b32 v[108:109], v2 offset0:89 offset1:90
	ds_load_2addr_b32 v[110:111], v2 offset0:91 offset1:92
	;; [unrolled: 1-line block ×3, first 2 shown]
	ds_load_b32 v3, v2 offset:380
	s_mov_b32 s0, exec_lo
	s_waitcnt vmcnt(1) lgkmcnt(3)
	v_fma_f32 v101, v101, v108, 0
	s_delay_alu instid0(VALU_DEP_1) | instskip(SKIP_1) | instid1(VALU_DEP_1)
	v_fmac_f32_e32 v101, v102, v109
	s_waitcnt lgkmcnt(2)
	v_fmac_f32_e32 v101, v103, v110
	s_waitcnt vmcnt(0)
	s_delay_alu instid0(VALU_DEP_1) | instskip(SKIP_1) | instid1(VALU_DEP_1)
	v_fmac_f32_e32 v101, v104, v111
	s_waitcnt lgkmcnt(1)
	v_fmac_f32_e32 v101, v105, v112
	s_delay_alu instid0(VALU_DEP_1) | instskip(SKIP_1) | instid1(VALU_DEP_1)
	v_fmac_f32_e32 v101, v106, v113
	s_waitcnt lgkmcnt(0)
	v_fmac_f32_e32 v101, v107, v3
	s_delay_alu instid0(VALU_DEP_1)
	v_sub_f32_e32 v3, v100, v101
	scratch_store_b32 off, v3, off offset:160
	v_cmpx_lt_u32_e32 39, v0
	s_cbranch_execz .LBB47_217
; %bb.216:
	scratch_load_b32 v3, off, off offset:156
	scratch_store_b32 off, v2, off offset:156
	s_waitcnt vmcnt(0)
	ds_store_b32 v1, v3
.LBB47_217:
	s_or_b32 exec_lo, exec_lo, s0
	s_waitcnt lgkmcnt(0)
	s_waitcnt_vscnt null, 0x0
	s_barrier
	buffer_gl0_inv
	s_clause 0x2
	scratch_load_b128 v[100:103], off, off offset:156
	scratch_load_b128 v[104:107], off, off offset:172
	scratch_load_b32 v3, off, off offset:188
	ds_load_b128 v[108:111], v2 offset:352
	ds_load_b128 v[112:115], v2 offset:368
	s_mov_b32 s0, exec_lo
	s_waitcnt vmcnt(2) lgkmcnt(1)
	v_fma_f32 v2, v101, v108, 0
	s_delay_alu instid0(VALU_DEP_1) | instskip(NEXT) | instid1(VALU_DEP_1)
	v_fmac_f32_e32 v2, v102, v109
	v_fmac_f32_e32 v2, v103, v110
	s_waitcnt vmcnt(1)
	s_delay_alu instid0(VALU_DEP_1) | instskip(SKIP_1) | instid1(VALU_DEP_1)
	v_fmac_f32_e32 v2, v104, v111
	s_waitcnt lgkmcnt(0)
	v_fmac_f32_e32 v2, v105, v112
	s_delay_alu instid0(VALU_DEP_1) | instskip(NEXT) | instid1(VALU_DEP_1)
	v_fmac_f32_e32 v2, v106, v113
	v_fmac_f32_e32 v2, v107, v114
	s_waitcnt vmcnt(0)
	s_delay_alu instid0(VALU_DEP_1) | instskip(NEXT) | instid1(VALU_DEP_1)
	v_fmac_f32_e32 v2, v3, v115
	v_sub_f32_e32 v2, v100, v2
	scratch_store_b32 off, v2, off offset:156
	v_cmpx_lt_u32_e32 38, v0
	s_cbranch_execz .LBB47_219
; %bb.218:
	scratch_load_b32 v2, off, off offset:152
	v_mov_b32_e32 v3, 0
	scratch_store_b32 off, v3, off offset:152
	s_waitcnt vmcnt(0)
	ds_store_b32 v1, v2
.LBB47_219:
	s_or_b32 exec_lo, exec_lo, s0
	s_waitcnt lgkmcnt(0)
	s_waitcnt_vscnt null, 0x0
	s_barrier
	buffer_gl0_inv
	s_clause 0x2
	scratch_load_b128 v[100:103], off, off offset:152
	scratch_load_b128 v[104:107], off, off offset:168
	scratch_load_b64 v[108:109], off, off offset:184
	v_mov_b32_e32 v2, 0
	ds_load_2addr_b32 v[110:111], v2 offset0:87 offset1:88
	ds_load_2addr_b32 v[112:113], v2 offset0:89 offset1:90
	;; [unrolled: 1-line block ×4, first 2 shown]
	s_mov_b32 s0, exec_lo
	s_waitcnt vmcnt(2) lgkmcnt(3)
	v_fma_f32 v3, v101, v110, 0
	s_delay_alu instid0(VALU_DEP_1) | instskip(SKIP_4) | instid1(VALU_DEP_1)
	v_fmac_f32_e32 v3, v102, v111
	ds_load_b32 v101, v2 offset:380
	s_waitcnt lgkmcnt(3)
	v_fmac_f32_e32 v3, v103, v112
	s_waitcnt vmcnt(1)
	v_fmac_f32_e32 v3, v104, v113
	s_waitcnt lgkmcnt(2)
	s_delay_alu instid0(VALU_DEP_1) | instskip(NEXT) | instid1(VALU_DEP_1)
	v_fmac_f32_e32 v3, v105, v114
	v_fmac_f32_e32 v3, v106, v115
	s_waitcnt lgkmcnt(1)
	s_delay_alu instid0(VALU_DEP_1) | instskip(SKIP_1) | instid1(VALU_DEP_1)
	v_fmac_f32_e32 v3, v107, v116
	s_waitcnt vmcnt(0)
	v_fmac_f32_e32 v3, v108, v117
	s_waitcnt lgkmcnt(0)
	s_delay_alu instid0(VALU_DEP_1) | instskip(NEXT) | instid1(VALU_DEP_1)
	v_fmac_f32_e32 v3, v109, v101
	v_sub_f32_e32 v3, v100, v3
	scratch_store_b32 off, v3, off offset:152
	v_cmpx_lt_u32_e32 37, v0
	s_cbranch_execz .LBB47_221
; %bb.220:
	scratch_load_b32 v3, off, off offset:148
	scratch_store_b32 off, v2, off offset:148
	s_waitcnt vmcnt(0)
	ds_store_b32 v1, v3
.LBB47_221:
	s_or_b32 exec_lo, exec_lo, s0
	s_waitcnt lgkmcnt(0)
	s_waitcnt_vscnt null, 0x0
	s_barrier
	buffer_gl0_inv
	s_clause 0x2
	scratch_load_b128 v[100:103], off, off offset:148
	scratch_load_b128 v[104:107], off, off offset:164
	scratch_load_b96 v[116:118], off, off offset:180
	ds_load_2addr_b64 v[108:111], v2 offset0:43 offset1:44
	ds_load_2addr_b64 v[112:115], v2 offset0:45 offset1:46
	ds_load_b64 v[2:3], v2 offset:376
	s_mov_b32 s0, exec_lo
	s_waitcnt vmcnt(2) lgkmcnt(2)
	v_fma_f32 v101, v101, v108, 0
	s_delay_alu instid0(VALU_DEP_1) | instskip(NEXT) | instid1(VALU_DEP_1)
	v_fmac_f32_e32 v101, v102, v109
	v_fmac_f32_e32 v101, v103, v110
	s_waitcnt vmcnt(1)
	s_delay_alu instid0(VALU_DEP_1) | instskip(SKIP_1) | instid1(VALU_DEP_1)
	v_fmac_f32_e32 v101, v104, v111
	s_waitcnt lgkmcnt(1)
	v_fmac_f32_e32 v101, v105, v112
	s_delay_alu instid0(VALU_DEP_1) | instskip(NEXT) | instid1(VALU_DEP_1)
	v_fmac_f32_e32 v101, v106, v113
	v_fmac_f32_e32 v101, v107, v114
	s_waitcnt vmcnt(0)
	s_delay_alu instid0(VALU_DEP_1) | instskip(SKIP_1) | instid1(VALU_DEP_1)
	v_fmac_f32_e32 v101, v116, v115
	s_waitcnt lgkmcnt(0)
	v_fmac_f32_e32 v101, v117, v2
	s_delay_alu instid0(VALU_DEP_1) | instskip(NEXT) | instid1(VALU_DEP_1)
	v_fmac_f32_e32 v101, v118, v3
	v_sub_f32_e32 v2, v100, v101
	scratch_store_b32 off, v2, off offset:148
	v_cmpx_lt_u32_e32 36, v0
	s_cbranch_execz .LBB47_223
; %bb.222:
	scratch_load_b32 v2, off, off offset:144
	v_mov_b32_e32 v3, 0
	scratch_store_b32 off, v3, off offset:144
	s_waitcnt vmcnt(0)
	ds_store_b32 v1, v2
.LBB47_223:
	s_or_b32 exec_lo, exec_lo, s0
	s_waitcnt lgkmcnt(0)
	s_waitcnt_vscnt null, 0x0
	s_barrier
	buffer_gl0_inv
	s_clause 0x2
	scratch_load_b128 v[100:103], off, off offset:144
	scratch_load_b128 v[104:107], off, off offset:160
	;; [unrolled: 1-line block ×3, first 2 shown]
	v_mov_b32_e32 v2, 0
	ds_load_2addr_b32 v[112:113], v2 offset0:85 offset1:86
	ds_load_2addr_b32 v[114:115], v2 offset0:87 offset1:88
	ds_load_2addr_b32 v[116:117], v2 offset0:89 offset1:90
	ds_load_2addr_b32 v[118:119], v2 offset0:91 offset1:92
	s_mov_b32 s0, exec_lo
	s_waitcnt vmcnt(2) lgkmcnt(3)
	v_fma_f32 v3, v101, v112, 0
	s_delay_alu instid0(VALU_DEP_1)
	v_fmac_f32_e32 v3, v102, v113
	ds_load_2addr_b32 v[101:102], v2 offset0:93 offset1:94
	s_waitcnt lgkmcnt(3)
	v_fmac_f32_e32 v3, v103, v114
	ds_load_b32 v103, v2 offset:380
	s_waitcnt vmcnt(1)
	v_fmac_f32_e32 v3, v104, v115
	s_waitcnt lgkmcnt(3)
	s_delay_alu instid0(VALU_DEP_1) | instskip(NEXT) | instid1(VALU_DEP_1)
	v_fmac_f32_e32 v3, v105, v116
	v_fmac_f32_e32 v3, v106, v117
	s_waitcnt lgkmcnt(2)
	s_delay_alu instid0(VALU_DEP_1) | instskip(SKIP_1) | instid1(VALU_DEP_1)
	v_fmac_f32_e32 v3, v107, v118
	s_waitcnt vmcnt(0)
	v_fmac_f32_e32 v3, v108, v119
	s_waitcnt lgkmcnt(1)
	s_delay_alu instid0(VALU_DEP_1) | instskip(NEXT) | instid1(VALU_DEP_1)
	v_fmac_f32_e32 v3, v109, v101
	v_fmac_f32_e32 v3, v110, v102
	s_waitcnt lgkmcnt(0)
	s_delay_alu instid0(VALU_DEP_1) | instskip(NEXT) | instid1(VALU_DEP_1)
	v_fmac_f32_e32 v3, v111, v103
	v_sub_f32_e32 v3, v100, v3
	scratch_store_b32 off, v3, off offset:144
	v_cmpx_lt_u32_e32 35, v0
	s_cbranch_execz .LBB47_225
; %bb.224:
	scratch_load_b32 v3, off, off offset:140
	scratch_store_b32 off, v2, off offset:140
	s_waitcnt vmcnt(0)
	ds_store_b32 v1, v3
.LBB47_225:
	s_or_b32 exec_lo, exec_lo, s0
	s_waitcnt lgkmcnt(0)
	s_waitcnt_vscnt null, 0x0
	s_barrier
	buffer_gl0_inv
	s_clause 0x3
	scratch_load_b128 v[100:103], off, off offset:140
	scratch_load_b128 v[104:107], off, off offset:156
	;; [unrolled: 1-line block ×3, first 2 shown]
	scratch_load_b32 v3, off, off offset:188
	ds_load_b128 v[112:115], v2 offset:336
	ds_load_b128 v[116:119], v2 offset:352
	s_mov_b32 s0, exec_lo
	s_waitcnt vmcnt(3) lgkmcnt(1)
	v_fma_f32 v112, v101, v112, 0
	s_delay_alu instid0(VALU_DEP_1) | instskip(NEXT) | instid1(VALU_DEP_1)
	v_fmac_f32_e32 v112, v102, v113
	v_fmac_f32_e32 v112, v103, v114
	s_waitcnt vmcnt(2)
	s_delay_alu instid0(VALU_DEP_1) | instskip(SKIP_3) | instid1(VALU_DEP_1)
	v_fmac_f32_e32 v112, v104, v115
	ds_load_b128 v[101:104], v2 offset:368
	s_waitcnt lgkmcnt(1)
	v_fmac_f32_e32 v112, v105, v116
	v_fmac_f32_e32 v112, v106, v117
	s_delay_alu instid0(VALU_DEP_1) | instskip(SKIP_1) | instid1(VALU_DEP_1)
	v_fmac_f32_e32 v112, v107, v118
	s_waitcnt vmcnt(1)
	v_fmac_f32_e32 v112, v108, v119
	s_waitcnt lgkmcnt(0)
	s_delay_alu instid0(VALU_DEP_1) | instskip(NEXT) | instid1(VALU_DEP_1)
	v_fmac_f32_e32 v112, v109, v101
	v_fmac_f32_e32 v112, v110, v102
	s_delay_alu instid0(VALU_DEP_1) | instskip(SKIP_1) | instid1(VALU_DEP_1)
	v_fmac_f32_e32 v112, v111, v103
	s_waitcnt vmcnt(0)
	v_fmac_f32_e32 v112, v3, v104
	s_delay_alu instid0(VALU_DEP_1)
	v_sub_f32_e32 v2, v100, v112
	scratch_store_b32 off, v2, off offset:140
	v_cmpx_lt_u32_e32 34, v0
	s_cbranch_execz .LBB47_227
; %bb.226:
	scratch_load_b32 v2, off, off offset:136
	v_mov_b32_e32 v3, 0
	scratch_store_b32 off, v3, off offset:136
	s_waitcnt vmcnt(0)
	ds_store_b32 v1, v2
.LBB47_227:
	s_or_b32 exec_lo, exec_lo, s0
	s_waitcnt lgkmcnt(0)
	s_waitcnt_vscnt null, 0x0
	s_barrier
	buffer_gl0_inv
	s_clause 0x3
	scratch_load_b128 v[100:103], off, off offset:136
	scratch_load_b128 v[104:107], off, off offset:152
	;; [unrolled: 1-line block ×3, first 2 shown]
	scratch_load_b64 v[112:113], off, off offset:184
	v_mov_b32_e32 v2, 0
	ds_load_2addr_b32 v[114:115], v2 offset0:83 offset1:84
	ds_load_2addr_b32 v[116:117], v2 offset0:85 offset1:86
	;; [unrolled: 1-line block ×4, first 2 shown]
	s_mov_b32 s0, exec_lo
	s_waitcnt vmcnt(3) lgkmcnt(3)
	v_fma_f32 v3, v101, v114, 0
	s_delay_alu instid0(VALU_DEP_1) | instskip(SKIP_4) | instid1(VALU_DEP_1)
	v_fmac_f32_e32 v3, v102, v115
	ds_load_2addr_b32 v[101:102], v2 offset0:91 offset1:92
	s_waitcnt lgkmcnt(3)
	v_fmac_f32_e32 v3, v103, v116
	s_waitcnt vmcnt(2)
	v_fmac_f32_e32 v3, v104, v117
	ds_load_2addr_b32 v[103:104], v2 offset0:93 offset1:94
	s_waitcnt lgkmcnt(3)
	v_fmac_f32_e32 v3, v105, v118
	ds_load_b32 v105, v2 offset:380
	v_fmac_f32_e32 v3, v106, v119
	s_waitcnt lgkmcnt(3)
	s_delay_alu instid0(VALU_DEP_1) | instskip(SKIP_1) | instid1(VALU_DEP_1)
	v_fmac_f32_e32 v3, v107, v120
	s_waitcnt vmcnt(1)
	v_fmac_f32_e32 v3, v108, v121
	s_waitcnt lgkmcnt(2)
	s_delay_alu instid0(VALU_DEP_1) | instskip(NEXT) | instid1(VALU_DEP_1)
	v_fmac_f32_e32 v3, v109, v101
	v_fmac_f32_e32 v3, v110, v102
	s_waitcnt lgkmcnt(1)
	s_delay_alu instid0(VALU_DEP_1) | instskip(SKIP_1) | instid1(VALU_DEP_1)
	v_fmac_f32_e32 v3, v111, v103
	s_waitcnt vmcnt(0)
	v_fmac_f32_e32 v3, v112, v104
	s_waitcnt lgkmcnt(0)
	s_delay_alu instid0(VALU_DEP_1) | instskip(NEXT) | instid1(VALU_DEP_1)
	v_fmac_f32_e32 v3, v113, v105
	v_sub_f32_e32 v3, v100, v3
	scratch_store_b32 off, v3, off offset:136
	v_cmpx_lt_u32_e32 33, v0
	s_cbranch_execz .LBB47_229
; %bb.228:
	scratch_load_b32 v3, off, off offset:132
	scratch_store_b32 off, v2, off offset:132
	s_waitcnt vmcnt(0)
	ds_store_b32 v1, v3
.LBB47_229:
	s_or_b32 exec_lo, exec_lo, s0
	s_waitcnt lgkmcnt(0)
	s_waitcnt_vscnt null, 0x0
	s_barrier
	buffer_gl0_inv
	s_clause 0x3
	scratch_load_b128 v[100:103], off, off offset:132
	scratch_load_b128 v[104:107], off, off offset:148
	;; [unrolled: 1-line block ×3, first 2 shown]
	scratch_load_b96 v[120:122], off, off offset:180
	ds_load_2addr_b64 v[112:115], v2 offset0:41 offset1:42
	ds_load_2addr_b64 v[116:119], v2 offset0:43 offset1:44
	s_mov_b32 s0, exec_lo
	s_waitcnt vmcnt(3) lgkmcnt(1)
	v_fma_f32 v112, v101, v112, 0
	s_delay_alu instid0(VALU_DEP_1) | instskip(NEXT) | instid1(VALU_DEP_1)
	v_fmac_f32_e32 v112, v102, v113
	v_fmac_f32_e32 v112, v103, v114
	s_waitcnt vmcnt(2)
	s_delay_alu instid0(VALU_DEP_1) | instskip(SKIP_4) | instid1(VALU_DEP_1)
	v_fmac_f32_e32 v112, v104, v115
	ds_load_2addr_b64 v[101:104], v2 offset0:45 offset1:46
	ds_load_b64 v[2:3], v2 offset:376
	s_waitcnt lgkmcnt(2)
	v_fmac_f32_e32 v112, v105, v116
	v_fmac_f32_e32 v112, v106, v117
	s_delay_alu instid0(VALU_DEP_1) | instskip(SKIP_1) | instid1(VALU_DEP_1)
	v_fmac_f32_e32 v112, v107, v118
	s_waitcnt vmcnt(1)
	v_fmac_f32_e32 v112, v108, v119
	s_waitcnt lgkmcnt(1)
	s_delay_alu instid0(VALU_DEP_1) | instskip(NEXT) | instid1(VALU_DEP_1)
	v_fmac_f32_e32 v112, v109, v101
	v_fmac_f32_e32 v112, v110, v102
	s_delay_alu instid0(VALU_DEP_1) | instskip(SKIP_1) | instid1(VALU_DEP_1)
	v_fmac_f32_e32 v112, v111, v103
	s_waitcnt vmcnt(0)
	v_fmac_f32_e32 v112, v120, v104
	s_waitcnt lgkmcnt(0)
	s_delay_alu instid0(VALU_DEP_1) | instskip(NEXT) | instid1(VALU_DEP_1)
	v_fmac_f32_e32 v112, v121, v2
	v_fmac_f32_e32 v112, v122, v3
	s_delay_alu instid0(VALU_DEP_1)
	v_sub_f32_e32 v2, v100, v112
	scratch_store_b32 off, v2, off offset:132
	v_cmpx_lt_u32_e32 32, v0
	s_cbranch_execz .LBB47_231
; %bb.230:
	scratch_load_b32 v2, off, off offset:128
	v_mov_b32_e32 v3, 0
	scratch_store_b32 off, v3, off offset:128
	s_waitcnt vmcnt(0)
	ds_store_b32 v1, v2
.LBB47_231:
	s_or_b32 exec_lo, exec_lo, s0
	s_waitcnt lgkmcnt(0)
	s_waitcnt_vscnt null, 0x0
	s_barrier
	buffer_gl0_inv
	s_clause 0x3
	scratch_load_b128 v[100:103], off, off offset:128
	scratch_load_b128 v[104:107], off, off offset:144
	;; [unrolled: 1-line block ×4, first 2 shown]
	v_mov_b32_e32 v2, 0
	ds_load_2addr_b32 v[116:117], v2 offset0:81 offset1:82
	ds_load_2addr_b32 v[118:119], v2 offset0:83 offset1:84
	;; [unrolled: 1-line block ×4, first 2 shown]
	s_mov_b32 s0, exec_lo
	s_waitcnt vmcnt(3) lgkmcnt(3)
	v_fma_f32 v3, v101, v116, 0
	s_delay_alu instid0(VALU_DEP_1) | instskip(SKIP_4) | instid1(VALU_DEP_1)
	v_fmac_f32_e32 v3, v102, v117
	ds_load_2addr_b32 v[101:102], v2 offset0:89 offset1:90
	s_waitcnt lgkmcnt(3)
	v_fmac_f32_e32 v3, v103, v118
	s_waitcnt vmcnt(2)
	v_fmac_f32_e32 v3, v104, v119
	ds_load_2addr_b32 v[103:104], v2 offset0:91 offset1:92
	s_waitcnt lgkmcnt(3)
	v_fmac_f32_e32 v3, v105, v120
	s_delay_alu instid0(VALU_DEP_1) | instskip(SKIP_1) | instid1(VALU_DEP_1)
	v_fmac_f32_e32 v3, v106, v121
	s_waitcnt lgkmcnt(2)
	v_fmac_f32_e32 v3, v107, v122
	ds_load_2addr_b32 v[105:106], v2 offset0:93 offset1:94
	ds_load_b32 v107, v2 offset:380
	s_waitcnt vmcnt(1)
	v_fmac_f32_e32 v3, v108, v123
	s_waitcnt lgkmcnt(3)
	s_delay_alu instid0(VALU_DEP_1) | instskip(NEXT) | instid1(VALU_DEP_1)
	v_fmac_f32_e32 v3, v109, v101
	v_fmac_f32_e32 v3, v110, v102
	s_waitcnt lgkmcnt(2)
	s_delay_alu instid0(VALU_DEP_1) | instskip(SKIP_1) | instid1(VALU_DEP_1)
	v_fmac_f32_e32 v3, v111, v103
	s_waitcnt vmcnt(0)
	v_fmac_f32_e32 v3, v112, v104
	s_waitcnt lgkmcnt(1)
	s_delay_alu instid0(VALU_DEP_1) | instskip(NEXT) | instid1(VALU_DEP_1)
	v_fmac_f32_e32 v3, v113, v105
	v_fmac_f32_e32 v3, v114, v106
	s_waitcnt lgkmcnt(0)
	s_delay_alu instid0(VALU_DEP_1) | instskip(NEXT) | instid1(VALU_DEP_1)
	v_fmac_f32_e32 v3, v115, v107
	v_sub_f32_e32 v3, v100, v3
	scratch_store_b32 off, v3, off offset:128
	v_cmpx_lt_u32_e32 31, v0
	s_cbranch_execz .LBB47_233
; %bb.232:
	scratch_load_b32 v3, off, off offset:124
	scratch_store_b32 off, v2, off offset:124
	s_waitcnt vmcnt(0)
	ds_store_b32 v1, v3
.LBB47_233:
	s_or_b32 exec_lo, exec_lo, s0
	s_waitcnt lgkmcnt(0)
	s_waitcnt_vscnt null, 0x0
	s_barrier
	buffer_gl0_inv
	s_clause 0x4
	scratch_load_b128 v[100:103], off, off offset:124
	scratch_load_b128 v[104:107], off, off offset:140
	;; [unrolled: 1-line block ×4, first 2 shown]
	scratch_load_b32 v3, off, off offset:188
	ds_load_b128 v[116:119], v2 offset:320
	ds_load_b128 v[120:123], v2 offset:336
	s_mov_b32 s0, exec_lo
	s_waitcnt vmcnt(4) lgkmcnt(1)
	v_fma_f32 v116, v101, v116, 0
	s_delay_alu instid0(VALU_DEP_1) | instskip(NEXT) | instid1(VALU_DEP_1)
	v_fmac_f32_e32 v116, v102, v117
	v_fmac_f32_e32 v116, v103, v118
	s_waitcnt vmcnt(3)
	s_delay_alu instid0(VALU_DEP_1) | instskip(SKIP_3) | instid1(VALU_DEP_1)
	v_fmac_f32_e32 v116, v104, v119
	ds_load_b128 v[101:104], v2 offset:352
	s_waitcnt lgkmcnt(1)
	v_fmac_f32_e32 v116, v105, v120
	v_fmac_f32_e32 v116, v106, v121
	s_delay_alu instid0(VALU_DEP_1) | instskip(SKIP_1) | instid1(VALU_DEP_1)
	v_fmac_f32_e32 v116, v107, v122
	s_waitcnt vmcnt(2)
	v_fmac_f32_e32 v116, v108, v123
	ds_load_b128 v[105:108], v2 offset:368
	s_waitcnt lgkmcnt(1)
	v_fmac_f32_e32 v116, v109, v101
	s_delay_alu instid0(VALU_DEP_1) | instskip(NEXT) | instid1(VALU_DEP_1)
	v_fmac_f32_e32 v116, v110, v102
	v_fmac_f32_e32 v116, v111, v103
	s_waitcnt vmcnt(1)
	s_delay_alu instid0(VALU_DEP_1) | instskip(SKIP_1) | instid1(VALU_DEP_1)
	v_fmac_f32_e32 v116, v112, v104
	s_waitcnt lgkmcnt(0)
	v_fmac_f32_e32 v116, v113, v105
	s_delay_alu instid0(VALU_DEP_1) | instskip(NEXT) | instid1(VALU_DEP_1)
	v_fmac_f32_e32 v116, v114, v106
	v_fmac_f32_e32 v116, v115, v107
	s_waitcnt vmcnt(0)
	s_delay_alu instid0(VALU_DEP_1) | instskip(NEXT) | instid1(VALU_DEP_1)
	v_fmac_f32_e32 v116, v3, v108
	v_sub_f32_e32 v2, v100, v116
	scratch_store_b32 off, v2, off offset:124
	v_cmpx_lt_u32_e32 30, v0
	s_cbranch_execz .LBB47_235
; %bb.234:
	scratch_load_b32 v2, off, off offset:120
	v_mov_b32_e32 v3, 0
	scratch_store_b32 off, v3, off offset:120
	s_waitcnt vmcnt(0)
	ds_store_b32 v1, v2
.LBB47_235:
	s_or_b32 exec_lo, exec_lo, s0
	s_waitcnt lgkmcnt(0)
	s_waitcnt_vscnt null, 0x0
	s_barrier
	buffer_gl0_inv
	s_clause 0x4
	scratch_load_b128 v[100:103], off, off offset:120
	scratch_load_b128 v[104:107], off, off offset:136
	scratch_load_b128 v[108:111], off, off offset:152
	scratch_load_b128 v[112:115], off, off offset:168
	scratch_load_b64 v[116:117], off, off offset:184
	v_mov_b32_e32 v2, 0
	ds_load_2addr_b32 v[118:119], v2 offset0:79 offset1:80
	ds_load_2addr_b32 v[120:121], v2 offset0:81 offset1:82
	ds_load_2addr_b32 v[122:123], v2 offset0:83 offset1:84
	ds_load_2addr_b32 v[124:125], v2 offset0:85 offset1:86
	s_mov_b32 s0, exec_lo
	s_waitcnt vmcnt(4) lgkmcnt(3)
	v_fma_f32 v3, v101, v118, 0
	s_delay_alu instid0(VALU_DEP_1) | instskip(SKIP_4) | instid1(VALU_DEP_1)
	v_fmac_f32_e32 v3, v102, v119
	ds_load_2addr_b32 v[101:102], v2 offset0:87 offset1:88
	s_waitcnt lgkmcnt(3)
	v_fmac_f32_e32 v3, v103, v120
	s_waitcnt vmcnt(3)
	v_fmac_f32_e32 v3, v104, v121
	ds_load_2addr_b32 v[103:104], v2 offset0:89 offset1:90
	s_waitcnt lgkmcnt(3)
	v_fmac_f32_e32 v3, v105, v122
	s_delay_alu instid0(VALU_DEP_1) | instskip(SKIP_1) | instid1(VALU_DEP_1)
	v_fmac_f32_e32 v3, v106, v123
	s_waitcnt lgkmcnt(2)
	v_fmac_f32_e32 v3, v107, v124
	s_waitcnt vmcnt(2)
	s_delay_alu instid0(VALU_DEP_1)
	v_fmac_f32_e32 v3, v108, v125
	ds_load_2addr_b32 v[105:106], v2 offset0:91 offset1:92
	ds_load_2addr_b32 v[107:108], v2 offset0:93 offset1:94
	s_waitcnt lgkmcnt(3)
	v_fmac_f32_e32 v3, v109, v101
	ds_load_b32 v101, v2 offset:380
	v_fmac_f32_e32 v3, v110, v102
	s_waitcnt lgkmcnt(3)
	s_delay_alu instid0(VALU_DEP_1) | instskip(SKIP_1) | instid1(VALU_DEP_1)
	v_fmac_f32_e32 v3, v111, v103
	s_waitcnt vmcnt(1)
	v_fmac_f32_e32 v3, v112, v104
	s_waitcnt lgkmcnt(2)
	s_delay_alu instid0(VALU_DEP_1) | instskip(NEXT) | instid1(VALU_DEP_1)
	v_fmac_f32_e32 v3, v113, v105
	v_fmac_f32_e32 v3, v114, v106
	s_waitcnt lgkmcnt(1)
	s_delay_alu instid0(VALU_DEP_1) | instskip(SKIP_1) | instid1(VALU_DEP_1)
	v_fmac_f32_e32 v3, v115, v107
	s_waitcnt vmcnt(0)
	v_fmac_f32_e32 v3, v116, v108
	s_waitcnt lgkmcnt(0)
	s_delay_alu instid0(VALU_DEP_1) | instskip(NEXT) | instid1(VALU_DEP_1)
	v_fmac_f32_e32 v3, v117, v101
	v_sub_f32_e32 v3, v100, v3
	scratch_store_b32 off, v3, off offset:120
	v_cmpx_lt_u32_e32 29, v0
	s_cbranch_execz .LBB47_237
; %bb.236:
	scratch_load_b32 v3, off, off offset:116
	scratch_store_b32 off, v2, off offset:116
	s_waitcnt vmcnt(0)
	ds_store_b32 v1, v3
.LBB47_237:
	s_or_b32 exec_lo, exec_lo, s0
	s_waitcnt lgkmcnt(0)
	s_waitcnt_vscnt null, 0x0
	s_barrier
	buffer_gl0_inv
	s_clause 0x4
	scratch_load_b128 v[100:103], off, off offset:116
	scratch_load_b128 v[104:107], off, off offset:132
	;; [unrolled: 1-line block ×4, first 2 shown]
	scratch_load_b96 v[124:126], off, off offset:180
	ds_load_2addr_b64 v[116:119], v2 offset0:39 offset1:40
	ds_load_2addr_b64 v[120:123], v2 offset0:41 offset1:42
	s_mov_b32 s0, exec_lo
	s_waitcnt vmcnt(4) lgkmcnt(1)
	v_fma_f32 v116, v101, v116, 0
	s_delay_alu instid0(VALU_DEP_1) | instskip(NEXT) | instid1(VALU_DEP_1)
	v_fmac_f32_e32 v116, v102, v117
	v_fmac_f32_e32 v116, v103, v118
	s_waitcnt vmcnt(3)
	s_delay_alu instid0(VALU_DEP_1) | instskip(SKIP_3) | instid1(VALU_DEP_1)
	v_fmac_f32_e32 v116, v104, v119
	ds_load_2addr_b64 v[101:104], v2 offset0:43 offset1:44
	s_waitcnt lgkmcnt(1)
	v_fmac_f32_e32 v116, v105, v120
	v_fmac_f32_e32 v116, v106, v121
	s_delay_alu instid0(VALU_DEP_1) | instskip(SKIP_1) | instid1(VALU_DEP_1)
	v_fmac_f32_e32 v116, v107, v122
	s_waitcnt vmcnt(2)
	v_fmac_f32_e32 v116, v108, v123
	ds_load_2addr_b64 v[105:108], v2 offset0:45 offset1:46
	ds_load_b64 v[2:3], v2 offset:376
	s_waitcnt lgkmcnt(2)
	v_fmac_f32_e32 v116, v109, v101
	s_delay_alu instid0(VALU_DEP_1) | instskip(NEXT) | instid1(VALU_DEP_1)
	v_fmac_f32_e32 v116, v110, v102
	v_fmac_f32_e32 v116, v111, v103
	s_waitcnt vmcnt(1)
	s_delay_alu instid0(VALU_DEP_1) | instskip(SKIP_1) | instid1(VALU_DEP_1)
	v_fmac_f32_e32 v116, v112, v104
	s_waitcnt lgkmcnt(1)
	v_fmac_f32_e32 v116, v113, v105
	s_delay_alu instid0(VALU_DEP_1) | instskip(NEXT) | instid1(VALU_DEP_1)
	v_fmac_f32_e32 v116, v114, v106
	v_fmac_f32_e32 v116, v115, v107
	s_waitcnt vmcnt(0)
	s_delay_alu instid0(VALU_DEP_1) | instskip(SKIP_1) | instid1(VALU_DEP_1)
	v_fmac_f32_e32 v116, v124, v108
	s_waitcnt lgkmcnt(0)
	v_fmac_f32_e32 v116, v125, v2
	s_delay_alu instid0(VALU_DEP_1) | instskip(NEXT) | instid1(VALU_DEP_1)
	v_fmac_f32_e32 v116, v126, v3
	v_sub_f32_e32 v2, v100, v116
	scratch_store_b32 off, v2, off offset:116
	v_cmpx_lt_u32_e32 28, v0
	s_cbranch_execz .LBB47_239
; %bb.238:
	scratch_load_b32 v2, off, off offset:112
	v_mov_b32_e32 v3, 0
	scratch_store_b32 off, v3, off offset:112
	s_waitcnt vmcnt(0)
	ds_store_b32 v1, v2
.LBB47_239:
	s_or_b32 exec_lo, exec_lo, s0
	s_waitcnt lgkmcnt(0)
	s_waitcnt_vscnt null, 0x0
	s_barrier
	buffer_gl0_inv
	s_clause 0x4
	scratch_load_b128 v[100:103], off, off offset:112
	scratch_load_b128 v[104:107], off, off offset:128
	scratch_load_b128 v[108:111], off, off offset:144
	scratch_load_b128 v[112:115], off, off offset:160
	scratch_load_b128 v[116:119], off, off offset:176
	v_mov_b32_e32 v2, 0
	ds_load_2addr_b32 v[120:121], v2 offset0:77 offset1:78
	ds_load_2addr_b32 v[122:123], v2 offset0:79 offset1:80
	;; [unrolled: 1-line block ×4, first 2 shown]
	s_mov_b32 s0, exec_lo
	s_waitcnt vmcnt(4) lgkmcnt(3)
	v_fma_f32 v3, v101, v120, 0
	s_delay_alu instid0(VALU_DEP_1) | instskip(SKIP_4) | instid1(VALU_DEP_1)
	v_fmac_f32_e32 v3, v102, v121
	ds_load_2addr_b32 v[101:102], v2 offset0:85 offset1:86
	s_waitcnt lgkmcnt(3)
	v_fmac_f32_e32 v3, v103, v122
	s_waitcnt vmcnt(3)
	v_fmac_f32_e32 v3, v104, v123
	ds_load_2addr_b32 v[103:104], v2 offset0:87 offset1:88
	s_waitcnt lgkmcnt(3)
	v_fmac_f32_e32 v3, v105, v124
	s_delay_alu instid0(VALU_DEP_1) | instskip(SKIP_1) | instid1(VALU_DEP_1)
	v_fmac_f32_e32 v3, v106, v125
	s_waitcnt lgkmcnt(2)
	v_fmac_f32_e32 v3, v107, v126
	s_waitcnt vmcnt(2)
	s_delay_alu instid0(VALU_DEP_1) | instskip(SKIP_4) | instid1(VALU_DEP_1)
	v_fmac_f32_e32 v3, v108, v127
	ds_load_2addr_b32 v[105:106], v2 offset0:89 offset1:90
	ds_load_2addr_b32 v[107:108], v2 offset0:91 offset1:92
	s_waitcnt lgkmcnt(3)
	v_fmac_f32_e32 v3, v109, v101
	v_fmac_f32_e32 v3, v110, v102
	ds_load_2addr_b32 v[101:102], v2 offset0:93 offset1:94
	s_waitcnt lgkmcnt(3)
	v_fmac_f32_e32 v3, v111, v103
	ds_load_b32 v103, v2 offset:380
	s_waitcnt vmcnt(1)
	v_fmac_f32_e32 v3, v112, v104
	s_waitcnt lgkmcnt(3)
	s_delay_alu instid0(VALU_DEP_1) | instskip(NEXT) | instid1(VALU_DEP_1)
	v_fmac_f32_e32 v3, v113, v105
	v_fmac_f32_e32 v3, v114, v106
	s_waitcnt lgkmcnt(2)
	s_delay_alu instid0(VALU_DEP_1) | instskip(SKIP_1) | instid1(VALU_DEP_1)
	v_fmac_f32_e32 v3, v115, v107
	s_waitcnt vmcnt(0)
	v_fmac_f32_e32 v3, v116, v108
	s_waitcnt lgkmcnt(1)
	s_delay_alu instid0(VALU_DEP_1) | instskip(NEXT) | instid1(VALU_DEP_1)
	v_fmac_f32_e32 v3, v117, v101
	v_fmac_f32_e32 v3, v118, v102
	s_waitcnt lgkmcnt(0)
	s_delay_alu instid0(VALU_DEP_1) | instskip(NEXT) | instid1(VALU_DEP_1)
	v_fmac_f32_e32 v3, v119, v103
	v_sub_f32_e32 v3, v100, v3
	scratch_store_b32 off, v3, off offset:112
	v_cmpx_lt_u32_e32 27, v0
	s_cbranch_execz .LBB47_241
; %bb.240:
	scratch_load_b32 v3, off, off offset:108
	scratch_store_b32 off, v2, off offset:108
	s_waitcnt vmcnt(0)
	ds_store_b32 v1, v3
.LBB47_241:
	s_or_b32 exec_lo, exec_lo, s0
	s_waitcnt lgkmcnt(0)
	s_waitcnt_vscnt null, 0x0
	s_barrier
	buffer_gl0_inv
	s_clause 0x5
	scratch_load_b128 v[100:103], off, off offset:108
	scratch_load_b128 v[104:107], off, off offset:124
	;; [unrolled: 1-line block ×5, first 2 shown]
	scratch_load_b32 v3, off, off offset:188
	ds_load_b128 v[120:123], v2 offset:304
	ds_load_b128 v[124:127], v2 offset:320
	s_mov_b32 s0, exec_lo
	s_waitcnt vmcnt(5) lgkmcnt(1)
	v_fma_f32 v120, v101, v120, 0
	s_delay_alu instid0(VALU_DEP_1) | instskip(NEXT) | instid1(VALU_DEP_1)
	v_fmac_f32_e32 v120, v102, v121
	v_fmac_f32_e32 v120, v103, v122
	s_waitcnt vmcnt(4)
	s_delay_alu instid0(VALU_DEP_1) | instskip(SKIP_3) | instid1(VALU_DEP_1)
	v_fmac_f32_e32 v120, v104, v123
	ds_load_b128 v[101:104], v2 offset:336
	s_waitcnt lgkmcnt(1)
	v_fmac_f32_e32 v120, v105, v124
	v_fmac_f32_e32 v120, v106, v125
	s_delay_alu instid0(VALU_DEP_1) | instskip(SKIP_1) | instid1(VALU_DEP_1)
	v_fmac_f32_e32 v120, v107, v126
	s_waitcnt vmcnt(3)
	v_fmac_f32_e32 v120, v108, v127
	ds_load_b128 v[105:108], v2 offset:352
	s_waitcnt lgkmcnt(1)
	v_fmac_f32_e32 v120, v109, v101
	s_delay_alu instid0(VALU_DEP_1) | instskip(NEXT) | instid1(VALU_DEP_1)
	v_fmac_f32_e32 v120, v110, v102
	v_fmac_f32_e32 v120, v111, v103
	s_waitcnt vmcnt(2)
	s_delay_alu instid0(VALU_DEP_1) | instskip(SKIP_3) | instid1(VALU_DEP_1)
	v_fmac_f32_e32 v120, v112, v104
	ds_load_b128 v[101:104], v2 offset:368
	s_waitcnt lgkmcnt(1)
	v_fmac_f32_e32 v120, v113, v105
	v_fmac_f32_e32 v120, v114, v106
	s_delay_alu instid0(VALU_DEP_1) | instskip(SKIP_1) | instid1(VALU_DEP_1)
	v_fmac_f32_e32 v120, v115, v107
	s_waitcnt vmcnt(1)
	v_fmac_f32_e32 v120, v116, v108
	s_waitcnt lgkmcnt(0)
	s_delay_alu instid0(VALU_DEP_1) | instskip(NEXT) | instid1(VALU_DEP_1)
	v_fmac_f32_e32 v120, v117, v101
	v_fmac_f32_e32 v120, v118, v102
	s_delay_alu instid0(VALU_DEP_1) | instskip(SKIP_1) | instid1(VALU_DEP_1)
	v_fmac_f32_e32 v120, v119, v103
	s_waitcnt vmcnt(0)
	v_fmac_f32_e32 v120, v3, v104
	s_delay_alu instid0(VALU_DEP_1)
	v_sub_f32_e32 v2, v100, v120
	scratch_store_b32 off, v2, off offset:108
	v_cmpx_lt_u32_e32 26, v0
	s_cbranch_execz .LBB47_243
; %bb.242:
	scratch_load_b32 v2, off, off offset:104
	v_mov_b32_e32 v3, 0
	scratch_store_b32 off, v3, off offset:104
	s_waitcnt vmcnt(0)
	ds_store_b32 v1, v2
.LBB47_243:
	s_or_b32 exec_lo, exec_lo, s0
	s_waitcnt lgkmcnt(0)
	s_waitcnt_vscnt null, 0x0
	s_barrier
	buffer_gl0_inv
	s_clause 0x5
	scratch_load_b128 v[100:103], off, off offset:104
	scratch_load_b128 v[104:107], off, off offset:120
	;; [unrolled: 1-line block ×5, first 2 shown]
	scratch_load_b64 v[120:121], off, off offset:184
	v_mov_b32_e32 v2, 0
	ds_load_2addr_b32 v[122:123], v2 offset0:75 offset1:76
	ds_load_2addr_b32 v[124:125], v2 offset0:77 offset1:78
	;; [unrolled: 1-line block ×4, first 2 shown]
	s_mov_b32 s0, exec_lo
	s_waitcnt vmcnt(5) lgkmcnt(3)
	v_fma_f32 v3, v101, v122, 0
	s_delay_alu instid0(VALU_DEP_1) | instskip(SKIP_4) | instid1(VALU_DEP_1)
	v_fmac_f32_e32 v3, v102, v123
	ds_load_2addr_b32 v[101:102], v2 offset0:83 offset1:84
	s_waitcnt lgkmcnt(3)
	v_fmac_f32_e32 v3, v103, v124
	s_waitcnt vmcnt(4)
	v_fmac_f32_e32 v3, v104, v125
	ds_load_2addr_b32 v[103:104], v2 offset0:85 offset1:86
	s_waitcnt lgkmcnt(3)
	v_fmac_f32_e32 v3, v105, v126
	s_delay_alu instid0(VALU_DEP_1) | instskip(SKIP_1) | instid1(VALU_DEP_1)
	v_fmac_f32_e32 v3, v106, v127
	s_waitcnt lgkmcnt(2)
	v_fmac_f32_e32 v3, v107, v128
	s_waitcnt vmcnt(3)
	s_delay_alu instid0(VALU_DEP_1) | instskip(SKIP_4) | instid1(VALU_DEP_1)
	v_fmac_f32_e32 v3, v108, v129
	ds_load_2addr_b32 v[105:106], v2 offset0:87 offset1:88
	ds_load_2addr_b32 v[107:108], v2 offset0:89 offset1:90
	s_waitcnt lgkmcnt(3)
	v_fmac_f32_e32 v3, v109, v101
	v_fmac_f32_e32 v3, v110, v102
	ds_load_2addr_b32 v[101:102], v2 offset0:91 offset1:92
	s_waitcnt lgkmcnt(3)
	v_fmac_f32_e32 v3, v111, v103
	s_waitcnt vmcnt(2)
	s_delay_alu instid0(VALU_DEP_1)
	v_fmac_f32_e32 v3, v112, v104
	ds_load_2addr_b32 v[103:104], v2 offset0:93 offset1:94
	s_waitcnt lgkmcnt(3)
	v_fmac_f32_e32 v3, v113, v105
	ds_load_b32 v105, v2 offset:380
	v_fmac_f32_e32 v3, v114, v106
	s_waitcnt lgkmcnt(3)
	s_delay_alu instid0(VALU_DEP_1) | instskip(SKIP_1) | instid1(VALU_DEP_1)
	v_fmac_f32_e32 v3, v115, v107
	s_waitcnt vmcnt(1)
	v_fmac_f32_e32 v3, v116, v108
	s_waitcnt lgkmcnt(2)
	s_delay_alu instid0(VALU_DEP_1) | instskip(NEXT) | instid1(VALU_DEP_1)
	v_fmac_f32_e32 v3, v117, v101
	v_fmac_f32_e32 v3, v118, v102
	s_waitcnt lgkmcnt(1)
	s_delay_alu instid0(VALU_DEP_1) | instskip(SKIP_1) | instid1(VALU_DEP_1)
	v_fmac_f32_e32 v3, v119, v103
	s_waitcnt vmcnt(0)
	v_fmac_f32_e32 v3, v120, v104
	s_waitcnt lgkmcnt(0)
	s_delay_alu instid0(VALU_DEP_1) | instskip(NEXT) | instid1(VALU_DEP_1)
	v_fmac_f32_e32 v3, v121, v105
	v_sub_f32_e32 v3, v100, v3
	scratch_store_b32 off, v3, off offset:104
	v_cmpx_lt_u32_e32 25, v0
	s_cbranch_execz .LBB47_245
; %bb.244:
	scratch_load_b32 v3, off, off offset:100
	scratch_store_b32 off, v2, off offset:100
	s_waitcnt vmcnt(0)
	ds_store_b32 v1, v3
.LBB47_245:
	s_or_b32 exec_lo, exec_lo, s0
	s_waitcnt lgkmcnt(0)
	s_waitcnt_vscnt null, 0x0
	s_barrier
	buffer_gl0_inv
	s_clause 0x5
	scratch_load_b128 v[100:103], off, off offset:100
	scratch_load_b128 v[104:107], off, off offset:116
	;; [unrolled: 1-line block ×5, first 2 shown]
	scratch_load_b96 v[128:130], off, off offset:180
	ds_load_2addr_b64 v[120:123], v2 offset0:37 offset1:38
	ds_load_2addr_b64 v[124:127], v2 offset0:39 offset1:40
	s_mov_b32 s0, exec_lo
	s_waitcnt vmcnt(5) lgkmcnt(1)
	v_fma_f32 v120, v101, v120, 0
	s_delay_alu instid0(VALU_DEP_1) | instskip(NEXT) | instid1(VALU_DEP_1)
	v_fmac_f32_e32 v120, v102, v121
	v_fmac_f32_e32 v120, v103, v122
	s_waitcnt vmcnt(4)
	s_delay_alu instid0(VALU_DEP_1) | instskip(SKIP_3) | instid1(VALU_DEP_1)
	v_fmac_f32_e32 v120, v104, v123
	ds_load_2addr_b64 v[101:104], v2 offset0:41 offset1:42
	s_waitcnt lgkmcnt(1)
	v_fmac_f32_e32 v120, v105, v124
	v_fmac_f32_e32 v120, v106, v125
	s_delay_alu instid0(VALU_DEP_1) | instskip(SKIP_1) | instid1(VALU_DEP_1)
	v_fmac_f32_e32 v120, v107, v126
	s_waitcnt vmcnt(3)
	v_fmac_f32_e32 v120, v108, v127
	ds_load_2addr_b64 v[105:108], v2 offset0:43 offset1:44
	s_waitcnt lgkmcnt(1)
	v_fmac_f32_e32 v120, v109, v101
	s_delay_alu instid0(VALU_DEP_1) | instskip(NEXT) | instid1(VALU_DEP_1)
	v_fmac_f32_e32 v120, v110, v102
	v_fmac_f32_e32 v120, v111, v103
	s_waitcnt vmcnt(2)
	s_delay_alu instid0(VALU_DEP_1) | instskip(SKIP_4) | instid1(VALU_DEP_1)
	v_fmac_f32_e32 v120, v112, v104
	ds_load_2addr_b64 v[101:104], v2 offset0:45 offset1:46
	ds_load_b64 v[2:3], v2 offset:376
	s_waitcnt lgkmcnt(2)
	v_fmac_f32_e32 v120, v113, v105
	v_fmac_f32_e32 v120, v114, v106
	s_delay_alu instid0(VALU_DEP_1) | instskip(SKIP_1) | instid1(VALU_DEP_1)
	v_fmac_f32_e32 v120, v115, v107
	s_waitcnt vmcnt(1)
	v_fmac_f32_e32 v120, v116, v108
	s_waitcnt lgkmcnt(1)
	s_delay_alu instid0(VALU_DEP_1) | instskip(NEXT) | instid1(VALU_DEP_1)
	v_fmac_f32_e32 v120, v117, v101
	v_fmac_f32_e32 v120, v118, v102
	s_delay_alu instid0(VALU_DEP_1) | instskip(SKIP_1) | instid1(VALU_DEP_1)
	v_fmac_f32_e32 v120, v119, v103
	s_waitcnt vmcnt(0)
	v_fmac_f32_e32 v120, v128, v104
	s_waitcnt lgkmcnt(0)
	s_delay_alu instid0(VALU_DEP_1) | instskip(NEXT) | instid1(VALU_DEP_1)
	v_fmac_f32_e32 v120, v129, v2
	v_fmac_f32_e32 v120, v130, v3
	s_delay_alu instid0(VALU_DEP_1)
	v_sub_f32_e32 v2, v100, v120
	scratch_store_b32 off, v2, off offset:100
	v_cmpx_lt_u32_e32 24, v0
	s_cbranch_execz .LBB47_247
; %bb.246:
	scratch_load_b32 v2, off, off offset:96
	v_mov_b32_e32 v3, 0
	scratch_store_b32 off, v3, off offset:96
	s_waitcnt vmcnt(0)
	ds_store_b32 v1, v2
.LBB47_247:
	s_or_b32 exec_lo, exec_lo, s0
	s_waitcnt lgkmcnt(0)
	s_waitcnt_vscnt null, 0x0
	s_barrier
	buffer_gl0_inv
	s_clause 0x5
	scratch_load_b128 v[100:103], off, off offset:96
	scratch_load_b128 v[104:107], off, off offset:112
	;; [unrolled: 1-line block ×6, first 2 shown]
	v_mov_b32_e32 v2, 0
	ds_load_2addr_b32 v[124:125], v2 offset0:73 offset1:74
	ds_load_2addr_b32 v[126:127], v2 offset0:75 offset1:76
	;; [unrolled: 1-line block ×4, first 2 shown]
	s_mov_b32 s0, exec_lo
	s_waitcnt vmcnt(5) lgkmcnt(3)
	v_fma_f32 v3, v101, v124, 0
	s_delay_alu instid0(VALU_DEP_1) | instskip(SKIP_4) | instid1(VALU_DEP_1)
	v_fmac_f32_e32 v3, v102, v125
	ds_load_2addr_b32 v[101:102], v2 offset0:81 offset1:82
	s_waitcnt lgkmcnt(3)
	v_fmac_f32_e32 v3, v103, v126
	s_waitcnt vmcnt(4)
	v_fmac_f32_e32 v3, v104, v127
	ds_load_2addr_b32 v[103:104], v2 offset0:83 offset1:84
	s_waitcnt lgkmcnt(3)
	v_fmac_f32_e32 v3, v105, v128
	s_delay_alu instid0(VALU_DEP_1) | instskip(SKIP_1) | instid1(VALU_DEP_1)
	v_fmac_f32_e32 v3, v106, v129
	s_waitcnt lgkmcnt(2)
	v_fmac_f32_e32 v3, v107, v130
	s_waitcnt vmcnt(3)
	s_delay_alu instid0(VALU_DEP_1) | instskip(SKIP_4) | instid1(VALU_DEP_1)
	v_fmac_f32_e32 v3, v108, v131
	ds_load_2addr_b32 v[105:106], v2 offset0:85 offset1:86
	ds_load_2addr_b32 v[107:108], v2 offset0:87 offset1:88
	s_waitcnt lgkmcnt(3)
	v_fmac_f32_e32 v3, v109, v101
	v_fmac_f32_e32 v3, v110, v102
	ds_load_2addr_b32 v[101:102], v2 offset0:89 offset1:90
	s_waitcnt lgkmcnt(3)
	v_fmac_f32_e32 v3, v111, v103
	s_waitcnt vmcnt(2)
	s_delay_alu instid0(VALU_DEP_1) | instskip(SKIP_3) | instid1(VALU_DEP_1)
	v_fmac_f32_e32 v3, v112, v104
	ds_load_2addr_b32 v[103:104], v2 offset0:91 offset1:92
	s_waitcnt lgkmcnt(3)
	v_fmac_f32_e32 v3, v113, v105
	v_fmac_f32_e32 v3, v114, v106
	s_waitcnt lgkmcnt(2)
	s_delay_alu instid0(VALU_DEP_1)
	v_fmac_f32_e32 v3, v115, v107
	ds_load_2addr_b32 v[105:106], v2 offset0:93 offset1:94
	ds_load_b32 v107, v2 offset:380
	s_waitcnt vmcnt(1)
	v_fmac_f32_e32 v3, v116, v108
	s_waitcnt lgkmcnt(3)
	s_delay_alu instid0(VALU_DEP_1) | instskip(NEXT) | instid1(VALU_DEP_1)
	v_fmac_f32_e32 v3, v117, v101
	v_fmac_f32_e32 v3, v118, v102
	s_waitcnt lgkmcnt(2)
	s_delay_alu instid0(VALU_DEP_1) | instskip(SKIP_1) | instid1(VALU_DEP_1)
	v_fmac_f32_e32 v3, v119, v103
	s_waitcnt vmcnt(0)
	v_fmac_f32_e32 v3, v120, v104
	s_waitcnt lgkmcnt(1)
	s_delay_alu instid0(VALU_DEP_1) | instskip(NEXT) | instid1(VALU_DEP_1)
	v_fmac_f32_e32 v3, v121, v105
	v_fmac_f32_e32 v3, v122, v106
	s_waitcnt lgkmcnt(0)
	s_delay_alu instid0(VALU_DEP_1) | instskip(NEXT) | instid1(VALU_DEP_1)
	v_fmac_f32_e32 v3, v123, v107
	v_sub_f32_e32 v3, v100, v3
	scratch_store_b32 off, v3, off offset:96
	v_cmpx_lt_u32_e32 23, v0
	s_cbranch_execz .LBB47_249
; %bb.248:
	scratch_load_b32 v3, off, off offset:92
	scratch_store_b32 off, v2, off offset:92
	s_waitcnt vmcnt(0)
	ds_store_b32 v1, v3
.LBB47_249:
	s_or_b32 exec_lo, exec_lo, s0
	s_waitcnt lgkmcnt(0)
	s_waitcnt_vscnt null, 0x0
	s_barrier
	buffer_gl0_inv
	s_clause 0x6
	scratch_load_b128 v[100:103], off, off offset:92
	scratch_load_b128 v[104:107], off, off offset:108
	;; [unrolled: 1-line block ×6, first 2 shown]
	scratch_load_b32 v3, off, off offset:188
	ds_load_b128 v[124:127], v2 offset:288
	ds_load_b128 v[128:131], v2 offset:304
	s_mov_b32 s0, exec_lo
	s_waitcnt vmcnt(6) lgkmcnt(1)
	v_fma_f32 v124, v101, v124, 0
	s_delay_alu instid0(VALU_DEP_1) | instskip(NEXT) | instid1(VALU_DEP_1)
	v_fmac_f32_e32 v124, v102, v125
	v_fmac_f32_e32 v124, v103, v126
	s_waitcnt vmcnt(5)
	s_delay_alu instid0(VALU_DEP_1) | instskip(SKIP_3) | instid1(VALU_DEP_1)
	v_fmac_f32_e32 v124, v104, v127
	ds_load_b128 v[101:104], v2 offset:320
	s_waitcnt lgkmcnt(1)
	v_fmac_f32_e32 v124, v105, v128
	v_fmac_f32_e32 v124, v106, v129
	s_delay_alu instid0(VALU_DEP_1) | instskip(SKIP_1) | instid1(VALU_DEP_1)
	v_fmac_f32_e32 v124, v107, v130
	s_waitcnt vmcnt(4)
	v_fmac_f32_e32 v124, v108, v131
	ds_load_b128 v[105:108], v2 offset:336
	s_waitcnt lgkmcnt(1)
	v_fmac_f32_e32 v124, v109, v101
	s_delay_alu instid0(VALU_DEP_1) | instskip(NEXT) | instid1(VALU_DEP_1)
	v_fmac_f32_e32 v124, v110, v102
	v_fmac_f32_e32 v124, v111, v103
	s_waitcnt vmcnt(3)
	s_delay_alu instid0(VALU_DEP_1) | instskip(SKIP_3) | instid1(VALU_DEP_1)
	v_fmac_f32_e32 v124, v112, v104
	ds_load_b128 v[101:104], v2 offset:352
	s_waitcnt lgkmcnt(1)
	v_fmac_f32_e32 v124, v113, v105
	v_fmac_f32_e32 v124, v114, v106
	s_delay_alu instid0(VALU_DEP_1) | instskip(SKIP_1) | instid1(VALU_DEP_1)
	v_fmac_f32_e32 v124, v115, v107
	s_waitcnt vmcnt(2)
	v_fmac_f32_e32 v124, v116, v108
	ds_load_b128 v[105:108], v2 offset:368
	s_waitcnt lgkmcnt(1)
	v_fmac_f32_e32 v124, v117, v101
	s_delay_alu instid0(VALU_DEP_1) | instskip(NEXT) | instid1(VALU_DEP_1)
	v_fmac_f32_e32 v124, v118, v102
	v_fmac_f32_e32 v124, v119, v103
	s_waitcnt vmcnt(1)
	s_delay_alu instid0(VALU_DEP_1) | instskip(SKIP_1) | instid1(VALU_DEP_1)
	v_fmac_f32_e32 v124, v120, v104
	s_waitcnt lgkmcnt(0)
	v_fmac_f32_e32 v124, v121, v105
	s_delay_alu instid0(VALU_DEP_1) | instskip(NEXT) | instid1(VALU_DEP_1)
	v_fmac_f32_e32 v124, v122, v106
	v_fmac_f32_e32 v124, v123, v107
	s_waitcnt vmcnt(0)
	s_delay_alu instid0(VALU_DEP_1) | instskip(NEXT) | instid1(VALU_DEP_1)
	v_fmac_f32_e32 v124, v3, v108
	v_sub_f32_e32 v2, v100, v124
	scratch_store_b32 off, v2, off offset:92
	v_cmpx_lt_u32_e32 22, v0
	s_cbranch_execz .LBB47_251
; %bb.250:
	scratch_load_b32 v2, off, off offset:88
	v_mov_b32_e32 v3, 0
	scratch_store_b32 off, v3, off offset:88
	s_waitcnt vmcnt(0)
	ds_store_b32 v1, v2
.LBB47_251:
	s_or_b32 exec_lo, exec_lo, s0
	s_waitcnt lgkmcnt(0)
	s_waitcnt_vscnt null, 0x0
	s_barrier
	buffer_gl0_inv
	s_clause 0x6
	scratch_load_b128 v[100:103], off, off offset:88
	scratch_load_b128 v[104:107], off, off offset:104
	;; [unrolled: 1-line block ×6, first 2 shown]
	scratch_load_b64 v[124:125], off, off offset:184
	v_mov_b32_e32 v2, 0
	ds_load_2addr_b32 v[126:127], v2 offset0:71 offset1:72
	ds_load_2addr_b32 v[128:129], v2 offset0:73 offset1:74
	;; [unrolled: 1-line block ×4, first 2 shown]
	s_mov_b32 s0, exec_lo
	s_waitcnt vmcnt(6) lgkmcnt(3)
	v_fma_f32 v3, v101, v126, 0
	s_delay_alu instid0(VALU_DEP_1) | instskip(SKIP_4) | instid1(VALU_DEP_1)
	v_fmac_f32_e32 v3, v102, v127
	ds_load_2addr_b32 v[101:102], v2 offset0:79 offset1:80
	s_waitcnt lgkmcnt(3)
	v_fmac_f32_e32 v3, v103, v128
	s_waitcnt vmcnt(5)
	v_fmac_f32_e32 v3, v104, v129
	ds_load_2addr_b32 v[103:104], v2 offset0:81 offset1:82
	s_waitcnt lgkmcnt(3)
	v_fmac_f32_e32 v3, v105, v130
	s_delay_alu instid0(VALU_DEP_1) | instskip(SKIP_1) | instid1(VALU_DEP_1)
	v_fmac_f32_e32 v3, v106, v131
	s_waitcnt lgkmcnt(2)
	v_fmac_f32_e32 v3, v107, v132
	s_waitcnt vmcnt(4)
	s_delay_alu instid0(VALU_DEP_1) | instskip(SKIP_4) | instid1(VALU_DEP_1)
	v_fmac_f32_e32 v3, v108, v133
	ds_load_2addr_b32 v[105:106], v2 offset0:83 offset1:84
	ds_load_2addr_b32 v[107:108], v2 offset0:85 offset1:86
	s_waitcnt lgkmcnt(3)
	v_fmac_f32_e32 v3, v109, v101
	v_fmac_f32_e32 v3, v110, v102
	ds_load_2addr_b32 v[101:102], v2 offset0:87 offset1:88
	s_waitcnt lgkmcnt(3)
	v_fmac_f32_e32 v3, v111, v103
	s_waitcnt vmcnt(3)
	s_delay_alu instid0(VALU_DEP_1) | instskip(SKIP_3) | instid1(VALU_DEP_1)
	v_fmac_f32_e32 v3, v112, v104
	ds_load_2addr_b32 v[103:104], v2 offset0:89 offset1:90
	s_waitcnt lgkmcnt(3)
	v_fmac_f32_e32 v3, v113, v105
	v_fmac_f32_e32 v3, v114, v106
	s_waitcnt lgkmcnt(2)
	s_delay_alu instid0(VALU_DEP_1) | instskip(SKIP_1) | instid1(VALU_DEP_1)
	v_fmac_f32_e32 v3, v115, v107
	s_waitcnt vmcnt(2)
	v_fmac_f32_e32 v3, v116, v108
	ds_load_2addr_b32 v[105:106], v2 offset0:91 offset1:92
	ds_load_2addr_b32 v[107:108], v2 offset0:93 offset1:94
	s_waitcnt lgkmcnt(3)
	v_fmac_f32_e32 v3, v117, v101
	ds_load_b32 v101, v2 offset:380
	v_fmac_f32_e32 v3, v118, v102
	s_waitcnt lgkmcnt(3)
	s_delay_alu instid0(VALU_DEP_1) | instskip(SKIP_1) | instid1(VALU_DEP_1)
	v_fmac_f32_e32 v3, v119, v103
	s_waitcnt vmcnt(1)
	v_fmac_f32_e32 v3, v120, v104
	s_waitcnt lgkmcnt(2)
	s_delay_alu instid0(VALU_DEP_1) | instskip(NEXT) | instid1(VALU_DEP_1)
	v_fmac_f32_e32 v3, v121, v105
	v_fmac_f32_e32 v3, v122, v106
	s_waitcnt lgkmcnt(1)
	s_delay_alu instid0(VALU_DEP_1) | instskip(SKIP_1) | instid1(VALU_DEP_1)
	v_fmac_f32_e32 v3, v123, v107
	s_waitcnt vmcnt(0)
	v_fmac_f32_e32 v3, v124, v108
	s_waitcnt lgkmcnt(0)
	s_delay_alu instid0(VALU_DEP_1) | instskip(NEXT) | instid1(VALU_DEP_1)
	v_fmac_f32_e32 v3, v125, v101
	v_sub_f32_e32 v3, v100, v3
	scratch_store_b32 off, v3, off offset:88
	v_cmpx_lt_u32_e32 21, v0
	s_cbranch_execz .LBB47_253
; %bb.252:
	scratch_load_b32 v3, off, off offset:84
	scratch_store_b32 off, v2, off offset:84
	s_waitcnt vmcnt(0)
	ds_store_b32 v1, v3
.LBB47_253:
	s_or_b32 exec_lo, exec_lo, s0
	s_waitcnt lgkmcnt(0)
	s_waitcnt_vscnt null, 0x0
	s_barrier
	buffer_gl0_inv
	s_clause 0x6
	scratch_load_b128 v[100:103], off, off offset:84
	scratch_load_b128 v[104:107], off, off offset:100
	;; [unrolled: 1-line block ×6, first 2 shown]
	scratch_load_b96 v[132:134], off, off offset:180
	ds_load_2addr_b64 v[124:127], v2 offset0:35 offset1:36
	ds_load_2addr_b64 v[128:131], v2 offset0:37 offset1:38
	s_mov_b32 s0, exec_lo
	s_waitcnt vmcnt(6) lgkmcnt(1)
	v_fma_f32 v124, v101, v124, 0
	s_delay_alu instid0(VALU_DEP_1) | instskip(NEXT) | instid1(VALU_DEP_1)
	v_fmac_f32_e32 v124, v102, v125
	v_fmac_f32_e32 v124, v103, v126
	s_waitcnt vmcnt(5)
	s_delay_alu instid0(VALU_DEP_1) | instskip(SKIP_3) | instid1(VALU_DEP_1)
	v_fmac_f32_e32 v124, v104, v127
	ds_load_2addr_b64 v[101:104], v2 offset0:39 offset1:40
	s_waitcnt lgkmcnt(1)
	v_fmac_f32_e32 v124, v105, v128
	v_fmac_f32_e32 v124, v106, v129
	s_delay_alu instid0(VALU_DEP_1) | instskip(SKIP_1) | instid1(VALU_DEP_1)
	v_fmac_f32_e32 v124, v107, v130
	s_waitcnt vmcnt(4)
	v_fmac_f32_e32 v124, v108, v131
	ds_load_2addr_b64 v[105:108], v2 offset0:41 offset1:42
	s_waitcnt lgkmcnt(1)
	v_fmac_f32_e32 v124, v109, v101
	s_delay_alu instid0(VALU_DEP_1) | instskip(NEXT) | instid1(VALU_DEP_1)
	v_fmac_f32_e32 v124, v110, v102
	v_fmac_f32_e32 v124, v111, v103
	s_waitcnt vmcnt(3)
	s_delay_alu instid0(VALU_DEP_1) | instskip(SKIP_3) | instid1(VALU_DEP_1)
	v_fmac_f32_e32 v124, v112, v104
	ds_load_2addr_b64 v[101:104], v2 offset0:43 offset1:44
	s_waitcnt lgkmcnt(1)
	v_fmac_f32_e32 v124, v113, v105
	v_fmac_f32_e32 v124, v114, v106
	s_delay_alu instid0(VALU_DEP_1) | instskip(SKIP_1) | instid1(VALU_DEP_1)
	v_fmac_f32_e32 v124, v115, v107
	s_waitcnt vmcnt(2)
	v_fmac_f32_e32 v124, v116, v108
	ds_load_2addr_b64 v[105:108], v2 offset0:45 offset1:46
	ds_load_b64 v[2:3], v2 offset:376
	s_waitcnt lgkmcnt(2)
	v_fmac_f32_e32 v124, v117, v101
	s_delay_alu instid0(VALU_DEP_1) | instskip(NEXT) | instid1(VALU_DEP_1)
	v_fmac_f32_e32 v124, v118, v102
	v_fmac_f32_e32 v124, v119, v103
	s_waitcnt vmcnt(1)
	s_delay_alu instid0(VALU_DEP_1) | instskip(SKIP_1) | instid1(VALU_DEP_1)
	v_fmac_f32_e32 v124, v120, v104
	s_waitcnt lgkmcnt(1)
	v_fmac_f32_e32 v124, v121, v105
	s_delay_alu instid0(VALU_DEP_1) | instskip(NEXT) | instid1(VALU_DEP_1)
	v_fmac_f32_e32 v124, v122, v106
	v_fmac_f32_e32 v124, v123, v107
	s_waitcnt vmcnt(0)
	s_delay_alu instid0(VALU_DEP_1) | instskip(SKIP_1) | instid1(VALU_DEP_1)
	v_fmac_f32_e32 v124, v132, v108
	s_waitcnt lgkmcnt(0)
	v_fmac_f32_e32 v124, v133, v2
	s_delay_alu instid0(VALU_DEP_1) | instskip(NEXT) | instid1(VALU_DEP_1)
	v_fmac_f32_e32 v124, v134, v3
	v_sub_f32_e32 v2, v100, v124
	scratch_store_b32 off, v2, off offset:84
	v_cmpx_lt_u32_e32 20, v0
	s_cbranch_execz .LBB47_255
; %bb.254:
	scratch_load_b32 v2, off, off offset:80
	v_mov_b32_e32 v3, 0
	scratch_store_b32 off, v3, off offset:80
	s_waitcnt vmcnt(0)
	ds_store_b32 v1, v2
.LBB47_255:
	s_or_b32 exec_lo, exec_lo, s0
	s_waitcnt lgkmcnt(0)
	s_waitcnt_vscnt null, 0x0
	s_barrier
	buffer_gl0_inv
	s_clause 0x6
	scratch_load_b128 v[100:103], off, off offset:80
	scratch_load_b128 v[104:107], off, off offset:96
	;; [unrolled: 1-line block ×7, first 2 shown]
	v_mov_b32_e32 v2, 0
	ds_load_2addr_b32 v[128:129], v2 offset0:69 offset1:70
	ds_load_2addr_b32 v[130:131], v2 offset0:71 offset1:72
	;; [unrolled: 1-line block ×4, first 2 shown]
	s_mov_b32 s0, exec_lo
	s_waitcnt vmcnt(6) lgkmcnt(3)
	v_fma_f32 v3, v101, v128, 0
	s_delay_alu instid0(VALU_DEP_1) | instskip(SKIP_4) | instid1(VALU_DEP_1)
	v_fmac_f32_e32 v3, v102, v129
	ds_load_2addr_b32 v[101:102], v2 offset0:77 offset1:78
	s_waitcnt lgkmcnt(3)
	v_fmac_f32_e32 v3, v103, v130
	s_waitcnt vmcnt(5)
	v_fmac_f32_e32 v3, v104, v131
	ds_load_2addr_b32 v[103:104], v2 offset0:79 offset1:80
	s_waitcnt lgkmcnt(3)
	v_fmac_f32_e32 v3, v105, v132
	s_delay_alu instid0(VALU_DEP_1) | instskip(SKIP_1) | instid1(VALU_DEP_1)
	v_fmac_f32_e32 v3, v106, v133
	s_waitcnt lgkmcnt(2)
	v_fmac_f32_e32 v3, v107, v134
	s_waitcnt vmcnt(4)
	s_delay_alu instid0(VALU_DEP_1) | instskip(SKIP_4) | instid1(VALU_DEP_1)
	v_fmac_f32_e32 v3, v108, v135
	ds_load_2addr_b32 v[105:106], v2 offset0:81 offset1:82
	ds_load_2addr_b32 v[107:108], v2 offset0:83 offset1:84
	s_waitcnt lgkmcnt(3)
	v_fmac_f32_e32 v3, v109, v101
	v_fmac_f32_e32 v3, v110, v102
	ds_load_2addr_b32 v[101:102], v2 offset0:85 offset1:86
	s_waitcnt lgkmcnt(3)
	v_fmac_f32_e32 v3, v111, v103
	s_waitcnt vmcnt(3)
	s_delay_alu instid0(VALU_DEP_1) | instskip(SKIP_3) | instid1(VALU_DEP_1)
	v_fmac_f32_e32 v3, v112, v104
	ds_load_2addr_b32 v[103:104], v2 offset0:87 offset1:88
	s_waitcnt lgkmcnt(3)
	v_fmac_f32_e32 v3, v113, v105
	v_fmac_f32_e32 v3, v114, v106
	s_waitcnt lgkmcnt(2)
	s_delay_alu instid0(VALU_DEP_1) | instskip(SKIP_1) | instid1(VALU_DEP_1)
	v_fmac_f32_e32 v3, v115, v107
	s_waitcnt vmcnt(2)
	v_fmac_f32_e32 v3, v116, v108
	ds_load_2addr_b32 v[105:106], v2 offset0:89 offset1:90
	ds_load_2addr_b32 v[107:108], v2 offset0:91 offset1:92
	s_waitcnt lgkmcnt(3)
	v_fmac_f32_e32 v3, v117, v101
	s_delay_alu instid0(VALU_DEP_1)
	v_fmac_f32_e32 v3, v118, v102
	ds_load_2addr_b32 v[101:102], v2 offset0:93 offset1:94
	s_waitcnt lgkmcnt(3)
	v_fmac_f32_e32 v3, v119, v103
	ds_load_b32 v103, v2 offset:380
	s_waitcnt vmcnt(1)
	v_fmac_f32_e32 v3, v120, v104
	s_waitcnt lgkmcnt(3)
	s_delay_alu instid0(VALU_DEP_1) | instskip(NEXT) | instid1(VALU_DEP_1)
	v_fmac_f32_e32 v3, v121, v105
	v_fmac_f32_e32 v3, v122, v106
	s_waitcnt lgkmcnt(2)
	s_delay_alu instid0(VALU_DEP_1) | instskip(SKIP_1) | instid1(VALU_DEP_1)
	v_fmac_f32_e32 v3, v123, v107
	s_waitcnt vmcnt(0)
	v_fmac_f32_e32 v3, v124, v108
	s_waitcnt lgkmcnt(1)
	s_delay_alu instid0(VALU_DEP_1) | instskip(NEXT) | instid1(VALU_DEP_1)
	v_fmac_f32_e32 v3, v125, v101
	v_fmac_f32_e32 v3, v126, v102
	s_waitcnt lgkmcnt(0)
	s_delay_alu instid0(VALU_DEP_1) | instskip(NEXT) | instid1(VALU_DEP_1)
	v_fmac_f32_e32 v3, v127, v103
	v_sub_f32_e32 v3, v100, v3
	scratch_store_b32 off, v3, off offset:80
	v_cmpx_lt_u32_e32 19, v0
	s_cbranch_execz .LBB47_257
; %bb.256:
	scratch_load_b32 v3, off, off offset:76
	scratch_store_b32 off, v2, off offset:76
	s_waitcnt vmcnt(0)
	ds_store_b32 v1, v3
.LBB47_257:
	s_or_b32 exec_lo, exec_lo, s0
	s_waitcnt lgkmcnt(0)
	s_waitcnt_vscnt null, 0x0
	s_barrier
	buffer_gl0_inv
	s_clause 0x7
	scratch_load_b128 v[100:103], off, off offset:76
	scratch_load_b128 v[104:107], off, off offset:92
	;; [unrolled: 1-line block ×7, first 2 shown]
	scratch_load_b32 v3, off, off offset:188
	ds_load_b128 v[128:131], v2 offset:272
	ds_load_b128 v[132:135], v2 offset:288
	s_mov_b32 s0, exec_lo
	s_waitcnt vmcnt(7) lgkmcnt(1)
	v_fma_f32 v128, v101, v128, 0
	s_delay_alu instid0(VALU_DEP_1) | instskip(NEXT) | instid1(VALU_DEP_1)
	v_fmac_f32_e32 v128, v102, v129
	v_fmac_f32_e32 v128, v103, v130
	s_waitcnt vmcnt(6)
	s_delay_alu instid0(VALU_DEP_1) | instskip(SKIP_3) | instid1(VALU_DEP_1)
	v_fmac_f32_e32 v128, v104, v131
	ds_load_b128 v[101:104], v2 offset:304
	s_waitcnt lgkmcnt(1)
	v_fmac_f32_e32 v128, v105, v132
	v_fmac_f32_e32 v128, v106, v133
	s_delay_alu instid0(VALU_DEP_1) | instskip(SKIP_1) | instid1(VALU_DEP_1)
	v_fmac_f32_e32 v128, v107, v134
	s_waitcnt vmcnt(5)
	v_fmac_f32_e32 v128, v108, v135
	ds_load_b128 v[105:108], v2 offset:320
	s_waitcnt lgkmcnt(1)
	v_fmac_f32_e32 v128, v109, v101
	s_delay_alu instid0(VALU_DEP_1) | instskip(NEXT) | instid1(VALU_DEP_1)
	v_fmac_f32_e32 v128, v110, v102
	v_fmac_f32_e32 v128, v111, v103
	s_waitcnt vmcnt(4)
	s_delay_alu instid0(VALU_DEP_1) | instskip(SKIP_3) | instid1(VALU_DEP_1)
	v_fmac_f32_e32 v128, v112, v104
	ds_load_b128 v[101:104], v2 offset:336
	s_waitcnt lgkmcnt(1)
	v_fmac_f32_e32 v128, v113, v105
	v_fmac_f32_e32 v128, v114, v106
	s_delay_alu instid0(VALU_DEP_1) | instskip(SKIP_1) | instid1(VALU_DEP_1)
	v_fmac_f32_e32 v128, v115, v107
	s_waitcnt vmcnt(3)
	v_fmac_f32_e32 v128, v116, v108
	ds_load_b128 v[105:108], v2 offset:352
	s_waitcnt lgkmcnt(1)
	v_fmac_f32_e32 v128, v117, v101
	s_delay_alu instid0(VALU_DEP_1) | instskip(NEXT) | instid1(VALU_DEP_1)
	v_fmac_f32_e32 v128, v118, v102
	v_fmac_f32_e32 v128, v119, v103
	s_waitcnt vmcnt(2)
	s_delay_alu instid0(VALU_DEP_1) | instskip(SKIP_3) | instid1(VALU_DEP_1)
	v_fmac_f32_e32 v128, v120, v104
	ds_load_b128 v[101:104], v2 offset:368
	s_waitcnt lgkmcnt(1)
	v_fmac_f32_e32 v128, v121, v105
	v_fmac_f32_e32 v128, v122, v106
	s_delay_alu instid0(VALU_DEP_1) | instskip(SKIP_1) | instid1(VALU_DEP_1)
	v_fmac_f32_e32 v128, v123, v107
	s_waitcnt vmcnt(1)
	v_fmac_f32_e32 v128, v124, v108
	s_waitcnt lgkmcnt(0)
	s_delay_alu instid0(VALU_DEP_1) | instskip(NEXT) | instid1(VALU_DEP_1)
	v_fmac_f32_e32 v128, v125, v101
	v_fmac_f32_e32 v128, v126, v102
	s_delay_alu instid0(VALU_DEP_1) | instskip(SKIP_1) | instid1(VALU_DEP_1)
	v_fmac_f32_e32 v128, v127, v103
	s_waitcnt vmcnt(0)
	v_fmac_f32_e32 v128, v3, v104
	s_delay_alu instid0(VALU_DEP_1)
	v_sub_f32_e32 v2, v100, v128
	scratch_store_b32 off, v2, off offset:76
	v_cmpx_lt_u32_e32 18, v0
	s_cbranch_execz .LBB47_259
; %bb.258:
	scratch_load_b32 v2, off, off offset:72
	v_mov_b32_e32 v3, 0
	scratch_store_b32 off, v3, off offset:72
	s_waitcnt vmcnt(0)
	ds_store_b32 v1, v2
.LBB47_259:
	s_or_b32 exec_lo, exec_lo, s0
	s_waitcnt lgkmcnt(0)
	s_waitcnt_vscnt null, 0x0
	s_barrier
	buffer_gl0_inv
	s_clause 0x7
	scratch_load_b128 v[100:103], off, off offset:72
	scratch_load_b128 v[104:107], off, off offset:88
	;; [unrolled: 1-line block ×7, first 2 shown]
	scratch_load_b64 v[128:129], off, off offset:184
	v_mov_b32_e32 v2, 0
	ds_load_2addr_b32 v[130:131], v2 offset0:67 offset1:68
	ds_load_2addr_b32 v[132:133], v2 offset0:69 offset1:70
	ds_load_2addr_b32 v[134:135], v2 offset0:71 offset1:72
	ds_load_2addr_b32 v[136:137], v2 offset0:73 offset1:74
	s_mov_b32 s0, exec_lo
	s_waitcnt vmcnt(7) lgkmcnt(3)
	v_fma_f32 v3, v101, v130, 0
	s_delay_alu instid0(VALU_DEP_1) | instskip(SKIP_4) | instid1(VALU_DEP_1)
	v_fmac_f32_e32 v3, v102, v131
	ds_load_2addr_b32 v[101:102], v2 offset0:75 offset1:76
	s_waitcnt lgkmcnt(3)
	v_fmac_f32_e32 v3, v103, v132
	s_waitcnt vmcnt(6)
	v_fmac_f32_e32 v3, v104, v133
	ds_load_2addr_b32 v[103:104], v2 offset0:77 offset1:78
	s_waitcnt lgkmcnt(3)
	v_fmac_f32_e32 v3, v105, v134
	s_delay_alu instid0(VALU_DEP_1) | instskip(SKIP_1) | instid1(VALU_DEP_1)
	v_fmac_f32_e32 v3, v106, v135
	s_waitcnt lgkmcnt(2)
	v_fmac_f32_e32 v3, v107, v136
	s_waitcnt vmcnt(5)
	s_delay_alu instid0(VALU_DEP_1) | instskip(SKIP_4) | instid1(VALU_DEP_1)
	v_fmac_f32_e32 v3, v108, v137
	ds_load_2addr_b32 v[105:106], v2 offset0:79 offset1:80
	ds_load_2addr_b32 v[107:108], v2 offset0:81 offset1:82
	s_waitcnt lgkmcnt(3)
	v_fmac_f32_e32 v3, v109, v101
	v_fmac_f32_e32 v3, v110, v102
	ds_load_2addr_b32 v[101:102], v2 offset0:83 offset1:84
	s_waitcnt lgkmcnt(3)
	v_fmac_f32_e32 v3, v111, v103
	s_waitcnt vmcnt(4)
	s_delay_alu instid0(VALU_DEP_1) | instskip(SKIP_3) | instid1(VALU_DEP_1)
	v_fmac_f32_e32 v3, v112, v104
	ds_load_2addr_b32 v[103:104], v2 offset0:85 offset1:86
	s_waitcnt lgkmcnt(3)
	v_fmac_f32_e32 v3, v113, v105
	v_fmac_f32_e32 v3, v114, v106
	s_waitcnt lgkmcnt(2)
	s_delay_alu instid0(VALU_DEP_1) | instskip(SKIP_1) | instid1(VALU_DEP_1)
	v_fmac_f32_e32 v3, v115, v107
	s_waitcnt vmcnt(3)
	v_fmac_f32_e32 v3, v116, v108
	ds_load_2addr_b32 v[105:106], v2 offset0:87 offset1:88
	ds_load_2addr_b32 v[107:108], v2 offset0:89 offset1:90
	s_waitcnt lgkmcnt(3)
	v_fmac_f32_e32 v3, v117, v101
	s_delay_alu instid0(VALU_DEP_1) | instskip(SKIP_4) | instid1(VALU_DEP_1)
	v_fmac_f32_e32 v3, v118, v102
	ds_load_2addr_b32 v[101:102], v2 offset0:91 offset1:92
	s_waitcnt lgkmcnt(3)
	v_fmac_f32_e32 v3, v119, v103
	s_waitcnt vmcnt(2)
	v_fmac_f32_e32 v3, v120, v104
	ds_load_2addr_b32 v[103:104], v2 offset0:93 offset1:94
	s_waitcnt lgkmcnt(3)
	v_fmac_f32_e32 v3, v121, v105
	ds_load_b32 v105, v2 offset:380
	v_fmac_f32_e32 v3, v122, v106
	s_waitcnt lgkmcnt(3)
	s_delay_alu instid0(VALU_DEP_1) | instskip(SKIP_1) | instid1(VALU_DEP_1)
	v_fmac_f32_e32 v3, v123, v107
	s_waitcnt vmcnt(1)
	v_fmac_f32_e32 v3, v124, v108
	s_waitcnt lgkmcnt(2)
	s_delay_alu instid0(VALU_DEP_1) | instskip(NEXT) | instid1(VALU_DEP_1)
	v_fmac_f32_e32 v3, v125, v101
	v_fmac_f32_e32 v3, v126, v102
	s_waitcnt lgkmcnt(1)
	s_delay_alu instid0(VALU_DEP_1) | instskip(SKIP_1) | instid1(VALU_DEP_1)
	v_fmac_f32_e32 v3, v127, v103
	s_waitcnt vmcnt(0)
	v_fmac_f32_e32 v3, v128, v104
	s_waitcnt lgkmcnt(0)
	s_delay_alu instid0(VALU_DEP_1) | instskip(NEXT) | instid1(VALU_DEP_1)
	v_fmac_f32_e32 v3, v129, v105
	v_sub_f32_e32 v3, v100, v3
	scratch_store_b32 off, v3, off offset:72
	v_cmpx_lt_u32_e32 17, v0
	s_cbranch_execz .LBB47_261
; %bb.260:
	scratch_load_b32 v3, off, off offset:68
	scratch_store_b32 off, v2, off offset:68
	s_waitcnt vmcnt(0)
	ds_store_b32 v1, v3
.LBB47_261:
	s_or_b32 exec_lo, exec_lo, s0
	s_waitcnt lgkmcnt(0)
	s_waitcnt_vscnt null, 0x0
	s_barrier
	buffer_gl0_inv
	s_clause 0x7
	scratch_load_b128 v[100:103], off, off offset:68
	scratch_load_b128 v[104:107], off, off offset:84
	scratch_load_b128 v[108:111], off, off offset:100
	scratch_load_b128 v[112:115], off, off offset:116
	scratch_load_b128 v[116:119], off, off offset:132
	scratch_load_b128 v[120:123], off, off offset:148
	scratch_load_b128 v[124:127], off, off offset:164
	scratch_load_b96 v[136:138], off, off offset:180
	ds_load_2addr_b64 v[128:131], v2 offset0:33 offset1:34
	ds_load_2addr_b64 v[132:135], v2 offset0:35 offset1:36
	s_mov_b32 s0, exec_lo
	s_waitcnt vmcnt(7) lgkmcnt(1)
	v_fma_f32 v128, v101, v128, 0
	s_delay_alu instid0(VALU_DEP_1) | instskip(NEXT) | instid1(VALU_DEP_1)
	v_fmac_f32_e32 v128, v102, v129
	v_fmac_f32_e32 v128, v103, v130
	s_waitcnt vmcnt(6)
	s_delay_alu instid0(VALU_DEP_1) | instskip(SKIP_3) | instid1(VALU_DEP_1)
	v_fmac_f32_e32 v128, v104, v131
	ds_load_2addr_b64 v[101:104], v2 offset0:37 offset1:38
	s_waitcnt lgkmcnt(1)
	v_fmac_f32_e32 v128, v105, v132
	v_fmac_f32_e32 v128, v106, v133
	s_delay_alu instid0(VALU_DEP_1) | instskip(SKIP_1) | instid1(VALU_DEP_1)
	v_fmac_f32_e32 v128, v107, v134
	s_waitcnt vmcnt(5)
	v_fmac_f32_e32 v128, v108, v135
	ds_load_2addr_b64 v[105:108], v2 offset0:39 offset1:40
	s_waitcnt lgkmcnt(1)
	v_fmac_f32_e32 v128, v109, v101
	s_delay_alu instid0(VALU_DEP_1) | instskip(NEXT) | instid1(VALU_DEP_1)
	v_fmac_f32_e32 v128, v110, v102
	v_fmac_f32_e32 v128, v111, v103
	s_waitcnt vmcnt(4)
	s_delay_alu instid0(VALU_DEP_1) | instskip(SKIP_3) | instid1(VALU_DEP_1)
	v_fmac_f32_e32 v128, v112, v104
	ds_load_2addr_b64 v[101:104], v2 offset0:41 offset1:42
	s_waitcnt lgkmcnt(1)
	v_fmac_f32_e32 v128, v113, v105
	v_fmac_f32_e32 v128, v114, v106
	s_delay_alu instid0(VALU_DEP_1) | instskip(SKIP_1) | instid1(VALU_DEP_1)
	v_fmac_f32_e32 v128, v115, v107
	s_waitcnt vmcnt(3)
	v_fmac_f32_e32 v128, v116, v108
	ds_load_2addr_b64 v[105:108], v2 offset0:43 offset1:44
	s_waitcnt lgkmcnt(1)
	v_fmac_f32_e32 v128, v117, v101
	s_delay_alu instid0(VALU_DEP_1) | instskip(NEXT) | instid1(VALU_DEP_1)
	v_fmac_f32_e32 v128, v118, v102
	v_fmac_f32_e32 v128, v119, v103
	s_waitcnt vmcnt(2)
	s_delay_alu instid0(VALU_DEP_1) | instskip(SKIP_4) | instid1(VALU_DEP_1)
	v_fmac_f32_e32 v128, v120, v104
	ds_load_2addr_b64 v[101:104], v2 offset0:45 offset1:46
	ds_load_b64 v[2:3], v2 offset:376
	s_waitcnt lgkmcnt(2)
	v_fmac_f32_e32 v128, v121, v105
	v_fmac_f32_e32 v128, v122, v106
	s_delay_alu instid0(VALU_DEP_1) | instskip(SKIP_1) | instid1(VALU_DEP_1)
	v_fmac_f32_e32 v128, v123, v107
	s_waitcnt vmcnt(1)
	v_fmac_f32_e32 v128, v124, v108
	s_waitcnt lgkmcnt(1)
	s_delay_alu instid0(VALU_DEP_1) | instskip(NEXT) | instid1(VALU_DEP_1)
	v_fmac_f32_e32 v128, v125, v101
	v_fmac_f32_e32 v128, v126, v102
	s_delay_alu instid0(VALU_DEP_1) | instskip(SKIP_1) | instid1(VALU_DEP_1)
	v_fmac_f32_e32 v128, v127, v103
	s_waitcnt vmcnt(0)
	v_fmac_f32_e32 v128, v136, v104
	s_waitcnt lgkmcnt(0)
	s_delay_alu instid0(VALU_DEP_1) | instskip(NEXT) | instid1(VALU_DEP_1)
	v_fmac_f32_e32 v128, v137, v2
	v_fmac_f32_e32 v128, v138, v3
	s_delay_alu instid0(VALU_DEP_1)
	v_sub_f32_e32 v2, v100, v128
	scratch_store_b32 off, v2, off offset:68
	v_cmpx_lt_u32_e32 16, v0
	s_cbranch_execz .LBB47_263
; %bb.262:
	scratch_load_b32 v2, off, off offset:64
	v_mov_b32_e32 v3, 0
	scratch_store_b32 off, v3, off offset:64
	s_waitcnt vmcnt(0)
	ds_store_b32 v1, v2
.LBB47_263:
	s_or_b32 exec_lo, exec_lo, s0
	s_waitcnt lgkmcnt(0)
	s_waitcnt_vscnt null, 0x0
	s_barrier
	buffer_gl0_inv
	s_clause 0x7
	scratch_load_b128 v[100:103], off, off offset:64
	scratch_load_b128 v[104:107], off, off offset:80
	;; [unrolled: 1-line block ×8, first 2 shown]
	v_mov_b32_e32 v2, 0
	ds_load_2addr_b32 v[132:133], v2 offset0:65 offset1:66
	ds_load_2addr_b32 v[134:135], v2 offset0:67 offset1:68
	;; [unrolled: 1-line block ×4, first 2 shown]
	s_mov_b32 s0, exec_lo
	s_waitcnt vmcnt(7) lgkmcnt(3)
	v_fma_f32 v3, v101, v132, 0
	s_delay_alu instid0(VALU_DEP_1) | instskip(SKIP_4) | instid1(VALU_DEP_1)
	v_fmac_f32_e32 v3, v102, v133
	ds_load_2addr_b32 v[101:102], v2 offset0:73 offset1:74
	s_waitcnt lgkmcnt(3)
	v_fmac_f32_e32 v3, v103, v134
	s_waitcnt vmcnt(6)
	v_fmac_f32_e32 v3, v104, v135
	ds_load_2addr_b32 v[103:104], v2 offset0:75 offset1:76
	s_waitcnt lgkmcnt(3)
	v_fmac_f32_e32 v3, v105, v136
	s_delay_alu instid0(VALU_DEP_1) | instskip(SKIP_1) | instid1(VALU_DEP_1)
	v_fmac_f32_e32 v3, v106, v137
	s_waitcnt lgkmcnt(2)
	v_fmac_f32_e32 v3, v107, v138
	s_waitcnt vmcnt(5)
	s_delay_alu instid0(VALU_DEP_1) | instskip(SKIP_4) | instid1(VALU_DEP_1)
	v_fmac_f32_e32 v3, v108, v139
	ds_load_2addr_b32 v[105:106], v2 offset0:77 offset1:78
	ds_load_2addr_b32 v[107:108], v2 offset0:79 offset1:80
	s_waitcnt lgkmcnt(3)
	v_fmac_f32_e32 v3, v109, v101
	v_fmac_f32_e32 v3, v110, v102
	ds_load_2addr_b32 v[101:102], v2 offset0:81 offset1:82
	s_waitcnt lgkmcnt(3)
	v_fmac_f32_e32 v3, v111, v103
	s_waitcnt vmcnt(4)
	s_delay_alu instid0(VALU_DEP_1) | instskip(SKIP_3) | instid1(VALU_DEP_1)
	v_fmac_f32_e32 v3, v112, v104
	ds_load_2addr_b32 v[103:104], v2 offset0:83 offset1:84
	s_waitcnt lgkmcnt(3)
	v_fmac_f32_e32 v3, v113, v105
	v_fmac_f32_e32 v3, v114, v106
	s_waitcnt lgkmcnt(2)
	s_delay_alu instid0(VALU_DEP_1) | instskip(SKIP_1) | instid1(VALU_DEP_1)
	v_fmac_f32_e32 v3, v115, v107
	s_waitcnt vmcnt(3)
	v_fmac_f32_e32 v3, v116, v108
	ds_load_2addr_b32 v[105:106], v2 offset0:85 offset1:86
	ds_load_2addr_b32 v[107:108], v2 offset0:87 offset1:88
	s_waitcnt lgkmcnt(3)
	v_fmac_f32_e32 v3, v117, v101
	s_delay_alu instid0(VALU_DEP_1) | instskip(SKIP_4) | instid1(VALU_DEP_1)
	v_fmac_f32_e32 v3, v118, v102
	ds_load_2addr_b32 v[101:102], v2 offset0:89 offset1:90
	s_waitcnt lgkmcnt(3)
	v_fmac_f32_e32 v3, v119, v103
	s_waitcnt vmcnt(2)
	v_fmac_f32_e32 v3, v120, v104
	ds_load_2addr_b32 v[103:104], v2 offset0:91 offset1:92
	s_waitcnt lgkmcnt(3)
	v_fmac_f32_e32 v3, v121, v105
	s_delay_alu instid0(VALU_DEP_1) | instskip(SKIP_1) | instid1(VALU_DEP_1)
	v_fmac_f32_e32 v3, v122, v106
	s_waitcnt lgkmcnt(2)
	v_fmac_f32_e32 v3, v123, v107
	ds_load_2addr_b32 v[105:106], v2 offset0:93 offset1:94
	ds_load_b32 v107, v2 offset:380
	s_waitcnt vmcnt(1)
	v_fmac_f32_e32 v3, v124, v108
	s_waitcnt lgkmcnt(3)
	s_delay_alu instid0(VALU_DEP_1) | instskip(NEXT) | instid1(VALU_DEP_1)
	v_fmac_f32_e32 v3, v125, v101
	v_fmac_f32_e32 v3, v126, v102
	s_waitcnt lgkmcnt(2)
	s_delay_alu instid0(VALU_DEP_1) | instskip(SKIP_1) | instid1(VALU_DEP_1)
	v_fmac_f32_e32 v3, v127, v103
	s_waitcnt vmcnt(0)
	v_fmac_f32_e32 v3, v128, v104
	s_waitcnt lgkmcnt(1)
	s_delay_alu instid0(VALU_DEP_1) | instskip(NEXT) | instid1(VALU_DEP_1)
	v_fmac_f32_e32 v3, v129, v105
	v_fmac_f32_e32 v3, v130, v106
	s_waitcnt lgkmcnt(0)
	s_delay_alu instid0(VALU_DEP_1) | instskip(NEXT) | instid1(VALU_DEP_1)
	v_fmac_f32_e32 v3, v131, v107
	v_sub_f32_e32 v3, v100, v3
	scratch_store_b32 off, v3, off offset:64
	v_cmpx_lt_u32_e32 15, v0
	s_cbranch_execz .LBB47_265
; %bb.264:
	scratch_load_b32 v3, off, off offset:60
	scratch_store_b32 off, v2, off offset:60
	s_waitcnt vmcnt(0)
	ds_store_b32 v1, v3
.LBB47_265:
	s_or_b32 exec_lo, exec_lo, s0
	s_waitcnt lgkmcnt(0)
	s_waitcnt_vscnt null, 0x0
	s_barrier
	buffer_gl0_inv
	s_clause 0x8
	scratch_load_b128 v[100:103], off, off offset:60
	scratch_load_b128 v[104:107], off, off offset:76
	;; [unrolled: 1-line block ×8, first 2 shown]
	scratch_load_b32 v3, off, off offset:188
	ds_load_b128 v[132:135], v2 offset:256
	ds_load_b128 v[136:139], v2 offset:272
	s_mov_b32 s0, exec_lo
	s_waitcnt vmcnt(8) lgkmcnt(1)
	v_fma_f32 v132, v101, v132, 0
	s_delay_alu instid0(VALU_DEP_1) | instskip(NEXT) | instid1(VALU_DEP_1)
	v_fmac_f32_e32 v132, v102, v133
	v_fmac_f32_e32 v132, v103, v134
	s_waitcnt vmcnt(7)
	s_delay_alu instid0(VALU_DEP_1) | instskip(SKIP_3) | instid1(VALU_DEP_1)
	v_fmac_f32_e32 v132, v104, v135
	ds_load_b128 v[101:104], v2 offset:288
	s_waitcnt lgkmcnt(1)
	v_fmac_f32_e32 v132, v105, v136
	v_fmac_f32_e32 v132, v106, v137
	s_delay_alu instid0(VALU_DEP_1) | instskip(SKIP_1) | instid1(VALU_DEP_1)
	v_fmac_f32_e32 v132, v107, v138
	s_waitcnt vmcnt(6)
	v_fmac_f32_e32 v132, v108, v139
	ds_load_b128 v[105:108], v2 offset:304
	s_waitcnt lgkmcnt(1)
	v_fmac_f32_e32 v132, v109, v101
	s_delay_alu instid0(VALU_DEP_1) | instskip(NEXT) | instid1(VALU_DEP_1)
	v_fmac_f32_e32 v132, v110, v102
	v_fmac_f32_e32 v132, v111, v103
	s_waitcnt vmcnt(5)
	s_delay_alu instid0(VALU_DEP_1) | instskip(SKIP_3) | instid1(VALU_DEP_1)
	v_fmac_f32_e32 v132, v112, v104
	ds_load_b128 v[101:104], v2 offset:320
	s_waitcnt lgkmcnt(1)
	v_fmac_f32_e32 v132, v113, v105
	v_fmac_f32_e32 v132, v114, v106
	s_delay_alu instid0(VALU_DEP_1) | instskip(SKIP_1) | instid1(VALU_DEP_1)
	v_fmac_f32_e32 v132, v115, v107
	s_waitcnt vmcnt(4)
	v_fmac_f32_e32 v132, v116, v108
	ds_load_b128 v[105:108], v2 offset:336
	s_waitcnt lgkmcnt(1)
	v_fmac_f32_e32 v132, v117, v101
	;; [unrolled: 17-line block ×3, first 2 shown]
	s_delay_alu instid0(VALU_DEP_1) | instskip(NEXT) | instid1(VALU_DEP_1)
	v_fmac_f32_e32 v132, v126, v102
	v_fmac_f32_e32 v132, v127, v103
	s_waitcnt vmcnt(1)
	s_delay_alu instid0(VALU_DEP_1) | instskip(SKIP_1) | instid1(VALU_DEP_1)
	v_fmac_f32_e32 v132, v128, v104
	s_waitcnt lgkmcnt(0)
	v_fmac_f32_e32 v132, v129, v105
	s_delay_alu instid0(VALU_DEP_1) | instskip(NEXT) | instid1(VALU_DEP_1)
	v_fmac_f32_e32 v132, v130, v106
	v_fmac_f32_e32 v132, v131, v107
	s_waitcnt vmcnt(0)
	s_delay_alu instid0(VALU_DEP_1) | instskip(NEXT) | instid1(VALU_DEP_1)
	v_fmac_f32_e32 v132, v3, v108
	v_sub_f32_e32 v2, v100, v132
	scratch_store_b32 off, v2, off offset:60
	v_cmpx_lt_u32_e32 14, v0
	s_cbranch_execz .LBB47_267
; %bb.266:
	scratch_load_b32 v2, off, off offset:56
	v_mov_b32_e32 v3, 0
	scratch_store_b32 off, v3, off offset:56
	s_waitcnt vmcnt(0)
	ds_store_b32 v1, v2
.LBB47_267:
	s_or_b32 exec_lo, exec_lo, s0
	s_waitcnt lgkmcnt(0)
	s_waitcnt_vscnt null, 0x0
	s_barrier
	buffer_gl0_inv
	s_clause 0x8
	scratch_load_b128 v[100:103], off, off offset:56
	scratch_load_b128 v[104:107], off, off offset:72
	;; [unrolled: 1-line block ×8, first 2 shown]
	scratch_load_b64 v[132:133], off, off offset:184
	v_mov_b32_e32 v2, 0
	ds_load_2addr_b32 v[134:135], v2 offset0:63 offset1:64
	ds_load_2addr_b32 v[136:137], v2 offset0:65 offset1:66
	;; [unrolled: 1-line block ×4, first 2 shown]
	s_mov_b32 s0, exec_lo
	s_waitcnt vmcnt(8) lgkmcnt(3)
	v_fma_f32 v3, v101, v134, 0
	s_delay_alu instid0(VALU_DEP_1) | instskip(SKIP_4) | instid1(VALU_DEP_1)
	v_fmac_f32_e32 v3, v102, v135
	ds_load_2addr_b32 v[101:102], v2 offset0:71 offset1:72
	s_waitcnt lgkmcnt(3)
	v_fmac_f32_e32 v3, v103, v136
	s_waitcnt vmcnt(7)
	v_fmac_f32_e32 v3, v104, v137
	ds_load_2addr_b32 v[103:104], v2 offset0:73 offset1:74
	s_waitcnt lgkmcnt(3)
	v_fmac_f32_e32 v3, v105, v138
	s_delay_alu instid0(VALU_DEP_1) | instskip(SKIP_1) | instid1(VALU_DEP_1)
	v_fmac_f32_e32 v3, v106, v139
	s_waitcnt lgkmcnt(2)
	v_fmac_f32_e32 v3, v107, v140
	s_waitcnt vmcnt(6)
	s_delay_alu instid0(VALU_DEP_1) | instskip(SKIP_4) | instid1(VALU_DEP_1)
	v_fmac_f32_e32 v3, v108, v141
	ds_load_2addr_b32 v[105:106], v2 offset0:75 offset1:76
	ds_load_2addr_b32 v[107:108], v2 offset0:77 offset1:78
	s_waitcnt lgkmcnt(3)
	v_fmac_f32_e32 v3, v109, v101
	v_fmac_f32_e32 v3, v110, v102
	ds_load_2addr_b32 v[101:102], v2 offset0:79 offset1:80
	s_waitcnt lgkmcnt(3)
	v_fmac_f32_e32 v3, v111, v103
	s_waitcnt vmcnt(5)
	s_delay_alu instid0(VALU_DEP_1) | instskip(SKIP_3) | instid1(VALU_DEP_1)
	v_fmac_f32_e32 v3, v112, v104
	ds_load_2addr_b32 v[103:104], v2 offset0:81 offset1:82
	s_waitcnt lgkmcnt(3)
	v_fmac_f32_e32 v3, v113, v105
	v_fmac_f32_e32 v3, v114, v106
	s_waitcnt lgkmcnt(2)
	s_delay_alu instid0(VALU_DEP_1) | instskip(SKIP_1) | instid1(VALU_DEP_1)
	v_fmac_f32_e32 v3, v115, v107
	s_waitcnt vmcnt(4)
	v_fmac_f32_e32 v3, v116, v108
	ds_load_2addr_b32 v[105:106], v2 offset0:83 offset1:84
	ds_load_2addr_b32 v[107:108], v2 offset0:85 offset1:86
	s_waitcnt lgkmcnt(3)
	v_fmac_f32_e32 v3, v117, v101
	s_delay_alu instid0(VALU_DEP_1) | instskip(SKIP_4) | instid1(VALU_DEP_1)
	v_fmac_f32_e32 v3, v118, v102
	ds_load_2addr_b32 v[101:102], v2 offset0:87 offset1:88
	s_waitcnt lgkmcnt(3)
	v_fmac_f32_e32 v3, v119, v103
	s_waitcnt vmcnt(3)
	v_fmac_f32_e32 v3, v120, v104
	ds_load_2addr_b32 v[103:104], v2 offset0:89 offset1:90
	s_waitcnt lgkmcnt(3)
	v_fmac_f32_e32 v3, v121, v105
	s_delay_alu instid0(VALU_DEP_1) | instskip(SKIP_1) | instid1(VALU_DEP_1)
	v_fmac_f32_e32 v3, v122, v106
	s_waitcnt lgkmcnt(2)
	v_fmac_f32_e32 v3, v123, v107
	s_waitcnt vmcnt(2)
	s_delay_alu instid0(VALU_DEP_1)
	v_fmac_f32_e32 v3, v124, v108
	ds_load_2addr_b32 v[105:106], v2 offset0:91 offset1:92
	ds_load_2addr_b32 v[107:108], v2 offset0:93 offset1:94
	s_waitcnt lgkmcnt(3)
	v_fmac_f32_e32 v3, v125, v101
	ds_load_b32 v101, v2 offset:380
	v_fmac_f32_e32 v3, v126, v102
	s_waitcnt lgkmcnt(3)
	s_delay_alu instid0(VALU_DEP_1) | instskip(SKIP_1) | instid1(VALU_DEP_1)
	v_fmac_f32_e32 v3, v127, v103
	s_waitcnt vmcnt(1)
	v_fmac_f32_e32 v3, v128, v104
	s_waitcnt lgkmcnt(2)
	s_delay_alu instid0(VALU_DEP_1) | instskip(NEXT) | instid1(VALU_DEP_1)
	v_fmac_f32_e32 v3, v129, v105
	v_fmac_f32_e32 v3, v130, v106
	s_waitcnt lgkmcnt(1)
	s_delay_alu instid0(VALU_DEP_1) | instskip(SKIP_1) | instid1(VALU_DEP_1)
	v_fmac_f32_e32 v3, v131, v107
	s_waitcnt vmcnt(0)
	v_fmac_f32_e32 v3, v132, v108
	s_waitcnt lgkmcnt(0)
	s_delay_alu instid0(VALU_DEP_1) | instskip(NEXT) | instid1(VALU_DEP_1)
	v_fmac_f32_e32 v3, v133, v101
	v_sub_f32_e32 v3, v100, v3
	scratch_store_b32 off, v3, off offset:56
	v_cmpx_lt_u32_e32 13, v0
	s_cbranch_execz .LBB47_269
; %bb.268:
	scratch_load_b32 v3, off, off offset:52
	scratch_store_b32 off, v2, off offset:52
	s_waitcnt vmcnt(0)
	ds_store_b32 v1, v3
.LBB47_269:
	s_or_b32 exec_lo, exec_lo, s0
	s_waitcnt lgkmcnt(0)
	s_waitcnt_vscnt null, 0x0
	s_barrier
	buffer_gl0_inv
	s_clause 0x8
	scratch_load_b128 v[100:103], off, off offset:52
	scratch_load_b128 v[104:107], off, off offset:68
	;; [unrolled: 1-line block ×8, first 2 shown]
	scratch_load_b96 v[140:142], off, off offset:180
	ds_load_2addr_b64 v[132:135], v2 offset0:31 offset1:32
	ds_load_2addr_b64 v[136:139], v2 offset0:33 offset1:34
	s_mov_b32 s0, exec_lo
	s_waitcnt vmcnt(8) lgkmcnt(1)
	v_fma_f32 v132, v101, v132, 0
	s_delay_alu instid0(VALU_DEP_1) | instskip(NEXT) | instid1(VALU_DEP_1)
	v_fmac_f32_e32 v132, v102, v133
	v_fmac_f32_e32 v132, v103, v134
	s_waitcnt vmcnt(7)
	s_delay_alu instid0(VALU_DEP_1) | instskip(SKIP_3) | instid1(VALU_DEP_1)
	v_fmac_f32_e32 v132, v104, v135
	ds_load_2addr_b64 v[101:104], v2 offset0:35 offset1:36
	s_waitcnt lgkmcnt(1)
	v_fmac_f32_e32 v132, v105, v136
	v_fmac_f32_e32 v132, v106, v137
	s_delay_alu instid0(VALU_DEP_1) | instskip(SKIP_1) | instid1(VALU_DEP_1)
	v_fmac_f32_e32 v132, v107, v138
	s_waitcnt vmcnt(6)
	v_fmac_f32_e32 v132, v108, v139
	ds_load_2addr_b64 v[105:108], v2 offset0:37 offset1:38
	s_waitcnt lgkmcnt(1)
	v_fmac_f32_e32 v132, v109, v101
	s_delay_alu instid0(VALU_DEP_1) | instskip(NEXT) | instid1(VALU_DEP_1)
	v_fmac_f32_e32 v132, v110, v102
	v_fmac_f32_e32 v132, v111, v103
	s_waitcnt vmcnt(5)
	s_delay_alu instid0(VALU_DEP_1) | instskip(SKIP_3) | instid1(VALU_DEP_1)
	v_fmac_f32_e32 v132, v112, v104
	ds_load_2addr_b64 v[101:104], v2 offset0:39 offset1:40
	s_waitcnt lgkmcnt(1)
	v_fmac_f32_e32 v132, v113, v105
	v_fmac_f32_e32 v132, v114, v106
	s_delay_alu instid0(VALU_DEP_1) | instskip(SKIP_1) | instid1(VALU_DEP_1)
	v_fmac_f32_e32 v132, v115, v107
	s_waitcnt vmcnt(4)
	v_fmac_f32_e32 v132, v116, v108
	ds_load_2addr_b64 v[105:108], v2 offset0:41 offset1:42
	s_waitcnt lgkmcnt(1)
	v_fmac_f32_e32 v132, v117, v101
	s_delay_alu instid0(VALU_DEP_1) | instskip(NEXT) | instid1(VALU_DEP_1)
	v_fmac_f32_e32 v132, v118, v102
	v_fmac_f32_e32 v132, v119, v103
	s_waitcnt vmcnt(3)
	s_delay_alu instid0(VALU_DEP_1) | instskip(SKIP_3) | instid1(VALU_DEP_1)
	v_fmac_f32_e32 v132, v120, v104
	ds_load_2addr_b64 v[101:104], v2 offset0:43 offset1:44
	s_waitcnt lgkmcnt(1)
	v_fmac_f32_e32 v132, v121, v105
	v_fmac_f32_e32 v132, v122, v106
	s_delay_alu instid0(VALU_DEP_1) | instskip(SKIP_1) | instid1(VALU_DEP_1)
	v_fmac_f32_e32 v132, v123, v107
	s_waitcnt vmcnt(2)
	v_fmac_f32_e32 v132, v124, v108
	ds_load_2addr_b64 v[105:108], v2 offset0:45 offset1:46
	ds_load_b64 v[2:3], v2 offset:376
	s_waitcnt lgkmcnt(2)
	v_fmac_f32_e32 v132, v125, v101
	s_delay_alu instid0(VALU_DEP_1) | instskip(NEXT) | instid1(VALU_DEP_1)
	v_fmac_f32_e32 v132, v126, v102
	v_fmac_f32_e32 v132, v127, v103
	s_waitcnt vmcnt(1)
	s_delay_alu instid0(VALU_DEP_1) | instskip(SKIP_1) | instid1(VALU_DEP_1)
	v_fmac_f32_e32 v132, v128, v104
	s_waitcnt lgkmcnt(1)
	v_fmac_f32_e32 v132, v129, v105
	s_delay_alu instid0(VALU_DEP_1) | instskip(NEXT) | instid1(VALU_DEP_1)
	v_fmac_f32_e32 v132, v130, v106
	v_fmac_f32_e32 v132, v131, v107
	s_waitcnt vmcnt(0)
	s_delay_alu instid0(VALU_DEP_1) | instskip(SKIP_1) | instid1(VALU_DEP_1)
	v_fmac_f32_e32 v132, v140, v108
	s_waitcnt lgkmcnt(0)
	v_fmac_f32_e32 v132, v141, v2
	s_delay_alu instid0(VALU_DEP_1) | instskip(NEXT) | instid1(VALU_DEP_1)
	v_fmac_f32_e32 v132, v142, v3
	v_sub_f32_e32 v2, v100, v132
	scratch_store_b32 off, v2, off offset:52
	v_cmpx_lt_u32_e32 12, v0
	s_cbranch_execz .LBB47_271
; %bb.270:
	scratch_load_b32 v2, off, off offset:48
	v_mov_b32_e32 v3, 0
	scratch_store_b32 off, v3, off offset:48
	s_waitcnt vmcnt(0)
	ds_store_b32 v1, v2
.LBB47_271:
	s_or_b32 exec_lo, exec_lo, s0
	s_waitcnt lgkmcnt(0)
	s_waitcnt_vscnt null, 0x0
	s_barrier
	buffer_gl0_inv
	s_clause 0x8
	scratch_load_b128 v[100:103], off, off offset:48
	scratch_load_b128 v[104:107], off, off offset:64
	;; [unrolled: 1-line block ×9, first 2 shown]
	v_mov_b32_e32 v2, 0
	ds_load_2addr_b32 v[136:137], v2 offset0:61 offset1:62
	ds_load_2addr_b32 v[138:139], v2 offset0:63 offset1:64
	;; [unrolled: 1-line block ×4, first 2 shown]
	s_mov_b32 s0, exec_lo
	s_waitcnt vmcnt(8) lgkmcnt(3)
	v_fma_f32 v3, v101, v136, 0
	s_delay_alu instid0(VALU_DEP_1) | instskip(SKIP_4) | instid1(VALU_DEP_1)
	v_fmac_f32_e32 v3, v102, v137
	ds_load_2addr_b32 v[101:102], v2 offset0:69 offset1:70
	s_waitcnt lgkmcnt(3)
	v_fmac_f32_e32 v3, v103, v138
	s_waitcnt vmcnt(7)
	v_fmac_f32_e32 v3, v104, v139
	ds_load_2addr_b32 v[103:104], v2 offset0:71 offset1:72
	s_waitcnt lgkmcnt(3)
	v_fmac_f32_e32 v3, v105, v140
	s_delay_alu instid0(VALU_DEP_1) | instskip(SKIP_1) | instid1(VALU_DEP_1)
	v_fmac_f32_e32 v3, v106, v141
	s_waitcnt lgkmcnt(2)
	v_fmac_f32_e32 v3, v107, v142
	s_waitcnt vmcnt(6)
	s_delay_alu instid0(VALU_DEP_1) | instskip(SKIP_4) | instid1(VALU_DEP_1)
	v_fmac_f32_e32 v3, v108, v143
	ds_load_2addr_b32 v[105:106], v2 offset0:73 offset1:74
	ds_load_2addr_b32 v[107:108], v2 offset0:75 offset1:76
	s_waitcnt lgkmcnt(3)
	v_fmac_f32_e32 v3, v109, v101
	v_fmac_f32_e32 v3, v110, v102
	ds_load_2addr_b32 v[101:102], v2 offset0:77 offset1:78
	s_waitcnt lgkmcnt(3)
	v_fmac_f32_e32 v3, v111, v103
	s_waitcnt vmcnt(5)
	s_delay_alu instid0(VALU_DEP_1) | instskip(SKIP_3) | instid1(VALU_DEP_1)
	v_fmac_f32_e32 v3, v112, v104
	ds_load_2addr_b32 v[103:104], v2 offset0:79 offset1:80
	s_waitcnt lgkmcnt(3)
	v_fmac_f32_e32 v3, v113, v105
	v_fmac_f32_e32 v3, v114, v106
	s_waitcnt lgkmcnt(2)
	s_delay_alu instid0(VALU_DEP_1) | instskip(SKIP_1) | instid1(VALU_DEP_1)
	v_fmac_f32_e32 v3, v115, v107
	s_waitcnt vmcnt(4)
	v_fmac_f32_e32 v3, v116, v108
	ds_load_2addr_b32 v[105:106], v2 offset0:81 offset1:82
	ds_load_2addr_b32 v[107:108], v2 offset0:83 offset1:84
	s_waitcnt lgkmcnt(3)
	v_fmac_f32_e32 v3, v117, v101
	s_delay_alu instid0(VALU_DEP_1) | instskip(SKIP_4) | instid1(VALU_DEP_1)
	v_fmac_f32_e32 v3, v118, v102
	ds_load_2addr_b32 v[101:102], v2 offset0:85 offset1:86
	s_waitcnt lgkmcnt(3)
	v_fmac_f32_e32 v3, v119, v103
	s_waitcnt vmcnt(3)
	v_fmac_f32_e32 v3, v120, v104
	ds_load_2addr_b32 v[103:104], v2 offset0:87 offset1:88
	s_waitcnt lgkmcnt(3)
	v_fmac_f32_e32 v3, v121, v105
	s_delay_alu instid0(VALU_DEP_1) | instskip(SKIP_1) | instid1(VALU_DEP_1)
	v_fmac_f32_e32 v3, v122, v106
	s_waitcnt lgkmcnt(2)
	v_fmac_f32_e32 v3, v123, v107
	s_waitcnt vmcnt(2)
	s_delay_alu instid0(VALU_DEP_1) | instskip(SKIP_4) | instid1(VALU_DEP_1)
	v_fmac_f32_e32 v3, v124, v108
	ds_load_2addr_b32 v[105:106], v2 offset0:89 offset1:90
	ds_load_2addr_b32 v[107:108], v2 offset0:91 offset1:92
	s_waitcnt lgkmcnt(3)
	v_fmac_f32_e32 v3, v125, v101
	v_fmac_f32_e32 v3, v126, v102
	ds_load_2addr_b32 v[101:102], v2 offset0:93 offset1:94
	s_waitcnt lgkmcnt(3)
	v_fmac_f32_e32 v3, v127, v103
	ds_load_b32 v103, v2 offset:380
	s_waitcnt vmcnt(1)
	v_fmac_f32_e32 v3, v128, v104
	s_waitcnt lgkmcnt(3)
	s_delay_alu instid0(VALU_DEP_1) | instskip(NEXT) | instid1(VALU_DEP_1)
	v_fmac_f32_e32 v3, v129, v105
	v_fmac_f32_e32 v3, v130, v106
	s_waitcnt lgkmcnt(2)
	s_delay_alu instid0(VALU_DEP_1) | instskip(SKIP_1) | instid1(VALU_DEP_1)
	v_fmac_f32_e32 v3, v131, v107
	s_waitcnt vmcnt(0)
	v_fmac_f32_e32 v3, v132, v108
	s_waitcnt lgkmcnt(1)
	s_delay_alu instid0(VALU_DEP_1) | instskip(NEXT) | instid1(VALU_DEP_1)
	v_fmac_f32_e32 v3, v133, v101
	v_fmac_f32_e32 v3, v134, v102
	s_waitcnt lgkmcnt(0)
	s_delay_alu instid0(VALU_DEP_1) | instskip(NEXT) | instid1(VALU_DEP_1)
	v_fmac_f32_e32 v3, v135, v103
	v_sub_f32_e32 v3, v100, v3
	scratch_store_b32 off, v3, off offset:48
	v_cmpx_lt_u32_e32 11, v0
	s_cbranch_execz .LBB47_273
; %bb.272:
	scratch_load_b32 v3, off, off offset:44
	scratch_store_b32 off, v2, off offset:44
	s_waitcnt vmcnt(0)
	ds_store_b32 v1, v3
.LBB47_273:
	s_or_b32 exec_lo, exec_lo, s0
	s_waitcnt lgkmcnt(0)
	s_waitcnt_vscnt null, 0x0
	s_barrier
	buffer_gl0_inv
	s_clause 0x9
	scratch_load_b128 v[100:103], off, off offset:44
	scratch_load_b128 v[104:107], off, off offset:60
	;; [unrolled: 1-line block ×9, first 2 shown]
	scratch_load_b32 v3, off, off offset:188
	ds_load_b128 v[136:139], v2 offset:240
	ds_load_b128 v[140:143], v2 offset:256
	s_mov_b32 s0, exec_lo
	s_waitcnt vmcnt(9) lgkmcnt(1)
	v_fma_f32 v136, v101, v136, 0
	s_delay_alu instid0(VALU_DEP_1) | instskip(NEXT) | instid1(VALU_DEP_1)
	v_fmac_f32_e32 v136, v102, v137
	v_fmac_f32_e32 v136, v103, v138
	s_waitcnt vmcnt(8)
	s_delay_alu instid0(VALU_DEP_1) | instskip(SKIP_3) | instid1(VALU_DEP_1)
	v_fmac_f32_e32 v136, v104, v139
	ds_load_b128 v[101:104], v2 offset:272
	s_waitcnt lgkmcnt(1)
	v_fmac_f32_e32 v136, v105, v140
	v_fmac_f32_e32 v136, v106, v141
	s_delay_alu instid0(VALU_DEP_1) | instskip(SKIP_1) | instid1(VALU_DEP_1)
	v_fmac_f32_e32 v136, v107, v142
	s_waitcnt vmcnt(7)
	v_fmac_f32_e32 v136, v108, v143
	ds_load_b128 v[105:108], v2 offset:288
	s_waitcnt lgkmcnt(1)
	v_fmac_f32_e32 v136, v109, v101
	s_delay_alu instid0(VALU_DEP_1) | instskip(NEXT) | instid1(VALU_DEP_1)
	v_fmac_f32_e32 v136, v110, v102
	v_fmac_f32_e32 v136, v111, v103
	s_waitcnt vmcnt(6)
	s_delay_alu instid0(VALU_DEP_1) | instskip(SKIP_3) | instid1(VALU_DEP_1)
	v_fmac_f32_e32 v136, v112, v104
	ds_load_b128 v[101:104], v2 offset:304
	s_waitcnt lgkmcnt(1)
	v_fmac_f32_e32 v136, v113, v105
	v_fmac_f32_e32 v136, v114, v106
	s_delay_alu instid0(VALU_DEP_1) | instskip(SKIP_1) | instid1(VALU_DEP_1)
	v_fmac_f32_e32 v136, v115, v107
	s_waitcnt vmcnt(5)
	v_fmac_f32_e32 v136, v116, v108
	ds_load_b128 v[105:108], v2 offset:320
	s_waitcnt lgkmcnt(1)
	v_fmac_f32_e32 v136, v117, v101
	;; [unrolled: 17-line block ×3, first 2 shown]
	s_delay_alu instid0(VALU_DEP_1) | instskip(NEXT) | instid1(VALU_DEP_1)
	v_fmac_f32_e32 v136, v126, v102
	v_fmac_f32_e32 v136, v127, v103
	s_waitcnt vmcnt(2)
	s_delay_alu instid0(VALU_DEP_1) | instskip(SKIP_3) | instid1(VALU_DEP_1)
	v_fmac_f32_e32 v136, v128, v104
	ds_load_b128 v[101:104], v2 offset:368
	s_waitcnt lgkmcnt(1)
	v_fmac_f32_e32 v136, v129, v105
	v_fmac_f32_e32 v136, v130, v106
	s_delay_alu instid0(VALU_DEP_1) | instskip(SKIP_1) | instid1(VALU_DEP_1)
	v_fmac_f32_e32 v136, v131, v107
	s_waitcnt vmcnt(1)
	v_fmac_f32_e32 v136, v132, v108
	s_waitcnt lgkmcnt(0)
	s_delay_alu instid0(VALU_DEP_1) | instskip(NEXT) | instid1(VALU_DEP_1)
	v_fmac_f32_e32 v136, v133, v101
	v_fmac_f32_e32 v136, v134, v102
	s_delay_alu instid0(VALU_DEP_1) | instskip(SKIP_1) | instid1(VALU_DEP_1)
	v_fmac_f32_e32 v136, v135, v103
	s_waitcnt vmcnt(0)
	v_fmac_f32_e32 v136, v3, v104
	s_delay_alu instid0(VALU_DEP_1)
	v_sub_f32_e32 v2, v100, v136
	scratch_store_b32 off, v2, off offset:44
	v_cmpx_lt_u32_e32 10, v0
	s_cbranch_execz .LBB47_275
; %bb.274:
	scratch_load_b32 v2, off, off offset:40
	v_mov_b32_e32 v3, 0
	scratch_store_b32 off, v3, off offset:40
	s_waitcnt vmcnt(0)
	ds_store_b32 v1, v2
.LBB47_275:
	s_or_b32 exec_lo, exec_lo, s0
	s_waitcnt lgkmcnt(0)
	s_waitcnt_vscnt null, 0x0
	s_barrier
	buffer_gl0_inv
	s_clause 0x9
	scratch_load_b128 v[100:103], off, off offset:40
	scratch_load_b128 v[104:107], off, off offset:56
	;; [unrolled: 1-line block ×9, first 2 shown]
	scratch_load_b64 v[136:137], off, off offset:184
	v_mov_b32_e32 v2, 0
	ds_load_2addr_b32 v[138:139], v2 offset0:59 offset1:60
	ds_load_2addr_b32 v[140:141], v2 offset0:61 offset1:62
	;; [unrolled: 1-line block ×4, first 2 shown]
	s_mov_b32 s0, exec_lo
	s_waitcnt vmcnt(9) lgkmcnt(3)
	v_fma_f32 v3, v101, v138, 0
	s_delay_alu instid0(VALU_DEP_1) | instskip(SKIP_4) | instid1(VALU_DEP_1)
	v_fmac_f32_e32 v3, v102, v139
	ds_load_2addr_b32 v[101:102], v2 offset0:67 offset1:68
	s_waitcnt lgkmcnt(3)
	v_fmac_f32_e32 v3, v103, v140
	s_waitcnt vmcnt(8)
	v_fmac_f32_e32 v3, v104, v141
	ds_load_2addr_b32 v[103:104], v2 offset0:69 offset1:70
	s_waitcnt lgkmcnt(3)
	v_fmac_f32_e32 v3, v105, v142
	s_delay_alu instid0(VALU_DEP_1) | instskip(SKIP_1) | instid1(VALU_DEP_1)
	v_fmac_f32_e32 v3, v106, v143
	s_waitcnt lgkmcnt(2)
	v_fmac_f32_e32 v3, v107, v144
	s_waitcnt vmcnt(7)
	s_delay_alu instid0(VALU_DEP_1) | instskip(SKIP_4) | instid1(VALU_DEP_1)
	v_fmac_f32_e32 v3, v108, v145
	ds_load_2addr_b32 v[105:106], v2 offset0:71 offset1:72
	ds_load_2addr_b32 v[107:108], v2 offset0:73 offset1:74
	s_waitcnt lgkmcnt(3)
	v_fmac_f32_e32 v3, v109, v101
	v_fmac_f32_e32 v3, v110, v102
	ds_load_2addr_b32 v[101:102], v2 offset0:75 offset1:76
	s_waitcnt lgkmcnt(3)
	v_fmac_f32_e32 v3, v111, v103
	s_waitcnt vmcnt(6)
	s_delay_alu instid0(VALU_DEP_1) | instskip(SKIP_3) | instid1(VALU_DEP_1)
	v_fmac_f32_e32 v3, v112, v104
	ds_load_2addr_b32 v[103:104], v2 offset0:77 offset1:78
	s_waitcnt lgkmcnt(3)
	v_fmac_f32_e32 v3, v113, v105
	v_fmac_f32_e32 v3, v114, v106
	s_waitcnt lgkmcnt(2)
	s_delay_alu instid0(VALU_DEP_1) | instskip(SKIP_1) | instid1(VALU_DEP_1)
	v_fmac_f32_e32 v3, v115, v107
	s_waitcnt vmcnt(5)
	v_fmac_f32_e32 v3, v116, v108
	ds_load_2addr_b32 v[105:106], v2 offset0:79 offset1:80
	ds_load_2addr_b32 v[107:108], v2 offset0:81 offset1:82
	s_waitcnt lgkmcnt(3)
	v_fmac_f32_e32 v3, v117, v101
	s_delay_alu instid0(VALU_DEP_1) | instskip(SKIP_4) | instid1(VALU_DEP_1)
	v_fmac_f32_e32 v3, v118, v102
	ds_load_2addr_b32 v[101:102], v2 offset0:83 offset1:84
	s_waitcnt lgkmcnt(3)
	v_fmac_f32_e32 v3, v119, v103
	s_waitcnt vmcnt(4)
	v_fmac_f32_e32 v3, v120, v104
	ds_load_2addr_b32 v[103:104], v2 offset0:85 offset1:86
	s_waitcnt lgkmcnt(3)
	v_fmac_f32_e32 v3, v121, v105
	s_delay_alu instid0(VALU_DEP_1) | instskip(SKIP_1) | instid1(VALU_DEP_1)
	v_fmac_f32_e32 v3, v122, v106
	s_waitcnt lgkmcnt(2)
	v_fmac_f32_e32 v3, v123, v107
	s_waitcnt vmcnt(3)
	s_delay_alu instid0(VALU_DEP_1) | instskip(SKIP_4) | instid1(VALU_DEP_1)
	v_fmac_f32_e32 v3, v124, v108
	ds_load_2addr_b32 v[105:106], v2 offset0:87 offset1:88
	ds_load_2addr_b32 v[107:108], v2 offset0:89 offset1:90
	s_waitcnt lgkmcnt(3)
	v_fmac_f32_e32 v3, v125, v101
	v_fmac_f32_e32 v3, v126, v102
	ds_load_2addr_b32 v[101:102], v2 offset0:91 offset1:92
	s_waitcnt lgkmcnt(3)
	v_fmac_f32_e32 v3, v127, v103
	s_waitcnt vmcnt(2)
	s_delay_alu instid0(VALU_DEP_1)
	v_fmac_f32_e32 v3, v128, v104
	ds_load_2addr_b32 v[103:104], v2 offset0:93 offset1:94
	s_waitcnt lgkmcnt(3)
	v_fmac_f32_e32 v3, v129, v105
	ds_load_b32 v105, v2 offset:380
	v_fmac_f32_e32 v3, v130, v106
	s_waitcnt lgkmcnt(3)
	s_delay_alu instid0(VALU_DEP_1) | instskip(SKIP_1) | instid1(VALU_DEP_1)
	v_fmac_f32_e32 v3, v131, v107
	s_waitcnt vmcnt(1)
	v_fmac_f32_e32 v3, v132, v108
	s_waitcnt lgkmcnt(2)
	s_delay_alu instid0(VALU_DEP_1) | instskip(NEXT) | instid1(VALU_DEP_1)
	v_fmac_f32_e32 v3, v133, v101
	v_fmac_f32_e32 v3, v134, v102
	s_waitcnt lgkmcnt(1)
	s_delay_alu instid0(VALU_DEP_1) | instskip(SKIP_1) | instid1(VALU_DEP_1)
	v_fmac_f32_e32 v3, v135, v103
	s_waitcnt vmcnt(0)
	v_fmac_f32_e32 v3, v136, v104
	s_waitcnt lgkmcnt(0)
	s_delay_alu instid0(VALU_DEP_1) | instskip(NEXT) | instid1(VALU_DEP_1)
	v_fmac_f32_e32 v3, v137, v105
	v_sub_f32_e32 v3, v100, v3
	scratch_store_b32 off, v3, off offset:40
	v_cmpx_lt_u32_e32 9, v0
	s_cbranch_execz .LBB47_277
; %bb.276:
	scratch_load_b32 v3, off, off offset:36
	scratch_store_b32 off, v2, off offset:36
	s_waitcnt vmcnt(0)
	ds_store_b32 v1, v3
.LBB47_277:
	s_or_b32 exec_lo, exec_lo, s0
	s_waitcnt lgkmcnt(0)
	s_waitcnt_vscnt null, 0x0
	s_barrier
	buffer_gl0_inv
	s_clause 0x9
	scratch_load_b128 v[100:103], off, off offset:36
	scratch_load_b128 v[104:107], off, off offset:52
	;; [unrolled: 1-line block ×9, first 2 shown]
	scratch_load_b96 v[144:146], off, off offset:180
	ds_load_2addr_b64 v[136:139], v2 offset0:29 offset1:30
	ds_load_2addr_b64 v[140:143], v2 offset0:31 offset1:32
	s_mov_b32 s0, exec_lo
	s_waitcnt vmcnt(9) lgkmcnt(1)
	v_fma_f32 v136, v101, v136, 0
	s_delay_alu instid0(VALU_DEP_1) | instskip(NEXT) | instid1(VALU_DEP_1)
	v_fmac_f32_e32 v136, v102, v137
	v_fmac_f32_e32 v136, v103, v138
	s_waitcnt vmcnt(8)
	s_delay_alu instid0(VALU_DEP_1) | instskip(SKIP_3) | instid1(VALU_DEP_1)
	v_fmac_f32_e32 v136, v104, v139
	ds_load_2addr_b64 v[101:104], v2 offset0:33 offset1:34
	s_waitcnt lgkmcnt(1)
	v_fmac_f32_e32 v136, v105, v140
	v_fmac_f32_e32 v136, v106, v141
	s_delay_alu instid0(VALU_DEP_1) | instskip(SKIP_1) | instid1(VALU_DEP_1)
	v_fmac_f32_e32 v136, v107, v142
	s_waitcnt vmcnt(7)
	v_fmac_f32_e32 v136, v108, v143
	ds_load_2addr_b64 v[105:108], v2 offset0:35 offset1:36
	s_waitcnt lgkmcnt(1)
	v_fmac_f32_e32 v136, v109, v101
	s_delay_alu instid0(VALU_DEP_1) | instskip(NEXT) | instid1(VALU_DEP_1)
	v_fmac_f32_e32 v136, v110, v102
	v_fmac_f32_e32 v136, v111, v103
	s_waitcnt vmcnt(6)
	s_delay_alu instid0(VALU_DEP_1) | instskip(SKIP_3) | instid1(VALU_DEP_1)
	v_fmac_f32_e32 v136, v112, v104
	ds_load_2addr_b64 v[101:104], v2 offset0:37 offset1:38
	s_waitcnt lgkmcnt(1)
	v_fmac_f32_e32 v136, v113, v105
	v_fmac_f32_e32 v136, v114, v106
	s_delay_alu instid0(VALU_DEP_1) | instskip(SKIP_1) | instid1(VALU_DEP_1)
	v_fmac_f32_e32 v136, v115, v107
	s_waitcnt vmcnt(5)
	v_fmac_f32_e32 v136, v116, v108
	ds_load_2addr_b64 v[105:108], v2 offset0:39 offset1:40
	s_waitcnt lgkmcnt(1)
	v_fmac_f32_e32 v136, v117, v101
	;; [unrolled: 17-line block ×3, first 2 shown]
	s_delay_alu instid0(VALU_DEP_1) | instskip(NEXT) | instid1(VALU_DEP_1)
	v_fmac_f32_e32 v136, v126, v102
	v_fmac_f32_e32 v136, v127, v103
	s_waitcnt vmcnt(2)
	s_delay_alu instid0(VALU_DEP_1) | instskip(SKIP_4) | instid1(VALU_DEP_1)
	v_fmac_f32_e32 v136, v128, v104
	ds_load_2addr_b64 v[101:104], v2 offset0:45 offset1:46
	ds_load_b64 v[2:3], v2 offset:376
	s_waitcnt lgkmcnt(2)
	v_fmac_f32_e32 v136, v129, v105
	v_fmac_f32_e32 v136, v130, v106
	s_delay_alu instid0(VALU_DEP_1) | instskip(SKIP_1) | instid1(VALU_DEP_1)
	v_fmac_f32_e32 v136, v131, v107
	s_waitcnt vmcnt(1)
	v_fmac_f32_e32 v136, v132, v108
	s_waitcnt lgkmcnt(1)
	s_delay_alu instid0(VALU_DEP_1) | instskip(NEXT) | instid1(VALU_DEP_1)
	v_fmac_f32_e32 v136, v133, v101
	v_fmac_f32_e32 v136, v134, v102
	s_delay_alu instid0(VALU_DEP_1) | instskip(SKIP_1) | instid1(VALU_DEP_1)
	v_fmac_f32_e32 v136, v135, v103
	s_waitcnt vmcnt(0)
	v_fmac_f32_e32 v136, v144, v104
	s_waitcnt lgkmcnt(0)
	s_delay_alu instid0(VALU_DEP_1) | instskip(NEXT) | instid1(VALU_DEP_1)
	v_fmac_f32_e32 v136, v145, v2
	v_fmac_f32_e32 v136, v146, v3
	s_delay_alu instid0(VALU_DEP_1)
	v_sub_f32_e32 v2, v100, v136
	scratch_store_b32 off, v2, off offset:36
	v_cmpx_lt_u32_e32 8, v0
	s_cbranch_execz .LBB47_279
; %bb.278:
	scratch_load_b32 v2, off, off offset:32
	v_mov_b32_e32 v3, 0
	scratch_store_b32 off, v3, off offset:32
	s_waitcnt vmcnt(0)
	ds_store_b32 v1, v2
.LBB47_279:
	s_or_b32 exec_lo, exec_lo, s0
	s_waitcnt lgkmcnt(0)
	s_waitcnt_vscnt null, 0x0
	s_barrier
	buffer_gl0_inv
	s_clause 0x9
	scratch_load_b128 v[100:103], off, off offset:32
	scratch_load_b128 v[104:107], off, off offset:48
	;; [unrolled: 1-line block ×10, first 2 shown]
	v_mov_b32_e32 v2, 0
	ds_load_2addr_b32 v[140:141], v2 offset0:57 offset1:58
	ds_load_2addr_b32 v[142:143], v2 offset0:59 offset1:60
	ds_load_2addr_b32 v[144:145], v2 offset0:61 offset1:62
	ds_load_2addr_b32 v[146:147], v2 offset0:63 offset1:64
	s_mov_b32 s0, exec_lo
	s_waitcnt vmcnt(9) lgkmcnt(3)
	v_fma_f32 v3, v101, v140, 0
	s_delay_alu instid0(VALU_DEP_1) | instskip(SKIP_4) | instid1(VALU_DEP_1)
	v_fmac_f32_e32 v3, v102, v141
	ds_load_2addr_b32 v[101:102], v2 offset0:65 offset1:66
	s_waitcnt lgkmcnt(3)
	v_fmac_f32_e32 v3, v103, v142
	s_waitcnt vmcnt(8)
	v_fmac_f32_e32 v3, v104, v143
	ds_load_2addr_b32 v[103:104], v2 offset0:67 offset1:68
	s_waitcnt lgkmcnt(3)
	v_fmac_f32_e32 v3, v105, v144
	s_delay_alu instid0(VALU_DEP_1) | instskip(SKIP_1) | instid1(VALU_DEP_1)
	v_fmac_f32_e32 v3, v106, v145
	s_waitcnt lgkmcnt(2)
	v_fmac_f32_e32 v3, v107, v146
	s_waitcnt vmcnt(7)
	s_delay_alu instid0(VALU_DEP_1) | instskip(SKIP_4) | instid1(VALU_DEP_1)
	v_fmac_f32_e32 v3, v108, v147
	ds_load_2addr_b32 v[105:106], v2 offset0:69 offset1:70
	ds_load_2addr_b32 v[107:108], v2 offset0:71 offset1:72
	s_waitcnt lgkmcnt(3)
	v_fmac_f32_e32 v3, v109, v101
	v_fmac_f32_e32 v3, v110, v102
	ds_load_2addr_b32 v[101:102], v2 offset0:73 offset1:74
	s_waitcnt lgkmcnt(3)
	v_fmac_f32_e32 v3, v111, v103
	s_waitcnt vmcnt(6)
	s_delay_alu instid0(VALU_DEP_1) | instskip(SKIP_3) | instid1(VALU_DEP_1)
	v_fmac_f32_e32 v3, v112, v104
	ds_load_2addr_b32 v[103:104], v2 offset0:75 offset1:76
	s_waitcnt lgkmcnt(3)
	v_fmac_f32_e32 v3, v113, v105
	v_fmac_f32_e32 v3, v114, v106
	s_waitcnt lgkmcnt(2)
	s_delay_alu instid0(VALU_DEP_1) | instskip(SKIP_1) | instid1(VALU_DEP_1)
	v_fmac_f32_e32 v3, v115, v107
	s_waitcnt vmcnt(5)
	v_fmac_f32_e32 v3, v116, v108
	ds_load_2addr_b32 v[105:106], v2 offset0:77 offset1:78
	ds_load_2addr_b32 v[107:108], v2 offset0:79 offset1:80
	s_waitcnt lgkmcnt(3)
	v_fmac_f32_e32 v3, v117, v101
	s_delay_alu instid0(VALU_DEP_1) | instskip(SKIP_4) | instid1(VALU_DEP_1)
	v_fmac_f32_e32 v3, v118, v102
	ds_load_2addr_b32 v[101:102], v2 offset0:81 offset1:82
	s_waitcnt lgkmcnt(3)
	v_fmac_f32_e32 v3, v119, v103
	s_waitcnt vmcnt(4)
	v_fmac_f32_e32 v3, v120, v104
	ds_load_2addr_b32 v[103:104], v2 offset0:83 offset1:84
	s_waitcnt lgkmcnt(3)
	v_fmac_f32_e32 v3, v121, v105
	s_delay_alu instid0(VALU_DEP_1) | instskip(SKIP_1) | instid1(VALU_DEP_1)
	v_fmac_f32_e32 v3, v122, v106
	s_waitcnt lgkmcnt(2)
	v_fmac_f32_e32 v3, v123, v107
	s_waitcnt vmcnt(3)
	s_delay_alu instid0(VALU_DEP_1) | instskip(SKIP_4) | instid1(VALU_DEP_1)
	v_fmac_f32_e32 v3, v124, v108
	ds_load_2addr_b32 v[105:106], v2 offset0:85 offset1:86
	ds_load_2addr_b32 v[107:108], v2 offset0:87 offset1:88
	s_waitcnt lgkmcnt(3)
	v_fmac_f32_e32 v3, v125, v101
	v_fmac_f32_e32 v3, v126, v102
	ds_load_2addr_b32 v[101:102], v2 offset0:89 offset1:90
	s_waitcnt lgkmcnt(3)
	v_fmac_f32_e32 v3, v127, v103
	s_waitcnt vmcnt(2)
	s_delay_alu instid0(VALU_DEP_1) | instskip(SKIP_3) | instid1(VALU_DEP_1)
	v_fmac_f32_e32 v3, v128, v104
	ds_load_2addr_b32 v[103:104], v2 offset0:91 offset1:92
	s_waitcnt lgkmcnt(3)
	v_fmac_f32_e32 v3, v129, v105
	v_fmac_f32_e32 v3, v130, v106
	s_waitcnt lgkmcnt(2)
	s_delay_alu instid0(VALU_DEP_1)
	v_fmac_f32_e32 v3, v131, v107
	ds_load_2addr_b32 v[105:106], v2 offset0:93 offset1:94
	ds_load_b32 v107, v2 offset:380
	s_waitcnt vmcnt(1)
	v_fmac_f32_e32 v3, v132, v108
	s_waitcnt lgkmcnt(3)
	s_delay_alu instid0(VALU_DEP_1) | instskip(NEXT) | instid1(VALU_DEP_1)
	v_fmac_f32_e32 v3, v133, v101
	v_fmac_f32_e32 v3, v134, v102
	s_waitcnt lgkmcnt(2)
	s_delay_alu instid0(VALU_DEP_1) | instskip(SKIP_1) | instid1(VALU_DEP_1)
	v_fmac_f32_e32 v3, v135, v103
	s_waitcnt vmcnt(0)
	v_fmac_f32_e32 v3, v136, v104
	s_waitcnt lgkmcnt(1)
	s_delay_alu instid0(VALU_DEP_1) | instskip(NEXT) | instid1(VALU_DEP_1)
	v_fmac_f32_e32 v3, v137, v105
	v_fmac_f32_e32 v3, v138, v106
	s_waitcnt lgkmcnt(0)
	s_delay_alu instid0(VALU_DEP_1) | instskip(NEXT) | instid1(VALU_DEP_1)
	v_fmac_f32_e32 v3, v139, v107
	v_sub_f32_e32 v3, v100, v3
	scratch_store_b32 off, v3, off offset:32
	v_cmpx_lt_u32_e32 7, v0
	s_cbranch_execz .LBB47_281
; %bb.280:
	scratch_load_b32 v3, off, off offset:28
	scratch_store_b32 off, v2, off offset:28
	s_waitcnt vmcnt(0)
	ds_store_b32 v1, v3
.LBB47_281:
	s_or_b32 exec_lo, exec_lo, s0
	s_waitcnt lgkmcnt(0)
	s_waitcnt_vscnt null, 0x0
	s_barrier
	buffer_gl0_inv
	s_clause 0xa
	scratch_load_b128 v[100:103], off, off offset:28
	scratch_load_b128 v[104:107], off, off offset:44
	;; [unrolled: 1-line block ×10, first 2 shown]
	scratch_load_b32 v3, off, off offset:188
	ds_load_b128 v[140:143], v2 offset:224
	ds_load_b128 v[144:147], v2 offset:240
	s_mov_b32 s0, exec_lo
	s_waitcnt vmcnt(10) lgkmcnt(1)
	v_fma_f32 v140, v101, v140, 0
	s_delay_alu instid0(VALU_DEP_1) | instskip(NEXT) | instid1(VALU_DEP_1)
	v_fmac_f32_e32 v140, v102, v141
	v_fmac_f32_e32 v140, v103, v142
	s_waitcnt vmcnt(9)
	s_delay_alu instid0(VALU_DEP_1) | instskip(SKIP_3) | instid1(VALU_DEP_1)
	v_fmac_f32_e32 v140, v104, v143
	ds_load_b128 v[101:104], v2 offset:256
	s_waitcnt lgkmcnt(1)
	v_fmac_f32_e32 v140, v105, v144
	v_fmac_f32_e32 v140, v106, v145
	s_delay_alu instid0(VALU_DEP_1) | instskip(SKIP_1) | instid1(VALU_DEP_1)
	v_fmac_f32_e32 v140, v107, v146
	s_waitcnt vmcnt(8)
	v_fmac_f32_e32 v140, v108, v147
	ds_load_b128 v[105:108], v2 offset:272
	s_waitcnt lgkmcnt(1)
	v_fmac_f32_e32 v140, v109, v101
	s_delay_alu instid0(VALU_DEP_1) | instskip(NEXT) | instid1(VALU_DEP_1)
	v_fmac_f32_e32 v140, v110, v102
	v_fmac_f32_e32 v140, v111, v103
	s_waitcnt vmcnt(7)
	s_delay_alu instid0(VALU_DEP_1) | instskip(SKIP_3) | instid1(VALU_DEP_1)
	v_fmac_f32_e32 v140, v112, v104
	ds_load_b128 v[101:104], v2 offset:288
	s_waitcnt lgkmcnt(1)
	v_fmac_f32_e32 v140, v113, v105
	v_fmac_f32_e32 v140, v114, v106
	s_delay_alu instid0(VALU_DEP_1) | instskip(SKIP_1) | instid1(VALU_DEP_1)
	v_fmac_f32_e32 v140, v115, v107
	s_waitcnt vmcnt(6)
	v_fmac_f32_e32 v140, v116, v108
	ds_load_b128 v[105:108], v2 offset:304
	s_waitcnt lgkmcnt(1)
	v_fmac_f32_e32 v140, v117, v101
	;; [unrolled: 17-line block ×4, first 2 shown]
	s_delay_alu instid0(VALU_DEP_1) | instskip(NEXT) | instid1(VALU_DEP_1)
	v_fmac_f32_e32 v140, v134, v102
	v_fmac_f32_e32 v140, v135, v103
	s_waitcnt vmcnt(1)
	s_delay_alu instid0(VALU_DEP_1) | instskip(SKIP_1) | instid1(VALU_DEP_1)
	v_fmac_f32_e32 v140, v136, v104
	s_waitcnt lgkmcnt(0)
	v_fmac_f32_e32 v140, v137, v105
	s_delay_alu instid0(VALU_DEP_1) | instskip(NEXT) | instid1(VALU_DEP_1)
	v_fmac_f32_e32 v140, v138, v106
	v_fmac_f32_e32 v140, v139, v107
	s_waitcnt vmcnt(0)
	s_delay_alu instid0(VALU_DEP_1) | instskip(NEXT) | instid1(VALU_DEP_1)
	v_fmac_f32_e32 v140, v3, v108
	v_sub_f32_e32 v2, v100, v140
	scratch_store_b32 off, v2, off offset:28
	v_cmpx_lt_u32_e32 6, v0
	s_cbranch_execz .LBB47_283
; %bb.282:
	scratch_load_b32 v2, off, off offset:24
	v_mov_b32_e32 v3, 0
	scratch_store_b32 off, v3, off offset:24
	s_waitcnt vmcnt(0)
	ds_store_b32 v1, v2
.LBB47_283:
	s_or_b32 exec_lo, exec_lo, s0
	s_waitcnt lgkmcnt(0)
	s_waitcnt_vscnt null, 0x0
	s_barrier
	buffer_gl0_inv
	s_clause 0xa
	scratch_load_b128 v[100:103], off, off offset:24
	scratch_load_b128 v[104:107], off, off offset:40
	;; [unrolled: 1-line block ×10, first 2 shown]
	scratch_load_b64 v[140:141], off, off offset:184
	v_mov_b32_e32 v2, 0
	ds_load_2addr_b32 v[142:143], v2 offset0:55 offset1:56
	ds_load_2addr_b32 v[144:145], v2 offset0:57 offset1:58
	;; [unrolled: 1-line block ×4, first 2 shown]
	s_mov_b32 s0, exec_lo
	s_waitcnt vmcnt(10) lgkmcnt(3)
	v_fma_f32 v3, v101, v142, 0
	s_delay_alu instid0(VALU_DEP_1) | instskip(SKIP_4) | instid1(VALU_DEP_1)
	v_fmac_f32_e32 v3, v102, v143
	ds_load_2addr_b32 v[101:102], v2 offset0:63 offset1:64
	s_waitcnt lgkmcnt(3)
	v_fmac_f32_e32 v3, v103, v144
	s_waitcnt vmcnt(9)
	v_fmac_f32_e32 v3, v104, v145
	ds_load_2addr_b32 v[103:104], v2 offset0:65 offset1:66
	s_waitcnt lgkmcnt(3)
	v_fmac_f32_e32 v3, v105, v146
	s_delay_alu instid0(VALU_DEP_1) | instskip(SKIP_1) | instid1(VALU_DEP_1)
	v_fmac_f32_e32 v3, v106, v147
	s_waitcnt lgkmcnt(2)
	v_fmac_f32_e32 v3, v107, v148
	s_waitcnt vmcnt(8)
	s_delay_alu instid0(VALU_DEP_1) | instskip(SKIP_4) | instid1(VALU_DEP_1)
	v_fmac_f32_e32 v3, v108, v149
	ds_load_2addr_b32 v[105:106], v2 offset0:67 offset1:68
	ds_load_2addr_b32 v[107:108], v2 offset0:69 offset1:70
	s_waitcnt lgkmcnt(3)
	v_fmac_f32_e32 v3, v109, v101
	v_fmac_f32_e32 v3, v110, v102
	ds_load_2addr_b32 v[101:102], v2 offset0:71 offset1:72
	s_waitcnt lgkmcnt(3)
	v_fmac_f32_e32 v3, v111, v103
	s_waitcnt vmcnt(7)
	s_delay_alu instid0(VALU_DEP_1) | instskip(SKIP_3) | instid1(VALU_DEP_1)
	v_fmac_f32_e32 v3, v112, v104
	ds_load_2addr_b32 v[103:104], v2 offset0:73 offset1:74
	s_waitcnt lgkmcnt(3)
	v_fmac_f32_e32 v3, v113, v105
	v_fmac_f32_e32 v3, v114, v106
	s_waitcnt lgkmcnt(2)
	s_delay_alu instid0(VALU_DEP_1) | instskip(SKIP_1) | instid1(VALU_DEP_1)
	v_fmac_f32_e32 v3, v115, v107
	s_waitcnt vmcnt(6)
	v_fmac_f32_e32 v3, v116, v108
	ds_load_2addr_b32 v[105:106], v2 offset0:75 offset1:76
	ds_load_2addr_b32 v[107:108], v2 offset0:77 offset1:78
	s_waitcnt lgkmcnt(3)
	v_fmac_f32_e32 v3, v117, v101
	s_delay_alu instid0(VALU_DEP_1) | instskip(SKIP_4) | instid1(VALU_DEP_1)
	v_fmac_f32_e32 v3, v118, v102
	ds_load_2addr_b32 v[101:102], v2 offset0:79 offset1:80
	s_waitcnt lgkmcnt(3)
	v_fmac_f32_e32 v3, v119, v103
	s_waitcnt vmcnt(5)
	v_fmac_f32_e32 v3, v120, v104
	ds_load_2addr_b32 v[103:104], v2 offset0:81 offset1:82
	s_waitcnt lgkmcnt(3)
	v_fmac_f32_e32 v3, v121, v105
	s_delay_alu instid0(VALU_DEP_1) | instskip(SKIP_1) | instid1(VALU_DEP_1)
	v_fmac_f32_e32 v3, v122, v106
	s_waitcnt lgkmcnt(2)
	v_fmac_f32_e32 v3, v123, v107
	s_waitcnt vmcnt(4)
	s_delay_alu instid0(VALU_DEP_1) | instskip(SKIP_4) | instid1(VALU_DEP_1)
	v_fmac_f32_e32 v3, v124, v108
	ds_load_2addr_b32 v[105:106], v2 offset0:83 offset1:84
	ds_load_2addr_b32 v[107:108], v2 offset0:85 offset1:86
	s_waitcnt lgkmcnt(3)
	v_fmac_f32_e32 v3, v125, v101
	v_fmac_f32_e32 v3, v126, v102
	ds_load_2addr_b32 v[101:102], v2 offset0:87 offset1:88
	s_waitcnt lgkmcnt(3)
	v_fmac_f32_e32 v3, v127, v103
	s_waitcnt vmcnt(3)
	s_delay_alu instid0(VALU_DEP_1) | instskip(SKIP_3) | instid1(VALU_DEP_1)
	v_fmac_f32_e32 v3, v128, v104
	ds_load_2addr_b32 v[103:104], v2 offset0:89 offset1:90
	s_waitcnt lgkmcnt(3)
	v_fmac_f32_e32 v3, v129, v105
	v_fmac_f32_e32 v3, v130, v106
	s_waitcnt lgkmcnt(2)
	s_delay_alu instid0(VALU_DEP_1) | instskip(SKIP_1) | instid1(VALU_DEP_1)
	v_fmac_f32_e32 v3, v131, v107
	s_waitcnt vmcnt(2)
	v_fmac_f32_e32 v3, v132, v108
	ds_load_2addr_b32 v[105:106], v2 offset0:91 offset1:92
	ds_load_2addr_b32 v[107:108], v2 offset0:93 offset1:94
	s_waitcnt lgkmcnt(3)
	v_fmac_f32_e32 v3, v133, v101
	ds_load_b32 v101, v2 offset:380
	v_fmac_f32_e32 v3, v134, v102
	s_waitcnt lgkmcnt(3)
	s_delay_alu instid0(VALU_DEP_1) | instskip(SKIP_1) | instid1(VALU_DEP_1)
	v_fmac_f32_e32 v3, v135, v103
	s_waitcnt vmcnt(1)
	v_fmac_f32_e32 v3, v136, v104
	s_waitcnt lgkmcnt(2)
	s_delay_alu instid0(VALU_DEP_1) | instskip(NEXT) | instid1(VALU_DEP_1)
	v_fmac_f32_e32 v3, v137, v105
	v_fmac_f32_e32 v3, v138, v106
	s_waitcnt lgkmcnt(1)
	s_delay_alu instid0(VALU_DEP_1) | instskip(SKIP_1) | instid1(VALU_DEP_1)
	v_fmac_f32_e32 v3, v139, v107
	s_waitcnt vmcnt(0)
	v_fmac_f32_e32 v3, v140, v108
	s_waitcnt lgkmcnt(0)
	s_delay_alu instid0(VALU_DEP_1) | instskip(NEXT) | instid1(VALU_DEP_1)
	v_fmac_f32_e32 v3, v141, v101
	v_sub_f32_e32 v3, v100, v3
	scratch_store_b32 off, v3, off offset:24
	v_cmpx_lt_u32_e32 5, v0
	s_cbranch_execz .LBB47_285
; %bb.284:
	scratch_load_b32 v3, off, off offset:20
	scratch_store_b32 off, v2, off offset:20
	s_waitcnt vmcnt(0)
	ds_store_b32 v1, v3
.LBB47_285:
	s_or_b32 exec_lo, exec_lo, s0
	s_waitcnt lgkmcnt(0)
	s_waitcnt_vscnt null, 0x0
	s_barrier
	buffer_gl0_inv
	s_clause 0xa
	scratch_load_b128 v[100:103], off, off offset:20
	scratch_load_b128 v[104:107], off, off offset:36
	;; [unrolled: 1-line block ×10, first 2 shown]
	scratch_load_b96 v[148:150], off, off offset:180
	ds_load_2addr_b64 v[140:143], v2 offset0:27 offset1:28
	ds_load_2addr_b64 v[144:147], v2 offset0:29 offset1:30
	s_mov_b32 s0, exec_lo
	s_waitcnt vmcnt(10) lgkmcnt(1)
	v_fma_f32 v140, v101, v140, 0
	s_delay_alu instid0(VALU_DEP_1) | instskip(NEXT) | instid1(VALU_DEP_1)
	v_fmac_f32_e32 v140, v102, v141
	v_fmac_f32_e32 v140, v103, v142
	s_waitcnt vmcnt(9)
	s_delay_alu instid0(VALU_DEP_1) | instskip(SKIP_3) | instid1(VALU_DEP_1)
	v_fmac_f32_e32 v140, v104, v143
	ds_load_2addr_b64 v[101:104], v2 offset0:31 offset1:32
	s_waitcnt lgkmcnt(1)
	v_fmac_f32_e32 v140, v105, v144
	v_fmac_f32_e32 v140, v106, v145
	s_delay_alu instid0(VALU_DEP_1) | instskip(SKIP_1) | instid1(VALU_DEP_1)
	v_fmac_f32_e32 v140, v107, v146
	s_waitcnt vmcnt(8)
	v_fmac_f32_e32 v140, v108, v147
	ds_load_2addr_b64 v[105:108], v2 offset0:33 offset1:34
	s_waitcnt lgkmcnt(1)
	v_fmac_f32_e32 v140, v109, v101
	s_delay_alu instid0(VALU_DEP_1) | instskip(NEXT) | instid1(VALU_DEP_1)
	v_fmac_f32_e32 v140, v110, v102
	v_fmac_f32_e32 v140, v111, v103
	s_waitcnt vmcnt(7)
	s_delay_alu instid0(VALU_DEP_1) | instskip(SKIP_3) | instid1(VALU_DEP_1)
	v_fmac_f32_e32 v140, v112, v104
	ds_load_2addr_b64 v[101:104], v2 offset0:35 offset1:36
	s_waitcnt lgkmcnt(1)
	v_fmac_f32_e32 v140, v113, v105
	v_fmac_f32_e32 v140, v114, v106
	s_delay_alu instid0(VALU_DEP_1) | instskip(SKIP_1) | instid1(VALU_DEP_1)
	v_fmac_f32_e32 v140, v115, v107
	s_waitcnt vmcnt(6)
	v_fmac_f32_e32 v140, v116, v108
	ds_load_2addr_b64 v[105:108], v2 offset0:37 offset1:38
	s_waitcnt lgkmcnt(1)
	v_fmac_f32_e32 v140, v117, v101
	;; [unrolled: 17-line block ×3, first 2 shown]
	s_delay_alu instid0(VALU_DEP_1) | instskip(NEXT) | instid1(VALU_DEP_1)
	v_fmac_f32_e32 v140, v126, v102
	v_fmac_f32_e32 v140, v127, v103
	s_waitcnt vmcnt(3)
	s_delay_alu instid0(VALU_DEP_1) | instskip(SKIP_3) | instid1(VALU_DEP_1)
	v_fmac_f32_e32 v140, v128, v104
	ds_load_2addr_b64 v[101:104], v2 offset0:43 offset1:44
	s_waitcnt lgkmcnt(1)
	v_fmac_f32_e32 v140, v129, v105
	v_fmac_f32_e32 v140, v130, v106
	s_delay_alu instid0(VALU_DEP_1) | instskip(SKIP_1) | instid1(VALU_DEP_1)
	v_fmac_f32_e32 v140, v131, v107
	s_waitcnt vmcnt(2)
	v_fmac_f32_e32 v140, v132, v108
	ds_load_2addr_b64 v[105:108], v2 offset0:45 offset1:46
	ds_load_b64 v[2:3], v2 offset:376
	s_waitcnt lgkmcnt(2)
	v_fmac_f32_e32 v140, v133, v101
	s_delay_alu instid0(VALU_DEP_1) | instskip(NEXT) | instid1(VALU_DEP_1)
	v_fmac_f32_e32 v140, v134, v102
	v_fmac_f32_e32 v140, v135, v103
	s_waitcnt vmcnt(1)
	s_delay_alu instid0(VALU_DEP_1) | instskip(SKIP_1) | instid1(VALU_DEP_1)
	v_fmac_f32_e32 v140, v136, v104
	s_waitcnt lgkmcnt(1)
	v_fmac_f32_e32 v140, v137, v105
	s_delay_alu instid0(VALU_DEP_1) | instskip(NEXT) | instid1(VALU_DEP_1)
	v_fmac_f32_e32 v140, v138, v106
	v_fmac_f32_e32 v140, v139, v107
	s_waitcnt vmcnt(0)
	s_delay_alu instid0(VALU_DEP_1) | instskip(SKIP_1) | instid1(VALU_DEP_1)
	v_fmac_f32_e32 v140, v148, v108
	s_waitcnt lgkmcnt(0)
	v_fmac_f32_e32 v140, v149, v2
	s_delay_alu instid0(VALU_DEP_1) | instskip(NEXT) | instid1(VALU_DEP_1)
	v_fmac_f32_e32 v140, v150, v3
	v_sub_f32_e32 v2, v100, v140
	scratch_store_b32 off, v2, off offset:20
	v_cmpx_lt_u32_e32 4, v0
	s_cbranch_execz .LBB47_287
; %bb.286:
	scratch_load_b32 v2, off, off offset:16
	v_mov_b32_e32 v3, 0
	scratch_store_b32 off, v3, off offset:16
	s_waitcnt vmcnt(0)
	ds_store_b32 v1, v2
.LBB47_287:
	s_or_b32 exec_lo, exec_lo, s0
	s_waitcnt lgkmcnt(0)
	s_waitcnt_vscnt null, 0x0
	s_barrier
	buffer_gl0_inv
	s_clause 0xa
	scratch_load_b128 v[100:103], off, off offset:16
	scratch_load_b128 v[104:107], off, off offset:32
	;; [unrolled: 1-line block ×11, first 2 shown]
	v_mov_b32_e32 v2, 0
	ds_load_2addr_b32 v[144:145], v2 offset0:53 offset1:54
	ds_load_2addr_b32 v[146:147], v2 offset0:55 offset1:56
	ds_load_2addr_b32 v[148:149], v2 offset0:57 offset1:58
	ds_load_2addr_b32 v[150:151], v2 offset0:59 offset1:60
	s_mov_b32 s0, exec_lo
	s_waitcnt vmcnt(10) lgkmcnt(3)
	v_fma_f32 v3, v101, v144, 0
	s_delay_alu instid0(VALU_DEP_1) | instskip(SKIP_4) | instid1(VALU_DEP_1)
	v_fmac_f32_e32 v3, v102, v145
	ds_load_2addr_b32 v[101:102], v2 offset0:61 offset1:62
	s_waitcnt lgkmcnt(3)
	v_fmac_f32_e32 v3, v103, v146
	s_waitcnt vmcnt(9)
	v_fmac_f32_e32 v3, v104, v147
	ds_load_2addr_b32 v[103:104], v2 offset0:63 offset1:64
	s_waitcnt lgkmcnt(3)
	v_fmac_f32_e32 v3, v105, v148
	s_delay_alu instid0(VALU_DEP_1) | instskip(SKIP_1) | instid1(VALU_DEP_1)
	v_fmac_f32_e32 v3, v106, v149
	s_waitcnt lgkmcnt(2)
	v_fmac_f32_e32 v3, v107, v150
	s_waitcnt vmcnt(8)
	s_delay_alu instid0(VALU_DEP_1) | instskip(SKIP_4) | instid1(VALU_DEP_1)
	v_fmac_f32_e32 v3, v108, v151
	ds_load_2addr_b32 v[105:106], v2 offset0:65 offset1:66
	ds_load_2addr_b32 v[107:108], v2 offset0:67 offset1:68
	s_waitcnt lgkmcnt(3)
	v_fmac_f32_e32 v3, v109, v101
	v_fmac_f32_e32 v3, v110, v102
	ds_load_2addr_b32 v[101:102], v2 offset0:69 offset1:70
	s_waitcnt lgkmcnt(3)
	v_fmac_f32_e32 v3, v111, v103
	s_waitcnt vmcnt(7)
	s_delay_alu instid0(VALU_DEP_1) | instskip(SKIP_3) | instid1(VALU_DEP_1)
	v_fmac_f32_e32 v3, v112, v104
	ds_load_2addr_b32 v[103:104], v2 offset0:71 offset1:72
	s_waitcnt lgkmcnt(3)
	v_fmac_f32_e32 v3, v113, v105
	v_fmac_f32_e32 v3, v114, v106
	s_waitcnt lgkmcnt(2)
	s_delay_alu instid0(VALU_DEP_1) | instskip(SKIP_1) | instid1(VALU_DEP_1)
	v_fmac_f32_e32 v3, v115, v107
	s_waitcnt vmcnt(6)
	v_fmac_f32_e32 v3, v116, v108
	ds_load_2addr_b32 v[105:106], v2 offset0:73 offset1:74
	ds_load_2addr_b32 v[107:108], v2 offset0:75 offset1:76
	s_waitcnt lgkmcnt(3)
	v_fmac_f32_e32 v3, v117, v101
	s_delay_alu instid0(VALU_DEP_1) | instskip(SKIP_4) | instid1(VALU_DEP_1)
	v_fmac_f32_e32 v3, v118, v102
	ds_load_2addr_b32 v[101:102], v2 offset0:77 offset1:78
	s_waitcnt lgkmcnt(3)
	v_fmac_f32_e32 v3, v119, v103
	s_waitcnt vmcnt(5)
	v_fmac_f32_e32 v3, v120, v104
	ds_load_2addr_b32 v[103:104], v2 offset0:79 offset1:80
	s_waitcnt lgkmcnt(3)
	v_fmac_f32_e32 v3, v121, v105
	s_delay_alu instid0(VALU_DEP_1) | instskip(SKIP_1) | instid1(VALU_DEP_1)
	v_fmac_f32_e32 v3, v122, v106
	s_waitcnt lgkmcnt(2)
	v_fmac_f32_e32 v3, v123, v107
	s_waitcnt vmcnt(4)
	s_delay_alu instid0(VALU_DEP_1) | instskip(SKIP_4) | instid1(VALU_DEP_1)
	v_fmac_f32_e32 v3, v124, v108
	ds_load_2addr_b32 v[105:106], v2 offset0:81 offset1:82
	ds_load_2addr_b32 v[107:108], v2 offset0:83 offset1:84
	s_waitcnt lgkmcnt(3)
	v_fmac_f32_e32 v3, v125, v101
	v_fmac_f32_e32 v3, v126, v102
	ds_load_2addr_b32 v[101:102], v2 offset0:85 offset1:86
	s_waitcnt lgkmcnt(3)
	v_fmac_f32_e32 v3, v127, v103
	s_waitcnt vmcnt(3)
	s_delay_alu instid0(VALU_DEP_1) | instskip(SKIP_3) | instid1(VALU_DEP_1)
	v_fmac_f32_e32 v3, v128, v104
	ds_load_2addr_b32 v[103:104], v2 offset0:87 offset1:88
	s_waitcnt lgkmcnt(3)
	v_fmac_f32_e32 v3, v129, v105
	v_fmac_f32_e32 v3, v130, v106
	s_waitcnt lgkmcnt(2)
	s_delay_alu instid0(VALU_DEP_1) | instskip(SKIP_1) | instid1(VALU_DEP_1)
	v_fmac_f32_e32 v3, v131, v107
	s_waitcnt vmcnt(2)
	v_fmac_f32_e32 v3, v132, v108
	ds_load_2addr_b32 v[105:106], v2 offset0:89 offset1:90
	ds_load_2addr_b32 v[107:108], v2 offset0:91 offset1:92
	s_waitcnt lgkmcnt(3)
	v_fmac_f32_e32 v3, v133, v101
	s_delay_alu instid0(VALU_DEP_1)
	v_fmac_f32_e32 v3, v134, v102
	ds_load_2addr_b32 v[101:102], v2 offset0:93 offset1:94
	s_waitcnt lgkmcnt(3)
	v_fmac_f32_e32 v3, v135, v103
	ds_load_b32 v103, v2 offset:380
	s_waitcnt vmcnt(1)
	v_fmac_f32_e32 v3, v136, v104
	s_waitcnt lgkmcnt(3)
	s_delay_alu instid0(VALU_DEP_1) | instskip(NEXT) | instid1(VALU_DEP_1)
	v_fmac_f32_e32 v3, v137, v105
	v_fmac_f32_e32 v3, v138, v106
	s_waitcnt lgkmcnt(2)
	s_delay_alu instid0(VALU_DEP_1) | instskip(SKIP_1) | instid1(VALU_DEP_1)
	v_fmac_f32_e32 v3, v139, v107
	s_waitcnt vmcnt(0)
	v_fmac_f32_e32 v3, v140, v108
	s_waitcnt lgkmcnt(1)
	s_delay_alu instid0(VALU_DEP_1) | instskip(NEXT) | instid1(VALU_DEP_1)
	v_fmac_f32_e32 v3, v141, v101
	v_fmac_f32_e32 v3, v142, v102
	s_waitcnt lgkmcnt(0)
	s_delay_alu instid0(VALU_DEP_1) | instskip(NEXT) | instid1(VALU_DEP_1)
	v_fmac_f32_e32 v3, v143, v103
	v_sub_f32_e32 v3, v100, v3
	scratch_store_b32 off, v3, off offset:16
	v_cmpx_lt_u32_e32 3, v0
	s_cbranch_execz .LBB47_289
; %bb.288:
	scratch_load_b32 v3, off, off offset:12
	scratch_store_b32 off, v2, off offset:12
	s_waitcnt vmcnt(0)
	ds_store_b32 v1, v3
.LBB47_289:
	s_or_b32 exec_lo, exec_lo, s0
	s_waitcnt lgkmcnt(0)
	s_waitcnt_vscnt null, 0x0
	s_barrier
	buffer_gl0_inv
	s_clause 0xb
	scratch_load_b128 v[100:103], off, off offset:12
	scratch_load_b128 v[104:107], off, off offset:28
	scratch_load_b128 v[108:111], off, off offset:44
	scratch_load_b128 v[112:115], off, off offset:60
	scratch_load_b128 v[116:119], off, off offset:76
	scratch_load_b128 v[120:123], off, off offset:92
	scratch_load_b128 v[124:127], off, off offset:108
	scratch_load_b128 v[128:131], off, off offset:124
	scratch_load_b128 v[132:135], off, off offset:140
	scratch_load_b128 v[136:139], off, off offset:156
	scratch_load_b128 v[140:143], off, off offset:172
	scratch_load_b32 v3, off, off offset:188
	ds_load_b128 v[144:147], v2 offset:208
	ds_load_b128 v[148:151], v2 offset:224
	s_mov_b32 s0, exec_lo
	s_waitcnt vmcnt(11) lgkmcnt(1)
	v_fma_f32 v144, v101, v144, 0
	s_delay_alu instid0(VALU_DEP_1) | instskip(NEXT) | instid1(VALU_DEP_1)
	v_fmac_f32_e32 v144, v102, v145
	v_fmac_f32_e32 v144, v103, v146
	s_waitcnt vmcnt(10)
	s_delay_alu instid0(VALU_DEP_1) | instskip(SKIP_3) | instid1(VALU_DEP_1)
	v_fmac_f32_e32 v144, v104, v147
	ds_load_b128 v[101:104], v2 offset:240
	s_waitcnt lgkmcnt(1)
	v_fmac_f32_e32 v144, v105, v148
	v_fmac_f32_e32 v144, v106, v149
	s_delay_alu instid0(VALU_DEP_1) | instskip(SKIP_1) | instid1(VALU_DEP_1)
	v_fmac_f32_e32 v144, v107, v150
	s_waitcnt vmcnt(9)
	v_fmac_f32_e32 v144, v108, v151
	ds_load_b128 v[105:108], v2 offset:256
	s_waitcnt lgkmcnt(1)
	v_fmac_f32_e32 v144, v109, v101
	s_delay_alu instid0(VALU_DEP_1) | instskip(NEXT) | instid1(VALU_DEP_1)
	v_fmac_f32_e32 v144, v110, v102
	v_fmac_f32_e32 v144, v111, v103
	s_waitcnt vmcnt(8)
	s_delay_alu instid0(VALU_DEP_1) | instskip(SKIP_3) | instid1(VALU_DEP_1)
	v_fmac_f32_e32 v144, v112, v104
	ds_load_b128 v[101:104], v2 offset:272
	s_waitcnt lgkmcnt(1)
	v_fmac_f32_e32 v144, v113, v105
	v_fmac_f32_e32 v144, v114, v106
	s_delay_alu instid0(VALU_DEP_1) | instskip(SKIP_1) | instid1(VALU_DEP_1)
	v_fmac_f32_e32 v144, v115, v107
	s_waitcnt vmcnt(7)
	v_fmac_f32_e32 v144, v116, v108
	ds_load_b128 v[105:108], v2 offset:288
	s_waitcnt lgkmcnt(1)
	v_fmac_f32_e32 v144, v117, v101
	;; [unrolled: 17-line block ×4, first 2 shown]
	s_delay_alu instid0(VALU_DEP_1) | instskip(NEXT) | instid1(VALU_DEP_1)
	v_fmac_f32_e32 v144, v134, v102
	v_fmac_f32_e32 v144, v135, v103
	s_waitcnt vmcnt(2)
	s_delay_alu instid0(VALU_DEP_1) | instskip(SKIP_3) | instid1(VALU_DEP_1)
	v_fmac_f32_e32 v144, v136, v104
	ds_load_b128 v[101:104], v2 offset:368
	s_waitcnt lgkmcnt(1)
	v_fmac_f32_e32 v144, v137, v105
	v_fmac_f32_e32 v144, v138, v106
	s_delay_alu instid0(VALU_DEP_1) | instskip(SKIP_1) | instid1(VALU_DEP_1)
	v_fmac_f32_e32 v144, v139, v107
	s_waitcnt vmcnt(1)
	v_fmac_f32_e32 v144, v140, v108
	s_waitcnt lgkmcnt(0)
	s_delay_alu instid0(VALU_DEP_1) | instskip(NEXT) | instid1(VALU_DEP_1)
	v_fmac_f32_e32 v144, v141, v101
	v_fmac_f32_e32 v144, v142, v102
	s_delay_alu instid0(VALU_DEP_1) | instskip(SKIP_1) | instid1(VALU_DEP_1)
	v_fmac_f32_e32 v144, v143, v103
	s_waitcnt vmcnt(0)
	v_fmac_f32_e32 v144, v3, v104
	s_delay_alu instid0(VALU_DEP_1)
	v_sub_f32_e32 v2, v100, v144
	scratch_store_b32 off, v2, off offset:12
	v_cmpx_lt_u32_e32 2, v0
	s_cbranch_execz .LBB47_291
; %bb.290:
	scratch_load_b32 v2, off, off offset:8
	v_mov_b32_e32 v3, 0
	scratch_store_b32 off, v3, off offset:8
	s_waitcnt vmcnt(0)
	ds_store_b32 v1, v2
.LBB47_291:
	s_or_b32 exec_lo, exec_lo, s0
	s_waitcnt lgkmcnt(0)
	s_waitcnt_vscnt null, 0x0
	s_barrier
	buffer_gl0_inv
	s_clause 0xb
	scratch_load_b128 v[100:103], off, off offset:8
	scratch_load_b128 v[104:107], off, off offset:24
	;; [unrolled: 1-line block ×11, first 2 shown]
	scratch_load_b64 v[144:145], off, off offset:184
	v_mov_b32_e32 v2, 0
	ds_load_2addr_b32 v[146:147], v2 offset0:51 offset1:52
	ds_load_2addr_b32 v[148:149], v2 offset0:53 offset1:54
	;; [unrolled: 1-line block ×4, first 2 shown]
	s_mov_b32 s0, exec_lo
	s_waitcnt vmcnt(11) lgkmcnt(3)
	v_fma_f32 v3, v101, v146, 0
	s_delay_alu instid0(VALU_DEP_1) | instskip(SKIP_4) | instid1(VALU_DEP_1)
	v_fmac_f32_e32 v3, v102, v147
	ds_load_2addr_b32 v[101:102], v2 offset0:59 offset1:60
	s_waitcnt lgkmcnt(3)
	v_fmac_f32_e32 v3, v103, v148
	s_waitcnt vmcnt(10)
	v_fmac_f32_e32 v3, v104, v149
	ds_load_2addr_b32 v[103:104], v2 offset0:61 offset1:62
	s_waitcnt lgkmcnt(3)
	v_fmac_f32_e32 v3, v105, v150
	s_delay_alu instid0(VALU_DEP_1) | instskip(SKIP_1) | instid1(VALU_DEP_1)
	v_fmac_f32_e32 v3, v106, v151
	s_waitcnt lgkmcnt(2)
	v_fmac_f32_e32 v3, v107, v152
	s_waitcnt vmcnt(9)
	s_delay_alu instid0(VALU_DEP_1) | instskip(SKIP_4) | instid1(VALU_DEP_1)
	v_fmac_f32_e32 v3, v108, v153
	ds_load_2addr_b32 v[105:106], v2 offset0:63 offset1:64
	ds_load_2addr_b32 v[107:108], v2 offset0:65 offset1:66
	s_waitcnt lgkmcnt(3)
	v_fmac_f32_e32 v3, v109, v101
	v_fmac_f32_e32 v3, v110, v102
	ds_load_2addr_b32 v[101:102], v2 offset0:67 offset1:68
	s_waitcnt lgkmcnt(3)
	v_fmac_f32_e32 v3, v111, v103
	s_waitcnt vmcnt(8)
	s_delay_alu instid0(VALU_DEP_1) | instskip(SKIP_3) | instid1(VALU_DEP_1)
	v_fmac_f32_e32 v3, v112, v104
	ds_load_2addr_b32 v[103:104], v2 offset0:69 offset1:70
	s_waitcnt lgkmcnt(3)
	v_fmac_f32_e32 v3, v113, v105
	v_fmac_f32_e32 v3, v114, v106
	s_waitcnt lgkmcnt(2)
	s_delay_alu instid0(VALU_DEP_1) | instskip(SKIP_1) | instid1(VALU_DEP_1)
	v_fmac_f32_e32 v3, v115, v107
	s_waitcnt vmcnt(7)
	v_fmac_f32_e32 v3, v116, v108
	ds_load_2addr_b32 v[105:106], v2 offset0:71 offset1:72
	ds_load_2addr_b32 v[107:108], v2 offset0:73 offset1:74
	s_waitcnt lgkmcnt(3)
	v_fmac_f32_e32 v3, v117, v101
	s_delay_alu instid0(VALU_DEP_1) | instskip(SKIP_4) | instid1(VALU_DEP_1)
	v_fmac_f32_e32 v3, v118, v102
	ds_load_2addr_b32 v[101:102], v2 offset0:75 offset1:76
	s_waitcnt lgkmcnt(3)
	v_fmac_f32_e32 v3, v119, v103
	s_waitcnt vmcnt(6)
	v_fmac_f32_e32 v3, v120, v104
	ds_load_2addr_b32 v[103:104], v2 offset0:77 offset1:78
	s_waitcnt lgkmcnt(3)
	v_fmac_f32_e32 v3, v121, v105
	s_delay_alu instid0(VALU_DEP_1) | instskip(SKIP_1) | instid1(VALU_DEP_1)
	v_fmac_f32_e32 v3, v122, v106
	s_waitcnt lgkmcnt(2)
	v_fmac_f32_e32 v3, v123, v107
	s_waitcnt vmcnt(5)
	s_delay_alu instid0(VALU_DEP_1) | instskip(SKIP_4) | instid1(VALU_DEP_1)
	v_fmac_f32_e32 v3, v124, v108
	ds_load_2addr_b32 v[105:106], v2 offset0:79 offset1:80
	ds_load_2addr_b32 v[107:108], v2 offset0:81 offset1:82
	s_waitcnt lgkmcnt(3)
	v_fmac_f32_e32 v3, v125, v101
	v_fmac_f32_e32 v3, v126, v102
	ds_load_2addr_b32 v[101:102], v2 offset0:83 offset1:84
	s_waitcnt lgkmcnt(3)
	v_fmac_f32_e32 v3, v127, v103
	s_waitcnt vmcnt(4)
	s_delay_alu instid0(VALU_DEP_1) | instskip(SKIP_3) | instid1(VALU_DEP_1)
	v_fmac_f32_e32 v3, v128, v104
	ds_load_2addr_b32 v[103:104], v2 offset0:85 offset1:86
	s_waitcnt lgkmcnt(3)
	v_fmac_f32_e32 v3, v129, v105
	v_fmac_f32_e32 v3, v130, v106
	s_waitcnt lgkmcnt(2)
	s_delay_alu instid0(VALU_DEP_1) | instskip(SKIP_1) | instid1(VALU_DEP_1)
	v_fmac_f32_e32 v3, v131, v107
	s_waitcnt vmcnt(3)
	v_fmac_f32_e32 v3, v132, v108
	ds_load_2addr_b32 v[105:106], v2 offset0:87 offset1:88
	ds_load_2addr_b32 v[107:108], v2 offset0:89 offset1:90
	s_waitcnt lgkmcnt(3)
	v_fmac_f32_e32 v3, v133, v101
	s_delay_alu instid0(VALU_DEP_1) | instskip(SKIP_4) | instid1(VALU_DEP_1)
	v_fmac_f32_e32 v3, v134, v102
	ds_load_2addr_b32 v[101:102], v2 offset0:91 offset1:92
	s_waitcnt lgkmcnt(3)
	v_fmac_f32_e32 v3, v135, v103
	s_waitcnt vmcnt(2)
	v_fmac_f32_e32 v3, v136, v104
	ds_load_2addr_b32 v[103:104], v2 offset0:93 offset1:94
	s_waitcnt lgkmcnt(3)
	v_fmac_f32_e32 v3, v137, v105
	ds_load_b32 v105, v2 offset:380
	v_fmac_f32_e32 v3, v138, v106
	s_waitcnt lgkmcnt(3)
	s_delay_alu instid0(VALU_DEP_1) | instskip(SKIP_1) | instid1(VALU_DEP_1)
	v_fmac_f32_e32 v3, v139, v107
	s_waitcnt vmcnt(1)
	v_fmac_f32_e32 v3, v140, v108
	s_waitcnt lgkmcnt(2)
	s_delay_alu instid0(VALU_DEP_1) | instskip(NEXT) | instid1(VALU_DEP_1)
	v_fmac_f32_e32 v3, v141, v101
	v_fmac_f32_e32 v3, v142, v102
	s_waitcnt lgkmcnt(1)
	s_delay_alu instid0(VALU_DEP_1) | instskip(SKIP_1) | instid1(VALU_DEP_1)
	v_fmac_f32_e32 v3, v143, v103
	s_waitcnt vmcnt(0)
	v_fmac_f32_e32 v3, v144, v104
	s_waitcnt lgkmcnt(0)
	s_delay_alu instid0(VALU_DEP_1) | instskip(NEXT) | instid1(VALU_DEP_1)
	v_fmac_f32_e32 v3, v145, v105
	v_sub_f32_e32 v3, v100, v3
	scratch_store_b32 off, v3, off offset:8
	v_cmpx_lt_u32_e32 1, v0
	s_cbranch_execz .LBB47_293
; %bb.292:
	scratch_load_b32 v3, off, off offset:4
	scratch_store_b32 off, v2, off offset:4
	s_waitcnt vmcnt(0)
	ds_store_b32 v1, v3
.LBB47_293:
	s_or_b32 exec_lo, exec_lo, s0
	s_waitcnt lgkmcnt(0)
	s_waitcnt_vscnt null, 0x0
	s_barrier
	buffer_gl0_inv
	s_clause 0xb
	scratch_load_b128 v[100:103], off, off offset:4
	scratch_load_b128 v[104:107], off, off offset:20
	;; [unrolled: 1-line block ×11, first 2 shown]
	scratch_load_b96 v[152:154], off, off offset:180
	ds_load_2addr_b64 v[144:147], v2 offset0:25 offset1:26
	ds_load_2addr_b64 v[148:151], v2 offset0:27 offset1:28
	s_mov_b32 s0, exec_lo
	s_waitcnt vmcnt(11) lgkmcnt(1)
	v_fma_f32 v144, v101, v144, 0
	s_delay_alu instid0(VALU_DEP_1) | instskip(NEXT) | instid1(VALU_DEP_1)
	v_fmac_f32_e32 v144, v102, v145
	v_fmac_f32_e32 v144, v103, v146
	s_waitcnt vmcnt(10)
	s_delay_alu instid0(VALU_DEP_1) | instskip(SKIP_3) | instid1(VALU_DEP_1)
	v_fmac_f32_e32 v144, v104, v147
	ds_load_2addr_b64 v[101:104], v2 offset0:29 offset1:30
	s_waitcnt lgkmcnt(1)
	v_fmac_f32_e32 v144, v105, v148
	v_fmac_f32_e32 v144, v106, v149
	s_delay_alu instid0(VALU_DEP_1) | instskip(SKIP_1) | instid1(VALU_DEP_1)
	v_fmac_f32_e32 v144, v107, v150
	s_waitcnt vmcnt(9)
	v_fmac_f32_e32 v144, v108, v151
	ds_load_2addr_b64 v[105:108], v2 offset0:31 offset1:32
	s_waitcnt lgkmcnt(1)
	v_fmac_f32_e32 v144, v109, v101
	s_delay_alu instid0(VALU_DEP_1) | instskip(NEXT) | instid1(VALU_DEP_1)
	v_fmac_f32_e32 v144, v110, v102
	v_fmac_f32_e32 v144, v111, v103
	s_waitcnt vmcnt(8)
	s_delay_alu instid0(VALU_DEP_1) | instskip(SKIP_3) | instid1(VALU_DEP_1)
	v_fmac_f32_e32 v144, v112, v104
	ds_load_2addr_b64 v[101:104], v2 offset0:33 offset1:34
	s_waitcnt lgkmcnt(1)
	v_fmac_f32_e32 v144, v113, v105
	v_fmac_f32_e32 v144, v114, v106
	s_delay_alu instid0(VALU_DEP_1) | instskip(SKIP_1) | instid1(VALU_DEP_1)
	v_fmac_f32_e32 v144, v115, v107
	s_waitcnt vmcnt(7)
	v_fmac_f32_e32 v144, v116, v108
	ds_load_2addr_b64 v[105:108], v2 offset0:35 offset1:36
	s_waitcnt lgkmcnt(1)
	v_fmac_f32_e32 v144, v117, v101
	;; [unrolled: 17-line block ×4, first 2 shown]
	s_delay_alu instid0(VALU_DEP_1) | instskip(NEXT) | instid1(VALU_DEP_1)
	v_fmac_f32_e32 v144, v134, v102
	v_fmac_f32_e32 v144, v135, v103
	s_waitcnt vmcnt(2)
	s_delay_alu instid0(VALU_DEP_1) | instskip(SKIP_4) | instid1(VALU_DEP_1)
	v_fmac_f32_e32 v144, v136, v104
	ds_load_2addr_b64 v[101:104], v2 offset0:45 offset1:46
	ds_load_b64 v[2:3], v2 offset:376
	s_waitcnt lgkmcnt(2)
	v_fmac_f32_e32 v144, v137, v105
	v_fmac_f32_e32 v144, v138, v106
	s_delay_alu instid0(VALU_DEP_1) | instskip(SKIP_1) | instid1(VALU_DEP_1)
	v_fmac_f32_e32 v144, v139, v107
	s_waitcnt vmcnt(1)
	v_fmac_f32_e32 v144, v140, v108
	s_waitcnt lgkmcnt(1)
	s_delay_alu instid0(VALU_DEP_1) | instskip(NEXT) | instid1(VALU_DEP_1)
	v_fmac_f32_e32 v144, v141, v101
	v_fmac_f32_e32 v144, v142, v102
	s_delay_alu instid0(VALU_DEP_1) | instskip(SKIP_1) | instid1(VALU_DEP_1)
	v_fmac_f32_e32 v144, v143, v103
	s_waitcnt vmcnt(0)
	v_fmac_f32_e32 v144, v152, v104
	s_waitcnt lgkmcnt(0)
	s_delay_alu instid0(VALU_DEP_1) | instskip(NEXT) | instid1(VALU_DEP_1)
	v_fmac_f32_e32 v144, v153, v2
	v_fmac_f32_e32 v144, v154, v3
	s_delay_alu instid0(VALU_DEP_1)
	v_sub_f32_e32 v2, v100, v144
	scratch_store_b32 off, v2, off offset:4
	v_cmpx_ne_u32_e32 0, v0
	s_cbranch_execz .LBB47_295
; %bb.294:
	scratch_load_b32 v0, off, off
	v_mov_b32_e32 v2, 0
	scratch_store_b32 off, v2, off
	s_waitcnt vmcnt(0)
	ds_store_b32 v1, v0
.LBB47_295:
	s_or_b32 exec_lo, exec_lo, s0
	s_waitcnt lgkmcnt(0)
	s_waitcnt_vscnt null, 0x0
	s_barrier
	buffer_gl0_inv
	s_clause 0xb
	scratch_load_b128 v[100:103], off, off
	scratch_load_b128 v[104:107], off, off offset:16
	scratch_load_b128 v[108:111], off, off offset:32
	;; [unrolled: 1-line block ×11, first 2 shown]
	v_mov_b32_e32 v152, 0
	ds_load_2addr_b32 v[144:145], v152 offset0:49 offset1:50
	ds_load_2addr_b32 v[146:147], v152 offset0:51 offset1:52
	;; [unrolled: 1-line block ×4, first 2 shown]
	s_and_b32 vcc_lo, exec_lo, s16
	s_waitcnt vmcnt(11) lgkmcnt(3)
	v_fma_f32 v144, v101, v144, 0
	s_delay_alu instid0(VALU_DEP_1) | instskip(SKIP_4) | instid1(VALU_DEP_1)
	v_fmac_f32_e32 v144, v102, v145
	ds_load_2addr_b32 v[101:102], v152 offset0:57 offset1:58
	s_waitcnt lgkmcnt(3)
	v_fmac_f32_e32 v144, v103, v146
	s_waitcnt vmcnt(10)
	v_fmac_f32_e32 v144, v104, v147
	ds_load_2addr_b32 v[103:104], v152 offset0:59 offset1:60
	s_waitcnt lgkmcnt(3)
	v_fmac_f32_e32 v144, v105, v148
	s_delay_alu instid0(VALU_DEP_1) | instskip(SKIP_1) | instid1(VALU_DEP_1)
	v_fmac_f32_e32 v144, v106, v149
	s_waitcnt lgkmcnt(2)
	v_fmac_f32_e32 v144, v107, v150
	s_waitcnt vmcnt(9)
	s_delay_alu instid0(VALU_DEP_1) | instskip(SKIP_4) | instid1(VALU_DEP_1)
	v_fmac_f32_e32 v144, v108, v151
	ds_load_2addr_b32 v[105:106], v152 offset0:61 offset1:62
	ds_load_2addr_b32 v[107:108], v152 offset0:63 offset1:64
	s_waitcnt lgkmcnt(3)
	v_fmac_f32_e32 v144, v109, v101
	v_fmac_f32_e32 v144, v110, v102
	ds_load_2addr_b32 v[101:102], v152 offset0:65 offset1:66
	s_waitcnt lgkmcnt(3)
	v_fmac_f32_e32 v144, v111, v103
	s_waitcnt vmcnt(8)
	s_delay_alu instid0(VALU_DEP_1) | instskip(SKIP_3) | instid1(VALU_DEP_1)
	v_fmac_f32_e32 v144, v112, v104
	ds_load_2addr_b32 v[103:104], v152 offset0:67 offset1:68
	s_waitcnt lgkmcnt(3)
	v_fmac_f32_e32 v144, v113, v105
	v_fmac_f32_e32 v144, v114, v106
	s_waitcnt lgkmcnt(2)
	s_delay_alu instid0(VALU_DEP_1) | instskip(SKIP_1) | instid1(VALU_DEP_1)
	v_fmac_f32_e32 v144, v115, v107
	s_waitcnt vmcnt(7)
	v_fmac_f32_e32 v144, v116, v108
	ds_load_2addr_b32 v[105:106], v152 offset0:69 offset1:70
	ds_load_2addr_b32 v[107:108], v152 offset0:71 offset1:72
	s_waitcnt lgkmcnt(3)
	v_fmac_f32_e32 v144, v117, v101
	s_delay_alu instid0(VALU_DEP_1) | instskip(SKIP_4) | instid1(VALU_DEP_1)
	v_fmac_f32_e32 v144, v118, v102
	ds_load_2addr_b32 v[101:102], v152 offset0:73 offset1:74
	s_waitcnt lgkmcnt(3)
	v_fmac_f32_e32 v144, v119, v103
	s_waitcnt vmcnt(6)
	v_fmac_f32_e32 v144, v120, v104
	ds_load_2addr_b32 v[103:104], v152 offset0:75 offset1:76
	s_waitcnt lgkmcnt(3)
	v_fmac_f32_e32 v144, v121, v105
	s_delay_alu instid0(VALU_DEP_1) | instskip(SKIP_1) | instid1(VALU_DEP_1)
	v_fmac_f32_e32 v144, v122, v106
	s_waitcnt lgkmcnt(2)
	v_fmac_f32_e32 v144, v123, v107
	s_waitcnt vmcnt(5)
	s_delay_alu instid0(VALU_DEP_1) | instskip(SKIP_4) | instid1(VALU_DEP_1)
	v_fmac_f32_e32 v144, v124, v108
	ds_load_2addr_b32 v[105:106], v152 offset0:77 offset1:78
	ds_load_2addr_b32 v[107:108], v152 offset0:79 offset1:80
	s_waitcnt lgkmcnt(3)
	v_fmac_f32_e32 v144, v125, v101
	v_fmac_f32_e32 v144, v126, v102
	ds_load_2addr_b32 v[101:102], v152 offset0:81 offset1:82
	s_waitcnt lgkmcnt(3)
	v_fmac_f32_e32 v144, v127, v103
	s_waitcnt vmcnt(4)
	s_delay_alu instid0(VALU_DEP_1) | instskip(SKIP_3) | instid1(VALU_DEP_1)
	v_fmac_f32_e32 v144, v128, v104
	ds_load_2addr_b32 v[103:104], v152 offset0:83 offset1:84
	s_waitcnt lgkmcnt(3)
	v_fmac_f32_e32 v144, v129, v105
	v_fmac_f32_e32 v144, v130, v106
	s_waitcnt lgkmcnt(2)
	s_delay_alu instid0(VALU_DEP_1) | instskip(SKIP_1) | instid1(VALU_DEP_1)
	v_fmac_f32_e32 v144, v131, v107
	s_waitcnt vmcnt(3)
	v_fmac_f32_e32 v144, v132, v108
	ds_load_2addr_b32 v[105:106], v152 offset0:85 offset1:86
	ds_load_2addr_b32 v[107:108], v152 offset0:87 offset1:88
	s_waitcnt lgkmcnt(3)
	v_fmac_f32_e32 v144, v133, v101
	s_delay_alu instid0(VALU_DEP_1) | instskip(SKIP_4) | instid1(VALU_DEP_1)
	v_fmac_f32_e32 v144, v134, v102
	ds_load_2addr_b32 v[101:102], v152 offset0:89 offset1:90
	s_waitcnt lgkmcnt(3)
	v_fmac_f32_e32 v144, v135, v103
	s_waitcnt vmcnt(2)
	v_fmac_f32_e32 v144, v136, v104
	ds_load_2addr_b32 v[103:104], v152 offset0:91 offset1:92
	s_waitcnt lgkmcnt(3)
	v_fmac_f32_e32 v144, v137, v105
	s_delay_alu instid0(VALU_DEP_1) | instskip(SKIP_1) | instid1(VALU_DEP_1)
	v_fmac_f32_e32 v144, v138, v106
	s_waitcnt lgkmcnt(2)
	v_fmac_f32_e32 v144, v139, v107
	ds_load_2addr_b32 v[105:106], v152 offset0:93 offset1:94
	ds_load_b32 v107, v152 offset:380
	s_waitcnt vmcnt(1)
	v_fmac_f32_e32 v144, v140, v108
	s_waitcnt lgkmcnt(3)
	s_delay_alu instid0(VALU_DEP_1) | instskip(NEXT) | instid1(VALU_DEP_1)
	v_fmac_f32_e32 v144, v141, v101
	v_fmac_f32_e32 v144, v142, v102
	s_waitcnt lgkmcnt(2)
	s_delay_alu instid0(VALU_DEP_1) | instskip(SKIP_1) | instid1(VALU_DEP_1)
	v_fmac_f32_e32 v144, v143, v103
	s_waitcnt vmcnt(0)
	v_fmac_f32_e32 v144, v0, v104
	s_waitcnt lgkmcnt(1)
	s_delay_alu instid0(VALU_DEP_1) | instskip(NEXT) | instid1(VALU_DEP_1)
	v_fmac_f32_e32 v144, v1, v105
	v_fmac_f32_e32 v144, v2, v106
	s_waitcnt lgkmcnt(0)
	s_delay_alu instid0(VALU_DEP_1) | instskip(NEXT) | instid1(VALU_DEP_1)
	v_fmac_f32_e32 v144, v3, v107
	v_sub_f32_e32 v0, v100, v144
	scratch_store_b32 off, v0, off
	s_cbranch_vccz .LBB47_391
; %bb.296:
	v_dual_mov_b32 v0, s12 :: v_dual_mov_b32 v1, s13
	s_mov_b32 s0, exec_lo
	flat_load_b32 v0, v[0:1] offset:184
	s_waitcnt vmcnt(0) lgkmcnt(0)
	v_cmpx_ne_u32_e32 47, v0
	s_cbranch_execz .LBB47_298
; %bb.297:
	v_lshl_add_u32 v0, v0, 2, 0
	scratch_load_b32 v1, v0, off offset:-4
	s_waitcnt vmcnt(0)
	scratch_store_b32 off, v1, off offset:184
	scratch_store_b32 v0, v2, off offset:-4
.LBB47_298:
	s_or_b32 exec_lo, exec_lo, s0
	v_dual_mov_b32 v0, s12 :: v_dual_mov_b32 v1, s13
	s_mov_b32 s0, exec_lo
	flat_load_b32 v0, v[0:1] offset:180
	s_waitcnt vmcnt(0) lgkmcnt(0)
	v_cmpx_ne_u32_e32 46, v0
	s_cbranch_execz .LBB47_300
; %bb.299:
	v_lshl_add_u32 v0, v0, 2, 0
	scratch_load_b32 v1, v0, off offset:-4
	scratch_load_b32 v2, off, off offset:180
	s_waitcnt vmcnt(1)
	scratch_store_b32 off, v1, off offset:180
	s_waitcnt vmcnt(0)
	scratch_store_b32 v0, v2, off offset:-4
.LBB47_300:
	s_or_b32 exec_lo, exec_lo, s0
	v_dual_mov_b32 v0, s12 :: v_dual_mov_b32 v1, s13
	s_mov_b32 s0, exec_lo
	flat_load_b32 v0, v[0:1] offset:176
	s_waitcnt vmcnt(0) lgkmcnt(0)
	v_cmpx_ne_u32_e32 45, v0
	s_cbranch_execz .LBB47_302
; %bb.301:
	v_lshl_add_u32 v0, v0, 2, 0
	scratch_load_b32 v1, v0, off offset:-4
	scratch_load_b32 v2, off, off offset:176
	s_waitcnt vmcnt(1)
	scratch_store_b32 off, v1, off offset:176
	s_waitcnt vmcnt(0)
	scratch_store_b32 v0, v2, off offset:-4
.LBB47_302:
	;; [unrolled: 16-line block ×45, first 2 shown]
	s_or_b32 exec_lo, exec_lo, s0
	v_dual_mov_b32 v0, s12 :: v_dual_mov_b32 v1, s13
	s_mov_b32 s0, exec_lo
	flat_load_b32 v1, v[0:1]
	scratch_load_b32 v0, off, off
	s_waitcnt vmcnt(1) lgkmcnt(0)
	v_cmpx_ne_u32_e32 1, v1
	s_cbranch_execz .LBB47_390
; %bb.389:
	v_lshl_add_u32 v1, v1, 2, 0
	scratch_load_b32 v2, v1, off offset:-4
	s_waitcnt vmcnt(0)
	scratch_store_b32 off, v2, off
	scratch_store_b32 v1, v0, off offset:-4
	scratch_load_b32 v0, off, off
.LBB47_390:
	s_or_b32 exec_lo, exec_lo, s0
.LBB47_391:
	s_clause 0xb
	scratch_load_b128 v[100:103], off, off offset:4
	scratch_load_b128 v[104:107], off, off offset:20
	;; [unrolled: 1-line block ×11, first 2 shown]
	scratch_load_b96 v[1:3], off, off offset:180
	s_waitcnt vmcnt(12)
	global_store_b32 v[4:5], v0, off
	s_waitcnt vmcnt(11)
	s_clause 0x3
	global_store_b32 v[6:7], v100, off
	global_store_b32 v[8:9], v101, off
	global_store_b32 v[10:11], v102, off
	global_store_b32 v[12:13], v103, off
	s_waitcnt vmcnt(10)
	s_clause 0x3
	global_store_b32 v[14:15], v104, off
	global_store_b32 v[16:17], v105, off
	global_store_b32 v[18:19], v106, off
	;; [unrolled: 6-line block ×12, first 2 shown]
	s_endpgm
	.section	.rodata,"a",@progbits
	.p2align	6, 0x0
	.amdhsa_kernel _ZN9rocsolver6v33100L18getri_kernel_smallILi48EfPfEEvT1_iilPiilS4_bb
		.amdhsa_group_segment_fixed_size 388
		.amdhsa_private_segment_fixed_size 208
		.amdhsa_kernarg_size 60
		.amdhsa_user_sgpr_count 15
		.amdhsa_user_sgpr_dispatch_ptr 0
		.amdhsa_user_sgpr_queue_ptr 0
		.amdhsa_user_sgpr_kernarg_segment_ptr 1
		.amdhsa_user_sgpr_dispatch_id 0
		.amdhsa_user_sgpr_private_segment_size 0
		.amdhsa_wavefront_size32 1
		.amdhsa_uses_dynamic_stack 0
		.amdhsa_enable_private_segment 1
		.amdhsa_system_sgpr_workgroup_id_x 1
		.amdhsa_system_sgpr_workgroup_id_y 0
		.amdhsa_system_sgpr_workgroup_id_z 0
		.amdhsa_system_sgpr_workgroup_info 0
		.amdhsa_system_vgpr_workitem_id 0
		.amdhsa_next_free_vgpr 155
		.amdhsa_next_free_sgpr 18
		.amdhsa_reserve_vcc 1
		.amdhsa_float_round_mode_32 0
		.amdhsa_float_round_mode_16_64 0
		.amdhsa_float_denorm_mode_32 3
		.amdhsa_float_denorm_mode_16_64 3
		.amdhsa_dx10_clamp 1
		.amdhsa_ieee_mode 1
		.amdhsa_fp16_overflow 0
		.amdhsa_workgroup_processor_mode 1
		.amdhsa_memory_ordered 1
		.amdhsa_forward_progress 0
		.amdhsa_shared_vgpr_count 0
		.amdhsa_exception_fp_ieee_invalid_op 0
		.amdhsa_exception_fp_denorm_src 0
		.amdhsa_exception_fp_ieee_div_zero 0
		.amdhsa_exception_fp_ieee_overflow 0
		.amdhsa_exception_fp_ieee_underflow 0
		.amdhsa_exception_fp_ieee_inexact 0
		.amdhsa_exception_int_div_zero 0
	.end_amdhsa_kernel
	.section	.text._ZN9rocsolver6v33100L18getri_kernel_smallILi48EfPfEEvT1_iilPiilS4_bb,"axG",@progbits,_ZN9rocsolver6v33100L18getri_kernel_smallILi48EfPfEEvT1_iilPiilS4_bb,comdat
.Lfunc_end47:
	.size	_ZN9rocsolver6v33100L18getri_kernel_smallILi48EfPfEEvT1_iilPiilS4_bb, .Lfunc_end47-_ZN9rocsolver6v33100L18getri_kernel_smallILi48EfPfEEvT1_iilPiilS4_bb
                                        ; -- End function
	.section	.AMDGPU.csdata,"",@progbits
; Kernel info:
; codeLenInByte = 34912
; NumSgprs: 20
; NumVgprs: 155
; ScratchSize: 208
; MemoryBound: 0
; FloatMode: 240
; IeeeMode: 1
; LDSByteSize: 388 bytes/workgroup (compile time only)
; SGPRBlocks: 2
; VGPRBlocks: 19
; NumSGPRsForWavesPerEU: 20
; NumVGPRsForWavesPerEU: 155
; Occupancy: 9
; WaveLimiterHint : 1
; COMPUTE_PGM_RSRC2:SCRATCH_EN: 1
; COMPUTE_PGM_RSRC2:USER_SGPR: 15
; COMPUTE_PGM_RSRC2:TRAP_HANDLER: 0
; COMPUTE_PGM_RSRC2:TGID_X_EN: 1
; COMPUTE_PGM_RSRC2:TGID_Y_EN: 0
; COMPUTE_PGM_RSRC2:TGID_Z_EN: 0
; COMPUTE_PGM_RSRC2:TIDIG_COMP_CNT: 0
	.section	.text._ZN9rocsolver6v33100L18getri_kernel_smallILi49EfPfEEvT1_iilPiilS4_bb,"axG",@progbits,_ZN9rocsolver6v33100L18getri_kernel_smallILi49EfPfEEvT1_iilPiilS4_bb,comdat
	.globl	_ZN9rocsolver6v33100L18getri_kernel_smallILi49EfPfEEvT1_iilPiilS4_bb ; -- Begin function _ZN9rocsolver6v33100L18getri_kernel_smallILi49EfPfEEvT1_iilPiilS4_bb
	.p2align	8
	.type	_ZN9rocsolver6v33100L18getri_kernel_smallILi49EfPfEEvT1_iilPiilS4_bb,@function
_ZN9rocsolver6v33100L18getri_kernel_smallILi49EfPfEEvT1_iilPiilS4_bb: ; @_ZN9rocsolver6v33100L18getri_kernel_smallILi49EfPfEEvT1_iilPiilS4_bb
; %bb.0:
	s_mov_b32 s2, exec_lo
	v_cmpx_gt_u32_e32 49, v0
	s_cbranch_execz .LBB48_204
; %bb.1:
	s_clause 0x2
	s_load_b32 s17, s[0:1], 0x38
	s_load_b128 s[8:11], s[0:1], 0x10
	s_load_b128 s[4:7], s[0:1], 0x28
	s_mov_b32 s14, s15
                                        ; implicit-def: $sgpr12_sgpr13
	s_waitcnt lgkmcnt(0)
	s_bitcmp1_b32 s17, 8
	s_cselect_b32 s16, -1, 0
	s_bfe_u32 s2, s17, 0x10008
	s_ashr_i32 s15, s15, 31
	s_cmp_eq_u32 s2, 0
	s_cbranch_scc1 .LBB48_3
; %bb.2:
	s_load_b32 s2, s[0:1], 0x20
	s_mul_i32 s3, s14, s5
	s_mul_hi_u32 s5, s14, s4
	s_mul_i32 s12, s15, s4
	s_add_i32 s3, s5, s3
	s_mul_i32 s4, s14, s4
	s_add_i32 s5, s3, s12
	s_delay_alu instid0(SALU_CYCLE_1)
	s_lshl_b64 s[4:5], s[4:5], 2
	s_waitcnt lgkmcnt(0)
	s_ashr_i32 s3, s2, 31
	s_add_u32 s4, s10, s4
	s_addc_u32 s5, s11, s5
	s_lshl_b64 s[2:3], s[2:3], 2
	s_delay_alu instid0(SALU_CYCLE_1)
	s_add_u32 s12, s4, s2
	s_addc_u32 s13, s5, s3
.LBB48_3:
	s_load_b128 s[0:3], s[0:1], 0x0
	s_mul_i32 s4, s14, s9
	s_mul_hi_u32 s5, s14, s8
	s_mul_i32 s9, s15, s8
	s_add_i32 s5, s5, s4
	s_mul_i32 s4, s14, s8
	s_add_i32 s5, s5, s9
	v_lshlrev_b32_e32 v111, 2, v0
	s_lshl_b64 s[4:5], s[4:5], 2
	s_waitcnt lgkmcnt(0)
	v_add3_u32 v2, s3, s3, v0
	s_ashr_i32 s9, s2, 31
	s_mov_b32 s8, s2
	s_add_u32 s2, s0, s4
	s_addc_u32 s5, s1, s5
	v_add_nc_u32_e32 v4, s3, v2
	s_lshl_b64 s[0:1], s[8:9], 2
	v_ashrrev_i32_e32 v3, 31, v2
	s_add_u32 s0, s2, s0
	s_addc_u32 s1, s5, s1
	v_add_co_u32 v13, s2, s0, v111
	v_add_nc_u32_e32 v6, s3, v4
	s_mov_b32 s4, s3
	s_ashr_i32 s5, s3, 31
	v_add_co_ci_u32_e64 v14, null, s1, 0, s2
	v_lshlrev_b64 v[2:3], 2, v[2:3]
	v_ashrrev_i32_e32 v5, 31, v4
	s_lshl_b64 s[4:5], s[4:5], 2
	v_ashrrev_i32_e32 v7, 31, v6
	v_add_co_u32 v15, vcc_lo, v13, s4
	v_add_nc_u32_e32 v8, s3, v6
	v_add_co_ci_u32_e32 v16, vcc_lo, s5, v14, vcc_lo
	v_lshlrev_b64 v[4:5], 2, v[4:5]
	v_add_co_u32 v17, vcc_lo, s0, v2
	v_add_co_ci_u32_e32 v18, vcc_lo, s1, v3, vcc_lo
	v_lshlrev_b64 v[2:3], 2, v[6:7]
	v_ashrrev_i32_e32 v9, 31, v8
	v_add_nc_u32_e32 v6, s3, v8
	v_add_co_u32 v19, vcc_lo, s0, v4
	v_add_co_ci_u32_e32 v20, vcc_lo, s1, v5, vcc_lo
	s_delay_alu instid0(VALU_DEP_4) | instskip(NEXT) | instid1(VALU_DEP_4)
	v_lshlrev_b64 v[4:5], 2, v[8:9]
	v_ashrrev_i32_e32 v7, 31, v6
	v_add_nc_u32_e32 v8, s3, v6
	v_add_co_u32 v21, vcc_lo, s0, v2
	v_add_co_ci_u32_e32 v22, vcc_lo, s1, v3, vcc_lo
	s_delay_alu instid0(VALU_DEP_4) | instskip(NEXT) | instid1(VALU_DEP_4)
	;; [unrolled: 6-line block ×3, first 2 shown]
	v_lshlrev_b64 v[4:5], 2, v[8:9]
	v_add_nc_u32_e32 v8, s3, v6
	v_add_co_u32 v25, vcc_lo, s0, v2
	v_ashrrev_i32_e32 v7, 31, v6
	v_add_co_ci_u32_e32 v26, vcc_lo, s1, v3, vcc_lo
	s_delay_alu instid0(VALU_DEP_4) | instskip(SKIP_1) | instid1(VALU_DEP_4)
	v_add_nc_u32_e32 v2, s3, v8
	v_ashrrev_i32_e32 v9, 31, v8
	v_lshlrev_b64 v[6:7], 2, v[6:7]
	v_add_co_u32 v27, vcc_lo, s0, v4
	s_delay_alu instid0(VALU_DEP_4) | instskip(SKIP_3) | instid1(VALU_DEP_4)
	v_add_nc_u32_e32 v10, s3, v2
	v_ashrrev_i32_e32 v3, 31, v2
	v_lshlrev_b64 v[31:32], 2, v[8:9]
	v_add_co_ci_u32_e32 v28, vcc_lo, s1, v5, vcc_lo
	v_add_nc_u32_e32 v35, s3, v10
	v_ashrrev_i32_e32 v11, 31, v10
	v_add_co_u32 v29, vcc_lo, s0, v6
	v_lshlrev_b64 v[33:34], 2, v[2:3]
	s_delay_alu instid0(VALU_DEP_4) | instskip(SKIP_2) | instid1(VALU_DEP_3)
	v_add_nc_u32_e32 v37, s3, v35
	v_add_co_ci_u32_e32 v30, vcc_lo, s1, v7, vcc_lo
	v_add_co_u32 v31, vcc_lo, s0, v31
	v_add_nc_u32_e32 v41, s3, v37
	v_lshlrev_b64 v[10:11], 2, v[10:11]
	v_ashrrev_i32_e32 v36, 31, v35
	v_add_co_ci_u32_e32 v32, vcc_lo, s1, v32, vcc_lo
	s_delay_alu instid0(VALU_DEP_4) | instskip(SKIP_3) | instid1(VALU_DEP_4)
	v_add_nc_u32_e32 v43, s3, v41
	v_add_co_u32 v33, vcc_lo, s0, v33
	v_ashrrev_i32_e32 v38, 31, v37
	v_add_co_ci_u32_e32 v34, vcc_lo, s1, v34, vcc_lo
	v_add_nc_u32_e32 v45, s3, v43
	v_lshlrev_b64 v[39:40], 2, v[35:36]
	v_add_co_u32 v35, vcc_lo, s0, v10
	v_add_co_ci_u32_e32 v36, vcc_lo, s1, v11, vcc_lo
	s_delay_alu instid0(VALU_DEP_4) | instskip(SKIP_3) | instid1(VALU_DEP_4)
	v_add_nc_u32_e32 v47, s3, v45
	v_lshlrev_b64 v[10:11], 2, v[37:38]
	v_ashrrev_i32_e32 v42, 31, v41
	v_add_co_u32 v37, vcc_lo, s0, v39
	v_add_nc_u32_e32 v49, s3, v47
	v_ashrrev_i32_e32 v44, 31, v43
	v_add_co_ci_u32_e32 v38, vcc_lo, s1, v40, vcc_lo
	v_lshlrev_b64 v[41:42], 2, v[41:42]
	s_delay_alu instid0(VALU_DEP_4) | instskip(SKIP_3) | instid1(VALU_DEP_4)
	v_add_nc_u32_e32 v51, s3, v49
	v_add_co_u32 v39, vcc_lo, s0, v10
	v_ashrrev_i32_e32 v46, 31, v45
	v_add_co_ci_u32_e32 v40, vcc_lo, s1, v11, vcc_lo
	v_add_nc_u32_e32 v53, s3, v51
	v_lshlrev_b64 v[10:11], 2, v[43:44]
	v_ashrrev_i32_e32 v48, 31, v47
	v_add_co_u32 v41, vcc_lo, s0, v41
	s_delay_alu instid0(VALU_DEP_4) | instskip(SKIP_3) | instid1(VALU_DEP_4)
	v_add_nc_u32_e32 v55, s3, v53
	v_lshlrev_b64 v[45:46], 2, v[45:46]
	v_ashrrev_i32_e32 v50, 31, v49
	v_add_co_ci_u32_e32 v42, vcc_lo, s1, v42, vcc_lo
	v_add_nc_u32_e32 v57, s3, v55
	v_add_co_u32 v43, vcc_lo, s0, v10
	v_lshlrev_b64 v[47:48], 2, v[47:48]
	v_ashrrev_i32_e32 v52, 31, v51
	s_delay_alu instid0(VALU_DEP_4) | instskip(SKIP_2) | instid1(VALU_DEP_3)
	v_add_nc_u32_e32 v59, s3, v57
	v_add_co_ci_u32_e32 v44, vcc_lo, s1, v11, vcc_lo
	v_add_co_u32 v45, vcc_lo, s0, v45
	v_add_nc_u32_e32 v61, s3, v59
	v_lshlrev_b64 v[49:50], 2, v[49:50]
	v_ashrrev_i32_e32 v54, 31, v53
	v_add_co_ci_u32_e32 v46, vcc_lo, s1, v46, vcc_lo
	s_delay_alu instid0(VALU_DEP_4) | instskip(SKIP_3) | instid1(VALU_DEP_4)
	v_add_nc_u32_e32 v63, s3, v61
	v_add_co_u32 v47, vcc_lo, s0, v47
	v_lshlrev_b64 v[51:52], 2, v[51:52]
	v_ashrrev_i32_e32 v56, 31, v55
	v_add_nc_u32_e32 v65, s3, v63
	v_add_co_ci_u32_e32 v48, vcc_lo, s1, v48, vcc_lo
	v_add_co_u32 v49, vcc_lo, s0, v49
	s_delay_alu instid0(VALU_DEP_3) | instskip(SKIP_3) | instid1(VALU_DEP_4)
	v_add_nc_u32_e32 v67, s3, v65
	v_lshlrev_b64 v[53:54], 2, v[53:54]
	v_ashrrev_i32_e32 v58, 31, v57
	v_add_co_ci_u32_e32 v50, vcc_lo, s1, v50, vcc_lo
	v_add_nc_u32_e32 v69, s3, v67
	v_add_co_u32 v51, vcc_lo, s0, v51
	v_lshlrev_b64 v[55:56], 2, v[55:56]
	v_ashrrev_i32_e32 v60, 31, v59
	s_delay_alu instid0(VALU_DEP_4) | instskip(SKIP_2) | instid1(VALU_DEP_3)
	v_add_nc_u32_e32 v71, s3, v69
	v_add_co_ci_u32_e32 v52, vcc_lo, s1, v52, vcc_lo
	v_add_co_u32 v53, vcc_lo, s0, v53
	v_add_nc_u32_e32 v73, s3, v71
	v_lshlrev_b64 v[57:58], 2, v[57:58]
	v_ashrrev_i32_e32 v62, 31, v61
	v_add_co_ci_u32_e32 v54, vcc_lo, s1, v54, vcc_lo
	v_add_co_u32 v55, vcc_lo, s0, v55
	v_lshlrev_b64 v[59:60], 2, v[59:60]
	v_ashrrev_i32_e32 v64, 31, v63
	v_add_nc_u32_e32 v75, s3, v73
	v_add_co_ci_u32_e32 v56, vcc_lo, s1, v56, vcc_lo
	v_add_co_u32 v57, vcc_lo, s0, v57
	v_lshlrev_b64 v[61:62], 2, v[61:62]
	v_ashrrev_i32_e32 v66, 31, v65
	v_add_co_ci_u32_e32 v58, vcc_lo, s1, v58, vcc_lo
	v_add_co_u32 v59, vcc_lo, s0, v59
	v_lshlrev_b64 v[63:64], 2, v[63:64]
	v_add_nc_u32_e32 v78, s3, v75
	v_ashrrev_i32_e32 v68, 31, v67
	v_add_co_ci_u32_e32 v60, vcc_lo, s1, v60, vcc_lo
	v_add_co_u32 v61, vcc_lo, s0, v61
	v_lshlrev_b64 v[65:66], 2, v[65:66]
	v_ashrrev_i32_e32 v70, 31, v69
	v_add_co_ci_u32_e32 v62, vcc_lo, s1, v62, vcc_lo
	v_add_nc_u32_e32 v80, s3, v78
	v_add_co_u32 v63, vcc_lo, s0, v63
	v_lshlrev_b64 v[67:68], 2, v[67:68]
	v_ashrrev_i32_e32 v72, 31, v71
	v_add_co_ci_u32_e32 v64, vcc_lo, s1, v64, vcc_lo
	v_add_co_u32 v65, vcc_lo, s0, v65
	v_lshlrev_b64 v[69:70], 2, v[69:70]
	v_ashrrev_i32_e32 v74, 31, v73
	v_add_nc_u32_e32 v82, s3, v80
	v_add_co_ci_u32_e32 v66, vcc_lo, s1, v66, vcc_lo
	v_add_co_u32 v67, vcc_lo, s0, v67
	v_lshlrev_b64 v[71:72], 2, v[71:72]
	v_ashrrev_i32_e32 v76, 31, v75
	v_add_co_ci_u32_e32 v68, vcc_lo, s1, v68, vcc_lo
	v_add_co_u32 v69, vcc_lo, s0, v69
	v_lshlrev_b64 v[73:74], 2, v[73:74]
	v_add_nc_u32_e32 v84, s3, v82
	v_add_co_ci_u32_e32 v70, vcc_lo, s1, v70, vcc_lo
	v_add_co_u32 v71, vcc_lo, s0, v71
	v_lshlrev_b64 v[76:77], 2, v[75:76]
	v_add_co_ci_u32_e32 v72, vcc_lo, s1, v72, vcc_lo
	v_add_nc_u32_e32 v86, s3, v84
	v_add_co_u32 v73, vcc_lo, s0, v73
	v_ashrrev_i32_e32 v79, 31, v78
	v_add_co_ci_u32_e32 v74, vcc_lo, s1, v74, vcc_lo
	v_add_co_u32 v75, vcc_lo, s0, v76
	v_ashrrev_i32_e32 v81, 31, v80
	v_add_nc_u32_e32 v88, s3, v86
	v_add_co_ci_u32_e32 v76, vcc_lo, s1, v77, vcc_lo
	v_lshlrev_b64 v[77:78], 2, v[78:79]
	v_ashrrev_i32_e32 v83, 31, v82
	v_lshlrev_b64 v[79:80], 2, v[80:81]
	v_ashrrev_i32_e32 v85, 31, v84
	v_ashrrev_i32_e32 v87, 31, v86
	;; [unrolled: 1-line block ×3, first 2 shown]
	v_add_nc_u32_e32 v90, s3, v88
	v_add_co_u32 v77, vcc_lo, s0, v77
	v_lshlrev_b64 v[81:82], 2, v[82:83]
	v_add_co_ci_u32_e32 v78, vcc_lo, s1, v78, vcc_lo
	v_add_co_u32 v79, vcc_lo, s0, v79
	v_lshlrev_b64 v[83:84], 2, v[84:85]
	v_lshlrev_b64 v[85:86], 2, v[86:87]
	;; [unrolled: 1-line block ×3, first 2 shown]
	v_add_nc_u32_e32 v89, s3, v90
	v_add_co_ci_u32_e32 v80, vcc_lo, s1, v80, vcc_lo
	v_ashrrev_i32_e32 v91, 31, v90
	v_add_co_u32 v81, vcc_lo, s0, v81
	v_add_co_ci_u32_e32 v82, vcc_lo, s1, v82, vcc_lo
	v_add_nc_u32_e32 v93, s3, v89
	v_add_co_u32 v83, vcc_lo, s0, v83
	v_lshlrev_b64 v[91:92], 2, v[90:91]
	v_ashrrev_i32_e32 v90, 31, v89
	v_add_co_ci_u32_e32 v84, vcc_lo, s1, v84, vcc_lo
	v_add_co_u32 v85, vcc_lo, s0, v85
	v_ashrrev_i32_e32 v94, 31, v93
	v_add_co_ci_u32_e32 v86, vcc_lo, s1, v86, vcc_lo
	v_add_co_u32 v87, vcc_lo, s0, v87
	v_lshlrev_b64 v[95:96], 2, v[89:90]
	v_add_nc_u32_e32 v99, s3, v93
	v_add_co_ci_u32_e32 v88, vcc_lo, s1, v88, vcc_lo
	v_add_co_u32 v89, vcc_lo, s0, v91
	v_lshlrev_b64 v[97:98], 2, v[93:94]
	v_add_co_ci_u32_e32 v90, vcc_lo, s1, v92, vcc_lo
	v_add_co_u32 v91, vcc_lo, s0, v95
	v_ashrrev_i32_e32 v100, 31, v99
	v_add_nc_u32_e32 v95, s3, v99
	v_add_co_ci_u32_e32 v92, vcc_lo, s1, v96, vcc_lo
	v_add_co_u32 v93, vcc_lo, s0, v97
	v_add_co_ci_u32_e32 v94, vcc_lo, s1, v98, vcc_lo
	v_lshlrev_b64 v[97:98], 2, v[99:100]
	v_add_nc_u32_e32 v99, s3, v95
	v_ashrrev_i32_e32 v96, 31, v95
	s_clause 0x10
	global_load_b32 v1, v111, s[0:1]
	global_load_b32 v2, v[15:16], off
	global_load_b32 v3, v[17:18], off
	;; [unrolled: 1-line block ×16, first 2 shown]
	v_add_nc_u32_e32 v103, s3, v99
	v_lshlrev_b64 v[101:102], 2, v[95:96]
	v_add_co_u32 v95, vcc_lo, s0, v97
	v_add_co_ci_u32_e32 v96, vcc_lo, s1, v98, vcc_lo
	s_delay_alu instid0(VALU_DEP_4)
	v_ashrrev_i32_e32 v104, 31, v103
	v_add_nc_u32_e32 v105, s3, v103
	v_ashrrev_i32_e32 v100, 31, v99
	v_add_co_u32 v97, vcc_lo, s0, v101
	v_add_co_ci_u32_e32 v98, vcc_lo, s1, v102, vcc_lo
	v_lshlrev_b64 v[101:102], 2, v[103:104]
	v_add_nc_u32_e32 v103, s3, v105
	v_lshlrev_b64 v[99:100], 2, v[99:100]
	v_ashrrev_i32_e32 v106, 31, v105
	s_clause 0xf
	global_load_b32 v117, v[47:48], off
	global_load_b32 v118, v[49:50], off
	;; [unrolled: 1-line block ×16, first 2 shown]
	v_add_nc_u32_e32 v107, s3, v103
	v_ashrrev_i32_e32 v104, 31, v103
	v_add_co_u32 v99, vcc_lo, s0, v99
	v_lshlrev_b64 v[105:106], 2, v[105:106]
	s_delay_alu instid0(VALU_DEP_4)
	v_add_nc_u32_e32 v141, s3, v107
	v_add_co_ci_u32_e32 v100, vcc_lo, s1, v100, vcc_lo
	v_add_co_u32 v101, vcc_lo, s0, v101
	v_lshlrev_b64 v[109:110], 2, v[103:104]
	v_ashrrev_i32_e32 v108, 31, v107
	v_add_co_ci_u32_e32 v102, vcc_lo, s1, v102, vcc_lo
	v_add_co_u32 v103, vcc_lo, s0, v105
	v_ashrrev_i32_e32 v142, 31, v141
	v_add_co_ci_u32_e32 v104, vcc_lo, s1, v106, vcc_lo
	v_lshlrev_b64 v[107:108], 2, v[107:108]
	v_add_co_u32 v105, vcc_lo, s0, v109
	v_add_co_ci_u32_e32 v106, vcc_lo, s1, v110, vcc_lo
	v_lshlrev_b64 v[109:110], 2, v[141:142]
	s_delay_alu instid0(VALU_DEP_4)
	v_add_co_u32 v107, vcc_lo, s0, v107
	v_add_co_ci_u32_e32 v108, vcc_lo, s1, v108, vcc_lo
	s_clause 0x7
	global_load_b32 v133, v[79:80], off
	global_load_b32 v134, v[81:82], off
	;; [unrolled: 1-line block ×8, first 2 shown]
	v_add_co_u32 v109, vcc_lo, s0, v109
	v_add_co_ci_u32_e32 v110, vcc_lo, s1, v110, vcc_lo
	s_clause 0x7
	global_load_b32 v141, v[95:96], off
	global_load_b32 v142, v[97:98], off
	;; [unrolled: 1-line block ×8, first 2 shown]
	s_bitcmp0_b32 s17, 0
	s_mov_b32 s1, -1
	s_waitcnt vmcnt(45)
	scratch_store_b128 off, v[1:4], off
	s_waitcnt vmcnt(41)
	scratch_store_b128 off, v[5:8], off offset:16
	s_waitcnt vmcnt(37)
	scratch_store_b128 off, v[9:12], off offset:32
	;; [unrolled: 2-line block ×11, first 2 shown]
	s_waitcnt vmcnt(0)
	scratch_store_b32 off, v148, off offset:192
	s_cbranch_scc1 .LBB48_202
; %bb.4:
	v_cmp_eq_u32_e64 s0, 0, v0
	s_delay_alu instid0(VALU_DEP_1)
	s_and_saveexec_b32 s1, s0
	s_cbranch_execz .LBB48_6
; %bb.5:
	v_mov_b32_e32 v1, 0
	ds_store_b32 v1, v1 offset:196
.LBB48_6:
	s_or_b32 exec_lo, exec_lo, s1
	s_waitcnt lgkmcnt(0)
	s_waitcnt_vscnt null, 0x0
	s_barrier
	buffer_gl0_inv
	scratch_load_b32 v1, v111, off
	s_mov_b32 s2, exec_lo
	s_waitcnt vmcnt(0)
	v_cmpx_eq_f32_e32 0, v1
	s_cbranch_execz .LBB48_10
; %bb.7:
	v_mov_b32_e32 v1, 0
	s_mov_b32 s3, 0
	ds_load_b32 v2, v1 offset:196
	s_waitcnt lgkmcnt(0)
	v_readfirstlane_b32 s1, v2
	v_add_nc_u32_e32 v2, 1, v0
	s_delay_alu instid0(VALU_DEP_2) | instskip(NEXT) | instid1(VALU_DEP_1)
	s_cmp_eq_u32 s1, 0
	v_cmp_gt_i32_e32 vcc_lo, s1, v2
	s_cselect_b32 s4, -1, 0
	s_delay_alu instid0(SALU_CYCLE_1) | instskip(NEXT) | instid1(SALU_CYCLE_1)
	s_or_b32 s4, s4, vcc_lo
	s_and_b32 exec_lo, exec_lo, s4
	s_cbranch_execz .LBB48_10
; %bb.8:
	v_mov_b32_e32 v3, s1
.LBB48_9:                               ; =>This Inner Loop Header: Depth=1
	ds_cmpstore_rtn_b32 v3, v1, v2, v3 offset:196
	s_waitcnt lgkmcnt(0)
	v_cmp_ne_u32_e32 vcc_lo, 0, v3
	v_cmp_le_i32_e64 s1, v3, v2
	s_delay_alu instid0(VALU_DEP_1) | instskip(NEXT) | instid1(SALU_CYCLE_1)
	s_and_b32 s1, vcc_lo, s1
	s_and_b32 s1, exec_lo, s1
	s_delay_alu instid0(SALU_CYCLE_1) | instskip(NEXT) | instid1(SALU_CYCLE_1)
	s_or_b32 s3, s1, s3
	s_and_not1_b32 exec_lo, exec_lo, s3
	s_cbranch_execnz .LBB48_9
.LBB48_10:
	s_or_b32 exec_lo, exec_lo, s2
	v_mov_b32_e32 v1, 0
	s_barrier
	buffer_gl0_inv
	ds_load_b32 v2, v1 offset:196
	s_and_saveexec_b32 s1, s0
	s_cbranch_execz .LBB48_12
; %bb.11:
	s_lshl_b64 s[2:3], s[14:15], 2
	s_delay_alu instid0(SALU_CYCLE_1)
	s_add_u32 s2, s6, s2
	s_addc_u32 s3, s7, s3
	s_waitcnt lgkmcnt(0)
	global_store_b32 v1, v2, s[2:3]
.LBB48_12:
	s_or_b32 exec_lo, exec_lo, s1
	s_waitcnt lgkmcnt(0)
	v_cmp_ne_u32_e32 vcc_lo, 0, v2
	s_mov_b32 s1, 0
	s_cbranch_vccnz .LBB48_202
; %bb.13:
	v_add_nc_u32_e32 v1, 0, v111
	scratch_load_b32 v2, v1, off
	s_waitcnt vmcnt(0)
	v_div_scale_f32 v3, null, v2, v2, 1.0
	v_div_scale_f32 v6, vcc_lo, 1.0, v2, 1.0
	s_delay_alu instid0(VALU_DEP_2) | instskip(SKIP_2) | instid1(VALU_DEP_1)
	v_rcp_f32_e32 v4, v3
	s_waitcnt_depctr 0xfff
	v_fma_f32 v5, -v3, v4, 1.0
	v_fmac_f32_e32 v4, v5, v4
	s_delay_alu instid0(VALU_DEP_1) | instskip(NEXT) | instid1(VALU_DEP_1)
	v_mul_f32_e32 v5, v6, v4
	v_fma_f32 v7, -v3, v5, v6
	s_delay_alu instid0(VALU_DEP_1) | instskip(NEXT) | instid1(VALU_DEP_1)
	v_fmac_f32_e32 v5, v7, v4
	v_fma_f32 v3, -v3, v5, v6
	s_delay_alu instid0(VALU_DEP_1) | instskip(NEXT) | instid1(VALU_DEP_1)
	v_div_fmas_f32 v3, v3, v4, v5
	v_div_fixup_f32 v2, v3, v2, 1.0
	scratch_store_b32 v1, v2, off
	scratch_load_b32 v3, off, off offset:4
	v_xor_b32_e32 v4, 0x80000000, v2
	v_add_nc_u32_e32 v2, 0xd0, v111
	s_waitcnt vmcnt(0)
	ds_store_2addr_b32 v111, v4, v3 offset1:52
	s_waitcnt lgkmcnt(0)
	s_waitcnt_vscnt null, 0x0
	s_barrier
	buffer_gl0_inv
	s_and_saveexec_b32 s1, s0
	s_cbranch_execz .LBB48_15
; %bb.14:
	scratch_load_b32 v3, v1, off
	ds_load_b32 v4, v2
	v_mov_b32_e32 v5, 0
	ds_load_b32 v5, v5 offset:4
	s_waitcnt vmcnt(0) lgkmcnt(1)
	v_fma_f32 v3, v3, v4, 0
	s_waitcnt lgkmcnt(0)
	s_delay_alu instid0(VALU_DEP_1)
	v_mul_f32_e32 v3, v3, v5
	scratch_store_b32 off, v3, off offset:4
.LBB48_15:
	s_or_b32 exec_lo, exec_lo, s1
	s_waitcnt_vscnt null, 0x0
	s_barrier
	buffer_gl0_inv
	scratch_load_b32 v3, off, off offset:8
	s_mov_b32 s1, exec_lo
	s_waitcnt vmcnt(0)
	ds_store_b32 v2, v3
	s_waitcnt lgkmcnt(0)
	s_barrier
	buffer_gl0_inv
	v_cmpx_gt_u32_e32 2, v0
	s_cbranch_execz .LBB48_17
; %bb.16:
	scratch_load_b32 v5, v1, off
	scratch_load_b32 v6, off, off offset:4
	ds_load_b32 v7, v2
	v_mov_b32_e32 v3, 0
	ds_load_2addr_b32 v[3:4], v3 offset0:2 offset1:53
	s_waitcnt vmcnt(1) lgkmcnt(1)
	v_fma_f32 v5, v5, v7, 0
	s_waitcnt vmcnt(0) lgkmcnt(0)
	s_delay_alu instid0(VALU_DEP_1) | instskip(NEXT) | instid1(VALU_DEP_1)
	v_fma_f32 v4, v6, v4, v5
	v_cndmask_b32_e64 v4, v5, v4, s0
	s_delay_alu instid0(VALU_DEP_1)
	v_mul_f32_e32 v3, v4, v3
	scratch_store_b32 off, v3, off offset:8
.LBB48_17:
	s_or_b32 exec_lo, exec_lo, s1
	s_waitcnt_vscnt null, 0x0
	s_barrier
	buffer_gl0_inv
	scratch_load_b32 v4, off, off offset:12
	v_add_nc_u32_e32 v3, -1, v0
	s_mov_b32 s0, exec_lo
	s_waitcnt vmcnt(0)
	ds_store_b32 v2, v4
	s_waitcnt lgkmcnt(0)
	s_barrier
	buffer_gl0_inv
	v_cmpx_gt_u32_e32 3, v0
	s_cbranch_execz .LBB48_21
; %bb.18:
	v_dual_mov_b32 v4, 0 :: v_dual_add_nc_u32 v5, -1, v0
	v_add_nc_u32_e32 v6, 0xd0, v111
	v_add_nc_u32_e32 v7, 0, v111
	s_mov_b32 s1, 0
.LBB48_19:                              ; =>This Inner Loop Header: Depth=1
	scratch_load_b32 v8, v7, off
	ds_load_b32 v9, v6
	v_add_nc_u32_e32 v5, 1, v5
	v_add_nc_u32_e32 v6, 4, v6
	v_add_nc_u32_e32 v7, 4, v7
	s_delay_alu instid0(VALU_DEP_3)
	v_cmp_lt_u32_e32 vcc_lo, 1, v5
	s_or_b32 s1, vcc_lo, s1
	s_waitcnt vmcnt(0) lgkmcnt(0)
	v_fmac_f32_e32 v4, v8, v9
	s_and_not1_b32 exec_lo, exec_lo, s1
	s_cbranch_execnz .LBB48_19
; %bb.20:
	s_or_b32 exec_lo, exec_lo, s1
	v_mov_b32_e32 v5, 0
	ds_load_b32 v5, v5 offset:12
	s_waitcnt lgkmcnt(0)
	v_mul_f32_e32 v4, v4, v5
	scratch_store_b32 off, v4, off offset:12
.LBB48_21:
	s_or_b32 exec_lo, exec_lo, s0
	s_waitcnt_vscnt null, 0x0
	s_barrier
	buffer_gl0_inv
	scratch_load_b32 v4, off, off offset:16
	s_mov_b32 s0, exec_lo
	s_waitcnt vmcnt(0)
	ds_store_b32 v2, v4
	s_waitcnt lgkmcnt(0)
	s_barrier
	buffer_gl0_inv
	v_cmpx_gt_u32_e32 4, v0
	s_cbranch_execz .LBB48_25
; %bb.22:
	v_dual_mov_b32 v4, 0 :: v_dual_add_nc_u32 v5, -1, v0
	v_add_nc_u32_e32 v6, 0xd0, v111
	v_add_nc_u32_e32 v7, 0, v111
	s_mov_b32 s1, 0
.LBB48_23:                              ; =>This Inner Loop Header: Depth=1
	scratch_load_b32 v8, v7, off
	ds_load_b32 v9, v6
	v_add_nc_u32_e32 v5, 1, v5
	v_add_nc_u32_e32 v6, 4, v6
	v_add_nc_u32_e32 v7, 4, v7
	s_delay_alu instid0(VALU_DEP_3)
	v_cmp_lt_u32_e32 vcc_lo, 2, v5
	s_or_b32 s1, vcc_lo, s1
	s_waitcnt vmcnt(0) lgkmcnt(0)
	v_fmac_f32_e32 v4, v8, v9
	s_and_not1_b32 exec_lo, exec_lo, s1
	s_cbranch_execnz .LBB48_23
; %bb.24:
	s_or_b32 exec_lo, exec_lo, s1
	v_mov_b32_e32 v5, 0
	ds_load_b32 v5, v5 offset:16
	s_waitcnt lgkmcnt(0)
	v_mul_f32_e32 v4, v4, v5
	scratch_store_b32 off, v4, off offset:16
.LBB48_25:
	s_or_b32 exec_lo, exec_lo, s0
	s_waitcnt_vscnt null, 0x0
	s_barrier
	buffer_gl0_inv
	scratch_load_b32 v4, off, off offset:20
	;; [unrolled: 39-line block ×21, first 2 shown]
	s_mov_b32 s0, exec_lo
	s_waitcnt vmcnt(0)
	ds_store_b32 v2, v4
	s_waitcnt lgkmcnt(0)
	s_barrier
	buffer_gl0_inv
	v_cmpx_gt_u32_e32 24, v0
	s_cbranch_execz .LBB48_105
; %bb.102:
	v_dual_mov_b32 v4, 0 :: v_dual_add_nc_u32 v5, -1, v0
	v_add_nc_u32_e32 v6, 0xd0, v111
	v_add_nc_u32_e32 v7, 0, v111
	s_mov_b32 s1, 0
.LBB48_103:                             ; =>This Inner Loop Header: Depth=1
	scratch_load_b32 v8, v7, off
	ds_load_b32 v9, v6
	v_add_nc_u32_e32 v5, 1, v5
	v_add_nc_u32_e32 v6, 4, v6
	v_add_nc_u32_e32 v7, 4, v7
	s_delay_alu instid0(VALU_DEP_3)
	v_cmp_lt_u32_e32 vcc_lo, 22, v5
	s_or_b32 s1, vcc_lo, s1
	s_waitcnt vmcnt(0) lgkmcnt(0)
	v_fmac_f32_e32 v4, v8, v9
	s_and_not1_b32 exec_lo, exec_lo, s1
	s_cbranch_execnz .LBB48_103
; %bb.104:
	s_or_b32 exec_lo, exec_lo, s1
	v_mov_b32_e32 v5, 0
	ds_load_b32 v5, v5 offset:96
	s_waitcnt lgkmcnt(0)
	v_mul_f32_e32 v4, v4, v5
	scratch_store_b32 off, v4, off offset:96
.LBB48_105:
	s_or_b32 exec_lo, exec_lo, s0
	s_waitcnt_vscnt null, 0x0
	s_barrier
	buffer_gl0_inv
	scratch_load_b32 v4, off, off offset:100
	s_mov_b32 s0, exec_lo
	s_waitcnt vmcnt(0)
	ds_store_b32 v2, v4
	s_waitcnt lgkmcnt(0)
	s_barrier
	buffer_gl0_inv
	v_cmpx_gt_u32_e32 25, v0
	s_cbranch_execz .LBB48_109
; %bb.106:
	v_dual_mov_b32 v4, 0 :: v_dual_add_nc_u32 v5, -1, v0
	v_add_nc_u32_e32 v6, 0xd0, v111
	v_add_nc_u32_e32 v7, 0, v111
	s_mov_b32 s1, 0
.LBB48_107:                             ; =>This Inner Loop Header: Depth=1
	scratch_load_b32 v8, v7, off
	ds_load_b32 v9, v6
	v_add_nc_u32_e32 v5, 1, v5
	v_add_nc_u32_e32 v6, 4, v6
	v_add_nc_u32_e32 v7, 4, v7
	s_delay_alu instid0(VALU_DEP_3)
	v_cmp_lt_u32_e32 vcc_lo, 23, v5
	s_or_b32 s1, vcc_lo, s1
	s_waitcnt vmcnt(0) lgkmcnt(0)
	v_fmac_f32_e32 v4, v8, v9
	s_and_not1_b32 exec_lo, exec_lo, s1
	s_cbranch_execnz .LBB48_107
; %bb.108:
	s_or_b32 exec_lo, exec_lo, s1
	v_mov_b32_e32 v5, 0
	ds_load_b32 v5, v5 offset:100
	s_waitcnt lgkmcnt(0)
	v_mul_f32_e32 v4, v4, v5
	scratch_store_b32 off, v4, off offset:100
.LBB48_109:
	s_or_b32 exec_lo, exec_lo, s0
	s_waitcnt_vscnt null, 0x0
	s_barrier
	buffer_gl0_inv
	scratch_load_b32 v4, off, off offset:104
	s_mov_b32 s0, exec_lo
	s_waitcnt vmcnt(0)
	ds_store_b32 v2, v4
	s_waitcnt lgkmcnt(0)
	s_barrier
	buffer_gl0_inv
	v_cmpx_gt_u32_e32 26, v0
	s_cbranch_execz .LBB48_113
; %bb.110:
	v_dual_mov_b32 v4, 0 :: v_dual_add_nc_u32 v5, -1, v0
	v_add_nc_u32_e32 v6, 0xd0, v111
	v_add_nc_u32_e32 v7, 0, v111
	s_mov_b32 s1, 0
.LBB48_111:                             ; =>This Inner Loop Header: Depth=1
	scratch_load_b32 v8, v7, off
	ds_load_b32 v9, v6
	v_add_nc_u32_e32 v5, 1, v5
	v_add_nc_u32_e32 v6, 4, v6
	v_add_nc_u32_e32 v7, 4, v7
	s_delay_alu instid0(VALU_DEP_3)
	v_cmp_lt_u32_e32 vcc_lo, 24, v5
	s_or_b32 s1, vcc_lo, s1
	s_waitcnt vmcnt(0) lgkmcnt(0)
	v_fmac_f32_e32 v4, v8, v9
	s_and_not1_b32 exec_lo, exec_lo, s1
	s_cbranch_execnz .LBB48_111
; %bb.112:
	s_or_b32 exec_lo, exec_lo, s1
	v_mov_b32_e32 v5, 0
	ds_load_b32 v5, v5 offset:104
	s_waitcnt lgkmcnt(0)
	v_mul_f32_e32 v4, v4, v5
	scratch_store_b32 off, v4, off offset:104
.LBB48_113:
	s_or_b32 exec_lo, exec_lo, s0
	s_waitcnt_vscnt null, 0x0
	s_barrier
	buffer_gl0_inv
	scratch_load_b32 v4, off, off offset:108
	s_mov_b32 s0, exec_lo
	s_waitcnt vmcnt(0)
	ds_store_b32 v2, v4
	s_waitcnt lgkmcnt(0)
	s_barrier
	buffer_gl0_inv
	v_cmpx_gt_u32_e32 27, v0
	s_cbranch_execz .LBB48_117
; %bb.114:
	v_dual_mov_b32 v4, 0 :: v_dual_add_nc_u32 v5, -1, v0
	v_add_nc_u32_e32 v6, 0xd0, v111
	v_add_nc_u32_e32 v7, 0, v111
	s_mov_b32 s1, 0
.LBB48_115:                             ; =>This Inner Loop Header: Depth=1
	scratch_load_b32 v8, v7, off
	ds_load_b32 v9, v6
	v_add_nc_u32_e32 v5, 1, v5
	v_add_nc_u32_e32 v6, 4, v6
	v_add_nc_u32_e32 v7, 4, v7
	s_delay_alu instid0(VALU_DEP_3)
	v_cmp_lt_u32_e32 vcc_lo, 25, v5
	s_or_b32 s1, vcc_lo, s1
	s_waitcnt vmcnt(0) lgkmcnt(0)
	v_fmac_f32_e32 v4, v8, v9
	s_and_not1_b32 exec_lo, exec_lo, s1
	s_cbranch_execnz .LBB48_115
; %bb.116:
	s_or_b32 exec_lo, exec_lo, s1
	v_mov_b32_e32 v5, 0
	ds_load_b32 v5, v5 offset:108
	s_waitcnt lgkmcnt(0)
	v_mul_f32_e32 v4, v4, v5
	scratch_store_b32 off, v4, off offset:108
.LBB48_117:
	s_or_b32 exec_lo, exec_lo, s0
	s_waitcnt_vscnt null, 0x0
	s_barrier
	buffer_gl0_inv
	scratch_load_b32 v4, off, off offset:112
	s_mov_b32 s0, exec_lo
	s_waitcnt vmcnt(0)
	ds_store_b32 v2, v4
	s_waitcnt lgkmcnt(0)
	s_barrier
	buffer_gl0_inv
	v_cmpx_gt_u32_e32 28, v0
	s_cbranch_execz .LBB48_121
; %bb.118:
	v_dual_mov_b32 v4, 0 :: v_dual_add_nc_u32 v5, -1, v0
	v_add_nc_u32_e32 v6, 0xd0, v111
	v_add_nc_u32_e32 v7, 0, v111
	s_mov_b32 s1, 0
.LBB48_119:                             ; =>This Inner Loop Header: Depth=1
	scratch_load_b32 v8, v7, off
	ds_load_b32 v9, v6
	v_add_nc_u32_e32 v5, 1, v5
	v_add_nc_u32_e32 v6, 4, v6
	v_add_nc_u32_e32 v7, 4, v7
	s_delay_alu instid0(VALU_DEP_3)
	v_cmp_lt_u32_e32 vcc_lo, 26, v5
	s_or_b32 s1, vcc_lo, s1
	s_waitcnt vmcnt(0) lgkmcnt(0)
	v_fmac_f32_e32 v4, v8, v9
	s_and_not1_b32 exec_lo, exec_lo, s1
	s_cbranch_execnz .LBB48_119
; %bb.120:
	s_or_b32 exec_lo, exec_lo, s1
	v_mov_b32_e32 v5, 0
	ds_load_b32 v5, v5 offset:112
	s_waitcnt lgkmcnt(0)
	v_mul_f32_e32 v4, v4, v5
	scratch_store_b32 off, v4, off offset:112
.LBB48_121:
	s_or_b32 exec_lo, exec_lo, s0
	s_waitcnt_vscnt null, 0x0
	s_barrier
	buffer_gl0_inv
	scratch_load_b32 v4, off, off offset:116
	s_mov_b32 s0, exec_lo
	s_waitcnt vmcnt(0)
	ds_store_b32 v2, v4
	s_waitcnt lgkmcnt(0)
	s_barrier
	buffer_gl0_inv
	v_cmpx_gt_u32_e32 29, v0
	s_cbranch_execz .LBB48_125
; %bb.122:
	v_dual_mov_b32 v4, 0 :: v_dual_add_nc_u32 v5, -1, v0
	v_add_nc_u32_e32 v6, 0xd0, v111
	v_add_nc_u32_e32 v7, 0, v111
	s_mov_b32 s1, 0
.LBB48_123:                             ; =>This Inner Loop Header: Depth=1
	scratch_load_b32 v8, v7, off
	ds_load_b32 v9, v6
	v_add_nc_u32_e32 v5, 1, v5
	v_add_nc_u32_e32 v6, 4, v6
	v_add_nc_u32_e32 v7, 4, v7
	s_delay_alu instid0(VALU_DEP_3)
	v_cmp_lt_u32_e32 vcc_lo, 27, v5
	s_or_b32 s1, vcc_lo, s1
	s_waitcnt vmcnt(0) lgkmcnt(0)
	v_fmac_f32_e32 v4, v8, v9
	s_and_not1_b32 exec_lo, exec_lo, s1
	s_cbranch_execnz .LBB48_123
; %bb.124:
	s_or_b32 exec_lo, exec_lo, s1
	v_mov_b32_e32 v5, 0
	ds_load_b32 v5, v5 offset:116
	s_waitcnt lgkmcnt(0)
	v_mul_f32_e32 v4, v4, v5
	scratch_store_b32 off, v4, off offset:116
.LBB48_125:
	s_or_b32 exec_lo, exec_lo, s0
	s_waitcnt_vscnt null, 0x0
	s_barrier
	buffer_gl0_inv
	scratch_load_b32 v4, off, off offset:120
	s_mov_b32 s0, exec_lo
	s_waitcnt vmcnt(0)
	ds_store_b32 v2, v4
	s_waitcnt lgkmcnt(0)
	s_barrier
	buffer_gl0_inv
	v_cmpx_gt_u32_e32 30, v0
	s_cbranch_execz .LBB48_129
; %bb.126:
	v_dual_mov_b32 v4, 0 :: v_dual_add_nc_u32 v5, -1, v0
	v_add_nc_u32_e32 v6, 0xd0, v111
	v_add_nc_u32_e32 v7, 0, v111
	s_mov_b32 s1, 0
.LBB48_127:                             ; =>This Inner Loop Header: Depth=1
	scratch_load_b32 v8, v7, off
	ds_load_b32 v9, v6
	v_add_nc_u32_e32 v5, 1, v5
	v_add_nc_u32_e32 v6, 4, v6
	v_add_nc_u32_e32 v7, 4, v7
	s_delay_alu instid0(VALU_DEP_3)
	v_cmp_lt_u32_e32 vcc_lo, 28, v5
	s_or_b32 s1, vcc_lo, s1
	s_waitcnt vmcnt(0) lgkmcnt(0)
	v_fmac_f32_e32 v4, v8, v9
	s_and_not1_b32 exec_lo, exec_lo, s1
	s_cbranch_execnz .LBB48_127
; %bb.128:
	s_or_b32 exec_lo, exec_lo, s1
	v_mov_b32_e32 v5, 0
	ds_load_b32 v5, v5 offset:120
	s_waitcnt lgkmcnt(0)
	v_mul_f32_e32 v4, v4, v5
	scratch_store_b32 off, v4, off offset:120
.LBB48_129:
	s_or_b32 exec_lo, exec_lo, s0
	s_waitcnt_vscnt null, 0x0
	s_barrier
	buffer_gl0_inv
	scratch_load_b32 v4, off, off offset:124
	s_mov_b32 s0, exec_lo
	s_waitcnt vmcnt(0)
	ds_store_b32 v2, v4
	s_waitcnt lgkmcnt(0)
	s_barrier
	buffer_gl0_inv
	v_cmpx_gt_u32_e32 31, v0
	s_cbranch_execz .LBB48_133
; %bb.130:
	v_dual_mov_b32 v4, 0 :: v_dual_add_nc_u32 v5, -1, v0
	v_add_nc_u32_e32 v6, 0xd0, v111
	v_add_nc_u32_e32 v7, 0, v111
	s_mov_b32 s1, 0
.LBB48_131:                             ; =>This Inner Loop Header: Depth=1
	scratch_load_b32 v8, v7, off
	ds_load_b32 v9, v6
	v_add_nc_u32_e32 v5, 1, v5
	v_add_nc_u32_e32 v6, 4, v6
	v_add_nc_u32_e32 v7, 4, v7
	s_delay_alu instid0(VALU_DEP_3)
	v_cmp_lt_u32_e32 vcc_lo, 29, v5
	s_or_b32 s1, vcc_lo, s1
	s_waitcnt vmcnt(0) lgkmcnt(0)
	v_fmac_f32_e32 v4, v8, v9
	s_and_not1_b32 exec_lo, exec_lo, s1
	s_cbranch_execnz .LBB48_131
; %bb.132:
	s_or_b32 exec_lo, exec_lo, s1
	v_mov_b32_e32 v5, 0
	ds_load_b32 v5, v5 offset:124
	s_waitcnt lgkmcnt(0)
	v_mul_f32_e32 v4, v4, v5
	scratch_store_b32 off, v4, off offset:124
.LBB48_133:
	s_or_b32 exec_lo, exec_lo, s0
	s_waitcnt_vscnt null, 0x0
	s_barrier
	buffer_gl0_inv
	scratch_load_b32 v4, off, off offset:128
	s_mov_b32 s0, exec_lo
	s_waitcnt vmcnt(0)
	ds_store_b32 v2, v4
	s_waitcnt lgkmcnt(0)
	s_barrier
	buffer_gl0_inv
	v_cmpx_gt_u32_e32 32, v0
	s_cbranch_execz .LBB48_137
; %bb.134:
	v_dual_mov_b32 v4, 0 :: v_dual_add_nc_u32 v5, -1, v0
	v_add_nc_u32_e32 v6, 0xd0, v111
	v_add_nc_u32_e32 v7, 0, v111
	s_mov_b32 s1, 0
.LBB48_135:                             ; =>This Inner Loop Header: Depth=1
	scratch_load_b32 v8, v7, off
	ds_load_b32 v9, v6
	v_add_nc_u32_e32 v5, 1, v5
	v_add_nc_u32_e32 v6, 4, v6
	v_add_nc_u32_e32 v7, 4, v7
	s_delay_alu instid0(VALU_DEP_3)
	v_cmp_lt_u32_e32 vcc_lo, 30, v5
	s_or_b32 s1, vcc_lo, s1
	s_waitcnt vmcnt(0) lgkmcnt(0)
	v_fmac_f32_e32 v4, v8, v9
	s_and_not1_b32 exec_lo, exec_lo, s1
	s_cbranch_execnz .LBB48_135
; %bb.136:
	s_or_b32 exec_lo, exec_lo, s1
	v_mov_b32_e32 v5, 0
	ds_load_b32 v5, v5 offset:128
	s_waitcnt lgkmcnt(0)
	v_mul_f32_e32 v4, v4, v5
	scratch_store_b32 off, v4, off offset:128
.LBB48_137:
	s_or_b32 exec_lo, exec_lo, s0
	s_waitcnt_vscnt null, 0x0
	s_barrier
	buffer_gl0_inv
	scratch_load_b32 v4, off, off offset:132
	s_mov_b32 s0, exec_lo
	s_waitcnt vmcnt(0)
	ds_store_b32 v2, v4
	s_waitcnt lgkmcnt(0)
	s_barrier
	buffer_gl0_inv
	v_cmpx_gt_u32_e32 33, v0
	s_cbranch_execz .LBB48_141
; %bb.138:
	v_dual_mov_b32 v4, 0 :: v_dual_add_nc_u32 v5, -1, v0
	v_add_nc_u32_e32 v6, 0xd0, v111
	v_add_nc_u32_e32 v7, 0, v111
	s_mov_b32 s1, 0
.LBB48_139:                             ; =>This Inner Loop Header: Depth=1
	scratch_load_b32 v8, v7, off
	ds_load_b32 v9, v6
	v_add_nc_u32_e32 v5, 1, v5
	v_add_nc_u32_e32 v6, 4, v6
	v_add_nc_u32_e32 v7, 4, v7
	s_delay_alu instid0(VALU_DEP_3)
	v_cmp_lt_u32_e32 vcc_lo, 31, v5
	s_or_b32 s1, vcc_lo, s1
	s_waitcnt vmcnt(0) lgkmcnt(0)
	v_fmac_f32_e32 v4, v8, v9
	s_and_not1_b32 exec_lo, exec_lo, s1
	s_cbranch_execnz .LBB48_139
; %bb.140:
	s_or_b32 exec_lo, exec_lo, s1
	v_mov_b32_e32 v5, 0
	ds_load_b32 v5, v5 offset:132
	s_waitcnt lgkmcnt(0)
	v_mul_f32_e32 v4, v4, v5
	scratch_store_b32 off, v4, off offset:132
.LBB48_141:
	s_or_b32 exec_lo, exec_lo, s0
	s_waitcnt_vscnt null, 0x0
	s_barrier
	buffer_gl0_inv
	scratch_load_b32 v4, off, off offset:136
	s_mov_b32 s0, exec_lo
	s_waitcnt vmcnt(0)
	ds_store_b32 v2, v4
	s_waitcnt lgkmcnt(0)
	s_barrier
	buffer_gl0_inv
	v_cmpx_gt_u32_e32 34, v0
	s_cbranch_execz .LBB48_145
; %bb.142:
	v_dual_mov_b32 v4, 0 :: v_dual_add_nc_u32 v5, -1, v0
	v_add_nc_u32_e32 v6, 0xd0, v111
	v_add_nc_u32_e32 v7, 0, v111
	s_mov_b32 s1, 0
.LBB48_143:                             ; =>This Inner Loop Header: Depth=1
	scratch_load_b32 v8, v7, off
	ds_load_b32 v9, v6
	v_add_nc_u32_e32 v5, 1, v5
	v_add_nc_u32_e32 v6, 4, v6
	v_add_nc_u32_e32 v7, 4, v7
	s_delay_alu instid0(VALU_DEP_3)
	v_cmp_lt_u32_e32 vcc_lo, 32, v5
	s_or_b32 s1, vcc_lo, s1
	s_waitcnt vmcnt(0) lgkmcnt(0)
	v_fmac_f32_e32 v4, v8, v9
	s_and_not1_b32 exec_lo, exec_lo, s1
	s_cbranch_execnz .LBB48_143
; %bb.144:
	s_or_b32 exec_lo, exec_lo, s1
	v_mov_b32_e32 v5, 0
	ds_load_b32 v5, v5 offset:136
	s_waitcnt lgkmcnt(0)
	v_mul_f32_e32 v4, v4, v5
	scratch_store_b32 off, v4, off offset:136
.LBB48_145:
	s_or_b32 exec_lo, exec_lo, s0
	s_waitcnt_vscnt null, 0x0
	s_barrier
	buffer_gl0_inv
	scratch_load_b32 v4, off, off offset:140
	s_mov_b32 s0, exec_lo
	s_waitcnt vmcnt(0)
	ds_store_b32 v2, v4
	s_waitcnt lgkmcnt(0)
	s_barrier
	buffer_gl0_inv
	v_cmpx_gt_u32_e32 35, v0
	s_cbranch_execz .LBB48_149
; %bb.146:
	v_dual_mov_b32 v4, 0 :: v_dual_add_nc_u32 v5, -1, v0
	v_add_nc_u32_e32 v6, 0xd0, v111
	v_add_nc_u32_e32 v7, 0, v111
	s_mov_b32 s1, 0
.LBB48_147:                             ; =>This Inner Loop Header: Depth=1
	scratch_load_b32 v8, v7, off
	ds_load_b32 v9, v6
	v_add_nc_u32_e32 v5, 1, v5
	v_add_nc_u32_e32 v6, 4, v6
	v_add_nc_u32_e32 v7, 4, v7
	s_delay_alu instid0(VALU_DEP_3)
	v_cmp_lt_u32_e32 vcc_lo, 33, v5
	s_or_b32 s1, vcc_lo, s1
	s_waitcnt vmcnt(0) lgkmcnt(0)
	v_fmac_f32_e32 v4, v8, v9
	s_and_not1_b32 exec_lo, exec_lo, s1
	s_cbranch_execnz .LBB48_147
; %bb.148:
	s_or_b32 exec_lo, exec_lo, s1
	v_mov_b32_e32 v5, 0
	ds_load_b32 v5, v5 offset:140
	s_waitcnt lgkmcnt(0)
	v_mul_f32_e32 v4, v4, v5
	scratch_store_b32 off, v4, off offset:140
.LBB48_149:
	s_or_b32 exec_lo, exec_lo, s0
	s_waitcnt_vscnt null, 0x0
	s_barrier
	buffer_gl0_inv
	scratch_load_b32 v4, off, off offset:144
	s_mov_b32 s0, exec_lo
	s_waitcnt vmcnt(0)
	ds_store_b32 v2, v4
	s_waitcnt lgkmcnt(0)
	s_barrier
	buffer_gl0_inv
	v_cmpx_gt_u32_e32 36, v0
	s_cbranch_execz .LBB48_153
; %bb.150:
	v_dual_mov_b32 v4, 0 :: v_dual_add_nc_u32 v5, -1, v0
	v_add_nc_u32_e32 v6, 0xd0, v111
	v_add_nc_u32_e32 v7, 0, v111
	s_mov_b32 s1, 0
.LBB48_151:                             ; =>This Inner Loop Header: Depth=1
	scratch_load_b32 v8, v7, off
	ds_load_b32 v9, v6
	v_add_nc_u32_e32 v5, 1, v5
	v_add_nc_u32_e32 v6, 4, v6
	v_add_nc_u32_e32 v7, 4, v7
	s_delay_alu instid0(VALU_DEP_3)
	v_cmp_lt_u32_e32 vcc_lo, 34, v5
	s_or_b32 s1, vcc_lo, s1
	s_waitcnt vmcnt(0) lgkmcnt(0)
	v_fmac_f32_e32 v4, v8, v9
	s_and_not1_b32 exec_lo, exec_lo, s1
	s_cbranch_execnz .LBB48_151
; %bb.152:
	s_or_b32 exec_lo, exec_lo, s1
	v_mov_b32_e32 v5, 0
	ds_load_b32 v5, v5 offset:144
	s_waitcnt lgkmcnt(0)
	v_mul_f32_e32 v4, v4, v5
	scratch_store_b32 off, v4, off offset:144
.LBB48_153:
	s_or_b32 exec_lo, exec_lo, s0
	s_waitcnt_vscnt null, 0x0
	s_barrier
	buffer_gl0_inv
	scratch_load_b32 v4, off, off offset:148
	s_mov_b32 s0, exec_lo
	s_waitcnt vmcnt(0)
	ds_store_b32 v2, v4
	s_waitcnt lgkmcnt(0)
	s_barrier
	buffer_gl0_inv
	v_cmpx_gt_u32_e32 37, v0
	s_cbranch_execz .LBB48_157
; %bb.154:
	v_dual_mov_b32 v4, 0 :: v_dual_add_nc_u32 v5, -1, v0
	v_add_nc_u32_e32 v6, 0xd0, v111
	v_add_nc_u32_e32 v7, 0, v111
	s_mov_b32 s1, 0
.LBB48_155:                             ; =>This Inner Loop Header: Depth=1
	scratch_load_b32 v8, v7, off
	ds_load_b32 v9, v6
	v_add_nc_u32_e32 v5, 1, v5
	v_add_nc_u32_e32 v6, 4, v6
	v_add_nc_u32_e32 v7, 4, v7
	s_delay_alu instid0(VALU_DEP_3)
	v_cmp_lt_u32_e32 vcc_lo, 35, v5
	s_or_b32 s1, vcc_lo, s1
	s_waitcnt vmcnt(0) lgkmcnt(0)
	v_fmac_f32_e32 v4, v8, v9
	s_and_not1_b32 exec_lo, exec_lo, s1
	s_cbranch_execnz .LBB48_155
; %bb.156:
	s_or_b32 exec_lo, exec_lo, s1
	v_mov_b32_e32 v5, 0
	ds_load_b32 v5, v5 offset:148
	s_waitcnt lgkmcnt(0)
	v_mul_f32_e32 v4, v4, v5
	scratch_store_b32 off, v4, off offset:148
.LBB48_157:
	s_or_b32 exec_lo, exec_lo, s0
	s_waitcnt_vscnt null, 0x0
	s_barrier
	buffer_gl0_inv
	scratch_load_b32 v4, off, off offset:152
	s_mov_b32 s0, exec_lo
	s_waitcnt vmcnt(0)
	ds_store_b32 v2, v4
	s_waitcnt lgkmcnt(0)
	s_barrier
	buffer_gl0_inv
	v_cmpx_gt_u32_e32 38, v0
	s_cbranch_execz .LBB48_161
; %bb.158:
	v_dual_mov_b32 v4, 0 :: v_dual_add_nc_u32 v5, -1, v0
	v_add_nc_u32_e32 v6, 0xd0, v111
	v_add_nc_u32_e32 v7, 0, v111
	s_mov_b32 s1, 0
.LBB48_159:                             ; =>This Inner Loop Header: Depth=1
	scratch_load_b32 v8, v7, off
	ds_load_b32 v9, v6
	v_add_nc_u32_e32 v5, 1, v5
	v_add_nc_u32_e32 v6, 4, v6
	v_add_nc_u32_e32 v7, 4, v7
	s_delay_alu instid0(VALU_DEP_3)
	v_cmp_lt_u32_e32 vcc_lo, 36, v5
	s_or_b32 s1, vcc_lo, s1
	s_waitcnt vmcnt(0) lgkmcnt(0)
	v_fmac_f32_e32 v4, v8, v9
	s_and_not1_b32 exec_lo, exec_lo, s1
	s_cbranch_execnz .LBB48_159
; %bb.160:
	s_or_b32 exec_lo, exec_lo, s1
	v_mov_b32_e32 v5, 0
	ds_load_b32 v5, v5 offset:152
	s_waitcnt lgkmcnt(0)
	v_mul_f32_e32 v4, v4, v5
	scratch_store_b32 off, v4, off offset:152
.LBB48_161:
	s_or_b32 exec_lo, exec_lo, s0
	s_waitcnt_vscnt null, 0x0
	s_barrier
	buffer_gl0_inv
	scratch_load_b32 v4, off, off offset:156
	s_mov_b32 s0, exec_lo
	s_waitcnt vmcnt(0)
	ds_store_b32 v2, v4
	s_waitcnt lgkmcnt(0)
	s_barrier
	buffer_gl0_inv
	v_cmpx_gt_u32_e32 39, v0
	s_cbranch_execz .LBB48_165
; %bb.162:
	v_dual_mov_b32 v4, 0 :: v_dual_add_nc_u32 v5, -1, v0
	v_add_nc_u32_e32 v6, 0xd0, v111
	v_add_nc_u32_e32 v7, 0, v111
	s_mov_b32 s1, 0
.LBB48_163:                             ; =>This Inner Loop Header: Depth=1
	scratch_load_b32 v8, v7, off
	ds_load_b32 v9, v6
	v_add_nc_u32_e32 v5, 1, v5
	v_add_nc_u32_e32 v6, 4, v6
	v_add_nc_u32_e32 v7, 4, v7
	s_delay_alu instid0(VALU_DEP_3)
	v_cmp_lt_u32_e32 vcc_lo, 37, v5
	s_or_b32 s1, vcc_lo, s1
	s_waitcnt vmcnt(0) lgkmcnt(0)
	v_fmac_f32_e32 v4, v8, v9
	s_and_not1_b32 exec_lo, exec_lo, s1
	s_cbranch_execnz .LBB48_163
; %bb.164:
	s_or_b32 exec_lo, exec_lo, s1
	v_mov_b32_e32 v5, 0
	ds_load_b32 v5, v5 offset:156
	s_waitcnt lgkmcnt(0)
	v_mul_f32_e32 v4, v4, v5
	scratch_store_b32 off, v4, off offset:156
.LBB48_165:
	s_or_b32 exec_lo, exec_lo, s0
	s_waitcnt_vscnt null, 0x0
	s_barrier
	buffer_gl0_inv
	scratch_load_b32 v4, off, off offset:160
	s_mov_b32 s0, exec_lo
	s_waitcnt vmcnt(0)
	ds_store_b32 v2, v4
	s_waitcnt lgkmcnt(0)
	s_barrier
	buffer_gl0_inv
	v_cmpx_gt_u32_e32 40, v0
	s_cbranch_execz .LBB48_169
; %bb.166:
	v_dual_mov_b32 v4, 0 :: v_dual_add_nc_u32 v5, -1, v0
	v_add_nc_u32_e32 v6, 0xd0, v111
	v_add_nc_u32_e32 v7, 0, v111
	s_mov_b32 s1, 0
.LBB48_167:                             ; =>This Inner Loop Header: Depth=1
	scratch_load_b32 v8, v7, off
	ds_load_b32 v9, v6
	v_add_nc_u32_e32 v5, 1, v5
	v_add_nc_u32_e32 v6, 4, v6
	v_add_nc_u32_e32 v7, 4, v7
	s_delay_alu instid0(VALU_DEP_3)
	v_cmp_lt_u32_e32 vcc_lo, 38, v5
	s_or_b32 s1, vcc_lo, s1
	s_waitcnt vmcnt(0) lgkmcnt(0)
	v_fmac_f32_e32 v4, v8, v9
	s_and_not1_b32 exec_lo, exec_lo, s1
	s_cbranch_execnz .LBB48_167
; %bb.168:
	s_or_b32 exec_lo, exec_lo, s1
	v_mov_b32_e32 v5, 0
	ds_load_b32 v5, v5 offset:160
	s_waitcnt lgkmcnt(0)
	v_mul_f32_e32 v4, v4, v5
	scratch_store_b32 off, v4, off offset:160
.LBB48_169:
	s_or_b32 exec_lo, exec_lo, s0
	s_waitcnt_vscnt null, 0x0
	s_barrier
	buffer_gl0_inv
	scratch_load_b32 v4, off, off offset:164
	s_mov_b32 s0, exec_lo
	s_waitcnt vmcnt(0)
	ds_store_b32 v2, v4
	s_waitcnt lgkmcnt(0)
	s_barrier
	buffer_gl0_inv
	v_cmpx_gt_u32_e32 41, v0
	s_cbranch_execz .LBB48_173
; %bb.170:
	v_dual_mov_b32 v4, 0 :: v_dual_add_nc_u32 v5, -1, v0
	v_add_nc_u32_e32 v6, 0xd0, v111
	v_add_nc_u32_e32 v7, 0, v111
	s_mov_b32 s1, 0
.LBB48_171:                             ; =>This Inner Loop Header: Depth=1
	scratch_load_b32 v8, v7, off
	ds_load_b32 v9, v6
	v_add_nc_u32_e32 v5, 1, v5
	v_add_nc_u32_e32 v6, 4, v6
	v_add_nc_u32_e32 v7, 4, v7
	s_delay_alu instid0(VALU_DEP_3)
	v_cmp_lt_u32_e32 vcc_lo, 39, v5
	s_or_b32 s1, vcc_lo, s1
	s_waitcnt vmcnt(0) lgkmcnt(0)
	v_fmac_f32_e32 v4, v8, v9
	s_and_not1_b32 exec_lo, exec_lo, s1
	s_cbranch_execnz .LBB48_171
; %bb.172:
	s_or_b32 exec_lo, exec_lo, s1
	v_mov_b32_e32 v5, 0
	ds_load_b32 v5, v5 offset:164
	s_waitcnt lgkmcnt(0)
	v_mul_f32_e32 v4, v4, v5
	scratch_store_b32 off, v4, off offset:164
.LBB48_173:
	s_or_b32 exec_lo, exec_lo, s0
	s_waitcnt_vscnt null, 0x0
	s_barrier
	buffer_gl0_inv
	scratch_load_b32 v4, off, off offset:168
	s_mov_b32 s0, exec_lo
	s_waitcnt vmcnt(0)
	ds_store_b32 v2, v4
	s_waitcnt lgkmcnt(0)
	s_barrier
	buffer_gl0_inv
	v_cmpx_gt_u32_e32 42, v0
	s_cbranch_execz .LBB48_177
; %bb.174:
	v_dual_mov_b32 v4, 0 :: v_dual_add_nc_u32 v5, -1, v0
	v_add_nc_u32_e32 v6, 0xd0, v111
	v_add_nc_u32_e32 v7, 0, v111
	s_mov_b32 s1, 0
.LBB48_175:                             ; =>This Inner Loop Header: Depth=1
	scratch_load_b32 v8, v7, off
	ds_load_b32 v9, v6
	v_add_nc_u32_e32 v5, 1, v5
	v_add_nc_u32_e32 v6, 4, v6
	v_add_nc_u32_e32 v7, 4, v7
	s_delay_alu instid0(VALU_DEP_3)
	v_cmp_lt_u32_e32 vcc_lo, 40, v5
	s_or_b32 s1, vcc_lo, s1
	s_waitcnt vmcnt(0) lgkmcnt(0)
	v_fmac_f32_e32 v4, v8, v9
	s_and_not1_b32 exec_lo, exec_lo, s1
	s_cbranch_execnz .LBB48_175
; %bb.176:
	s_or_b32 exec_lo, exec_lo, s1
	v_mov_b32_e32 v5, 0
	ds_load_b32 v5, v5 offset:168
	s_waitcnt lgkmcnt(0)
	v_mul_f32_e32 v4, v4, v5
	scratch_store_b32 off, v4, off offset:168
.LBB48_177:
	s_or_b32 exec_lo, exec_lo, s0
	s_waitcnt_vscnt null, 0x0
	s_barrier
	buffer_gl0_inv
	scratch_load_b32 v4, off, off offset:172
	s_mov_b32 s0, exec_lo
	s_waitcnt vmcnt(0)
	ds_store_b32 v2, v4
	s_waitcnt lgkmcnt(0)
	s_barrier
	buffer_gl0_inv
	v_cmpx_gt_u32_e32 43, v0
	s_cbranch_execz .LBB48_181
; %bb.178:
	v_dual_mov_b32 v4, 0 :: v_dual_add_nc_u32 v5, -1, v0
	v_add_nc_u32_e32 v6, 0xd0, v111
	v_add_nc_u32_e32 v7, 0, v111
	s_mov_b32 s1, 0
.LBB48_179:                             ; =>This Inner Loop Header: Depth=1
	scratch_load_b32 v8, v7, off
	ds_load_b32 v9, v6
	v_add_nc_u32_e32 v5, 1, v5
	v_add_nc_u32_e32 v6, 4, v6
	v_add_nc_u32_e32 v7, 4, v7
	s_delay_alu instid0(VALU_DEP_3)
	v_cmp_lt_u32_e32 vcc_lo, 41, v5
	s_or_b32 s1, vcc_lo, s1
	s_waitcnt vmcnt(0) lgkmcnt(0)
	v_fmac_f32_e32 v4, v8, v9
	s_and_not1_b32 exec_lo, exec_lo, s1
	s_cbranch_execnz .LBB48_179
; %bb.180:
	s_or_b32 exec_lo, exec_lo, s1
	v_mov_b32_e32 v5, 0
	ds_load_b32 v5, v5 offset:172
	s_waitcnt lgkmcnt(0)
	v_mul_f32_e32 v4, v4, v5
	scratch_store_b32 off, v4, off offset:172
.LBB48_181:
	s_or_b32 exec_lo, exec_lo, s0
	s_waitcnt_vscnt null, 0x0
	s_barrier
	buffer_gl0_inv
	scratch_load_b32 v4, off, off offset:176
	s_mov_b32 s0, exec_lo
	s_waitcnt vmcnt(0)
	ds_store_b32 v2, v4
	s_waitcnt lgkmcnt(0)
	s_barrier
	buffer_gl0_inv
	v_cmpx_gt_u32_e32 44, v0
	s_cbranch_execz .LBB48_185
; %bb.182:
	v_dual_mov_b32 v4, 0 :: v_dual_add_nc_u32 v5, -1, v0
	v_add_nc_u32_e32 v6, 0xd0, v111
	v_add_nc_u32_e32 v7, 0, v111
	s_mov_b32 s1, 0
.LBB48_183:                             ; =>This Inner Loop Header: Depth=1
	scratch_load_b32 v8, v7, off
	ds_load_b32 v9, v6
	v_add_nc_u32_e32 v5, 1, v5
	v_add_nc_u32_e32 v6, 4, v6
	v_add_nc_u32_e32 v7, 4, v7
	s_delay_alu instid0(VALU_DEP_3)
	v_cmp_lt_u32_e32 vcc_lo, 42, v5
	s_or_b32 s1, vcc_lo, s1
	s_waitcnt vmcnt(0) lgkmcnt(0)
	v_fmac_f32_e32 v4, v8, v9
	s_and_not1_b32 exec_lo, exec_lo, s1
	s_cbranch_execnz .LBB48_183
; %bb.184:
	s_or_b32 exec_lo, exec_lo, s1
	v_mov_b32_e32 v5, 0
	ds_load_b32 v5, v5 offset:176
	s_waitcnt lgkmcnt(0)
	v_mul_f32_e32 v4, v4, v5
	scratch_store_b32 off, v4, off offset:176
.LBB48_185:
	s_or_b32 exec_lo, exec_lo, s0
	s_waitcnt_vscnt null, 0x0
	s_barrier
	buffer_gl0_inv
	scratch_load_b32 v4, off, off offset:180
	s_mov_b32 s0, exec_lo
	s_waitcnt vmcnt(0)
	ds_store_b32 v2, v4
	s_waitcnt lgkmcnt(0)
	s_barrier
	buffer_gl0_inv
	v_cmpx_gt_u32_e32 45, v0
	s_cbranch_execz .LBB48_189
; %bb.186:
	v_dual_mov_b32 v4, 0 :: v_dual_add_nc_u32 v5, -1, v0
	v_add_nc_u32_e32 v6, 0xd0, v111
	v_add_nc_u32_e32 v7, 0, v111
	s_mov_b32 s1, 0
.LBB48_187:                             ; =>This Inner Loop Header: Depth=1
	scratch_load_b32 v8, v7, off
	ds_load_b32 v9, v6
	v_add_nc_u32_e32 v5, 1, v5
	v_add_nc_u32_e32 v6, 4, v6
	v_add_nc_u32_e32 v7, 4, v7
	s_delay_alu instid0(VALU_DEP_3)
	v_cmp_lt_u32_e32 vcc_lo, 43, v5
	s_or_b32 s1, vcc_lo, s1
	s_waitcnt vmcnt(0) lgkmcnt(0)
	v_fmac_f32_e32 v4, v8, v9
	s_and_not1_b32 exec_lo, exec_lo, s1
	s_cbranch_execnz .LBB48_187
; %bb.188:
	s_or_b32 exec_lo, exec_lo, s1
	v_mov_b32_e32 v5, 0
	ds_load_b32 v5, v5 offset:180
	s_waitcnt lgkmcnt(0)
	v_mul_f32_e32 v4, v4, v5
	scratch_store_b32 off, v4, off offset:180
.LBB48_189:
	s_or_b32 exec_lo, exec_lo, s0
	s_waitcnt_vscnt null, 0x0
	s_barrier
	buffer_gl0_inv
	scratch_load_b32 v4, off, off offset:184
	s_mov_b32 s0, exec_lo
	s_waitcnt vmcnt(0)
	ds_store_b32 v2, v4
	s_waitcnt lgkmcnt(0)
	s_barrier
	buffer_gl0_inv
	v_cmpx_gt_u32_e32 46, v0
	s_cbranch_execz .LBB48_193
; %bb.190:
	v_dual_mov_b32 v4, 0 :: v_dual_add_nc_u32 v5, -1, v0
	v_add_nc_u32_e32 v6, 0xd0, v111
	v_add_nc_u32_e32 v7, 0, v111
	s_mov_b32 s1, 0
.LBB48_191:                             ; =>This Inner Loop Header: Depth=1
	scratch_load_b32 v8, v7, off
	ds_load_b32 v9, v6
	v_add_nc_u32_e32 v5, 1, v5
	v_add_nc_u32_e32 v6, 4, v6
	v_add_nc_u32_e32 v7, 4, v7
	s_delay_alu instid0(VALU_DEP_3)
	v_cmp_lt_u32_e32 vcc_lo, 44, v5
	s_or_b32 s1, vcc_lo, s1
	s_waitcnt vmcnt(0) lgkmcnt(0)
	v_fmac_f32_e32 v4, v8, v9
	s_and_not1_b32 exec_lo, exec_lo, s1
	s_cbranch_execnz .LBB48_191
; %bb.192:
	s_or_b32 exec_lo, exec_lo, s1
	v_mov_b32_e32 v5, 0
	ds_load_b32 v5, v5 offset:184
	s_waitcnt lgkmcnt(0)
	v_mul_f32_e32 v4, v4, v5
	scratch_store_b32 off, v4, off offset:184
.LBB48_193:
	s_or_b32 exec_lo, exec_lo, s0
	s_waitcnt_vscnt null, 0x0
	s_barrier
	buffer_gl0_inv
	scratch_load_b32 v4, off, off offset:188
	s_mov_b32 s0, exec_lo
	s_waitcnt vmcnt(0)
	ds_store_b32 v2, v4
	s_waitcnt lgkmcnt(0)
	s_barrier
	buffer_gl0_inv
	v_cmpx_gt_u32_e32 47, v0
	s_cbranch_execz .LBB48_197
; %bb.194:
	v_dual_mov_b32 v4, 0 :: v_dual_add_nc_u32 v5, -1, v0
	v_add_nc_u32_e32 v6, 0xd0, v111
	v_add_nc_u32_e32 v7, 0, v111
	s_mov_b32 s1, 0
.LBB48_195:                             ; =>This Inner Loop Header: Depth=1
	scratch_load_b32 v8, v7, off
	ds_load_b32 v9, v6
	v_add_nc_u32_e32 v5, 1, v5
	v_add_nc_u32_e32 v6, 4, v6
	v_add_nc_u32_e32 v7, 4, v7
	s_delay_alu instid0(VALU_DEP_3)
	v_cmp_lt_u32_e32 vcc_lo, 45, v5
	s_or_b32 s1, vcc_lo, s1
	s_waitcnt vmcnt(0) lgkmcnt(0)
	v_fmac_f32_e32 v4, v8, v9
	s_and_not1_b32 exec_lo, exec_lo, s1
	s_cbranch_execnz .LBB48_195
; %bb.196:
	s_or_b32 exec_lo, exec_lo, s1
	v_mov_b32_e32 v5, 0
	ds_load_b32 v5, v5 offset:188
	s_waitcnt lgkmcnt(0)
	v_mul_f32_e32 v4, v4, v5
	scratch_store_b32 off, v4, off offset:188
.LBB48_197:
	s_or_b32 exec_lo, exec_lo, s0
	s_waitcnt_vscnt null, 0x0
	s_barrier
	buffer_gl0_inv
	scratch_load_b32 v4, off, off offset:192
	s_mov_b32 s0, exec_lo
	s_waitcnt vmcnt(0)
	ds_store_b32 v2, v4
	s_waitcnt lgkmcnt(0)
	s_barrier
	buffer_gl0_inv
	v_cmpx_ne_u32_e32 48, v0
	s_cbranch_execz .LBB48_201
; %bb.198:
	v_mov_b32_e32 v4, 0
	s_mov_b32 s1, 0
.LBB48_199:                             ; =>This Inner Loop Header: Depth=1
	scratch_load_b32 v5, v1, off
	ds_load_b32 v6, v2
	v_add_nc_u32_e32 v3, 1, v3
	v_add_nc_u32_e32 v2, 4, v2
	s_waitcnt vmcnt(0) lgkmcnt(0)
	v_dual_fmac_f32 v4, v5, v6 :: v_dual_add_nc_u32 v1, 4, v1
	s_delay_alu instid0(VALU_DEP_3) | instskip(SKIP_1) | instid1(SALU_CYCLE_1)
	v_cmp_lt_u32_e32 vcc_lo, 46, v3
	s_or_b32 s1, vcc_lo, s1
	s_and_not1_b32 exec_lo, exec_lo, s1
	s_cbranch_execnz .LBB48_199
; %bb.200:
	s_or_b32 exec_lo, exec_lo, s1
	v_mov_b32_e32 v1, 0
	ds_load_b32 v1, v1 offset:192
	s_waitcnt lgkmcnt(0)
	v_mul_f32_e32 v1, v4, v1
	scratch_store_b32 off, v1, off offset:192
.LBB48_201:
	s_or_b32 exec_lo, exec_lo, s0
	s_mov_b32 s1, -1
	s_waitcnt_vscnt null, 0x0
	s_barrier
	buffer_gl0_inv
.LBB48_202:
	s_and_b32 vcc_lo, exec_lo, s1
	s_cbranch_vccz .LBB48_204
; %bb.203:
	s_lshl_b64 s[0:1], s[14:15], 2
	v_mov_b32_e32 v1, 0
	s_add_u32 s0, s6, s0
	s_addc_u32 s1, s7, s1
	global_load_b32 v1, v1, s[0:1]
	s_waitcnt vmcnt(0)
	v_cmp_ne_u32_e32 vcc_lo, 0, v1
	s_cbranch_vccz .LBB48_205
.LBB48_204:
	s_endpgm
.LBB48_205:
	v_lshl_add_u32 v1, v0, 2, 0xd0
	s_mov_b32 s0, exec_lo
	v_cmpx_eq_u32_e32 48, v0
	s_cbranch_execz .LBB48_207
; %bb.206:
	scratch_load_b32 v2, off, off offset:188
	v_mov_b32_e32 v3, 0
	scratch_store_b32 off, v3, off offset:188
	s_waitcnt vmcnt(0)
	ds_store_b32 v1, v2
.LBB48_207:
	s_or_b32 exec_lo, exec_lo, s0
	s_waitcnt lgkmcnt(0)
	s_waitcnt_vscnt null, 0x0
	s_barrier
	buffer_gl0_inv
	scratch_load_b64 v[3:4], off, off offset:188
	v_mov_b32_e32 v2, 0
	s_mov_b32 s0, exec_lo
	ds_load_b32 v5, v2 offset:400
	s_waitcnt vmcnt(0) lgkmcnt(0)
	v_fma_f32 v4, v4, v5, 0
	s_delay_alu instid0(VALU_DEP_1)
	v_sub_f32_e32 v3, v3, v4
	scratch_store_b32 off, v3, off offset:188
	v_cmpx_lt_u32_e32 46, v0
	s_cbranch_execz .LBB48_209
; %bb.208:
	scratch_load_b32 v3, off, off offset:184
	scratch_store_b32 off, v2, off offset:184
	s_waitcnt vmcnt(0)
	ds_store_b32 v1, v3
.LBB48_209:
	s_or_b32 exec_lo, exec_lo, s0
	s_waitcnt lgkmcnt(0)
	s_waitcnt_vscnt null, 0x0
	s_barrier
	buffer_gl0_inv
	scratch_load_b96 v[3:5], off, off offset:184
	ds_load_2addr_b32 v[6:7], v2 offset0:99 offset1:100
	s_mov_b32 s0, exec_lo
	s_waitcnt vmcnt(0) lgkmcnt(0)
	v_fma_f32 v2, v4, v6, 0
	s_delay_alu instid0(VALU_DEP_1) | instskip(NEXT) | instid1(VALU_DEP_1)
	v_fmac_f32_e32 v2, v5, v7
	v_sub_f32_e32 v2, v3, v2
	scratch_store_b32 off, v2, off offset:184
	v_cmpx_lt_u32_e32 45, v0
	s_cbranch_execz .LBB48_211
; %bb.210:
	scratch_load_b32 v2, off, off offset:180
	v_mov_b32_e32 v3, 0
	scratch_store_b32 off, v3, off offset:180
	s_waitcnt vmcnt(0)
	ds_store_b32 v1, v2
.LBB48_211:
	s_or_b32 exec_lo, exec_lo, s0
	s_waitcnt lgkmcnt(0)
	s_waitcnt_vscnt null, 0x0
	s_barrier
	buffer_gl0_inv
	scratch_load_b128 v[3:6], off, off offset:180
	v_mov_b32_e32 v2, 0
	ds_load_b64 v[7:8], v2 offset:392
	ds_load_b32 v9, v2 offset:400
	s_mov_b32 s0, exec_lo
	s_waitcnt vmcnt(0) lgkmcnt(1)
	v_fma_f32 v4, v4, v7, 0
	s_delay_alu instid0(VALU_DEP_1) | instskip(SKIP_1) | instid1(VALU_DEP_1)
	v_fmac_f32_e32 v4, v5, v8
	s_waitcnt lgkmcnt(0)
	v_fmac_f32_e32 v4, v6, v9
	s_delay_alu instid0(VALU_DEP_1)
	v_sub_f32_e32 v3, v3, v4
	scratch_store_b32 off, v3, off offset:180
	v_cmpx_lt_u32_e32 44, v0
	s_cbranch_execz .LBB48_213
; %bb.212:
	scratch_load_b32 v3, off, off offset:176
	scratch_store_b32 off, v2, off offset:176
	s_waitcnt vmcnt(0)
	ds_store_b32 v1, v3
.LBB48_213:
	s_or_b32 exec_lo, exec_lo, s0
	s_waitcnt lgkmcnt(0)
	s_waitcnt_vscnt null, 0x0
	s_barrier
	buffer_gl0_inv
	s_clause 0x1
	scratch_load_b128 v[3:6], off, off offset:176
	scratch_load_b32 v11, off, off offset:192
	ds_load_2addr_b32 v[7:8], v2 offset0:97 offset1:98
	ds_load_2addr_b32 v[9:10], v2 offset0:99 offset1:100
	s_mov_b32 s0, exec_lo
	s_waitcnt vmcnt(1) lgkmcnt(1)
	v_fma_f32 v2, v4, v7, 0
	s_delay_alu instid0(VALU_DEP_1) | instskip(SKIP_1) | instid1(VALU_DEP_1)
	v_fmac_f32_e32 v2, v5, v8
	s_waitcnt lgkmcnt(0)
	v_fmac_f32_e32 v2, v6, v9
	s_waitcnt vmcnt(0)
	s_delay_alu instid0(VALU_DEP_1) | instskip(NEXT) | instid1(VALU_DEP_1)
	v_fmac_f32_e32 v2, v11, v10
	v_sub_f32_e32 v2, v3, v2
	scratch_store_b32 off, v2, off offset:176
	v_cmpx_lt_u32_e32 43, v0
	s_cbranch_execz .LBB48_215
; %bb.214:
	scratch_load_b32 v2, off, off offset:172
	v_mov_b32_e32 v3, 0
	scratch_store_b32 off, v3, off offset:172
	s_waitcnt vmcnt(0)
	ds_store_b32 v1, v2
.LBB48_215:
	s_or_b32 exec_lo, exec_lo, s0
	s_waitcnt lgkmcnt(0)
	s_waitcnt_vscnt null, 0x0
	s_barrier
	buffer_gl0_inv
	s_clause 0x1
	scratch_load_b128 v[3:6], off, off offset:172
	scratch_load_b64 v[11:12], off, off offset:188
	v_mov_b32_e32 v2, 0
	ds_load_b128 v[7:10], v2 offset:384
	ds_load_b32 v111, v2 offset:400
	s_mov_b32 s0, exec_lo
	s_waitcnt vmcnt(1) lgkmcnt(1)
	v_fma_f32 v4, v4, v7, 0
	s_delay_alu instid0(VALU_DEP_1) | instskip(NEXT) | instid1(VALU_DEP_1)
	v_fmac_f32_e32 v4, v5, v8
	v_fmac_f32_e32 v4, v6, v9
	s_waitcnt vmcnt(0)
	s_delay_alu instid0(VALU_DEP_1) | instskip(SKIP_1) | instid1(VALU_DEP_1)
	v_fmac_f32_e32 v4, v11, v10
	s_waitcnt lgkmcnt(0)
	v_fmac_f32_e32 v4, v12, v111
	s_delay_alu instid0(VALU_DEP_1)
	v_sub_f32_e32 v3, v3, v4
	scratch_store_b32 off, v3, off offset:172
	v_cmpx_lt_u32_e32 42, v0
	s_cbranch_execz .LBB48_217
; %bb.216:
	scratch_load_b32 v3, off, off offset:168
	scratch_store_b32 off, v2, off offset:168
	s_waitcnt vmcnt(0)
	ds_store_b32 v1, v3
.LBB48_217:
	s_or_b32 exec_lo, exec_lo, s0
	s_waitcnt lgkmcnt(0)
	s_waitcnt_vscnt null, 0x0
	s_barrier
	buffer_gl0_inv
	s_clause 0x1
	scratch_load_b128 v[3:6], off, off offset:168
	scratch_load_b96 v[7:9], off, off offset:184
	ds_load_2addr_b32 v[10:11], v2 offset0:95 offset1:96
	ds_load_2addr_b32 v[111:112], v2 offset0:97 offset1:98
	;; [unrolled: 1-line block ×3, first 2 shown]
	s_mov_b32 s0, exec_lo
	s_waitcnt vmcnt(1) lgkmcnt(2)
	v_fma_f32 v2, v4, v10, 0
	s_delay_alu instid0(VALU_DEP_1) | instskip(SKIP_1) | instid1(VALU_DEP_1)
	v_fmac_f32_e32 v2, v5, v11
	s_waitcnt lgkmcnt(1)
	v_fmac_f32_e32 v2, v6, v111
	s_waitcnt vmcnt(0)
	s_delay_alu instid0(VALU_DEP_1) | instskip(SKIP_1) | instid1(VALU_DEP_1)
	v_fmac_f32_e32 v2, v7, v112
	s_waitcnt lgkmcnt(0)
	v_fmac_f32_e32 v2, v8, v113
	s_delay_alu instid0(VALU_DEP_1) | instskip(NEXT) | instid1(VALU_DEP_1)
	v_fmac_f32_e32 v2, v9, v114
	v_sub_f32_e32 v2, v3, v2
	scratch_store_b32 off, v2, off offset:168
	v_cmpx_lt_u32_e32 41, v0
	s_cbranch_execz .LBB48_219
; %bb.218:
	scratch_load_b32 v2, off, off offset:164
	v_mov_b32_e32 v3, 0
	scratch_store_b32 off, v3, off offset:164
	s_waitcnt vmcnt(0)
	ds_store_b32 v1, v2
.LBB48_219:
	s_or_b32 exec_lo, exec_lo, s0
	s_waitcnt lgkmcnt(0)
	s_waitcnt_vscnt null, 0x0
	s_barrier
	buffer_gl0_inv
	s_clause 0x1
	scratch_load_b128 v[3:6], off, off offset:164
	scratch_load_b128 v[7:10], off, off offset:180
	v_mov_b32_e32 v2, 0
	ds_load_2addr_b64 v[111:114], v2 offset0:47 offset1:48
	ds_load_b64 v[11:12], v2 offset:392
	s_mov_b32 s0, exec_lo
	s_waitcnt vmcnt(1) lgkmcnt(1)
	v_fma_f32 v4, v4, v111, 0
	s_delay_alu instid0(VALU_DEP_1) | instskip(SKIP_3) | instid1(VALU_DEP_1)
	v_fmac_f32_e32 v4, v5, v112
	ds_load_b32 v5, v2 offset:400
	v_fmac_f32_e32 v4, v6, v113
	s_waitcnt vmcnt(0)
	v_fmac_f32_e32 v4, v7, v114
	s_waitcnt lgkmcnt(1)
	s_delay_alu instid0(VALU_DEP_1) | instskip(NEXT) | instid1(VALU_DEP_1)
	v_fmac_f32_e32 v4, v8, v11
	v_fmac_f32_e32 v4, v9, v12
	s_waitcnt lgkmcnt(0)
	s_delay_alu instid0(VALU_DEP_1) | instskip(NEXT) | instid1(VALU_DEP_1)
	v_fmac_f32_e32 v4, v10, v5
	v_sub_f32_e32 v3, v3, v4
	scratch_store_b32 off, v3, off offset:164
	v_cmpx_lt_u32_e32 40, v0
	s_cbranch_execz .LBB48_221
; %bb.220:
	scratch_load_b32 v3, off, off offset:160
	scratch_store_b32 off, v2, off offset:160
	s_waitcnt vmcnt(0)
	ds_store_b32 v1, v3
.LBB48_221:
	s_or_b32 exec_lo, exec_lo, s0
	s_waitcnt lgkmcnt(0)
	s_waitcnt_vscnt null, 0x0
	s_barrier
	buffer_gl0_inv
	s_clause 0x2
	scratch_load_b128 v[3:6], off, off offset:160
	scratch_load_b128 v[7:10], off, off offset:176
	scratch_load_b32 v117, off, off offset:192
	ds_load_2addr_b32 v[11:12], v2 offset0:93 offset1:94
	ds_load_2addr_b32 v[111:112], v2 offset0:95 offset1:96
	;; [unrolled: 1-line block ×4, first 2 shown]
	s_mov_b32 s0, exec_lo
	s_waitcnt vmcnt(2) lgkmcnt(3)
	v_fma_f32 v2, v4, v11, 0
	s_delay_alu instid0(VALU_DEP_1) | instskip(SKIP_1) | instid1(VALU_DEP_1)
	v_fmac_f32_e32 v2, v5, v12
	s_waitcnt lgkmcnt(2)
	v_fmac_f32_e32 v2, v6, v111
	s_waitcnt vmcnt(1)
	s_delay_alu instid0(VALU_DEP_1) | instskip(SKIP_1) | instid1(VALU_DEP_1)
	v_fmac_f32_e32 v2, v7, v112
	s_waitcnt lgkmcnt(1)
	v_fmac_f32_e32 v2, v8, v113
	s_delay_alu instid0(VALU_DEP_1) | instskip(SKIP_1) | instid1(VALU_DEP_1)
	v_fmac_f32_e32 v2, v9, v114
	s_waitcnt lgkmcnt(0)
	v_fmac_f32_e32 v2, v10, v115
	s_waitcnt vmcnt(0)
	s_delay_alu instid0(VALU_DEP_1) | instskip(NEXT) | instid1(VALU_DEP_1)
	v_fmac_f32_e32 v2, v117, v116
	v_sub_f32_e32 v2, v3, v2
	scratch_store_b32 off, v2, off offset:160
	v_cmpx_lt_u32_e32 39, v0
	s_cbranch_execz .LBB48_223
; %bb.222:
	scratch_load_b32 v2, off, off offset:156
	v_mov_b32_e32 v3, 0
	scratch_store_b32 off, v3, off offset:156
	s_waitcnt vmcnt(0)
	ds_store_b32 v1, v2
.LBB48_223:
	s_or_b32 exec_lo, exec_lo, s0
	s_waitcnt lgkmcnt(0)
	s_waitcnt_vscnt null, 0x0
	s_barrier
	buffer_gl0_inv
	s_clause 0x2
	scratch_load_b128 v[3:6], off, off offset:156
	scratch_load_b128 v[7:10], off, off offset:172
	scratch_load_b64 v[11:12], off, off offset:188
	v_mov_b32_e32 v2, 0
	ds_load_b128 v[111:114], v2 offset:368
	ds_load_b128 v[115:118], v2 offset:384
	s_mov_b32 s0, exec_lo
	s_waitcnt vmcnt(2) lgkmcnt(1)
	v_fma_f32 v4, v4, v111, 0
	s_delay_alu instid0(VALU_DEP_1) | instskip(SKIP_3) | instid1(VALU_DEP_1)
	v_fmac_f32_e32 v4, v5, v112
	ds_load_b32 v5, v2 offset:400
	v_fmac_f32_e32 v4, v6, v113
	s_waitcnt vmcnt(1)
	v_fmac_f32_e32 v4, v7, v114
	s_waitcnt lgkmcnt(1)
	s_delay_alu instid0(VALU_DEP_1) | instskip(NEXT) | instid1(VALU_DEP_1)
	v_fmac_f32_e32 v4, v8, v115
	v_fmac_f32_e32 v4, v9, v116
	s_delay_alu instid0(VALU_DEP_1) | instskip(SKIP_1) | instid1(VALU_DEP_1)
	v_fmac_f32_e32 v4, v10, v117
	s_waitcnt vmcnt(0)
	v_fmac_f32_e32 v4, v11, v118
	s_waitcnt lgkmcnt(0)
	s_delay_alu instid0(VALU_DEP_1) | instskip(NEXT) | instid1(VALU_DEP_1)
	v_fmac_f32_e32 v4, v12, v5
	v_sub_f32_e32 v3, v3, v4
	scratch_store_b32 off, v3, off offset:156
	v_cmpx_lt_u32_e32 38, v0
	s_cbranch_execz .LBB48_225
; %bb.224:
	scratch_load_b32 v3, off, off offset:152
	scratch_store_b32 off, v2, off offset:152
	s_waitcnt vmcnt(0)
	ds_store_b32 v1, v3
.LBB48_225:
	s_or_b32 exec_lo, exec_lo, s0
	s_waitcnt lgkmcnt(0)
	s_waitcnt_vscnt null, 0x0
	s_barrier
	buffer_gl0_inv
	s_clause 0x2
	scratch_load_b128 v[3:6], off, off offset:152
	scratch_load_b128 v[7:10], off, off offset:168
	scratch_load_b96 v[111:113], off, off offset:184
	ds_load_2addr_b32 v[11:12], v2 offset0:91 offset1:92
	ds_load_2addr_b32 v[114:115], v2 offset0:93 offset1:94
	;; [unrolled: 1-line block ×4, first 2 shown]
	s_mov_b32 s0, exec_lo
	s_waitcnt vmcnt(2) lgkmcnt(3)
	v_fma_f32 v11, v4, v11, 0
	s_delay_alu instid0(VALU_DEP_1) | instskip(SKIP_4) | instid1(VALU_DEP_1)
	v_fmac_f32_e32 v11, v5, v12
	ds_load_2addr_b32 v[4:5], v2 offset0:99 offset1:100
	s_waitcnt lgkmcnt(3)
	v_fmac_f32_e32 v11, v6, v114
	s_waitcnt vmcnt(1)
	v_fmac_f32_e32 v11, v7, v115
	s_waitcnt lgkmcnt(2)
	s_delay_alu instid0(VALU_DEP_1) | instskip(NEXT) | instid1(VALU_DEP_1)
	v_fmac_f32_e32 v11, v8, v116
	v_fmac_f32_e32 v11, v9, v117
	s_waitcnt lgkmcnt(1)
	s_delay_alu instid0(VALU_DEP_1) | instskip(SKIP_1) | instid1(VALU_DEP_1)
	v_fmac_f32_e32 v11, v10, v118
	s_waitcnt vmcnt(0)
	v_fmac_f32_e32 v11, v111, v119
	s_waitcnt lgkmcnt(0)
	s_delay_alu instid0(VALU_DEP_1) | instskip(NEXT) | instid1(VALU_DEP_1)
	v_fmac_f32_e32 v11, v112, v4
	v_fmac_f32_e32 v11, v113, v5
	s_delay_alu instid0(VALU_DEP_1)
	v_sub_f32_e32 v2, v3, v11
	scratch_store_b32 off, v2, off offset:152
	v_cmpx_lt_u32_e32 37, v0
	s_cbranch_execz .LBB48_227
; %bb.226:
	scratch_load_b32 v2, off, off offset:148
	v_mov_b32_e32 v3, 0
	scratch_store_b32 off, v3, off offset:148
	s_waitcnt vmcnt(0)
	ds_store_b32 v1, v2
.LBB48_227:
	s_or_b32 exec_lo, exec_lo, s0
	s_waitcnt lgkmcnt(0)
	s_waitcnt_vscnt null, 0x0
	s_barrier
	buffer_gl0_inv
	s_clause 0x2
	scratch_load_b128 v[3:6], off, off offset:148
	scratch_load_b128 v[7:10], off, off offset:164
	;; [unrolled: 1-line block ×3, first 2 shown]
	v_mov_b32_e32 v2, 0
	ds_load_2addr_b64 v[115:118], v2 offset0:45 offset1:46
	ds_load_2addr_b64 v[119:122], v2 offset0:47 offset1:48
	s_mov_b32 s0, exec_lo
	s_waitcnt vmcnt(2) lgkmcnt(1)
	v_fma_f32 v11, v4, v115, 0
	s_delay_alu instid0(VALU_DEP_1)
	v_fmac_f32_e32 v11, v5, v116
	ds_load_b64 v[4:5], v2 offset:392
	v_fmac_f32_e32 v11, v6, v117
	ds_load_b32 v6, v2 offset:400
	s_waitcnt vmcnt(1)
	v_fmac_f32_e32 v11, v7, v118
	s_waitcnt lgkmcnt(2)
	s_delay_alu instid0(VALU_DEP_1) | instskip(NEXT) | instid1(VALU_DEP_1)
	v_fmac_f32_e32 v11, v8, v119
	v_fmac_f32_e32 v11, v9, v120
	s_delay_alu instid0(VALU_DEP_1) | instskip(SKIP_1) | instid1(VALU_DEP_1)
	v_fmac_f32_e32 v11, v10, v121
	s_waitcnt vmcnt(0)
	v_fmac_f32_e32 v11, v111, v122
	s_waitcnt lgkmcnt(1)
	s_delay_alu instid0(VALU_DEP_1) | instskip(NEXT) | instid1(VALU_DEP_1)
	v_fmac_f32_e32 v11, v112, v4
	v_fmac_f32_e32 v11, v113, v5
	s_waitcnt lgkmcnt(0)
	s_delay_alu instid0(VALU_DEP_1) | instskip(NEXT) | instid1(VALU_DEP_1)
	v_fmac_f32_e32 v11, v114, v6
	v_sub_f32_e32 v3, v3, v11
	scratch_store_b32 off, v3, off offset:148
	v_cmpx_lt_u32_e32 36, v0
	s_cbranch_execz .LBB48_229
; %bb.228:
	scratch_load_b32 v3, off, off offset:144
	scratch_store_b32 off, v2, off offset:144
	s_waitcnt vmcnt(0)
	ds_store_b32 v1, v3
.LBB48_229:
	s_or_b32 exec_lo, exec_lo, s0
	s_waitcnt lgkmcnt(0)
	s_waitcnt_vscnt null, 0x0
	s_barrier
	buffer_gl0_inv
	s_clause 0x3
	scratch_load_b128 v[3:6], off, off offset:144
	scratch_load_b128 v[7:10], off, off offset:160
	;; [unrolled: 1-line block ×3, first 2 shown]
	scratch_load_b32 v121, off, off offset:192
	ds_load_2addr_b32 v[11:12], v2 offset0:89 offset1:90
	ds_load_2addr_b32 v[115:116], v2 offset0:91 offset1:92
	;; [unrolled: 1-line block ×4, first 2 shown]
	s_mov_b32 s0, exec_lo
	s_waitcnt vmcnt(3) lgkmcnt(3)
	v_fma_f32 v11, v4, v11, 0
	s_delay_alu instid0(VALU_DEP_1) | instskip(SKIP_4) | instid1(VALU_DEP_1)
	v_fmac_f32_e32 v11, v5, v12
	ds_load_2addr_b32 v[4:5], v2 offset0:97 offset1:98
	s_waitcnt lgkmcnt(3)
	v_fmac_f32_e32 v11, v6, v115
	s_waitcnt vmcnt(2)
	v_fmac_f32_e32 v11, v7, v116
	ds_load_2addr_b32 v[6:7], v2 offset0:99 offset1:100
	s_waitcnt lgkmcnt(3)
	v_fmac_f32_e32 v11, v8, v117
	s_delay_alu instid0(VALU_DEP_1) | instskip(SKIP_1) | instid1(VALU_DEP_1)
	v_fmac_f32_e32 v11, v9, v118
	s_waitcnt lgkmcnt(2)
	v_fmac_f32_e32 v11, v10, v119
	s_waitcnt vmcnt(1)
	s_delay_alu instid0(VALU_DEP_1) | instskip(SKIP_1) | instid1(VALU_DEP_1)
	v_fmac_f32_e32 v11, v111, v120
	s_waitcnt lgkmcnt(1)
	v_fmac_f32_e32 v11, v112, v4
	s_delay_alu instid0(VALU_DEP_1) | instskip(SKIP_1) | instid1(VALU_DEP_1)
	v_fmac_f32_e32 v11, v113, v5
	s_waitcnt lgkmcnt(0)
	v_fmac_f32_e32 v11, v114, v6
	s_waitcnt vmcnt(0)
	s_delay_alu instid0(VALU_DEP_1) | instskip(NEXT) | instid1(VALU_DEP_1)
	v_fmac_f32_e32 v11, v121, v7
	v_sub_f32_e32 v2, v3, v11
	scratch_store_b32 off, v2, off offset:144
	v_cmpx_lt_u32_e32 35, v0
	s_cbranch_execz .LBB48_231
; %bb.230:
	scratch_load_b32 v2, off, off offset:140
	v_mov_b32_e32 v3, 0
	scratch_store_b32 off, v3, off offset:140
	s_waitcnt vmcnt(0)
	ds_store_b32 v1, v2
.LBB48_231:
	s_or_b32 exec_lo, exec_lo, s0
	s_waitcnt lgkmcnt(0)
	s_waitcnt_vscnt null, 0x0
	s_barrier
	buffer_gl0_inv
	s_clause 0x3
	scratch_load_b128 v[3:6], off, off offset:140
	scratch_load_b128 v[7:10], off, off offset:156
	;; [unrolled: 1-line block ×3, first 2 shown]
	scratch_load_b64 v[11:12], off, off offset:188
	v_mov_b32_e32 v2, 0
	ds_load_b128 v[115:118], v2 offset:352
	ds_load_b128 v[119:122], v2 offset:368
	s_mov_b32 s0, exec_lo
	s_waitcnt vmcnt(3) lgkmcnt(1)
	v_fma_f32 v115, v4, v115, 0
	s_delay_alu instid0(VALU_DEP_1) | instskip(NEXT) | instid1(VALU_DEP_1)
	v_fmac_f32_e32 v115, v5, v116
	v_fmac_f32_e32 v115, v6, v117
	s_waitcnt vmcnt(2)
	s_delay_alu instid0(VALU_DEP_1)
	v_fmac_f32_e32 v115, v7, v118
	ds_load_b128 v[4:7], v2 offset:384
	s_waitcnt lgkmcnt(1)
	v_fmac_f32_e32 v115, v8, v119
	ds_load_b32 v8, v2 offset:400
	v_fmac_f32_e32 v115, v9, v120
	s_delay_alu instid0(VALU_DEP_1) | instskip(SKIP_1) | instid1(VALU_DEP_1)
	v_fmac_f32_e32 v115, v10, v121
	s_waitcnt vmcnt(1)
	v_fmac_f32_e32 v115, v111, v122
	s_waitcnt lgkmcnt(1)
	s_delay_alu instid0(VALU_DEP_1) | instskip(NEXT) | instid1(VALU_DEP_1)
	v_fmac_f32_e32 v115, v112, v4
	v_fmac_f32_e32 v115, v113, v5
	s_delay_alu instid0(VALU_DEP_1) | instskip(SKIP_1) | instid1(VALU_DEP_1)
	v_fmac_f32_e32 v115, v114, v6
	s_waitcnt vmcnt(0)
	v_fmac_f32_e32 v115, v11, v7
	s_waitcnt lgkmcnt(0)
	s_delay_alu instid0(VALU_DEP_1) | instskip(NEXT) | instid1(VALU_DEP_1)
	v_fmac_f32_e32 v115, v12, v8
	v_sub_f32_e32 v3, v3, v115
	scratch_store_b32 off, v3, off offset:140
	v_cmpx_lt_u32_e32 34, v0
	s_cbranch_execz .LBB48_233
; %bb.232:
	scratch_load_b32 v3, off, off offset:136
	scratch_store_b32 off, v2, off offset:136
	s_waitcnt vmcnt(0)
	ds_store_b32 v1, v3
.LBB48_233:
	s_or_b32 exec_lo, exec_lo, s0
	s_waitcnt lgkmcnt(0)
	s_waitcnt_vscnt null, 0x0
	s_barrier
	buffer_gl0_inv
	s_clause 0x3
	scratch_load_b128 v[3:6], off, off offset:136
	scratch_load_b128 v[7:10], off, off offset:152
	;; [unrolled: 1-line block ×3, first 2 shown]
	scratch_load_b96 v[115:117], off, off offset:184
	ds_load_2addr_b32 v[11:12], v2 offset0:87 offset1:88
	ds_load_2addr_b32 v[118:119], v2 offset0:89 offset1:90
	;; [unrolled: 1-line block ×4, first 2 shown]
	s_mov_b32 s0, exec_lo
	s_waitcnt vmcnt(3) lgkmcnt(3)
	v_fma_f32 v11, v4, v11, 0
	s_delay_alu instid0(VALU_DEP_1) | instskip(SKIP_4) | instid1(VALU_DEP_1)
	v_fmac_f32_e32 v11, v5, v12
	ds_load_2addr_b32 v[4:5], v2 offset0:95 offset1:96
	s_waitcnt lgkmcnt(3)
	v_fmac_f32_e32 v11, v6, v118
	s_waitcnt vmcnt(2)
	v_fmac_f32_e32 v11, v7, v119
	ds_load_2addr_b32 v[6:7], v2 offset0:97 offset1:98
	s_waitcnt lgkmcnt(3)
	v_fmac_f32_e32 v11, v8, v120
	s_delay_alu instid0(VALU_DEP_1) | instskip(SKIP_4) | instid1(VALU_DEP_1)
	v_fmac_f32_e32 v11, v9, v121
	ds_load_2addr_b32 v[8:9], v2 offset0:99 offset1:100
	s_waitcnt lgkmcnt(3)
	v_fmac_f32_e32 v11, v10, v122
	s_waitcnt vmcnt(1)
	v_fmac_f32_e32 v11, v111, v123
	s_waitcnt lgkmcnt(2)
	s_delay_alu instid0(VALU_DEP_1) | instskip(NEXT) | instid1(VALU_DEP_1)
	v_fmac_f32_e32 v11, v112, v4
	v_fmac_f32_e32 v11, v113, v5
	s_waitcnt lgkmcnt(1)
	s_delay_alu instid0(VALU_DEP_1) | instskip(SKIP_1) | instid1(VALU_DEP_1)
	v_fmac_f32_e32 v11, v114, v6
	s_waitcnt vmcnt(0)
	v_fmac_f32_e32 v11, v115, v7
	s_waitcnt lgkmcnt(0)
	s_delay_alu instid0(VALU_DEP_1) | instskip(NEXT) | instid1(VALU_DEP_1)
	v_fmac_f32_e32 v11, v116, v8
	v_fmac_f32_e32 v11, v117, v9
	s_delay_alu instid0(VALU_DEP_1)
	v_sub_f32_e32 v2, v3, v11
	scratch_store_b32 off, v2, off offset:136
	v_cmpx_lt_u32_e32 33, v0
	s_cbranch_execz .LBB48_235
; %bb.234:
	scratch_load_b32 v2, off, off offset:132
	v_mov_b32_e32 v3, 0
	scratch_store_b32 off, v3, off offset:132
	s_waitcnt vmcnt(0)
	ds_store_b32 v1, v2
.LBB48_235:
	s_or_b32 exec_lo, exec_lo, s0
	s_waitcnt lgkmcnt(0)
	s_waitcnt_vscnt null, 0x0
	s_barrier
	buffer_gl0_inv
	s_clause 0x3
	scratch_load_b128 v[3:6], off, off offset:132
	scratch_load_b128 v[7:10], off, off offset:148
	;; [unrolled: 1-line block ×4, first 2 shown]
	v_mov_b32_e32 v2, 0
	ds_load_2addr_b64 v[119:122], v2 offset0:43 offset1:44
	ds_load_2addr_b64 v[123:126], v2 offset0:45 offset1:46
	s_mov_b32 s0, exec_lo
	s_waitcnt vmcnt(3) lgkmcnt(1)
	v_fma_f32 v11, v4, v119, 0
	s_delay_alu instid0(VALU_DEP_1) | instskip(NEXT) | instid1(VALU_DEP_1)
	v_fmac_f32_e32 v11, v5, v120
	v_fmac_f32_e32 v11, v6, v121
	s_waitcnt vmcnt(2)
	s_delay_alu instid0(VALU_DEP_1) | instskip(SKIP_3) | instid1(VALU_DEP_1)
	v_fmac_f32_e32 v11, v7, v122
	ds_load_2addr_b64 v[4:7], v2 offset0:47 offset1:48
	s_waitcnt lgkmcnt(1)
	v_fmac_f32_e32 v11, v8, v123
	v_fmac_f32_e32 v11, v9, v124
	ds_load_b64 v[8:9], v2 offset:392
	v_fmac_f32_e32 v11, v10, v125
	s_waitcnt vmcnt(1)
	s_delay_alu instid0(VALU_DEP_1) | instskip(SKIP_1) | instid1(VALU_DEP_1)
	v_fmac_f32_e32 v11, v111, v126
	s_waitcnt lgkmcnt(1)
	v_fmac_f32_e32 v11, v112, v4
	ds_load_b32 v4, v2 offset:400
	v_fmac_f32_e32 v11, v113, v5
	s_delay_alu instid0(VALU_DEP_1) | instskip(SKIP_1) | instid1(VALU_DEP_1)
	v_fmac_f32_e32 v11, v114, v6
	s_waitcnt vmcnt(0)
	v_fmac_f32_e32 v11, v115, v7
	s_waitcnt lgkmcnt(1)
	s_delay_alu instid0(VALU_DEP_1) | instskip(NEXT) | instid1(VALU_DEP_1)
	v_fmac_f32_e32 v11, v116, v8
	v_fmac_f32_e32 v11, v117, v9
	s_waitcnt lgkmcnt(0)
	s_delay_alu instid0(VALU_DEP_1) | instskip(NEXT) | instid1(VALU_DEP_1)
	v_fmac_f32_e32 v11, v118, v4
	v_sub_f32_e32 v3, v3, v11
	scratch_store_b32 off, v3, off offset:132
	v_cmpx_lt_u32_e32 32, v0
	s_cbranch_execz .LBB48_237
; %bb.236:
	scratch_load_b32 v3, off, off offset:128
	scratch_store_b32 off, v2, off offset:128
	s_waitcnt vmcnt(0)
	ds_store_b32 v1, v3
.LBB48_237:
	s_or_b32 exec_lo, exec_lo, s0
	s_waitcnt lgkmcnt(0)
	s_waitcnt_vscnt null, 0x0
	s_barrier
	buffer_gl0_inv
	s_clause 0x4
	scratch_load_b128 v[3:6], off, off offset:128
	scratch_load_b128 v[7:10], off, off offset:144
	;; [unrolled: 1-line block ×4, first 2 shown]
	scratch_load_b32 v125, off, off offset:192
	ds_load_2addr_b32 v[11:12], v2 offset0:85 offset1:86
	ds_load_2addr_b32 v[119:120], v2 offset0:87 offset1:88
	;; [unrolled: 1-line block ×4, first 2 shown]
	s_mov_b32 s0, exec_lo
	s_waitcnt vmcnt(4) lgkmcnt(3)
	v_fma_f32 v126, v4, v11, 0
	s_delay_alu instid0(VALU_DEP_1) | instskip(SKIP_4) | instid1(VALU_DEP_1)
	v_fmac_f32_e32 v126, v5, v12
	ds_load_2addr_b32 v[4:5], v2 offset0:93 offset1:94
	s_waitcnt lgkmcnt(3)
	v_fmac_f32_e32 v126, v6, v119
	s_waitcnt vmcnt(3)
	v_fmac_f32_e32 v126, v7, v120
	ds_load_2addr_b32 v[6:7], v2 offset0:95 offset1:96
	s_waitcnt lgkmcnt(3)
	v_fmac_f32_e32 v126, v8, v121
	s_delay_alu instid0(VALU_DEP_1) | instskip(SKIP_1) | instid1(VALU_DEP_1)
	v_fmac_f32_e32 v126, v9, v122
	s_waitcnt lgkmcnt(2)
	v_fmac_f32_e32 v126, v10, v123
	ds_load_2addr_b32 v[8:9], v2 offset0:97 offset1:98
	ds_load_2addr_b32 v[10:11], v2 offset0:99 offset1:100
	s_waitcnt vmcnt(2)
	v_fmac_f32_e32 v126, v111, v124
	s_waitcnt lgkmcnt(3)
	s_delay_alu instid0(VALU_DEP_1) | instskip(NEXT) | instid1(VALU_DEP_1)
	v_fmac_f32_e32 v126, v112, v4
	v_fmac_f32_e32 v126, v113, v5
	s_waitcnt lgkmcnt(2)
	s_delay_alu instid0(VALU_DEP_1) | instskip(SKIP_1) | instid1(VALU_DEP_1)
	v_fmac_f32_e32 v126, v114, v6
	s_waitcnt vmcnt(1)
	v_fmac_f32_e32 v126, v115, v7
	s_waitcnt lgkmcnt(1)
	s_delay_alu instid0(VALU_DEP_1) | instskip(NEXT) | instid1(VALU_DEP_1)
	v_fmac_f32_e32 v126, v116, v8
	v_fmac_f32_e32 v126, v117, v9
	s_waitcnt lgkmcnt(0)
	s_delay_alu instid0(VALU_DEP_1) | instskip(SKIP_1) | instid1(VALU_DEP_1)
	v_fmac_f32_e32 v126, v118, v10
	s_waitcnt vmcnt(0)
	v_fmac_f32_e32 v126, v125, v11
	s_delay_alu instid0(VALU_DEP_1)
	v_sub_f32_e32 v2, v3, v126
	scratch_store_b32 off, v2, off offset:128
	v_cmpx_lt_u32_e32 31, v0
	s_cbranch_execz .LBB48_239
; %bb.238:
	scratch_load_b32 v2, off, off offset:124
	v_mov_b32_e32 v3, 0
	scratch_store_b32 off, v3, off offset:124
	s_waitcnt vmcnt(0)
	ds_store_b32 v1, v2
.LBB48_239:
	s_or_b32 exec_lo, exec_lo, s0
	s_waitcnt lgkmcnt(0)
	s_waitcnt_vscnt null, 0x0
	s_barrier
	buffer_gl0_inv
	s_clause 0x4
	scratch_load_b128 v[3:6], off, off offset:124
	scratch_load_b128 v[7:10], off, off offset:140
	;; [unrolled: 1-line block ×4, first 2 shown]
	scratch_load_b64 v[127:128], off, off offset:188
	v_mov_b32_e32 v2, 0
	ds_load_b128 v[119:122], v2 offset:336
	ds_load_b128 v[123:126], v2 offset:352
	s_mov_b32 s0, exec_lo
	s_waitcnt vmcnt(4) lgkmcnt(1)
	v_fma_f32 v12, v4, v119, 0
	s_delay_alu instid0(VALU_DEP_1) | instskip(NEXT) | instid1(VALU_DEP_1)
	v_fmac_f32_e32 v12, v5, v120
	v_fmac_f32_e32 v12, v6, v121
	s_waitcnt vmcnt(3)
	s_delay_alu instid0(VALU_DEP_1) | instskip(SKIP_3) | instid1(VALU_DEP_1)
	v_fmac_f32_e32 v12, v7, v122
	ds_load_b128 v[4:7], v2 offset:368
	s_waitcnt lgkmcnt(1)
	v_fmac_f32_e32 v12, v8, v123
	v_fmac_f32_e32 v12, v9, v124
	s_delay_alu instid0(VALU_DEP_1) | instskip(SKIP_4) | instid1(VALU_DEP_1)
	v_fmac_f32_e32 v12, v10, v125
	ds_load_b128 v[8:11], v2 offset:384
	s_waitcnt vmcnt(2)
	v_fmac_f32_e32 v12, v111, v126
	s_waitcnt lgkmcnt(1)
	v_fmac_f32_e32 v12, v112, v4
	ds_load_b32 v4, v2 offset:400
	v_fmac_f32_e32 v12, v113, v5
	s_delay_alu instid0(VALU_DEP_1) | instskip(SKIP_1) | instid1(VALU_DEP_1)
	v_fmac_f32_e32 v12, v114, v6
	s_waitcnt vmcnt(1)
	v_fmac_f32_e32 v12, v115, v7
	s_waitcnt lgkmcnt(1)
	s_delay_alu instid0(VALU_DEP_1) | instskip(NEXT) | instid1(VALU_DEP_1)
	v_fmac_f32_e32 v12, v116, v8
	v_fmac_f32_e32 v12, v117, v9
	s_delay_alu instid0(VALU_DEP_1) | instskip(SKIP_1) | instid1(VALU_DEP_1)
	v_fmac_f32_e32 v12, v118, v10
	s_waitcnt vmcnt(0)
	v_fmac_f32_e32 v12, v127, v11
	s_waitcnt lgkmcnt(0)
	s_delay_alu instid0(VALU_DEP_1) | instskip(NEXT) | instid1(VALU_DEP_1)
	v_fmac_f32_e32 v12, v128, v4
	v_sub_f32_e32 v3, v3, v12
	scratch_store_b32 off, v3, off offset:124
	v_cmpx_lt_u32_e32 30, v0
	s_cbranch_execz .LBB48_241
; %bb.240:
	scratch_load_b32 v3, off, off offset:120
	scratch_store_b32 off, v2, off offset:120
	s_waitcnt vmcnt(0)
	ds_store_b32 v1, v3
.LBB48_241:
	s_or_b32 exec_lo, exec_lo, s0
	s_waitcnt lgkmcnt(0)
	s_waitcnt_vscnt null, 0x0
	s_barrier
	buffer_gl0_inv
	s_clause 0x4
	scratch_load_b128 v[3:6], off, off offset:120
	scratch_load_b128 v[7:10], off, off offset:136
	;; [unrolled: 1-line block ×4, first 2 shown]
	scratch_load_b96 v[119:121], off, off offset:184
	ds_load_2addr_b32 v[11:12], v2 offset0:83 offset1:84
	ds_load_2addr_b32 v[122:123], v2 offset0:85 offset1:86
	;; [unrolled: 1-line block ×4, first 2 shown]
	s_mov_b32 s0, exec_lo
	s_waitcnt vmcnt(4) lgkmcnt(3)
	v_fma_f32 v128, v4, v11, 0
	s_delay_alu instid0(VALU_DEP_1) | instskip(SKIP_4) | instid1(VALU_DEP_1)
	v_fmac_f32_e32 v128, v5, v12
	ds_load_2addr_b32 v[4:5], v2 offset0:91 offset1:92
	s_waitcnt lgkmcnt(3)
	v_fmac_f32_e32 v128, v6, v122
	s_waitcnt vmcnt(3)
	v_fmac_f32_e32 v128, v7, v123
	ds_load_2addr_b32 v[6:7], v2 offset0:93 offset1:94
	s_waitcnt lgkmcnt(3)
	v_fmac_f32_e32 v128, v8, v124
	s_delay_alu instid0(VALU_DEP_1) | instskip(SKIP_1) | instid1(VALU_DEP_1)
	v_fmac_f32_e32 v128, v9, v125
	s_waitcnt lgkmcnt(2)
	v_fmac_f32_e32 v128, v10, v126
	ds_load_2addr_b32 v[8:9], v2 offset0:95 offset1:96
	ds_load_2addr_b32 v[10:11], v2 offset0:97 offset1:98
	s_waitcnt vmcnt(2)
	v_fmac_f32_e32 v128, v111, v127
	s_waitcnt lgkmcnt(3)
	s_delay_alu instid0(VALU_DEP_1) | instskip(NEXT) | instid1(VALU_DEP_1)
	v_fmac_f32_e32 v128, v112, v4
	v_fmac_f32_e32 v128, v113, v5
	ds_load_2addr_b32 v[4:5], v2 offset0:99 offset1:100
	s_waitcnt lgkmcnt(3)
	v_fmac_f32_e32 v128, v114, v6
	s_waitcnt vmcnt(1)
	s_delay_alu instid0(VALU_DEP_1) | instskip(SKIP_1) | instid1(VALU_DEP_1)
	v_fmac_f32_e32 v128, v115, v7
	s_waitcnt lgkmcnt(2)
	v_fmac_f32_e32 v128, v116, v8
	s_delay_alu instid0(VALU_DEP_1) | instskip(SKIP_1) | instid1(VALU_DEP_1)
	v_fmac_f32_e32 v128, v117, v9
	s_waitcnt lgkmcnt(1)
	v_fmac_f32_e32 v128, v118, v10
	s_waitcnt vmcnt(0)
	s_delay_alu instid0(VALU_DEP_1) | instskip(SKIP_1) | instid1(VALU_DEP_1)
	v_fmac_f32_e32 v128, v119, v11
	s_waitcnt lgkmcnt(0)
	v_fmac_f32_e32 v128, v120, v4
	s_delay_alu instid0(VALU_DEP_1) | instskip(NEXT) | instid1(VALU_DEP_1)
	v_fmac_f32_e32 v128, v121, v5
	v_sub_f32_e32 v2, v3, v128
	scratch_store_b32 off, v2, off offset:120
	v_cmpx_lt_u32_e32 29, v0
	s_cbranch_execz .LBB48_243
; %bb.242:
	scratch_load_b32 v2, off, off offset:116
	v_mov_b32_e32 v3, 0
	scratch_store_b32 off, v3, off offset:116
	s_waitcnt vmcnt(0)
	ds_store_b32 v1, v2
.LBB48_243:
	s_or_b32 exec_lo, exec_lo, s0
	s_waitcnt lgkmcnt(0)
	s_waitcnt_vscnt null, 0x0
	s_barrier
	buffer_gl0_inv
	s_clause 0x4
	scratch_load_b128 v[3:6], off, off offset:116
	scratch_load_b128 v[7:10], off, off offset:132
	;; [unrolled: 1-line block ×5, first 2 shown]
	v_mov_b32_e32 v2, 0
	ds_load_2addr_b64 v[123:126], v2 offset0:41 offset1:42
	ds_load_2addr_b64 v[127:130], v2 offset0:43 offset1:44
	s_mov_b32 s0, exec_lo
	s_waitcnt vmcnt(4) lgkmcnt(1)
	v_fma_f32 v12, v4, v123, 0
	s_delay_alu instid0(VALU_DEP_1) | instskip(NEXT) | instid1(VALU_DEP_1)
	v_fmac_f32_e32 v12, v5, v124
	v_fmac_f32_e32 v12, v6, v125
	s_waitcnt vmcnt(3)
	s_delay_alu instid0(VALU_DEP_1) | instskip(SKIP_3) | instid1(VALU_DEP_1)
	v_fmac_f32_e32 v12, v7, v126
	ds_load_2addr_b64 v[4:7], v2 offset0:45 offset1:46
	s_waitcnt lgkmcnt(1)
	v_fmac_f32_e32 v12, v8, v127
	v_fmac_f32_e32 v12, v9, v128
	s_delay_alu instid0(VALU_DEP_1) | instskip(SKIP_4) | instid1(VALU_DEP_1)
	v_fmac_f32_e32 v12, v10, v129
	ds_load_2addr_b64 v[8:11], v2 offset0:47 offset1:48
	s_waitcnt vmcnt(2)
	v_fmac_f32_e32 v12, v111, v130
	s_waitcnt lgkmcnt(1)
	v_fmac_f32_e32 v12, v112, v4
	s_delay_alu instid0(VALU_DEP_1)
	v_fmac_f32_e32 v12, v113, v5
	ds_load_b64 v[4:5], v2 offset:392
	v_fmac_f32_e32 v12, v114, v6
	ds_load_b32 v6, v2 offset:400
	s_waitcnt vmcnt(1)
	v_fmac_f32_e32 v12, v115, v7
	s_waitcnt lgkmcnt(2)
	s_delay_alu instid0(VALU_DEP_1) | instskip(NEXT) | instid1(VALU_DEP_1)
	v_fmac_f32_e32 v12, v116, v8
	v_fmac_f32_e32 v12, v117, v9
	s_delay_alu instid0(VALU_DEP_1) | instskip(SKIP_1) | instid1(VALU_DEP_1)
	v_fmac_f32_e32 v12, v118, v10
	s_waitcnt vmcnt(0)
	v_fmac_f32_e32 v12, v119, v11
	s_waitcnt lgkmcnt(1)
	s_delay_alu instid0(VALU_DEP_1) | instskip(NEXT) | instid1(VALU_DEP_1)
	v_fmac_f32_e32 v12, v120, v4
	v_fmac_f32_e32 v12, v121, v5
	s_waitcnt lgkmcnt(0)
	s_delay_alu instid0(VALU_DEP_1) | instskip(NEXT) | instid1(VALU_DEP_1)
	v_fmac_f32_e32 v12, v122, v6
	v_sub_f32_e32 v3, v3, v12
	scratch_store_b32 off, v3, off offset:116
	v_cmpx_lt_u32_e32 28, v0
	s_cbranch_execz .LBB48_245
; %bb.244:
	scratch_load_b32 v3, off, off offset:112
	scratch_store_b32 off, v2, off offset:112
	s_waitcnt vmcnt(0)
	ds_store_b32 v1, v3
.LBB48_245:
	s_or_b32 exec_lo, exec_lo, s0
	s_waitcnt lgkmcnt(0)
	s_waitcnt_vscnt null, 0x0
	s_barrier
	buffer_gl0_inv
	s_clause 0x5
	scratch_load_b128 v[3:6], off, off offset:112
	scratch_load_b128 v[7:10], off, off offset:128
	scratch_load_b128 v[111:114], off, off offset:144
	scratch_load_b128 v[115:118], off, off offset:160
	scratch_load_b128 v[119:122], off, off offset:176
	scratch_load_b32 v129, off, off offset:192
	ds_load_2addr_b32 v[11:12], v2 offset0:81 offset1:82
	ds_load_2addr_b32 v[123:124], v2 offset0:83 offset1:84
	;; [unrolled: 1-line block ×4, first 2 shown]
	s_mov_b32 s0, exec_lo
	s_waitcnt vmcnt(5) lgkmcnt(3)
	v_fma_f32 v130, v4, v11, 0
	s_delay_alu instid0(VALU_DEP_1) | instskip(SKIP_4) | instid1(VALU_DEP_1)
	v_fmac_f32_e32 v130, v5, v12
	ds_load_2addr_b32 v[4:5], v2 offset0:89 offset1:90
	s_waitcnt lgkmcnt(3)
	v_fmac_f32_e32 v130, v6, v123
	s_waitcnt vmcnt(4)
	v_fmac_f32_e32 v130, v7, v124
	ds_load_2addr_b32 v[6:7], v2 offset0:91 offset1:92
	s_waitcnt lgkmcnt(3)
	v_fmac_f32_e32 v130, v8, v125
	s_delay_alu instid0(VALU_DEP_1) | instskip(SKIP_1) | instid1(VALU_DEP_1)
	v_fmac_f32_e32 v130, v9, v126
	s_waitcnt lgkmcnt(2)
	v_fmac_f32_e32 v130, v10, v127
	ds_load_2addr_b32 v[8:9], v2 offset0:93 offset1:94
	ds_load_2addr_b32 v[10:11], v2 offset0:95 offset1:96
	s_waitcnt vmcnt(3)
	v_fmac_f32_e32 v130, v111, v128
	s_waitcnt lgkmcnt(3)
	s_delay_alu instid0(VALU_DEP_1) | instskip(NEXT) | instid1(VALU_DEP_1)
	v_fmac_f32_e32 v130, v112, v4
	v_fmac_f32_e32 v130, v113, v5
	ds_load_2addr_b32 v[4:5], v2 offset0:97 offset1:98
	s_waitcnt lgkmcnt(3)
	v_fmac_f32_e32 v130, v114, v6
	s_waitcnt vmcnt(2)
	s_delay_alu instid0(VALU_DEP_1) | instskip(SKIP_3) | instid1(VALU_DEP_1)
	v_fmac_f32_e32 v130, v115, v7
	ds_load_2addr_b32 v[6:7], v2 offset0:99 offset1:100
	s_waitcnt lgkmcnt(3)
	v_fmac_f32_e32 v130, v116, v8
	v_fmac_f32_e32 v130, v117, v9
	s_waitcnt lgkmcnt(2)
	s_delay_alu instid0(VALU_DEP_1) | instskip(SKIP_1) | instid1(VALU_DEP_1)
	v_fmac_f32_e32 v130, v118, v10
	s_waitcnt vmcnt(1)
	v_fmac_f32_e32 v130, v119, v11
	s_waitcnt lgkmcnt(1)
	s_delay_alu instid0(VALU_DEP_1) | instskip(NEXT) | instid1(VALU_DEP_1)
	v_fmac_f32_e32 v130, v120, v4
	v_fmac_f32_e32 v130, v121, v5
	s_waitcnt lgkmcnt(0)
	s_delay_alu instid0(VALU_DEP_1) | instskip(SKIP_1) | instid1(VALU_DEP_1)
	v_fmac_f32_e32 v130, v122, v6
	s_waitcnt vmcnt(0)
	v_fmac_f32_e32 v130, v129, v7
	s_delay_alu instid0(VALU_DEP_1)
	v_sub_f32_e32 v2, v3, v130
	scratch_store_b32 off, v2, off offset:112
	v_cmpx_lt_u32_e32 27, v0
	s_cbranch_execz .LBB48_247
; %bb.246:
	scratch_load_b32 v2, off, off offset:108
	v_mov_b32_e32 v3, 0
	scratch_store_b32 off, v3, off offset:108
	s_waitcnt vmcnt(0)
	ds_store_b32 v1, v2
.LBB48_247:
	s_or_b32 exec_lo, exec_lo, s0
	s_waitcnt lgkmcnt(0)
	s_waitcnt_vscnt null, 0x0
	s_barrier
	buffer_gl0_inv
	s_clause 0x5
	scratch_load_b128 v[3:6], off, off offset:108
	scratch_load_b128 v[7:10], off, off offset:124
	;; [unrolled: 1-line block ×5, first 2 shown]
	scratch_load_b64 v[131:132], off, off offset:188
	v_mov_b32_e32 v2, 0
	ds_load_b128 v[123:126], v2 offset:320
	ds_load_b128 v[127:130], v2 offset:336
	s_mov_b32 s0, exec_lo
	s_waitcnt vmcnt(5) lgkmcnt(1)
	v_fma_f32 v12, v4, v123, 0
	s_delay_alu instid0(VALU_DEP_1) | instskip(NEXT) | instid1(VALU_DEP_1)
	v_fmac_f32_e32 v12, v5, v124
	v_fmac_f32_e32 v12, v6, v125
	s_waitcnt vmcnt(4)
	s_delay_alu instid0(VALU_DEP_1) | instskip(SKIP_3) | instid1(VALU_DEP_1)
	v_fmac_f32_e32 v12, v7, v126
	ds_load_b128 v[4:7], v2 offset:352
	s_waitcnt lgkmcnt(1)
	v_fmac_f32_e32 v12, v8, v127
	v_fmac_f32_e32 v12, v9, v128
	s_delay_alu instid0(VALU_DEP_1) | instskip(SKIP_4) | instid1(VALU_DEP_1)
	v_fmac_f32_e32 v12, v10, v129
	ds_load_b128 v[8:11], v2 offset:368
	s_waitcnt vmcnt(3)
	v_fmac_f32_e32 v12, v111, v130
	s_waitcnt lgkmcnt(1)
	v_fmac_f32_e32 v12, v112, v4
	s_delay_alu instid0(VALU_DEP_1) | instskip(NEXT) | instid1(VALU_DEP_1)
	v_fmac_f32_e32 v12, v113, v5
	v_fmac_f32_e32 v12, v114, v6
	s_waitcnt vmcnt(2)
	s_delay_alu instid0(VALU_DEP_1)
	v_fmac_f32_e32 v12, v115, v7
	ds_load_b128 v[4:7], v2 offset:384
	s_waitcnt lgkmcnt(1)
	v_fmac_f32_e32 v12, v116, v8
	ds_load_b32 v8, v2 offset:400
	v_fmac_f32_e32 v12, v117, v9
	s_delay_alu instid0(VALU_DEP_1) | instskip(SKIP_1) | instid1(VALU_DEP_1)
	v_fmac_f32_e32 v12, v118, v10
	s_waitcnt vmcnt(1)
	v_fmac_f32_e32 v12, v119, v11
	s_waitcnt lgkmcnt(1)
	s_delay_alu instid0(VALU_DEP_1) | instskip(NEXT) | instid1(VALU_DEP_1)
	v_fmac_f32_e32 v12, v120, v4
	v_fmac_f32_e32 v12, v121, v5
	s_delay_alu instid0(VALU_DEP_1) | instskip(SKIP_1) | instid1(VALU_DEP_1)
	v_fmac_f32_e32 v12, v122, v6
	s_waitcnt vmcnt(0)
	v_fmac_f32_e32 v12, v131, v7
	s_waitcnt lgkmcnt(0)
	s_delay_alu instid0(VALU_DEP_1) | instskip(NEXT) | instid1(VALU_DEP_1)
	v_fmac_f32_e32 v12, v132, v8
	v_sub_f32_e32 v3, v3, v12
	scratch_store_b32 off, v3, off offset:108
	v_cmpx_lt_u32_e32 26, v0
	s_cbranch_execz .LBB48_249
; %bb.248:
	scratch_load_b32 v3, off, off offset:104
	scratch_store_b32 off, v2, off offset:104
	s_waitcnt vmcnt(0)
	ds_store_b32 v1, v3
.LBB48_249:
	s_or_b32 exec_lo, exec_lo, s0
	s_waitcnt lgkmcnt(0)
	s_waitcnt_vscnt null, 0x0
	s_barrier
	buffer_gl0_inv
	s_clause 0x5
	scratch_load_b128 v[3:6], off, off offset:104
	scratch_load_b128 v[7:10], off, off offset:120
	;; [unrolled: 1-line block ×5, first 2 shown]
	scratch_load_b96 v[123:125], off, off offset:184
	ds_load_2addr_b32 v[11:12], v2 offset0:79 offset1:80
	ds_load_2addr_b32 v[126:127], v2 offset0:81 offset1:82
	;; [unrolled: 1-line block ×4, first 2 shown]
	s_mov_b32 s0, exec_lo
	s_waitcnt vmcnt(5) lgkmcnt(3)
	v_fma_f32 v132, v4, v11, 0
	s_delay_alu instid0(VALU_DEP_1) | instskip(SKIP_4) | instid1(VALU_DEP_1)
	v_fmac_f32_e32 v132, v5, v12
	ds_load_2addr_b32 v[4:5], v2 offset0:87 offset1:88
	s_waitcnt lgkmcnt(3)
	v_fmac_f32_e32 v132, v6, v126
	s_waitcnt vmcnt(4)
	v_fmac_f32_e32 v132, v7, v127
	ds_load_2addr_b32 v[6:7], v2 offset0:89 offset1:90
	s_waitcnt lgkmcnt(3)
	v_fmac_f32_e32 v132, v8, v128
	s_delay_alu instid0(VALU_DEP_1) | instskip(SKIP_1) | instid1(VALU_DEP_1)
	v_fmac_f32_e32 v132, v9, v129
	s_waitcnt lgkmcnt(2)
	v_fmac_f32_e32 v132, v10, v130
	ds_load_2addr_b32 v[8:9], v2 offset0:91 offset1:92
	ds_load_2addr_b32 v[10:11], v2 offset0:93 offset1:94
	s_waitcnt vmcnt(3)
	v_fmac_f32_e32 v132, v111, v131
	s_waitcnt lgkmcnt(3)
	s_delay_alu instid0(VALU_DEP_1) | instskip(NEXT) | instid1(VALU_DEP_1)
	v_fmac_f32_e32 v132, v112, v4
	v_fmac_f32_e32 v132, v113, v5
	ds_load_2addr_b32 v[4:5], v2 offset0:95 offset1:96
	s_waitcnt lgkmcnt(3)
	v_fmac_f32_e32 v132, v114, v6
	s_waitcnt vmcnt(2)
	s_delay_alu instid0(VALU_DEP_1) | instskip(SKIP_3) | instid1(VALU_DEP_1)
	v_fmac_f32_e32 v132, v115, v7
	ds_load_2addr_b32 v[6:7], v2 offset0:97 offset1:98
	s_waitcnt lgkmcnt(3)
	v_fmac_f32_e32 v132, v116, v8
	v_fmac_f32_e32 v132, v117, v9
	ds_load_2addr_b32 v[8:9], v2 offset0:99 offset1:100
	s_waitcnt lgkmcnt(3)
	v_fmac_f32_e32 v132, v118, v10
	s_waitcnt vmcnt(1)
	s_delay_alu instid0(VALU_DEP_1) | instskip(SKIP_1) | instid1(VALU_DEP_1)
	v_fmac_f32_e32 v132, v119, v11
	s_waitcnt lgkmcnt(2)
	v_fmac_f32_e32 v132, v120, v4
	s_delay_alu instid0(VALU_DEP_1) | instskip(SKIP_1) | instid1(VALU_DEP_1)
	v_fmac_f32_e32 v132, v121, v5
	s_waitcnt lgkmcnt(1)
	v_fmac_f32_e32 v132, v122, v6
	s_waitcnt vmcnt(0)
	s_delay_alu instid0(VALU_DEP_1) | instskip(SKIP_1) | instid1(VALU_DEP_1)
	v_fmac_f32_e32 v132, v123, v7
	s_waitcnt lgkmcnt(0)
	v_fmac_f32_e32 v132, v124, v8
	s_delay_alu instid0(VALU_DEP_1) | instskip(NEXT) | instid1(VALU_DEP_1)
	v_fmac_f32_e32 v132, v125, v9
	v_sub_f32_e32 v2, v3, v132
	scratch_store_b32 off, v2, off offset:104
	v_cmpx_lt_u32_e32 25, v0
	s_cbranch_execz .LBB48_251
; %bb.250:
	scratch_load_b32 v2, off, off offset:100
	v_mov_b32_e32 v3, 0
	scratch_store_b32 off, v3, off offset:100
	s_waitcnt vmcnt(0)
	ds_store_b32 v1, v2
.LBB48_251:
	s_or_b32 exec_lo, exec_lo, s0
	s_waitcnt lgkmcnt(0)
	s_waitcnt_vscnt null, 0x0
	s_barrier
	buffer_gl0_inv
	s_clause 0x5
	scratch_load_b128 v[3:6], off, off offset:100
	scratch_load_b128 v[7:10], off, off offset:116
	;; [unrolled: 1-line block ×6, first 2 shown]
	v_mov_b32_e32 v2, 0
	ds_load_2addr_b64 v[127:130], v2 offset0:39 offset1:40
	ds_load_2addr_b64 v[131:134], v2 offset0:41 offset1:42
	s_mov_b32 s0, exec_lo
	s_waitcnt vmcnt(5) lgkmcnt(1)
	v_fma_f32 v12, v4, v127, 0
	s_delay_alu instid0(VALU_DEP_1) | instskip(NEXT) | instid1(VALU_DEP_1)
	v_fmac_f32_e32 v12, v5, v128
	v_fmac_f32_e32 v12, v6, v129
	s_waitcnt vmcnt(4)
	s_delay_alu instid0(VALU_DEP_1) | instskip(SKIP_3) | instid1(VALU_DEP_1)
	v_fmac_f32_e32 v12, v7, v130
	ds_load_2addr_b64 v[4:7], v2 offset0:43 offset1:44
	s_waitcnt lgkmcnt(1)
	v_fmac_f32_e32 v12, v8, v131
	v_fmac_f32_e32 v12, v9, v132
	s_delay_alu instid0(VALU_DEP_1) | instskip(SKIP_4) | instid1(VALU_DEP_1)
	v_fmac_f32_e32 v12, v10, v133
	ds_load_2addr_b64 v[8:11], v2 offset0:45 offset1:46
	s_waitcnt vmcnt(3)
	v_fmac_f32_e32 v12, v111, v134
	s_waitcnt lgkmcnt(1)
	v_fmac_f32_e32 v12, v112, v4
	s_delay_alu instid0(VALU_DEP_1) | instskip(NEXT) | instid1(VALU_DEP_1)
	v_fmac_f32_e32 v12, v113, v5
	v_fmac_f32_e32 v12, v114, v6
	s_waitcnt vmcnt(2)
	s_delay_alu instid0(VALU_DEP_1) | instskip(SKIP_3) | instid1(VALU_DEP_1)
	v_fmac_f32_e32 v12, v115, v7
	ds_load_2addr_b64 v[4:7], v2 offset0:47 offset1:48
	s_waitcnt lgkmcnt(1)
	v_fmac_f32_e32 v12, v116, v8
	v_fmac_f32_e32 v12, v117, v9
	ds_load_b64 v[8:9], v2 offset:392
	v_fmac_f32_e32 v12, v118, v10
	s_waitcnt vmcnt(1)
	s_delay_alu instid0(VALU_DEP_1) | instskip(SKIP_1) | instid1(VALU_DEP_1)
	v_fmac_f32_e32 v12, v119, v11
	s_waitcnt lgkmcnt(1)
	v_fmac_f32_e32 v12, v120, v4
	ds_load_b32 v4, v2 offset:400
	v_fmac_f32_e32 v12, v121, v5
	s_delay_alu instid0(VALU_DEP_1) | instskip(SKIP_1) | instid1(VALU_DEP_1)
	v_fmac_f32_e32 v12, v122, v6
	s_waitcnt vmcnt(0)
	v_fmac_f32_e32 v12, v123, v7
	s_waitcnt lgkmcnt(1)
	s_delay_alu instid0(VALU_DEP_1) | instskip(NEXT) | instid1(VALU_DEP_1)
	v_fmac_f32_e32 v12, v124, v8
	v_fmac_f32_e32 v12, v125, v9
	s_waitcnt lgkmcnt(0)
	s_delay_alu instid0(VALU_DEP_1) | instskip(NEXT) | instid1(VALU_DEP_1)
	v_fmac_f32_e32 v12, v126, v4
	v_sub_f32_e32 v3, v3, v12
	scratch_store_b32 off, v3, off offset:100
	v_cmpx_lt_u32_e32 24, v0
	s_cbranch_execz .LBB48_253
; %bb.252:
	scratch_load_b32 v3, off, off offset:96
	scratch_store_b32 off, v2, off offset:96
	s_waitcnt vmcnt(0)
	ds_store_b32 v1, v3
.LBB48_253:
	s_or_b32 exec_lo, exec_lo, s0
	s_waitcnt lgkmcnt(0)
	s_waitcnt_vscnt null, 0x0
	s_barrier
	buffer_gl0_inv
	s_clause 0x6
	scratch_load_b128 v[3:6], off, off offset:96
	scratch_load_b128 v[7:10], off, off offset:112
	;; [unrolled: 1-line block ×6, first 2 shown]
	scratch_load_b32 v133, off, off offset:192
	ds_load_2addr_b32 v[11:12], v2 offset0:77 offset1:78
	ds_load_2addr_b32 v[127:128], v2 offset0:79 offset1:80
	;; [unrolled: 1-line block ×4, first 2 shown]
	s_mov_b32 s0, exec_lo
	s_waitcnt vmcnt(6) lgkmcnt(3)
	v_fma_f32 v134, v4, v11, 0
	s_delay_alu instid0(VALU_DEP_1) | instskip(SKIP_4) | instid1(VALU_DEP_1)
	v_fmac_f32_e32 v134, v5, v12
	ds_load_2addr_b32 v[4:5], v2 offset0:85 offset1:86
	s_waitcnt lgkmcnt(3)
	v_fmac_f32_e32 v134, v6, v127
	s_waitcnt vmcnt(5)
	v_fmac_f32_e32 v134, v7, v128
	ds_load_2addr_b32 v[6:7], v2 offset0:87 offset1:88
	s_waitcnt lgkmcnt(3)
	v_fmac_f32_e32 v134, v8, v129
	s_delay_alu instid0(VALU_DEP_1) | instskip(SKIP_1) | instid1(VALU_DEP_1)
	v_fmac_f32_e32 v134, v9, v130
	s_waitcnt lgkmcnt(2)
	v_fmac_f32_e32 v134, v10, v131
	ds_load_2addr_b32 v[8:9], v2 offset0:89 offset1:90
	ds_load_2addr_b32 v[10:11], v2 offset0:91 offset1:92
	s_waitcnt vmcnt(4)
	v_fmac_f32_e32 v134, v111, v132
	s_waitcnt lgkmcnt(3)
	s_delay_alu instid0(VALU_DEP_1) | instskip(NEXT) | instid1(VALU_DEP_1)
	v_fmac_f32_e32 v134, v112, v4
	v_fmac_f32_e32 v134, v113, v5
	ds_load_2addr_b32 v[4:5], v2 offset0:93 offset1:94
	s_waitcnt lgkmcnt(3)
	v_fmac_f32_e32 v134, v114, v6
	s_waitcnt vmcnt(3)
	s_delay_alu instid0(VALU_DEP_1) | instskip(SKIP_3) | instid1(VALU_DEP_1)
	v_fmac_f32_e32 v134, v115, v7
	ds_load_2addr_b32 v[6:7], v2 offset0:95 offset1:96
	s_waitcnt lgkmcnt(3)
	v_fmac_f32_e32 v134, v116, v8
	v_fmac_f32_e32 v134, v117, v9
	s_waitcnt lgkmcnt(2)
	s_delay_alu instid0(VALU_DEP_1) | instskip(SKIP_1) | instid1(VALU_DEP_1)
	v_fmac_f32_e32 v134, v118, v10
	s_waitcnt vmcnt(2)
	v_fmac_f32_e32 v134, v119, v11
	ds_load_2addr_b32 v[8:9], v2 offset0:97 offset1:98
	ds_load_2addr_b32 v[10:11], v2 offset0:99 offset1:100
	s_waitcnt lgkmcnt(3)
	v_fmac_f32_e32 v134, v120, v4
	s_delay_alu instid0(VALU_DEP_1) | instskip(SKIP_1) | instid1(VALU_DEP_1)
	v_fmac_f32_e32 v134, v121, v5
	s_waitcnt lgkmcnt(2)
	v_fmac_f32_e32 v134, v122, v6
	s_waitcnt vmcnt(1)
	s_delay_alu instid0(VALU_DEP_1) | instskip(SKIP_1) | instid1(VALU_DEP_1)
	v_fmac_f32_e32 v134, v123, v7
	s_waitcnt lgkmcnt(1)
	v_fmac_f32_e32 v134, v124, v8
	s_delay_alu instid0(VALU_DEP_1) | instskip(SKIP_1) | instid1(VALU_DEP_1)
	v_fmac_f32_e32 v134, v125, v9
	s_waitcnt lgkmcnt(0)
	v_fmac_f32_e32 v134, v126, v10
	s_waitcnt vmcnt(0)
	s_delay_alu instid0(VALU_DEP_1) | instskip(NEXT) | instid1(VALU_DEP_1)
	v_fmac_f32_e32 v134, v133, v11
	v_sub_f32_e32 v2, v3, v134
	scratch_store_b32 off, v2, off offset:96
	v_cmpx_lt_u32_e32 23, v0
	s_cbranch_execz .LBB48_255
; %bb.254:
	scratch_load_b32 v2, off, off offset:92
	v_mov_b32_e32 v3, 0
	scratch_store_b32 off, v3, off offset:92
	s_waitcnt vmcnt(0)
	ds_store_b32 v1, v2
.LBB48_255:
	s_or_b32 exec_lo, exec_lo, s0
	s_waitcnt lgkmcnt(0)
	s_waitcnt_vscnt null, 0x0
	s_barrier
	buffer_gl0_inv
	s_clause 0x6
	scratch_load_b128 v[3:6], off, off offset:92
	scratch_load_b128 v[7:10], off, off offset:108
	scratch_load_b128 v[111:114], off, off offset:124
	scratch_load_b128 v[115:118], off, off offset:140
	scratch_load_b128 v[119:122], off, off offset:156
	scratch_load_b128 v[123:126], off, off offset:172
	scratch_load_b64 v[135:136], off, off offset:188
	v_mov_b32_e32 v2, 0
	ds_load_b128 v[127:130], v2 offset:304
	ds_load_b128 v[131:134], v2 offset:320
	s_mov_b32 s0, exec_lo
	s_waitcnt vmcnt(6) lgkmcnt(1)
	v_fma_f32 v12, v4, v127, 0
	s_delay_alu instid0(VALU_DEP_1) | instskip(NEXT) | instid1(VALU_DEP_1)
	v_fmac_f32_e32 v12, v5, v128
	v_fmac_f32_e32 v12, v6, v129
	s_waitcnt vmcnt(5)
	s_delay_alu instid0(VALU_DEP_1) | instskip(SKIP_3) | instid1(VALU_DEP_1)
	v_fmac_f32_e32 v12, v7, v130
	ds_load_b128 v[4:7], v2 offset:336
	s_waitcnt lgkmcnt(1)
	v_fmac_f32_e32 v12, v8, v131
	v_fmac_f32_e32 v12, v9, v132
	s_delay_alu instid0(VALU_DEP_1) | instskip(SKIP_4) | instid1(VALU_DEP_1)
	v_fmac_f32_e32 v12, v10, v133
	ds_load_b128 v[8:11], v2 offset:352
	s_waitcnt vmcnt(4)
	v_fmac_f32_e32 v12, v111, v134
	s_waitcnt lgkmcnt(1)
	v_fmac_f32_e32 v12, v112, v4
	s_delay_alu instid0(VALU_DEP_1) | instskip(NEXT) | instid1(VALU_DEP_1)
	v_fmac_f32_e32 v12, v113, v5
	v_fmac_f32_e32 v12, v114, v6
	s_waitcnt vmcnt(3)
	s_delay_alu instid0(VALU_DEP_1) | instskip(SKIP_3) | instid1(VALU_DEP_1)
	v_fmac_f32_e32 v12, v115, v7
	ds_load_b128 v[4:7], v2 offset:368
	s_waitcnt lgkmcnt(1)
	v_fmac_f32_e32 v12, v116, v8
	v_fmac_f32_e32 v12, v117, v9
	s_delay_alu instid0(VALU_DEP_1) | instskip(SKIP_1) | instid1(VALU_DEP_1)
	v_fmac_f32_e32 v12, v118, v10
	s_waitcnt vmcnt(2)
	v_fmac_f32_e32 v12, v119, v11
	ds_load_b128 v[8:11], v2 offset:384
	s_waitcnt lgkmcnt(1)
	v_fmac_f32_e32 v12, v120, v4
	ds_load_b32 v4, v2 offset:400
	v_fmac_f32_e32 v12, v121, v5
	s_delay_alu instid0(VALU_DEP_1) | instskip(SKIP_1) | instid1(VALU_DEP_1)
	v_fmac_f32_e32 v12, v122, v6
	s_waitcnt vmcnt(1)
	v_fmac_f32_e32 v12, v123, v7
	s_waitcnt lgkmcnt(1)
	s_delay_alu instid0(VALU_DEP_1) | instskip(NEXT) | instid1(VALU_DEP_1)
	v_fmac_f32_e32 v12, v124, v8
	v_fmac_f32_e32 v12, v125, v9
	s_delay_alu instid0(VALU_DEP_1) | instskip(SKIP_1) | instid1(VALU_DEP_1)
	v_fmac_f32_e32 v12, v126, v10
	s_waitcnt vmcnt(0)
	v_fmac_f32_e32 v12, v135, v11
	s_waitcnt lgkmcnt(0)
	s_delay_alu instid0(VALU_DEP_1) | instskip(NEXT) | instid1(VALU_DEP_1)
	v_fmac_f32_e32 v12, v136, v4
	v_sub_f32_e32 v3, v3, v12
	scratch_store_b32 off, v3, off offset:92
	v_cmpx_lt_u32_e32 22, v0
	s_cbranch_execz .LBB48_257
; %bb.256:
	scratch_load_b32 v3, off, off offset:88
	scratch_store_b32 off, v2, off offset:88
	s_waitcnt vmcnt(0)
	ds_store_b32 v1, v3
.LBB48_257:
	s_or_b32 exec_lo, exec_lo, s0
	s_waitcnt lgkmcnt(0)
	s_waitcnt_vscnt null, 0x0
	s_barrier
	buffer_gl0_inv
	s_clause 0x6
	scratch_load_b128 v[3:6], off, off offset:88
	scratch_load_b128 v[7:10], off, off offset:104
	;; [unrolled: 1-line block ×6, first 2 shown]
	scratch_load_b96 v[127:129], off, off offset:184
	ds_load_2addr_b32 v[11:12], v2 offset0:75 offset1:76
	ds_load_2addr_b32 v[130:131], v2 offset0:77 offset1:78
	;; [unrolled: 1-line block ×4, first 2 shown]
	s_mov_b32 s0, exec_lo
	s_waitcnt vmcnt(6) lgkmcnt(3)
	v_fma_f32 v136, v4, v11, 0
	s_delay_alu instid0(VALU_DEP_1) | instskip(SKIP_4) | instid1(VALU_DEP_1)
	v_fmac_f32_e32 v136, v5, v12
	ds_load_2addr_b32 v[4:5], v2 offset0:83 offset1:84
	s_waitcnt lgkmcnt(3)
	v_fmac_f32_e32 v136, v6, v130
	s_waitcnt vmcnt(5)
	v_fmac_f32_e32 v136, v7, v131
	ds_load_2addr_b32 v[6:7], v2 offset0:85 offset1:86
	s_waitcnt lgkmcnt(3)
	v_fmac_f32_e32 v136, v8, v132
	s_delay_alu instid0(VALU_DEP_1) | instskip(SKIP_1) | instid1(VALU_DEP_1)
	v_fmac_f32_e32 v136, v9, v133
	s_waitcnt lgkmcnt(2)
	v_fmac_f32_e32 v136, v10, v134
	ds_load_2addr_b32 v[8:9], v2 offset0:87 offset1:88
	ds_load_2addr_b32 v[10:11], v2 offset0:89 offset1:90
	s_waitcnt vmcnt(4)
	v_fmac_f32_e32 v136, v111, v135
	s_waitcnt lgkmcnt(3)
	s_delay_alu instid0(VALU_DEP_1) | instskip(NEXT) | instid1(VALU_DEP_1)
	v_fmac_f32_e32 v136, v112, v4
	v_fmac_f32_e32 v136, v113, v5
	ds_load_2addr_b32 v[4:5], v2 offset0:91 offset1:92
	s_waitcnt lgkmcnt(3)
	v_fmac_f32_e32 v136, v114, v6
	s_waitcnt vmcnt(3)
	s_delay_alu instid0(VALU_DEP_1) | instskip(SKIP_3) | instid1(VALU_DEP_1)
	v_fmac_f32_e32 v136, v115, v7
	ds_load_2addr_b32 v[6:7], v2 offset0:93 offset1:94
	s_waitcnt lgkmcnt(3)
	v_fmac_f32_e32 v136, v116, v8
	v_fmac_f32_e32 v136, v117, v9
	s_waitcnt lgkmcnt(2)
	s_delay_alu instid0(VALU_DEP_1) | instskip(SKIP_1) | instid1(VALU_DEP_1)
	v_fmac_f32_e32 v136, v118, v10
	s_waitcnt vmcnt(2)
	v_fmac_f32_e32 v136, v119, v11
	ds_load_2addr_b32 v[8:9], v2 offset0:95 offset1:96
	ds_load_2addr_b32 v[10:11], v2 offset0:97 offset1:98
	s_waitcnt lgkmcnt(3)
	v_fmac_f32_e32 v136, v120, v4
	s_delay_alu instid0(VALU_DEP_1) | instskip(SKIP_4) | instid1(VALU_DEP_1)
	v_fmac_f32_e32 v136, v121, v5
	ds_load_2addr_b32 v[4:5], v2 offset0:99 offset1:100
	s_waitcnt lgkmcnt(3)
	v_fmac_f32_e32 v136, v122, v6
	s_waitcnt vmcnt(1)
	v_fmac_f32_e32 v136, v123, v7
	s_waitcnt lgkmcnt(2)
	s_delay_alu instid0(VALU_DEP_1) | instskip(NEXT) | instid1(VALU_DEP_1)
	v_fmac_f32_e32 v136, v124, v8
	v_fmac_f32_e32 v136, v125, v9
	s_waitcnt lgkmcnt(1)
	s_delay_alu instid0(VALU_DEP_1) | instskip(SKIP_1) | instid1(VALU_DEP_1)
	v_fmac_f32_e32 v136, v126, v10
	s_waitcnt vmcnt(0)
	v_fmac_f32_e32 v136, v127, v11
	s_waitcnt lgkmcnt(0)
	s_delay_alu instid0(VALU_DEP_1) | instskip(NEXT) | instid1(VALU_DEP_1)
	v_fmac_f32_e32 v136, v128, v4
	v_fmac_f32_e32 v136, v129, v5
	s_delay_alu instid0(VALU_DEP_1)
	v_sub_f32_e32 v2, v3, v136
	scratch_store_b32 off, v2, off offset:88
	v_cmpx_lt_u32_e32 21, v0
	s_cbranch_execz .LBB48_259
; %bb.258:
	scratch_load_b32 v2, off, off offset:84
	v_mov_b32_e32 v3, 0
	scratch_store_b32 off, v3, off offset:84
	s_waitcnt vmcnt(0)
	ds_store_b32 v1, v2
.LBB48_259:
	s_or_b32 exec_lo, exec_lo, s0
	s_waitcnt lgkmcnt(0)
	s_waitcnt_vscnt null, 0x0
	s_barrier
	buffer_gl0_inv
	s_clause 0x6
	scratch_load_b128 v[3:6], off, off offset:84
	scratch_load_b128 v[7:10], off, off offset:100
	;; [unrolled: 1-line block ×7, first 2 shown]
	v_mov_b32_e32 v2, 0
	ds_load_2addr_b64 v[131:134], v2 offset0:37 offset1:38
	ds_load_2addr_b64 v[135:138], v2 offset0:39 offset1:40
	s_mov_b32 s0, exec_lo
	s_waitcnt vmcnt(6) lgkmcnt(1)
	v_fma_f32 v12, v4, v131, 0
	s_delay_alu instid0(VALU_DEP_1) | instskip(NEXT) | instid1(VALU_DEP_1)
	v_fmac_f32_e32 v12, v5, v132
	v_fmac_f32_e32 v12, v6, v133
	s_waitcnt vmcnt(5)
	s_delay_alu instid0(VALU_DEP_1) | instskip(SKIP_3) | instid1(VALU_DEP_1)
	v_fmac_f32_e32 v12, v7, v134
	ds_load_2addr_b64 v[4:7], v2 offset0:41 offset1:42
	s_waitcnt lgkmcnt(1)
	v_fmac_f32_e32 v12, v8, v135
	v_fmac_f32_e32 v12, v9, v136
	s_delay_alu instid0(VALU_DEP_1) | instskip(SKIP_4) | instid1(VALU_DEP_1)
	v_fmac_f32_e32 v12, v10, v137
	ds_load_2addr_b64 v[8:11], v2 offset0:43 offset1:44
	s_waitcnt vmcnt(4)
	v_fmac_f32_e32 v12, v111, v138
	s_waitcnt lgkmcnt(1)
	v_fmac_f32_e32 v12, v112, v4
	s_delay_alu instid0(VALU_DEP_1) | instskip(NEXT) | instid1(VALU_DEP_1)
	v_fmac_f32_e32 v12, v113, v5
	v_fmac_f32_e32 v12, v114, v6
	s_waitcnt vmcnt(3)
	s_delay_alu instid0(VALU_DEP_1) | instskip(SKIP_3) | instid1(VALU_DEP_1)
	v_fmac_f32_e32 v12, v115, v7
	ds_load_2addr_b64 v[4:7], v2 offset0:45 offset1:46
	s_waitcnt lgkmcnt(1)
	v_fmac_f32_e32 v12, v116, v8
	v_fmac_f32_e32 v12, v117, v9
	s_delay_alu instid0(VALU_DEP_1) | instskip(SKIP_1) | instid1(VALU_DEP_1)
	v_fmac_f32_e32 v12, v118, v10
	s_waitcnt vmcnt(2)
	v_fmac_f32_e32 v12, v119, v11
	ds_load_2addr_b64 v[8:11], v2 offset0:47 offset1:48
	s_waitcnt lgkmcnt(1)
	v_fmac_f32_e32 v12, v120, v4
	s_delay_alu instid0(VALU_DEP_1)
	v_fmac_f32_e32 v12, v121, v5
	ds_load_b64 v[4:5], v2 offset:392
	v_fmac_f32_e32 v12, v122, v6
	ds_load_b32 v6, v2 offset:400
	s_waitcnt vmcnt(1)
	v_fmac_f32_e32 v12, v123, v7
	s_waitcnt lgkmcnt(2)
	s_delay_alu instid0(VALU_DEP_1) | instskip(NEXT) | instid1(VALU_DEP_1)
	v_fmac_f32_e32 v12, v124, v8
	v_fmac_f32_e32 v12, v125, v9
	s_delay_alu instid0(VALU_DEP_1) | instskip(SKIP_1) | instid1(VALU_DEP_1)
	v_fmac_f32_e32 v12, v126, v10
	s_waitcnt vmcnt(0)
	v_fmac_f32_e32 v12, v127, v11
	s_waitcnt lgkmcnt(1)
	s_delay_alu instid0(VALU_DEP_1) | instskip(NEXT) | instid1(VALU_DEP_1)
	v_fmac_f32_e32 v12, v128, v4
	v_fmac_f32_e32 v12, v129, v5
	s_waitcnt lgkmcnt(0)
	s_delay_alu instid0(VALU_DEP_1) | instskip(NEXT) | instid1(VALU_DEP_1)
	v_fmac_f32_e32 v12, v130, v6
	v_sub_f32_e32 v3, v3, v12
	scratch_store_b32 off, v3, off offset:84
	v_cmpx_lt_u32_e32 20, v0
	s_cbranch_execz .LBB48_261
; %bb.260:
	scratch_load_b32 v3, off, off offset:80
	scratch_store_b32 off, v2, off offset:80
	s_waitcnt vmcnt(0)
	ds_store_b32 v1, v3
.LBB48_261:
	s_or_b32 exec_lo, exec_lo, s0
	s_waitcnt lgkmcnt(0)
	s_waitcnt_vscnt null, 0x0
	s_barrier
	buffer_gl0_inv
	s_clause 0x7
	scratch_load_b128 v[3:6], off, off offset:80
	scratch_load_b128 v[7:10], off, off offset:96
	;; [unrolled: 1-line block ×7, first 2 shown]
	scratch_load_b32 v137, off, off offset:192
	ds_load_2addr_b32 v[11:12], v2 offset0:73 offset1:74
	ds_load_2addr_b32 v[131:132], v2 offset0:75 offset1:76
	;; [unrolled: 1-line block ×4, first 2 shown]
	s_mov_b32 s0, exec_lo
	s_waitcnt vmcnt(7) lgkmcnt(3)
	v_fma_f32 v138, v4, v11, 0
	s_delay_alu instid0(VALU_DEP_1) | instskip(SKIP_4) | instid1(VALU_DEP_1)
	v_fmac_f32_e32 v138, v5, v12
	ds_load_2addr_b32 v[4:5], v2 offset0:81 offset1:82
	s_waitcnt lgkmcnt(3)
	v_fmac_f32_e32 v138, v6, v131
	s_waitcnt vmcnt(6)
	v_fmac_f32_e32 v138, v7, v132
	ds_load_2addr_b32 v[6:7], v2 offset0:83 offset1:84
	s_waitcnt lgkmcnt(3)
	v_fmac_f32_e32 v138, v8, v133
	s_delay_alu instid0(VALU_DEP_1) | instskip(SKIP_1) | instid1(VALU_DEP_1)
	v_fmac_f32_e32 v138, v9, v134
	s_waitcnt lgkmcnt(2)
	v_fmac_f32_e32 v138, v10, v135
	ds_load_2addr_b32 v[8:9], v2 offset0:85 offset1:86
	ds_load_2addr_b32 v[10:11], v2 offset0:87 offset1:88
	s_waitcnt vmcnt(5)
	v_fmac_f32_e32 v138, v111, v136
	s_waitcnt lgkmcnt(3)
	s_delay_alu instid0(VALU_DEP_1) | instskip(NEXT) | instid1(VALU_DEP_1)
	v_fmac_f32_e32 v138, v112, v4
	v_fmac_f32_e32 v138, v113, v5
	ds_load_2addr_b32 v[4:5], v2 offset0:89 offset1:90
	s_waitcnt lgkmcnt(3)
	v_fmac_f32_e32 v138, v114, v6
	s_waitcnt vmcnt(4)
	s_delay_alu instid0(VALU_DEP_1) | instskip(SKIP_3) | instid1(VALU_DEP_1)
	v_fmac_f32_e32 v138, v115, v7
	ds_load_2addr_b32 v[6:7], v2 offset0:91 offset1:92
	s_waitcnt lgkmcnt(3)
	v_fmac_f32_e32 v138, v116, v8
	v_fmac_f32_e32 v138, v117, v9
	s_waitcnt lgkmcnt(2)
	s_delay_alu instid0(VALU_DEP_1) | instskip(SKIP_1) | instid1(VALU_DEP_1)
	v_fmac_f32_e32 v138, v118, v10
	s_waitcnt vmcnt(3)
	v_fmac_f32_e32 v138, v119, v11
	ds_load_2addr_b32 v[8:9], v2 offset0:93 offset1:94
	ds_load_2addr_b32 v[10:11], v2 offset0:95 offset1:96
	s_waitcnt lgkmcnt(3)
	v_fmac_f32_e32 v138, v120, v4
	s_delay_alu instid0(VALU_DEP_1) | instskip(SKIP_4) | instid1(VALU_DEP_1)
	v_fmac_f32_e32 v138, v121, v5
	ds_load_2addr_b32 v[4:5], v2 offset0:97 offset1:98
	s_waitcnt lgkmcnt(3)
	v_fmac_f32_e32 v138, v122, v6
	s_waitcnt vmcnt(2)
	v_fmac_f32_e32 v138, v123, v7
	ds_load_2addr_b32 v[6:7], v2 offset0:99 offset1:100
	s_waitcnt lgkmcnt(3)
	v_fmac_f32_e32 v138, v124, v8
	s_delay_alu instid0(VALU_DEP_1) | instskip(SKIP_1) | instid1(VALU_DEP_1)
	v_fmac_f32_e32 v138, v125, v9
	s_waitcnt lgkmcnt(2)
	v_fmac_f32_e32 v138, v126, v10
	s_waitcnt vmcnt(1)
	s_delay_alu instid0(VALU_DEP_1) | instskip(SKIP_1) | instid1(VALU_DEP_1)
	v_fmac_f32_e32 v138, v127, v11
	s_waitcnt lgkmcnt(1)
	v_fmac_f32_e32 v138, v128, v4
	s_delay_alu instid0(VALU_DEP_1) | instskip(SKIP_1) | instid1(VALU_DEP_1)
	v_fmac_f32_e32 v138, v129, v5
	s_waitcnt lgkmcnt(0)
	v_fmac_f32_e32 v138, v130, v6
	s_waitcnt vmcnt(0)
	s_delay_alu instid0(VALU_DEP_1) | instskip(NEXT) | instid1(VALU_DEP_1)
	v_fmac_f32_e32 v138, v137, v7
	v_sub_f32_e32 v2, v3, v138
	scratch_store_b32 off, v2, off offset:80
	v_cmpx_lt_u32_e32 19, v0
	s_cbranch_execz .LBB48_263
; %bb.262:
	scratch_load_b32 v2, off, off offset:76
	v_mov_b32_e32 v3, 0
	scratch_store_b32 off, v3, off offset:76
	s_waitcnt vmcnt(0)
	ds_store_b32 v1, v2
.LBB48_263:
	s_or_b32 exec_lo, exec_lo, s0
	s_waitcnt lgkmcnt(0)
	s_waitcnt_vscnt null, 0x0
	s_barrier
	buffer_gl0_inv
	s_clause 0x7
	scratch_load_b128 v[3:6], off, off offset:76
	scratch_load_b128 v[7:10], off, off offset:92
	;; [unrolled: 1-line block ×7, first 2 shown]
	scratch_load_b64 v[139:140], off, off offset:188
	v_mov_b32_e32 v2, 0
	ds_load_b128 v[131:134], v2 offset:288
	ds_load_b128 v[135:138], v2 offset:304
	s_mov_b32 s0, exec_lo
	s_waitcnt vmcnt(7) lgkmcnt(1)
	v_fma_f32 v12, v4, v131, 0
	s_delay_alu instid0(VALU_DEP_1) | instskip(NEXT) | instid1(VALU_DEP_1)
	v_fmac_f32_e32 v12, v5, v132
	v_fmac_f32_e32 v12, v6, v133
	s_waitcnt vmcnt(6)
	s_delay_alu instid0(VALU_DEP_1) | instskip(SKIP_3) | instid1(VALU_DEP_1)
	v_fmac_f32_e32 v12, v7, v134
	ds_load_b128 v[4:7], v2 offset:320
	s_waitcnt lgkmcnt(1)
	v_fmac_f32_e32 v12, v8, v135
	v_fmac_f32_e32 v12, v9, v136
	s_delay_alu instid0(VALU_DEP_1) | instskip(SKIP_4) | instid1(VALU_DEP_1)
	v_fmac_f32_e32 v12, v10, v137
	ds_load_b128 v[8:11], v2 offset:336
	s_waitcnt vmcnt(5)
	v_fmac_f32_e32 v12, v111, v138
	s_waitcnt lgkmcnt(1)
	v_fmac_f32_e32 v12, v112, v4
	s_delay_alu instid0(VALU_DEP_1) | instskip(NEXT) | instid1(VALU_DEP_1)
	v_fmac_f32_e32 v12, v113, v5
	v_fmac_f32_e32 v12, v114, v6
	s_waitcnt vmcnt(4)
	s_delay_alu instid0(VALU_DEP_1) | instskip(SKIP_3) | instid1(VALU_DEP_1)
	v_fmac_f32_e32 v12, v115, v7
	ds_load_b128 v[4:7], v2 offset:352
	s_waitcnt lgkmcnt(1)
	v_fmac_f32_e32 v12, v116, v8
	v_fmac_f32_e32 v12, v117, v9
	s_delay_alu instid0(VALU_DEP_1) | instskip(SKIP_1) | instid1(VALU_DEP_1)
	v_fmac_f32_e32 v12, v118, v10
	s_waitcnt vmcnt(3)
	v_fmac_f32_e32 v12, v119, v11
	ds_load_b128 v[8:11], v2 offset:368
	s_waitcnt lgkmcnt(1)
	v_fmac_f32_e32 v12, v120, v4
	s_delay_alu instid0(VALU_DEP_1) | instskip(NEXT) | instid1(VALU_DEP_1)
	v_fmac_f32_e32 v12, v121, v5
	v_fmac_f32_e32 v12, v122, v6
	s_waitcnt vmcnt(2)
	s_delay_alu instid0(VALU_DEP_1)
	v_fmac_f32_e32 v12, v123, v7
	ds_load_b128 v[4:7], v2 offset:384
	s_waitcnt lgkmcnt(1)
	v_fmac_f32_e32 v12, v124, v8
	ds_load_b32 v8, v2 offset:400
	v_fmac_f32_e32 v12, v125, v9
	s_delay_alu instid0(VALU_DEP_1) | instskip(SKIP_1) | instid1(VALU_DEP_1)
	v_fmac_f32_e32 v12, v126, v10
	s_waitcnt vmcnt(1)
	v_fmac_f32_e32 v12, v127, v11
	s_waitcnt lgkmcnt(1)
	s_delay_alu instid0(VALU_DEP_1) | instskip(NEXT) | instid1(VALU_DEP_1)
	v_fmac_f32_e32 v12, v128, v4
	v_fmac_f32_e32 v12, v129, v5
	s_delay_alu instid0(VALU_DEP_1) | instskip(SKIP_1) | instid1(VALU_DEP_1)
	v_fmac_f32_e32 v12, v130, v6
	s_waitcnt vmcnt(0)
	v_fmac_f32_e32 v12, v139, v7
	s_waitcnt lgkmcnt(0)
	s_delay_alu instid0(VALU_DEP_1) | instskip(NEXT) | instid1(VALU_DEP_1)
	v_fmac_f32_e32 v12, v140, v8
	v_sub_f32_e32 v3, v3, v12
	scratch_store_b32 off, v3, off offset:76
	v_cmpx_lt_u32_e32 18, v0
	s_cbranch_execz .LBB48_265
; %bb.264:
	scratch_load_b32 v3, off, off offset:72
	scratch_store_b32 off, v2, off offset:72
	s_waitcnt vmcnt(0)
	ds_store_b32 v1, v3
.LBB48_265:
	s_or_b32 exec_lo, exec_lo, s0
	s_waitcnt lgkmcnt(0)
	s_waitcnt_vscnt null, 0x0
	s_barrier
	buffer_gl0_inv
	s_clause 0x7
	scratch_load_b128 v[3:6], off, off offset:72
	scratch_load_b128 v[7:10], off, off offset:88
	;; [unrolled: 1-line block ×7, first 2 shown]
	scratch_load_b96 v[131:133], off, off offset:184
	ds_load_2addr_b32 v[11:12], v2 offset0:71 offset1:72
	ds_load_2addr_b32 v[134:135], v2 offset0:73 offset1:74
	;; [unrolled: 1-line block ×4, first 2 shown]
	s_mov_b32 s0, exec_lo
	s_waitcnt vmcnt(7) lgkmcnt(3)
	v_fma_f32 v140, v4, v11, 0
	s_delay_alu instid0(VALU_DEP_1) | instskip(SKIP_4) | instid1(VALU_DEP_1)
	v_fmac_f32_e32 v140, v5, v12
	ds_load_2addr_b32 v[4:5], v2 offset0:79 offset1:80
	s_waitcnt lgkmcnt(3)
	v_fmac_f32_e32 v140, v6, v134
	s_waitcnt vmcnt(6)
	v_fmac_f32_e32 v140, v7, v135
	ds_load_2addr_b32 v[6:7], v2 offset0:81 offset1:82
	s_waitcnt lgkmcnt(3)
	v_fmac_f32_e32 v140, v8, v136
	s_delay_alu instid0(VALU_DEP_1) | instskip(SKIP_1) | instid1(VALU_DEP_1)
	v_fmac_f32_e32 v140, v9, v137
	s_waitcnt lgkmcnt(2)
	v_fmac_f32_e32 v140, v10, v138
	ds_load_2addr_b32 v[8:9], v2 offset0:83 offset1:84
	ds_load_2addr_b32 v[10:11], v2 offset0:85 offset1:86
	s_waitcnt vmcnt(5)
	v_fmac_f32_e32 v140, v111, v139
	s_waitcnt lgkmcnt(3)
	s_delay_alu instid0(VALU_DEP_1) | instskip(NEXT) | instid1(VALU_DEP_1)
	v_fmac_f32_e32 v140, v112, v4
	v_fmac_f32_e32 v140, v113, v5
	ds_load_2addr_b32 v[4:5], v2 offset0:87 offset1:88
	s_waitcnt lgkmcnt(3)
	v_fmac_f32_e32 v140, v114, v6
	s_waitcnt vmcnt(4)
	s_delay_alu instid0(VALU_DEP_1) | instskip(SKIP_3) | instid1(VALU_DEP_1)
	v_fmac_f32_e32 v140, v115, v7
	ds_load_2addr_b32 v[6:7], v2 offset0:89 offset1:90
	s_waitcnt lgkmcnt(3)
	v_fmac_f32_e32 v140, v116, v8
	v_fmac_f32_e32 v140, v117, v9
	s_waitcnt lgkmcnt(2)
	s_delay_alu instid0(VALU_DEP_1) | instskip(SKIP_1) | instid1(VALU_DEP_1)
	v_fmac_f32_e32 v140, v118, v10
	s_waitcnt vmcnt(3)
	v_fmac_f32_e32 v140, v119, v11
	ds_load_2addr_b32 v[8:9], v2 offset0:91 offset1:92
	ds_load_2addr_b32 v[10:11], v2 offset0:93 offset1:94
	s_waitcnt lgkmcnt(3)
	v_fmac_f32_e32 v140, v120, v4
	s_delay_alu instid0(VALU_DEP_1) | instskip(SKIP_4) | instid1(VALU_DEP_1)
	v_fmac_f32_e32 v140, v121, v5
	ds_load_2addr_b32 v[4:5], v2 offset0:95 offset1:96
	s_waitcnt lgkmcnt(3)
	v_fmac_f32_e32 v140, v122, v6
	s_waitcnt vmcnt(2)
	v_fmac_f32_e32 v140, v123, v7
	ds_load_2addr_b32 v[6:7], v2 offset0:97 offset1:98
	s_waitcnt lgkmcnt(3)
	v_fmac_f32_e32 v140, v124, v8
	s_delay_alu instid0(VALU_DEP_1) | instskip(SKIP_4) | instid1(VALU_DEP_1)
	v_fmac_f32_e32 v140, v125, v9
	ds_load_2addr_b32 v[8:9], v2 offset0:99 offset1:100
	s_waitcnt lgkmcnt(3)
	v_fmac_f32_e32 v140, v126, v10
	s_waitcnt vmcnt(1)
	v_fmac_f32_e32 v140, v127, v11
	s_waitcnt lgkmcnt(2)
	s_delay_alu instid0(VALU_DEP_1) | instskip(NEXT) | instid1(VALU_DEP_1)
	v_fmac_f32_e32 v140, v128, v4
	v_fmac_f32_e32 v140, v129, v5
	s_waitcnt lgkmcnt(1)
	s_delay_alu instid0(VALU_DEP_1) | instskip(SKIP_1) | instid1(VALU_DEP_1)
	v_fmac_f32_e32 v140, v130, v6
	s_waitcnt vmcnt(0)
	v_fmac_f32_e32 v140, v131, v7
	s_waitcnt lgkmcnt(0)
	s_delay_alu instid0(VALU_DEP_1) | instskip(NEXT) | instid1(VALU_DEP_1)
	v_fmac_f32_e32 v140, v132, v8
	v_fmac_f32_e32 v140, v133, v9
	s_delay_alu instid0(VALU_DEP_1)
	v_sub_f32_e32 v2, v3, v140
	scratch_store_b32 off, v2, off offset:72
	v_cmpx_lt_u32_e32 17, v0
	s_cbranch_execz .LBB48_267
; %bb.266:
	scratch_load_b32 v2, off, off offset:68
	v_mov_b32_e32 v3, 0
	scratch_store_b32 off, v3, off offset:68
	s_waitcnt vmcnt(0)
	ds_store_b32 v1, v2
.LBB48_267:
	s_or_b32 exec_lo, exec_lo, s0
	s_waitcnt lgkmcnt(0)
	s_waitcnt_vscnt null, 0x0
	s_barrier
	buffer_gl0_inv
	s_clause 0x7
	scratch_load_b128 v[3:6], off, off offset:68
	scratch_load_b128 v[7:10], off, off offset:84
	;; [unrolled: 1-line block ×8, first 2 shown]
	v_mov_b32_e32 v2, 0
	ds_load_2addr_b64 v[135:138], v2 offset0:35 offset1:36
	ds_load_2addr_b64 v[139:142], v2 offset0:37 offset1:38
	s_mov_b32 s0, exec_lo
	s_waitcnt vmcnt(7) lgkmcnt(1)
	v_fma_f32 v12, v4, v135, 0
	s_delay_alu instid0(VALU_DEP_1) | instskip(NEXT) | instid1(VALU_DEP_1)
	v_fmac_f32_e32 v12, v5, v136
	v_fmac_f32_e32 v12, v6, v137
	s_waitcnt vmcnt(6)
	s_delay_alu instid0(VALU_DEP_1) | instskip(SKIP_3) | instid1(VALU_DEP_1)
	v_fmac_f32_e32 v12, v7, v138
	ds_load_2addr_b64 v[4:7], v2 offset0:39 offset1:40
	s_waitcnt lgkmcnt(1)
	v_fmac_f32_e32 v12, v8, v139
	v_fmac_f32_e32 v12, v9, v140
	s_delay_alu instid0(VALU_DEP_1) | instskip(SKIP_4) | instid1(VALU_DEP_1)
	v_fmac_f32_e32 v12, v10, v141
	ds_load_2addr_b64 v[8:11], v2 offset0:41 offset1:42
	s_waitcnt vmcnt(5)
	v_fmac_f32_e32 v12, v111, v142
	s_waitcnt lgkmcnt(1)
	v_fmac_f32_e32 v12, v112, v4
	s_delay_alu instid0(VALU_DEP_1) | instskip(NEXT) | instid1(VALU_DEP_1)
	v_fmac_f32_e32 v12, v113, v5
	v_fmac_f32_e32 v12, v114, v6
	s_waitcnt vmcnt(4)
	s_delay_alu instid0(VALU_DEP_1) | instskip(SKIP_3) | instid1(VALU_DEP_1)
	v_fmac_f32_e32 v12, v115, v7
	ds_load_2addr_b64 v[4:7], v2 offset0:43 offset1:44
	s_waitcnt lgkmcnt(1)
	v_fmac_f32_e32 v12, v116, v8
	v_fmac_f32_e32 v12, v117, v9
	s_delay_alu instid0(VALU_DEP_1) | instskip(SKIP_1) | instid1(VALU_DEP_1)
	v_fmac_f32_e32 v12, v118, v10
	s_waitcnt vmcnt(3)
	v_fmac_f32_e32 v12, v119, v11
	ds_load_2addr_b64 v[8:11], v2 offset0:45 offset1:46
	s_waitcnt lgkmcnt(1)
	v_fmac_f32_e32 v12, v120, v4
	s_delay_alu instid0(VALU_DEP_1) | instskip(NEXT) | instid1(VALU_DEP_1)
	v_fmac_f32_e32 v12, v121, v5
	v_fmac_f32_e32 v12, v122, v6
	s_waitcnt vmcnt(2)
	s_delay_alu instid0(VALU_DEP_1) | instskip(SKIP_3) | instid1(VALU_DEP_1)
	v_fmac_f32_e32 v12, v123, v7
	ds_load_2addr_b64 v[4:7], v2 offset0:47 offset1:48
	s_waitcnt lgkmcnt(1)
	v_fmac_f32_e32 v12, v124, v8
	v_fmac_f32_e32 v12, v125, v9
	ds_load_b64 v[8:9], v2 offset:392
	v_fmac_f32_e32 v12, v126, v10
	s_waitcnt vmcnt(1)
	s_delay_alu instid0(VALU_DEP_1) | instskip(SKIP_1) | instid1(VALU_DEP_1)
	v_fmac_f32_e32 v12, v127, v11
	s_waitcnt lgkmcnt(1)
	v_fmac_f32_e32 v12, v128, v4
	ds_load_b32 v4, v2 offset:400
	v_fmac_f32_e32 v12, v129, v5
	s_delay_alu instid0(VALU_DEP_1) | instskip(SKIP_1) | instid1(VALU_DEP_1)
	v_fmac_f32_e32 v12, v130, v6
	s_waitcnt vmcnt(0)
	v_fmac_f32_e32 v12, v131, v7
	s_waitcnt lgkmcnt(1)
	s_delay_alu instid0(VALU_DEP_1) | instskip(NEXT) | instid1(VALU_DEP_1)
	v_fmac_f32_e32 v12, v132, v8
	v_fmac_f32_e32 v12, v133, v9
	s_waitcnt lgkmcnt(0)
	s_delay_alu instid0(VALU_DEP_1) | instskip(NEXT) | instid1(VALU_DEP_1)
	v_fmac_f32_e32 v12, v134, v4
	v_sub_f32_e32 v3, v3, v12
	scratch_store_b32 off, v3, off offset:68
	v_cmpx_lt_u32_e32 16, v0
	s_cbranch_execz .LBB48_269
; %bb.268:
	scratch_load_b32 v3, off, off offset:64
	scratch_store_b32 off, v2, off offset:64
	s_waitcnt vmcnt(0)
	ds_store_b32 v1, v3
.LBB48_269:
	s_or_b32 exec_lo, exec_lo, s0
	s_waitcnt lgkmcnt(0)
	s_waitcnt_vscnt null, 0x0
	s_barrier
	buffer_gl0_inv
	s_clause 0x8
	scratch_load_b128 v[3:6], off, off offset:64
	scratch_load_b128 v[7:10], off, off offset:80
	;; [unrolled: 1-line block ×8, first 2 shown]
	scratch_load_b32 v141, off, off offset:192
	ds_load_2addr_b32 v[11:12], v2 offset0:69 offset1:70
	ds_load_2addr_b32 v[135:136], v2 offset0:71 offset1:72
	ds_load_2addr_b32 v[137:138], v2 offset0:73 offset1:74
	ds_load_2addr_b32 v[139:140], v2 offset0:75 offset1:76
	s_mov_b32 s0, exec_lo
	s_waitcnt vmcnt(8) lgkmcnt(3)
	v_fma_f32 v142, v4, v11, 0
	s_delay_alu instid0(VALU_DEP_1) | instskip(SKIP_4) | instid1(VALU_DEP_1)
	v_fmac_f32_e32 v142, v5, v12
	ds_load_2addr_b32 v[4:5], v2 offset0:77 offset1:78
	s_waitcnt lgkmcnt(3)
	v_fmac_f32_e32 v142, v6, v135
	s_waitcnt vmcnt(7)
	v_fmac_f32_e32 v142, v7, v136
	ds_load_2addr_b32 v[6:7], v2 offset0:79 offset1:80
	s_waitcnt lgkmcnt(3)
	v_fmac_f32_e32 v142, v8, v137
	s_delay_alu instid0(VALU_DEP_1) | instskip(SKIP_1) | instid1(VALU_DEP_1)
	v_fmac_f32_e32 v142, v9, v138
	s_waitcnt lgkmcnt(2)
	v_fmac_f32_e32 v142, v10, v139
	ds_load_2addr_b32 v[8:9], v2 offset0:81 offset1:82
	ds_load_2addr_b32 v[10:11], v2 offset0:83 offset1:84
	s_waitcnt vmcnt(6)
	v_fmac_f32_e32 v142, v111, v140
	s_waitcnt lgkmcnt(3)
	s_delay_alu instid0(VALU_DEP_1) | instskip(NEXT) | instid1(VALU_DEP_1)
	v_fmac_f32_e32 v142, v112, v4
	v_fmac_f32_e32 v142, v113, v5
	ds_load_2addr_b32 v[4:5], v2 offset0:85 offset1:86
	s_waitcnt lgkmcnt(3)
	v_fmac_f32_e32 v142, v114, v6
	s_waitcnt vmcnt(5)
	s_delay_alu instid0(VALU_DEP_1) | instskip(SKIP_3) | instid1(VALU_DEP_1)
	v_fmac_f32_e32 v142, v115, v7
	ds_load_2addr_b32 v[6:7], v2 offset0:87 offset1:88
	s_waitcnt lgkmcnt(3)
	v_fmac_f32_e32 v142, v116, v8
	v_fmac_f32_e32 v142, v117, v9
	s_waitcnt lgkmcnt(2)
	s_delay_alu instid0(VALU_DEP_1) | instskip(SKIP_1) | instid1(VALU_DEP_1)
	v_fmac_f32_e32 v142, v118, v10
	s_waitcnt vmcnt(4)
	v_fmac_f32_e32 v142, v119, v11
	ds_load_2addr_b32 v[8:9], v2 offset0:89 offset1:90
	ds_load_2addr_b32 v[10:11], v2 offset0:91 offset1:92
	s_waitcnt lgkmcnt(3)
	v_fmac_f32_e32 v142, v120, v4
	s_delay_alu instid0(VALU_DEP_1) | instskip(SKIP_4) | instid1(VALU_DEP_1)
	v_fmac_f32_e32 v142, v121, v5
	ds_load_2addr_b32 v[4:5], v2 offset0:93 offset1:94
	s_waitcnt lgkmcnt(3)
	v_fmac_f32_e32 v142, v122, v6
	s_waitcnt vmcnt(3)
	v_fmac_f32_e32 v142, v123, v7
	ds_load_2addr_b32 v[6:7], v2 offset0:95 offset1:96
	s_waitcnt lgkmcnt(3)
	v_fmac_f32_e32 v142, v124, v8
	s_delay_alu instid0(VALU_DEP_1) | instskip(SKIP_1) | instid1(VALU_DEP_1)
	v_fmac_f32_e32 v142, v125, v9
	s_waitcnt lgkmcnt(2)
	v_fmac_f32_e32 v142, v126, v10
	s_waitcnt vmcnt(2)
	s_delay_alu instid0(VALU_DEP_1) | instskip(SKIP_4) | instid1(VALU_DEP_1)
	v_fmac_f32_e32 v142, v127, v11
	ds_load_2addr_b32 v[8:9], v2 offset0:97 offset1:98
	ds_load_2addr_b32 v[10:11], v2 offset0:99 offset1:100
	s_waitcnt lgkmcnt(3)
	v_fmac_f32_e32 v142, v128, v4
	v_fmac_f32_e32 v142, v129, v5
	s_waitcnt lgkmcnt(2)
	s_delay_alu instid0(VALU_DEP_1) | instskip(SKIP_1) | instid1(VALU_DEP_1)
	v_fmac_f32_e32 v142, v130, v6
	s_waitcnt vmcnt(1)
	v_fmac_f32_e32 v142, v131, v7
	s_waitcnt lgkmcnt(1)
	s_delay_alu instid0(VALU_DEP_1) | instskip(NEXT) | instid1(VALU_DEP_1)
	v_fmac_f32_e32 v142, v132, v8
	v_fmac_f32_e32 v142, v133, v9
	s_waitcnt lgkmcnt(0)
	s_delay_alu instid0(VALU_DEP_1) | instskip(SKIP_1) | instid1(VALU_DEP_1)
	v_fmac_f32_e32 v142, v134, v10
	s_waitcnt vmcnt(0)
	v_fmac_f32_e32 v142, v141, v11
	s_delay_alu instid0(VALU_DEP_1)
	v_sub_f32_e32 v2, v3, v142
	scratch_store_b32 off, v2, off offset:64
	v_cmpx_lt_u32_e32 15, v0
	s_cbranch_execz .LBB48_271
; %bb.270:
	scratch_load_b32 v2, off, off offset:60
	v_mov_b32_e32 v3, 0
	scratch_store_b32 off, v3, off offset:60
	s_waitcnt vmcnt(0)
	ds_store_b32 v1, v2
.LBB48_271:
	s_or_b32 exec_lo, exec_lo, s0
	s_waitcnt lgkmcnt(0)
	s_waitcnt_vscnt null, 0x0
	s_barrier
	buffer_gl0_inv
	s_clause 0x8
	scratch_load_b128 v[3:6], off, off offset:60
	scratch_load_b128 v[7:10], off, off offset:76
	;; [unrolled: 1-line block ×8, first 2 shown]
	scratch_load_b64 v[143:144], off, off offset:188
	v_mov_b32_e32 v2, 0
	ds_load_b128 v[135:138], v2 offset:272
	ds_load_b128 v[139:142], v2 offset:288
	s_mov_b32 s0, exec_lo
	s_waitcnt vmcnt(8) lgkmcnt(1)
	v_fma_f32 v12, v4, v135, 0
	s_delay_alu instid0(VALU_DEP_1) | instskip(NEXT) | instid1(VALU_DEP_1)
	v_fmac_f32_e32 v12, v5, v136
	v_fmac_f32_e32 v12, v6, v137
	s_waitcnt vmcnt(7)
	s_delay_alu instid0(VALU_DEP_1) | instskip(SKIP_3) | instid1(VALU_DEP_1)
	v_fmac_f32_e32 v12, v7, v138
	ds_load_b128 v[4:7], v2 offset:304
	s_waitcnt lgkmcnt(1)
	v_fmac_f32_e32 v12, v8, v139
	v_fmac_f32_e32 v12, v9, v140
	s_delay_alu instid0(VALU_DEP_1) | instskip(SKIP_4) | instid1(VALU_DEP_1)
	v_fmac_f32_e32 v12, v10, v141
	ds_load_b128 v[8:11], v2 offset:320
	s_waitcnt vmcnt(6)
	v_fmac_f32_e32 v12, v111, v142
	s_waitcnt lgkmcnt(1)
	v_fmac_f32_e32 v12, v112, v4
	s_delay_alu instid0(VALU_DEP_1) | instskip(NEXT) | instid1(VALU_DEP_1)
	v_fmac_f32_e32 v12, v113, v5
	v_fmac_f32_e32 v12, v114, v6
	s_waitcnt vmcnt(5)
	s_delay_alu instid0(VALU_DEP_1) | instskip(SKIP_3) | instid1(VALU_DEP_1)
	v_fmac_f32_e32 v12, v115, v7
	ds_load_b128 v[4:7], v2 offset:336
	s_waitcnt lgkmcnt(1)
	v_fmac_f32_e32 v12, v116, v8
	v_fmac_f32_e32 v12, v117, v9
	s_delay_alu instid0(VALU_DEP_1) | instskip(SKIP_1) | instid1(VALU_DEP_1)
	v_fmac_f32_e32 v12, v118, v10
	s_waitcnt vmcnt(4)
	v_fmac_f32_e32 v12, v119, v11
	ds_load_b128 v[8:11], v2 offset:352
	s_waitcnt lgkmcnt(1)
	v_fmac_f32_e32 v12, v120, v4
	s_delay_alu instid0(VALU_DEP_1) | instskip(NEXT) | instid1(VALU_DEP_1)
	v_fmac_f32_e32 v12, v121, v5
	v_fmac_f32_e32 v12, v122, v6
	s_waitcnt vmcnt(3)
	s_delay_alu instid0(VALU_DEP_1) | instskip(SKIP_3) | instid1(VALU_DEP_1)
	v_fmac_f32_e32 v12, v123, v7
	ds_load_b128 v[4:7], v2 offset:368
	s_waitcnt lgkmcnt(1)
	v_fmac_f32_e32 v12, v124, v8
	v_fmac_f32_e32 v12, v125, v9
	s_delay_alu instid0(VALU_DEP_1) | instskip(SKIP_1) | instid1(VALU_DEP_1)
	v_fmac_f32_e32 v12, v126, v10
	s_waitcnt vmcnt(2)
	v_fmac_f32_e32 v12, v127, v11
	ds_load_b128 v[8:11], v2 offset:384
	s_waitcnt lgkmcnt(1)
	v_fmac_f32_e32 v12, v128, v4
	ds_load_b32 v4, v2 offset:400
	v_fmac_f32_e32 v12, v129, v5
	s_delay_alu instid0(VALU_DEP_1) | instskip(SKIP_1) | instid1(VALU_DEP_1)
	v_fmac_f32_e32 v12, v130, v6
	s_waitcnt vmcnt(1)
	v_fmac_f32_e32 v12, v131, v7
	s_waitcnt lgkmcnt(1)
	s_delay_alu instid0(VALU_DEP_1) | instskip(NEXT) | instid1(VALU_DEP_1)
	v_fmac_f32_e32 v12, v132, v8
	v_fmac_f32_e32 v12, v133, v9
	s_delay_alu instid0(VALU_DEP_1) | instskip(SKIP_1) | instid1(VALU_DEP_1)
	v_fmac_f32_e32 v12, v134, v10
	s_waitcnt vmcnt(0)
	v_fmac_f32_e32 v12, v143, v11
	s_waitcnt lgkmcnt(0)
	s_delay_alu instid0(VALU_DEP_1) | instskip(NEXT) | instid1(VALU_DEP_1)
	v_fmac_f32_e32 v12, v144, v4
	v_sub_f32_e32 v3, v3, v12
	scratch_store_b32 off, v3, off offset:60
	v_cmpx_lt_u32_e32 14, v0
	s_cbranch_execz .LBB48_273
; %bb.272:
	scratch_load_b32 v3, off, off offset:56
	scratch_store_b32 off, v2, off offset:56
	s_waitcnt vmcnt(0)
	ds_store_b32 v1, v3
.LBB48_273:
	s_or_b32 exec_lo, exec_lo, s0
	s_waitcnt lgkmcnt(0)
	s_waitcnt_vscnt null, 0x0
	s_barrier
	buffer_gl0_inv
	s_clause 0x8
	scratch_load_b128 v[3:6], off, off offset:56
	scratch_load_b128 v[7:10], off, off offset:72
	;; [unrolled: 1-line block ×8, first 2 shown]
	scratch_load_b96 v[135:137], off, off offset:184
	ds_load_2addr_b32 v[11:12], v2 offset0:67 offset1:68
	ds_load_2addr_b32 v[138:139], v2 offset0:69 offset1:70
	;; [unrolled: 1-line block ×3, first 2 shown]
	s_mov_b32 s0, exec_lo
	s_waitcnt vmcnt(8) lgkmcnt(2)
	v_fma_f32 v11, v4, v11, 0
	s_delay_alu instid0(VALU_DEP_1) | instskip(SKIP_4) | instid1(VALU_DEP_1)
	v_fmac_f32_e32 v11, v5, v12
	ds_load_2addr_b32 v[4:5], v2 offset0:73 offset1:74
	s_waitcnt lgkmcnt(2)
	v_fmac_f32_e32 v11, v6, v138
	s_waitcnt vmcnt(7)
	v_fmac_f32_e32 v11, v7, v139
	ds_load_2addr_b32 v[6:7], v2 offset0:75 offset1:76
	s_waitcnt lgkmcnt(2)
	v_fmac_f32_e32 v11, v8, v140
	s_delay_alu instid0(VALU_DEP_1) | instskip(SKIP_4) | instid1(VALU_DEP_1)
	v_fmac_f32_e32 v11, v9, v141
	ds_load_2addr_b32 v[8:9], v2 offset0:77 offset1:78
	s_waitcnt lgkmcnt(2)
	v_fmac_f32_e32 v11, v10, v4
	s_waitcnt vmcnt(6)
	v_fmac_f32_e32 v11, v111, v5
	ds_load_2addr_b32 v[4:5], v2 offset0:79 offset1:80
	s_waitcnt lgkmcnt(2)
	v_fmac_f32_e32 v11, v112, v6
	;; [unrolled: 10-line block ×7, first 2 shown]
	s_delay_alu instid0(VALU_DEP_1) | instskip(SKIP_1) | instid1(VALU_DEP_1)
	v_fmac_f32_e32 v11, v133, v9
	s_waitcnt lgkmcnt(1)
	v_fmac_f32_e32 v11, v134, v4
	s_waitcnt vmcnt(0)
	s_delay_alu instid0(VALU_DEP_1) | instskip(SKIP_1) | instid1(VALU_DEP_1)
	v_fmac_f32_e32 v11, v135, v5
	s_waitcnt lgkmcnt(0)
	v_fmac_f32_e32 v11, v136, v6
	s_delay_alu instid0(VALU_DEP_1) | instskip(NEXT) | instid1(VALU_DEP_1)
	v_fmac_f32_e32 v11, v137, v7
	v_sub_f32_e32 v2, v3, v11
	scratch_store_b32 off, v2, off offset:56
	v_cmpx_lt_u32_e32 13, v0
	s_cbranch_execz .LBB48_275
; %bb.274:
	scratch_load_b32 v2, off, off offset:52
	v_mov_b32_e32 v3, 0
	scratch_store_b32 off, v3, off offset:52
	s_waitcnt vmcnt(0)
	ds_store_b32 v1, v2
.LBB48_275:
	s_or_b32 exec_lo, exec_lo, s0
	s_waitcnt lgkmcnt(0)
	s_waitcnt_vscnt null, 0x0
	s_barrier
	buffer_gl0_inv
	s_clause 0x8
	scratch_load_b128 v[3:6], off, off offset:52
	scratch_load_b128 v[7:10], off, off offset:68
	;; [unrolled: 1-line block ×9, first 2 shown]
	v_mov_b32_e32 v2, 0
	ds_load_2addr_b64 v[139:142], v2 offset0:33 offset1:34
	ds_load_2addr_b64 v[143:146], v2 offset0:35 offset1:36
	s_mov_b32 s0, exec_lo
	s_waitcnt vmcnt(8) lgkmcnt(1)
	v_fma_f32 v12, v4, v139, 0
	s_delay_alu instid0(VALU_DEP_1) | instskip(NEXT) | instid1(VALU_DEP_1)
	v_fmac_f32_e32 v12, v5, v140
	v_fmac_f32_e32 v12, v6, v141
	s_waitcnt vmcnt(7)
	s_delay_alu instid0(VALU_DEP_1) | instskip(SKIP_3) | instid1(VALU_DEP_1)
	v_fmac_f32_e32 v12, v7, v142
	ds_load_2addr_b64 v[4:7], v2 offset0:37 offset1:38
	s_waitcnt lgkmcnt(1)
	v_fmac_f32_e32 v12, v8, v143
	v_fmac_f32_e32 v12, v9, v144
	s_delay_alu instid0(VALU_DEP_1) | instskip(SKIP_4) | instid1(VALU_DEP_1)
	v_fmac_f32_e32 v12, v10, v145
	ds_load_2addr_b64 v[8:11], v2 offset0:39 offset1:40
	s_waitcnt vmcnt(6)
	v_fmac_f32_e32 v12, v111, v146
	s_waitcnt lgkmcnt(1)
	v_fmac_f32_e32 v12, v112, v4
	s_delay_alu instid0(VALU_DEP_1) | instskip(NEXT) | instid1(VALU_DEP_1)
	v_fmac_f32_e32 v12, v113, v5
	v_fmac_f32_e32 v12, v114, v6
	s_waitcnt vmcnt(5)
	s_delay_alu instid0(VALU_DEP_1) | instskip(SKIP_3) | instid1(VALU_DEP_1)
	v_fmac_f32_e32 v12, v115, v7
	ds_load_2addr_b64 v[4:7], v2 offset0:41 offset1:42
	s_waitcnt lgkmcnt(1)
	v_fmac_f32_e32 v12, v116, v8
	v_fmac_f32_e32 v12, v117, v9
	s_delay_alu instid0(VALU_DEP_1) | instskip(SKIP_1) | instid1(VALU_DEP_1)
	v_fmac_f32_e32 v12, v118, v10
	s_waitcnt vmcnt(4)
	v_fmac_f32_e32 v12, v119, v11
	ds_load_2addr_b64 v[8:11], v2 offset0:43 offset1:44
	s_waitcnt lgkmcnt(1)
	v_fmac_f32_e32 v12, v120, v4
	s_delay_alu instid0(VALU_DEP_1) | instskip(NEXT) | instid1(VALU_DEP_1)
	v_fmac_f32_e32 v12, v121, v5
	v_fmac_f32_e32 v12, v122, v6
	s_waitcnt vmcnt(3)
	s_delay_alu instid0(VALU_DEP_1) | instskip(SKIP_3) | instid1(VALU_DEP_1)
	v_fmac_f32_e32 v12, v123, v7
	ds_load_2addr_b64 v[4:7], v2 offset0:45 offset1:46
	s_waitcnt lgkmcnt(1)
	v_fmac_f32_e32 v12, v124, v8
	v_fmac_f32_e32 v12, v125, v9
	s_delay_alu instid0(VALU_DEP_1) | instskip(SKIP_1) | instid1(VALU_DEP_1)
	v_fmac_f32_e32 v12, v126, v10
	s_waitcnt vmcnt(2)
	v_fmac_f32_e32 v12, v127, v11
	ds_load_2addr_b64 v[8:11], v2 offset0:47 offset1:48
	s_waitcnt lgkmcnt(1)
	v_fmac_f32_e32 v12, v128, v4
	s_delay_alu instid0(VALU_DEP_1)
	v_fmac_f32_e32 v12, v129, v5
	ds_load_b64 v[4:5], v2 offset:392
	v_fmac_f32_e32 v12, v130, v6
	ds_load_b32 v6, v2 offset:400
	s_waitcnt vmcnt(1)
	v_fmac_f32_e32 v12, v131, v7
	s_waitcnt lgkmcnt(2)
	s_delay_alu instid0(VALU_DEP_1) | instskip(NEXT) | instid1(VALU_DEP_1)
	v_fmac_f32_e32 v12, v132, v8
	v_fmac_f32_e32 v12, v133, v9
	s_delay_alu instid0(VALU_DEP_1) | instskip(SKIP_1) | instid1(VALU_DEP_1)
	v_fmac_f32_e32 v12, v134, v10
	s_waitcnt vmcnt(0)
	v_fmac_f32_e32 v12, v135, v11
	s_waitcnt lgkmcnt(1)
	s_delay_alu instid0(VALU_DEP_1) | instskip(NEXT) | instid1(VALU_DEP_1)
	v_fmac_f32_e32 v12, v136, v4
	v_fmac_f32_e32 v12, v137, v5
	s_waitcnt lgkmcnt(0)
	s_delay_alu instid0(VALU_DEP_1) | instskip(NEXT) | instid1(VALU_DEP_1)
	v_fmac_f32_e32 v12, v138, v6
	v_sub_f32_e32 v3, v3, v12
	scratch_store_b32 off, v3, off offset:52
	v_cmpx_lt_u32_e32 12, v0
	s_cbranch_execz .LBB48_277
; %bb.276:
	scratch_load_b32 v3, off, off offset:48
	scratch_store_b32 off, v2, off offset:48
	s_waitcnt vmcnt(0)
	ds_store_b32 v1, v3
.LBB48_277:
	s_or_b32 exec_lo, exec_lo, s0
	s_waitcnt lgkmcnt(0)
	s_waitcnt_vscnt null, 0x0
	s_barrier
	buffer_gl0_inv
	s_clause 0x9
	scratch_load_b128 v[3:6], off, off offset:48
	scratch_load_b128 v[7:10], off, off offset:64
	;; [unrolled: 1-line block ×9, first 2 shown]
	scratch_load_b32 v145, off, off offset:192
	ds_load_2addr_b32 v[11:12], v2 offset0:65 offset1:66
	ds_load_2addr_b32 v[139:140], v2 offset0:67 offset1:68
	;; [unrolled: 1-line block ×4, first 2 shown]
	s_mov_b32 s0, exec_lo
	s_waitcnt vmcnt(9) lgkmcnt(3)
	v_fma_f32 v146, v4, v11, 0
	s_delay_alu instid0(VALU_DEP_1) | instskip(SKIP_4) | instid1(VALU_DEP_1)
	v_fmac_f32_e32 v146, v5, v12
	ds_load_2addr_b32 v[4:5], v2 offset0:73 offset1:74
	s_waitcnt lgkmcnt(3)
	v_fmac_f32_e32 v146, v6, v139
	s_waitcnt vmcnt(8)
	v_fmac_f32_e32 v146, v7, v140
	ds_load_2addr_b32 v[6:7], v2 offset0:75 offset1:76
	s_waitcnt lgkmcnt(3)
	v_fmac_f32_e32 v146, v8, v141
	s_delay_alu instid0(VALU_DEP_1) | instskip(SKIP_1) | instid1(VALU_DEP_1)
	v_fmac_f32_e32 v146, v9, v142
	s_waitcnt lgkmcnt(2)
	v_fmac_f32_e32 v146, v10, v143
	ds_load_2addr_b32 v[8:9], v2 offset0:77 offset1:78
	ds_load_2addr_b32 v[10:11], v2 offset0:79 offset1:80
	s_waitcnt vmcnt(7)
	v_fmac_f32_e32 v146, v111, v144
	s_waitcnt lgkmcnt(3)
	s_delay_alu instid0(VALU_DEP_1) | instskip(NEXT) | instid1(VALU_DEP_1)
	v_fmac_f32_e32 v146, v112, v4
	v_fmac_f32_e32 v146, v113, v5
	ds_load_2addr_b32 v[4:5], v2 offset0:81 offset1:82
	s_waitcnt lgkmcnt(3)
	v_fmac_f32_e32 v146, v114, v6
	s_waitcnt vmcnt(6)
	s_delay_alu instid0(VALU_DEP_1) | instskip(SKIP_3) | instid1(VALU_DEP_1)
	v_fmac_f32_e32 v146, v115, v7
	ds_load_2addr_b32 v[6:7], v2 offset0:83 offset1:84
	s_waitcnt lgkmcnt(3)
	v_fmac_f32_e32 v146, v116, v8
	v_fmac_f32_e32 v146, v117, v9
	s_waitcnt lgkmcnt(2)
	s_delay_alu instid0(VALU_DEP_1) | instskip(SKIP_1) | instid1(VALU_DEP_1)
	v_fmac_f32_e32 v146, v118, v10
	s_waitcnt vmcnt(5)
	v_fmac_f32_e32 v146, v119, v11
	ds_load_2addr_b32 v[8:9], v2 offset0:85 offset1:86
	ds_load_2addr_b32 v[10:11], v2 offset0:87 offset1:88
	s_waitcnt lgkmcnt(3)
	v_fmac_f32_e32 v146, v120, v4
	s_delay_alu instid0(VALU_DEP_1) | instskip(SKIP_4) | instid1(VALU_DEP_1)
	v_fmac_f32_e32 v146, v121, v5
	ds_load_2addr_b32 v[4:5], v2 offset0:89 offset1:90
	s_waitcnt lgkmcnt(3)
	v_fmac_f32_e32 v146, v122, v6
	s_waitcnt vmcnt(4)
	v_fmac_f32_e32 v146, v123, v7
	ds_load_2addr_b32 v[6:7], v2 offset0:91 offset1:92
	s_waitcnt lgkmcnt(3)
	v_fmac_f32_e32 v146, v124, v8
	s_delay_alu instid0(VALU_DEP_1) | instskip(SKIP_1) | instid1(VALU_DEP_1)
	v_fmac_f32_e32 v146, v125, v9
	s_waitcnt lgkmcnt(2)
	v_fmac_f32_e32 v146, v126, v10
	s_waitcnt vmcnt(3)
	s_delay_alu instid0(VALU_DEP_1) | instskip(SKIP_4) | instid1(VALU_DEP_1)
	v_fmac_f32_e32 v146, v127, v11
	ds_load_2addr_b32 v[8:9], v2 offset0:93 offset1:94
	ds_load_2addr_b32 v[10:11], v2 offset0:95 offset1:96
	s_waitcnt lgkmcnt(3)
	v_fmac_f32_e32 v146, v128, v4
	v_fmac_f32_e32 v146, v129, v5
	ds_load_2addr_b32 v[4:5], v2 offset0:97 offset1:98
	s_waitcnt lgkmcnt(3)
	v_fmac_f32_e32 v146, v130, v6
	s_waitcnt vmcnt(2)
	s_delay_alu instid0(VALU_DEP_1) | instskip(SKIP_3) | instid1(VALU_DEP_1)
	v_fmac_f32_e32 v146, v131, v7
	ds_load_2addr_b32 v[6:7], v2 offset0:99 offset1:100
	s_waitcnt lgkmcnt(3)
	v_fmac_f32_e32 v146, v132, v8
	v_fmac_f32_e32 v146, v133, v9
	s_waitcnt lgkmcnt(2)
	s_delay_alu instid0(VALU_DEP_1) | instskip(SKIP_1) | instid1(VALU_DEP_1)
	v_fmac_f32_e32 v146, v134, v10
	s_waitcnt vmcnt(1)
	v_fmac_f32_e32 v146, v135, v11
	s_waitcnt lgkmcnt(1)
	s_delay_alu instid0(VALU_DEP_1) | instskip(NEXT) | instid1(VALU_DEP_1)
	v_fmac_f32_e32 v146, v136, v4
	v_fmac_f32_e32 v146, v137, v5
	s_waitcnt lgkmcnt(0)
	s_delay_alu instid0(VALU_DEP_1) | instskip(SKIP_1) | instid1(VALU_DEP_1)
	v_fmac_f32_e32 v146, v138, v6
	s_waitcnt vmcnt(0)
	v_fmac_f32_e32 v146, v145, v7
	s_delay_alu instid0(VALU_DEP_1)
	v_sub_f32_e32 v2, v3, v146
	scratch_store_b32 off, v2, off offset:48
	v_cmpx_lt_u32_e32 11, v0
	s_cbranch_execz .LBB48_279
; %bb.278:
	scratch_load_b32 v2, off, off offset:44
	v_mov_b32_e32 v3, 0
	scratch_store_b32 off, v3, off offset:44
	s_waitcnt vmcnt(0)
	ds_store_b32 v1, v2
.LBB48_279:
	s_or_b32 exec_lo, exec_lo, s0
	s_waitcnt lgkmcnt(0)
	s_waitcnt_vscnt null, 0x0
	s_barrier
	buffer_gl0_inv
	s_clause 0x9
	scratch_load_b128 v[3:6], off, off offset:44
	scratch_load_b128 v[7:10], off, off offset:60
	;; [unrolled: 1-line block ×9, first 2 shown]
	scratch_load_b64 v[147:148], off, off offset:188
	v_mov_b32_e32 v2, 0
	ds_load_b128 v[139:142], v2 offset:256
	ds_load_b128 v[143:146], v2 offset:272
	s_mov_b32 s0, exec_lo
	s_waitcnt vmcnt(9) lgkmcnt(1)
	v_fma_f32 v12, v4, v139, 0
	s_delay_alu instid0(VALU_DEP_1) | instskip(NEXT) | instid1(VALU_DEP_1)
	v_fmac_f32_e32 v12, v5, v140
	v_fmac_f32_e32 v12, v6, v141
	s_waitcnt vmcnt(8)
	s_delay_alu instid0(VALU_DEP_1) | instskip(SKIP_3) | instid1(VALU_DEP_1)
	v_fmac_f32_e32 v12, v7, v142
	ds_load_b128 v[4:7], v2 offset:288
	s_waitcnt lgkmcnt(1)
	v_fmac_f32_e32 v12, v8, v143
	v_fmac_f32_e32 v12, v9, v144
	s_delay_alu instid0(VALU_DEP_1) | instskip(SKIP_4) | instid1(VALU_DEP_1)
	v_fmac_f32_e32 v12, v10, v145
	ds_load_b128 v[8:11], v2 offset:304
	s_waitcnt vmcnt(7)
	v_fmac_f32_e32 v12, v111, v146
	s_waitcnt lgkmcnt(1)
	v_fmac_f32_e32 v12, v112, v4
	s_delay_alu instid0(VALU_DEP_1) | instskip(NEXT) | instid1(VALU_DEP_1)
	v_fmac_f32_e32 v12, v113, v5
	v_fmac_f32_e32 v12, v114, v6
	s_waitcnt vmcnt(6)
	s_delay_alu instid0(VALU_DEP_1) | instskip(SKIP_3) | instid1(VALU_DEP_1)
	v_fmac_f32_e32 v12, v115, v7
	ds_load_b128 v[4:7], v2 offset:320
	s_waitcnt lgkmcnt(1)
	v_fmac_f32_e32 v12, v116, v8
	v_fmac_f32_e32 v12, v117, v9
	s_delay_alu instid0(VALU_DEP_1) | instskip(SKIP_1) | instid1(VALU_DEP_1)
	v_fmac_f32_e32 v12, v118, v10
	s_waitcnt vmcnt(5)
	v_fmac_f32_e32 v12, v119, v11
	ds_load_b128 v[8:11], v2 offset:336
	s_waitcnt lgkmcnt(1)
	v_fmac_f32_e32 v12, v120, v4
	s_delay_alu instid0(VALU_DEP_1) | instskip(NEXT) | instid1(VALU_DEP_1)
	v_fmac_f32_e32 v12, v121, v5
	v_fmac_f32_e32 v12, v122, v6
	s_waitcnt vmcnt(4)
	s_delay_alu instid0(VALU_DEP_1) | instskip(SKIP_3) | instid1(VALU_DEP_1)
	v_fmac_f32_e32 v12, v123, v7
	ds_load_b128 v[4:7], v2 offset:352
	s_waitcnt lgkmcnt(1)
	v_fmac_f32_e32 v12, v124, v8
	v_fmac_f32_e32 v12, v125, v9
	s_delay_alu instid0(VALU_DEP_1) | instskip(SKIP_1) | instid1(VALU_DEP_1)
	v_fmac_f32_e32 v12, v126, v10
	s_waitcnt vmcnt(3)
	v_fmac_f32_e32 v12, v127, v11
	ds_load_b128 v[8:11], v2 offset:368
	s_waitcnt lgkmcnt(1)
	v_fmac_f32_e32 v12, v128, v4
	s_delay_alu instid0(VALU_DEP_1) | instskip(NEXT) | instid1(VALU_DEP_1)
	v_fmac_f32_e32 v12, v129, v5
	v_fmac_f32_e32 v12, v130, v6
	s_waitcnt vmcnt(2)
	s_delay_alu instid0(VALU_DEP_1)
	v_fmac_f32_e32 v12, v131, v7
	ds_load_b128 v[4:7], v2 offset:384
	s_waitcnt lgkmcnt(1)
	v_fmac_f32_e32 v12, v132, v8
	ds_load_b32 v8, v2 offset:400
	v_fmac_f32_e32 v12, v133, v9
	s_delay_alu instid0(VALU_DEP_1) | instskip(SKIP_1) | instid1(VALU_DEP_1)
	v_fmac_f32_e32 v12, v134, v10
	s_waitcnt vmcnt(1)
	v_fmac_f32_e32 v12, v135, v11
	s_waitcnt lgkmcnt(1)
	s_delay_alu instid0(VALU_DEP_1) | instskip(NEXT) | instid1(VALU_DEP_1)
	v_fmac_f32_e32 v12, v136, v4
	v_fmac_f32_e32 v12, v137, v5
	s_delay_alu instid0(VALU_DEP_1) | instskip(SKIP_1) | instid1(VALU_DEP_1)
	v_fmac_f32_e32 v12, v138, v6
	s_waitcnt vmcnt(0)
	v_fmac_f32_e32 v12, v147, v7
	s_waitcnt lgkmcnt(0)
	s_delay_alu instid0(VALU_DEP_1) | instskip(NEXT) | instid1(VALU_DEP_1)
	v_fmac_f32_e32 v12, v148, v8
	v_sub_f32_e32 v3, v3, v12
	scratch_store_b32 off, v3, off offset:44
	v_cmpx_lt_u32_e32 10, v0
	s_cbranch_execz .LBB48_281
; %bb.280:
	scratch_load_b32 v3, off, off offset:40
	scratch_store_b32 off, v2, off offset:40
	s_waitcnt vmcnt(0)
	ds_store_b32 v1, v3
.LBB48_281:
	s_or_b32 exec_lo, exec_lo, s0
	s_waitcnt lgkmcnt(0)
	s_waitcnt_vscnt null, 0x0
	s_barrier
	buffer_gl0_inv
	s_clause 0x9
	scratch_load_b128 v[3:6], off, off offset:40
	scratch_load_b128 v[7:10], off, off offset:56
	;; [unrolled: 1-line block ×9, first 2 shown]
	scratch_load_b96 v[139:141], off, off offset:184
	ds_load_2addr_b32 v[11:12], v2 offset0:63 offset1:64
	ds_load_2addr_b32 v[142:143], v2 offset0:65 offset1:66
	;; [unrolled: 1-line block ×4, first 2 shown]
	s_mov_b32 s0, exec_lo
	s_waitcnt vmcnt(9) lgkmcnt(3)
	v_fma_f32 v148, v4, v11, 0
	s_delay_alu instid0(VALU_DEP_1) | instskip(SKIP_4) | instid1(VALU_DEP_1)
	v_fmac_f32_e32 v148, v5, v12
	ds_load_2addr_b32 v[4:5], v2 offset0:71 offset1:72
	s_waitcnt lgkmcnt(3)
	v_fmac_f32_e32 v148, v6, v142
	s_waitcnt vmcnt(8)
	v_fmac_f32_e32 v148, v7, v143
	ds_load_2addr_b32 v[6:7], v2 offset0:73 offset1:74
	s_waitcnt lgkmcnt(3)
	v_fmac_f32_e32 v148, v8, v144
	s_delay_alu instid0(VALU_DEP_1) | instskip(SKIP_1) | instid1(VALU_DEP_1)
	v_fmac_f32_e32 v148, v9, v145
	s_waitcnt lgkmcnt(2)
	v_fmac_f32_e32 v148, v10, v146
	ds_load_2addr_b32 v[8:9], v2 offset0:75 offset1:76
	ds_load_2addr_b32 v[10:11], v2 offset0:77 offset1:78
	s_waitcnt vmcnt(7)
	v_fmac_f32_e32 v148, v111, v147
	s_waitcnt lgkmcnt(3)
	s_delay_alu instid0(VALU_DEP_1) | instskip(NEXT) | instid1(VALU_DEP_1)
	v_fmac_f32_e32 v148, v112, v4
	v_fmac_f32_e32 v148, v113, v5
	ds_load_2addr_b32 v[4:5], v2 offset0:79 offset1:80
	s_waitcnt lgkmcnt(3)
	v_fmac_f32_e32 v148, v114, v6
	s_waitcnt vmcnt(6)
	s_delay_alu instid0(VALU_DEP_1) | instskip(SKIP_3) | instid1(VALU_DEP_1)
	v_fmac_f32_e32 v148, v115, v7
	ds_load_2addr_b32 v[6:7], v2 offset0:81 offset1:82
	s_waitcnt lgkmcnt(3)
	v_fmac_f32_e32 v148, v116, v8
	v_fmac_f32_e32 v148, v117, v9
	s_waitcnt lgkmcnt(2)
	s_delay_alu instid0(VALU_DEP_1) | instskip(SKIP_1) | instid1(VALU_DEP_1)
	v_fmac_f32_e32 v148, v118, v10
	s_waitcnt vmcnt(5)
	v_fmac_f32_e32 v148, v119, v11
	ds_load_2addr_b32 v[8:9], v2 offset0:83 offset1:84
	ds_load_2addr_b32 v[10:11], v2 offset0:85 offset1:86
	s_waitcnt lgkmcnt(3)
	v_fmac_f32_e32 v148, v120, v4
	s_delay_alu instid0(VALU_DEP_1) | instskip(SKIP_4) | instid1(VALU_DEP_1)
	v_fmac_f32_e32 v148, v121, v5
	ds_load_2addr_b32 v[4:5], v2 offset0:87 offset1:88
	s_waitcnt lgkmcnt(3)
	v_fmac_f32_e32 v148, v122, v6
	s_waitcnt vmcnt(4)
	v_fmac_f32_e32 v148, v123, v7
	ds_load_2addr_b32 v[6:7], v2 offset0:89 offset1:90
	s_waitcnt lgkmcnt(3)
	v_fmac_f32_e32 v148, v124, v8
	s_delay_alu instid0(VALU_DEP_1) | instskip(SKIP_1) | instid1(VALU_DEP_1)
	v_fmac_f32_e32 v148, v125, v9
	s_waitcnt lgkmcnt(2)
	v_fmac_f32_e32 v148, v126, v10
	s_waitcnt vmcnt(3)
	s_delay_alu instid0(VALU_DEP_1) | instskip(SKIP_4) | instid1(VALU_DEP_1)
	v_fmac_f32_e32 v148, v127, v11
	ds_load_2addr_b32 v[8:9], v2 offset0:91 offset1:92
	ds_load_2addr_b32 v[10:11], v2 offset0:93 offset1:94
	s_waitcnt lgkmcnt(3)
	v_fmac_f32_e32 v148, v128, v4
	v_fmac_f32_e32 v148, v129, v5
	ds_load_2addr_b32 v[4:5], v2 offset0:95 offset1:96
	s_waitcnt lgkmcnt(3)
	v_fmac_f32_e32 v148, v130, v6
	s_waitcnt vmcnt(2)
	s_delay_alu instid0(VALU_DEP_1) | instskip(SKIP_3) | instid1(VALU_DEP_1)
	v_fmac_f32_e32 v148, v131, v7
	ds_load_2addr_b32 v[6:7], v2 offset0:97 offset1:98
	s_waitcnt lgkmcnt(3)
	v_fmac_f32_e32 v148, v132, v8
	v_fmac_f32_e32 v148, v133, v9
	ds_load_2addr_b32 v[8:9], v2 offset0:99 offset1:100
	s_waitcnt lgkmcnt(3)
	v_fmac_f32_e32 v148, v134, v10
	s_waitcnt vmcnt(1)
	s_delay_alu instid0(VALU_DEP_1) | instskip(SKIP_1) | instid1(VALU_DEP_1)
	v_fmac_f32_e32 v148, v135, v11
	s_waitcnt lgkmcnt(2)
	v_fmac_f32_e32 v148, v136, v4
	s_delay_alu instid0(VALU_DEP_1) | instskip(SKIP_1) | instid1(VALU_DEP_1)
	v_fmac_f32_e32 v148, v137, v5
	s_waitcnt lgkmcnt(1)
	v_fmac_f32_e32 v148, v138, v6
	s_waitcnt vmcnt(0)
	s_delay_alu instid0(VALU_DEP_1) | instskip(SKIP_1) | instid1(VALU_DEP_1)
	v_fmac_f32_e32 v148, v139, v7
	s_waitcnt lgkmcnt(0)
	v_fmac_f32_e32 v148, v140, v8
	s_delay_alu instid0(VALU_DEP_1) | instskip(NEXT) | instid1(VALU_DEP_1)
	v_fmac_f32_e32 v148, v141, v9
	v_sub_f32_e32 v2, v3, v148
	scratch_store_b32 off, v2, off offset:40
	v_cmpx_lt_u32_e32 9, v0
	s_cbranch_execz .LBB48_283
; %bb.282:
	scratch_load_b32 v2, off, off offset:36
	v_mov_b32_e32 v3, 0
	scratch_store_b32 off, v3, off offset:36
	s_waitcnt vmcnt(0)
	ds_store_b32 v1, v2
.LBB48_283:
	s_or_b32 exec_lo, exec_lo, s0
	s_waitcnt lgkmcnt(0)
	s_waitcnt_vscnt null, 0x0
	s_barrier
	buffer_gl0_inv
	s_clause 0x9
	scratch_load_b128 v[3:6], off, off offset:36
	scratch_load_b128 v[7:10], off, off offset:52
	;; [unrolled: 1-line block ×10, first 2 shown]
	v_mov_b32_e32 v2, 0
	ds_load_2addr_b64 v[143:146], v2 offset0:31 offset1:32
	ds_load_2addr_b64 v[147:150], v2 offset0:33 offset1:34
	s_mov_b32 s0, exec_lo
	s_waitcnt vmcnt(9) lgkmcnt(1)
	v_fma_f32 v12, v4, v143, 0
	s_delay_alu instid0(VALU_DEP_1) | instskip(NEXT) | instid1(VALU_DEP_1)
	v_fmac_f32_e32 v12, v5, v144
	v_fmac_f32_e32 v12, v6, v145
	s_waitcnt vmcnt(8)
	s_delay_alu instid0(VALU_DEP_1) | instskip(SKIP_3) | instid1(VALU_DEP_1)
	v_fmac_f32_e32 v12, v7, v146
	ds_load_2addr_b64 v[4:7], v2 offset0:35 offset1:36
	s_waitcnt lgkmcnt(1)
	v_fmac_f32_e32 v12, v8, v147
	v_fmac_f32_e32 v12, v9, v148
	s_delay_alu instid0(VALU_DEP_1) | instskip(SKIP_4) | instid1(VALU_DEP_1)
	v_fmac_f32_e32 v12, v10, v149
	ds_load_2addr_b64 v[8:11], v2 offset0:37 offset1:38
	s_waitcnt vmcnt(7)
	v_fmac_f32_e32 v12, v111, v150
	s_waitcnt lgkmcnt(1)
	v_fmac_f32_e32 v12, v112, v4
	s_delay_alu instid0(VALU_DEP_1) | instskip(NEXT) | instid1(VALU_DEP_1)
	v_fmac_f32_e32 v12, v113, v5
	v_fmac_f32_e32 v12, v114, v6
	s_waitcnt vmcnt(6)
	s_delay_alu instid0(VALU_DEP_1) | instskip(SKIP_3) | instid1(VALU_DEP_1)
	v_fmac_f32_e32 v12, v115, v7
	ds_load_2addr_b64 v[4:7], v2 offset0:39 offset1:40
	s_waitcnt lgkmcnt(1)
	v_fmac_f32_e32 v12, v116, v8
	v_fmac_f32_e32 v12, v117, v9
	s_delay_alu instid0(VALU_DEP_1) | instskip(SKIP_1) | instid1(VALU_DEP_1)
	v_fmac_f32_e32 v12, v118, v10
	s_waitcnt vmcnt(5)
	v_fmac_f32_e32 v12, v119, v11
	ds_load_2addr_b64 v[8:11], v2 offset0:41 offset1:42
	s_waitcnt lgkmcnt(1)
	v_fmac_f32_e32 v12, v120, v4
	s_delay_alu instid0(VALU_DEP_1) | instskip(NEXT) | instid1(VALU_DEP_1)
	v_fmac_f32_e32 v12, v121, v5
	v_fmac_f32_e32 v12, v122, v6
	s_waitcnt vmcnt(4)
	s_delay_alu instid0(VALU_DEP_1) | instskip(SKIP_3) | instid1(VALU_DEP_1)
	v_fmac_f32_e32 v12, v123, v7
	ds_load_2addr_b64 v[4:7], v2 offset0:43 offset1:44
	s_waitcnt lgkmcnt(1)
	v_fmac_f32_e32 v12, v124, v8
	v_fmac_f32_e32 v12, v125, v9
	s_delay_alu instid0(VALU_DEP_1) | instskip(SKIP_1) | instid1(VALU_DEP_1)
	v_fmac_f32_e32 v12, v126, v10
	s_waitcnt vmcnt(3)
	v_fmac_f32_e32 v12, v127, v11
	ds_load_2addr_b64 v[8:11], v2 offset0:45 offset1:46
	s_waitcnt lgkmcnt(1)
	v_fmac_f32_e32 v12, v128, v4
	s_delay_alu instid0(VALU_DEP_1) | instskip(NEXT) | instid1(VALU_DEP_1)
	v_fmac_f32_e32 v12, v129, v5
	v_fmac_f32_e32 v12, v130, v6
	s_waitcnt vmcnt(2)
	s_delay_alu instid0(VALU_DEP_1) | instskip(SKIP_3) | instid1(VALU_DEP_1)
	v_fmac_f32_e32 v12, v131, v7
	ds_load_2addr_b64 v[4:7], v2 offset0:47 offset1:48
	s_waitcnt lgkmcnt(1)
	v_fmac_f32_e32 v12, v132, v8
	v_fmac_f32_e32 v12, v133, v9
	ds_load_b64 v[8:9], v2 offset:392
	v_fmac_f32_e32 v12, v134, v10
	s_waitcnt vmcnt(1)
	s_delay_alu instid0(VALU_DEP_1) | instskip(SKIP_1) | instid1(VALU_DEP_1)
	v_fmac_f32_e32 v12, v135, v11
	s_waitcnt lgkmcnt(1)
	v_fmac_f32_e32 v12, v136, v4
	ds_load_b32 v4, v2 offset:400
	v_fmac_f32_e32 v12, v137, v5
	s_delay_alu instid0(VALU_DEP_1) | instskip(SKIP_1) | instid1(VALU_DEP_1)
	v_fmac_f32_e32 v12, v138, v6
	s_waitcnt vmcnt(0)
	v_fmac_f32_e32 v12, v139, v7
	s_waitcnt lgkmcnt(1)
	s_delay_alu instid0(VALU_DEP_1) | instskip(NEXT) | instid1(VALU_DEP_1)
	v_fmac_f32_e32 v12, v140, v8
	v_fmac_f32_e32 v12, v141, v9
	s_waitcnt lgkmcnt(0)
	s_delay_alu instid0(VALU_DEP_1) | instskip(NEXT) | instid1(VALU_DEP_1)
	v_fmac_f32_e32 v12, v142, v4
	v_sub_f32_e32 v3, v3, v12
	scratch_store_b32 off, v3, off offset:36
	v_cmpx_lt_u32_e32 8, v0
	s_cbranch_execz .LBB48_285
; %bb.284:
	scratch_load_b32 v3, off, off offset:32
	scratch_store_b32 off, v2, off offset:32
	s_waitcnt vmcnt(0)
	ds_store_b32 v1, v3
.LBB48_285:
	s_or_b32 exec_lo, exec_lo, s0
	s_waitcnt lgkmcnt(0)
	s_waitcnt_vscnt null, 0x0
	s_barrier
	buffer_gl0_inv
	s_clause 0xa
	scratch_load_b128 v[3:6], off, off offset:32
	scratch_load_b128 v[7:10], off, off offset:48
	scratch_load_b128 v[111:114], off, off offset:64
	scratch_load_b128 v[115:118], off, off offset:80
	scratch_load_b128 v[119:122], off, off offset:96
	scratch_load_b128 v[123:126], off, off offset:112
	scratch_load_b128 v[127:130], off, off offset:128
	scratch_load_b128 v[131:134], off, off offset:144
	scratch_load_b128 v[135:138], off, off offset:160
	scratch_load_b128 v[139:142], off, off offset:176
	scratch_load_b32 v149, off, off offset:192
	ds_load_2addr_b32 v[11:12], v2 offset0:61 offset1:62
	ds_load_2addr_b32 v[143:144], v2 offset0:63 offset1:64
	;; [unrolled: 1-line block ×4, first 2 shown]
	s_mov_b32 s0, exec_lo
	s_waitcnt vmcnt(10) lgkmcnt(3)
	v_fma_f32 v150, v4, v11, 0
	s_delay_alu instid0(VALU_DEP_1) | instskip(SKIP_4) | instid1(VALU_DEP_1)
	v_fmac_f32_e32 v150, v5, v12
	ds_load_2addr_b32 v[4:5], v2 offset0:69 offset1:70
	s_waitcnt lgkmcnt(3)
	v_fmac_f32_e32 v150, v6, v143
	s_waitcnt vmcnt(9)
	v_fmac_f32_e32 v150, v7, v144
	ds_load_2addr_b32 v[6:7], v2 offset0:71 offset1:72
	s_waitcnt lgkmcnt(3)
	v_fmac_f32_e32 v150, v8, v145
	s_delay_alu instid0(VALU_DEP_1) | instskip(SKIP_1) | instid1(VALU_DEP_1)
	v_fmac_f32_e32 v150, v9, v146
	s_waitcnt lgkmcnt(2)
	v_fmac_f32_e32 v150, v10, v147
	ds_load_2addr_b32 v[8:9], v2 offset0:73 offset1:74
	ds_load_2addr_b32 v[10:11], v2 offset0:75 offset1:76
	s_waitcnt vmcnt(8)
	v_fmac_f32_e32 v150, v111, v148
	s_waitcnt lgkmcnt(3)
	s_delay_alu instid0(VALU_DEP_1) | instskip(NEXT) | instid1(VALU_DEP_1)
	v_fmac_f32_e32 v150, v112, v4
	v_fmac_f32_e32 v150, v113, v5
	ds_load_2addr_b32 v[4:5], v2 offset0:77 offset1:78
	s_waitcnt lgkmcnt(3)
	v_fmac_f32_e32 v150, v114, v6
	s_waitcnt vmcnt(7)
	s_delay_alu instid0(VALU_DEP_1) | instskip(SKIP_3) | instid1(VALU_DEP_1)
	v_fmac_f32_e32 v150, v115, v7
	ds_load_2addr_b32 v[6:7], v2 offset0:79 offset1:80
	s_waitcnt lgkmcnt(3)
	v_fmac_f32_e32 v150, v116, v8
	v_fmac_f32_e32 v150, v117, v9
	s_waitcnt lgkmcnt(2)
	s_delay_alu instid0(VALU_DEP_1) | instskip(SKIP_1) | instid1(VALU_DEP_1)
	v_fmac_f32_e32 v150, v118, v10
	s_waitcnt vmcnt(6)
	v_fmac_f32_e32 v150, v119, v11
	ds_load_2addr_b32 v[8:9], v2 offset0:81 offset1:82
	ds_load_2addr_b32 v[10:11], v2 offset0:83 offset1:84
	s_waitcnt lgkmcnt(3)
	v_fmac_f32_e32 v150, v120, v4
	s_delay_alu instid0(VALU_DEP_1) | instskip(SKIP_4) | instid1(VALU_DEP_1)
	v_fmac_f32_e32 v150, v121, v5
	ds_load_2addr_b32 v[4:5], v2 offset0:85 offset1:86
	s_waitcnt lgkmcnt(3)
	v_fmac_f32_e32 v150, v122, v6
	s_waitcnt vmcnt(5)
	v_fmac_f32_e32 v150, v123, v7
	ds_load_2addr_b32 v[6:7], v2 offset0:87 offset1:88
	s_waitcnt lgkmcnt(3)
	v_fmac_f32_e32 v150, v124, v8
	s_delay_alu instid0(VALU_DEP_1) | instskip(SKIP_1) | instid1(VALU_DEP_1)
	v_fmac_f32_e32 v150, v125, v9
	s_waitcnt lgkmcnt(2)
	v_fmac_f32_e32 v150, v126, v10
	s_waitcnt vmcnt(4)
	s_delay_alu instid0(VALU_DEP_1) | instskip(SKIP_4) | instid1(VALU_DEP_1)
	v_fmac_f32_e32 v150, v127, v11
	ds_load_2addr_b32 v[8:9], v2 offset0:89 offset1:90
	ds_load_2addr_b32 v[10:11], v2 offset0:91 offset1:92
	s_waitcnt lgkmcnt(3)
	v_fmac_f32_e32 v150, v128, v4
	v_fmac_f32_e32 v150, v129, v5
	ds_load_2addr_b32 v[4:5], v2 offset0:93 offset1:94
	s_waitcnt lgkmcnt(3)
	v_fmac_f32_e32 v150, v130, v6
	s_waitcnt vmcnt(3)
	s_delay_alu instid0(VALU_DEP_1) | instskip(SKIP_3) | instid1(VALU_DEP_1)
	v_fmac_f32_e32 v150, v131, v7
	ds_load_2addr_b32 v[6:7], v2 offset0:95 offset1:96
	s_waitcnt lgkmcnt(3)
	v_fmac_f32_e32 v150, v132, v8
	v_fmac_f32_e32 v150, v133, v9
	s_waitcnt lgkmcnt(2)
	s_delay_alu instid0(VALU_DEP_1) | instskip(SKIP_1) | instid1(VALU_DEP_1)
	v_fmac_f32_e32 v150, v134, v10
	s_waitcnt vmcnt(2)
	v_fmac_f32_e32 v150, v135, v11
	ds_load_2addr_b32 v[8:9], v2 offset0:97 offset1:98
	ds_load_2addr_b32 v[10:11], v2 offset0:99 offset1:100
	s_waitcnt lgkmcnt(3)
	v_fmac_f32_e32 v150, v136, v4
	s_delay_alu instid0(VALU_DEP_1) | instskip(SKIP_1) | instid1(VALU_DEP_1)
	v_fmac_f32_e32 v150, v137, v5
	s_waitcnt lgkmcnt(2)
	v_fmac_f32_e32 v150, v138, v6
	s_waitcnt vmcnt(1)
	s_delay_alu instid0(VALU_DEP_1) | instskip(SKIP_1) | instid1(VALU_DEP_1)
	v_fmac_f32_e32 v150, v139, v7
	s_waitcnt lgkmcnt(1)
	v_fmac_f32_e32 v150, v140, v8
	s_delay_alu instid0(VALU_DEP_1) | instskip(SKIP_1) | instid1(VALU_DEP_1)
	v_fmac_f32_e32 v150, v141, v9
	s_waitcnt lgkmcnt(0)
	v_fmac_f32_e32 v150, v142, v10
	s_waitcnt vmcnt(0)
	s_delay_alu instid0(VALU_DEP_1) | instskip(NEXT) | instid1(VALU_DEP_1)
	v_fmac_f32_e32 v150, v149, v11
	v_sub_f32_e32 v2, v3, v150
	scratch_store_b32 off, v2, off offset:32
	v_cmpx_lt_u32_e32 7, v0
	s_cbranch_execz .LBB48_287
; %bb.286:
	scratch_load_b32 v2, off, off offset:28
	v_mov_b32_e32 v3, 0
	scratch_store_b32 off, v3, off offset:28
	s_waitcnt vmcnt(0)
	ds_store_b32 v1, v2
.LBB48_287:
	s_or_b32 exec_lo, exec_lo, s0
	s_waitcnt lgkmcnt(0)
	s_waitcnt_vscnt null, 0x0
	s_barrier
	buffer_gl0_inv
	s_clause 0xa
	scratch_load_b128 v[3:6], off, off offset:28
	scratch_load_b128 v[7:10], off, off offset:44
	;; [unrolled: 1-line block ×10, first 2 shown]
	scratch_load_b64 v[151:152], off, off offset:188
	v_mov_b32_e32 v2, 0
	ds_load_b128 v[143:146], v2 offset:240
	ds_load_b128 v[147:150], v2 offset:256
	s_mov_b32 s0, exec_lo
	s_waitcnt vmcnt(10) lgkmcnt(1)
	v_fma_f32 v12, v4, v143, 0
	s_delay_alu instid0(VALU_DEP_1) | instskip(NEXT) | instid1(VALU_DEP_1)
	v_fmac_f32_e32 v12, v5, v144
	v_fmac_f32_e32 v12, v6, v145
	s_waitcnt vmcnt(9)
	s_delay_alu instid0(VALU_DEP_1) | instskip(SKIP_3) | instid1(VALU_DEP_1)
	v_fmac_f32_e32 v12, v7, v146
	ds_load_b128 v[4:7], v2 offset:272
	s_waitcnt lgkmcnt(1)
	v_fmac_f32_e32 v12, v8, v147
	v_fmac_f32_e32 v12, v9, v148
	s_delay_alu instid0(VALU_DEP_1) | instskip(SKIP_4) | instid1(VALU_DEP_1)
	v_fmac_f32_e32 v12, v10, v149
	ds_load_b128 v[8:11], v2 offset:288
	s_waitcnt vmcnt(8)
	v_fmac_f32_e32 v12, v111, v150
	s_waitcnt lgkmcnt(1)
	v_fmac_f32_e32 v12, v112, v4
	s_delay_alu instid0(VALU_DEP_1) | instskip(NEXT) | instid1(VALU_DEP_1)
	v_fmac_f32_e32 v12, v113, v5
	v_fmac_f32_e32 v12, v114, v6
	s_waitcnt vmcnt(7)
	s_delay_alu instid0(VALU_DEP_1) | instskip(SKIP_3) | instid1(VALU_DEP_1)
	v_fmac_f32_e32 v12, v115, v7
	ds_load_b128 v[4:7], v2 offset:304
	s_waitcnt lgkmcnt(1)
	v_fmac_f32_e32 v12, v116, v8
	v_fmac_f32_e32 v12, v117, v9
	s_delay_alu instid0(VALU_DEP_1) | instskip(SKIP_1) | instid1(VALU_DEP_1)
	v_fmac_f32_e32 v12, v118, v10
	s_waitcnt vmcnt(6)
	v_fmac_f32_e32 v12, v119, v11
	ds_load_b128 v[8:11], v2 offset:320
	s_waitcnt lgkmcnt(1)
	v_fmac_f32_e32 v12, v120, v4
	s_delay_alu instid0(VALU_DEP_1) | instskip(NEXT) | instid1(VALU_DEP_1)
	v_fmac_f32_e32 v12, v121, v5
	v_fmac_f32_e32 v12, v122, v6
	s_waitcnt vmcnt(5)
	s_delay_alu instid0(VALU_DEP_1) | instskip(SKIP_3) | instid1(VALU_DEP_1)
	v_fmac_f32_e32 v12, v123, v7
	ds_load_b128 v[4:7], v2 offset:336
	s_waitcnt lgkmcnt(1)
	v_fmac_f32_e32 v12, v124, v8
	v_fmac_f32_e32 v12, v125, v9
	s_delay_alu instid0(VALU_DEP_1) | instskip(SKIP_1) | instid1(VALU_DEP_1)
	v_fmac_f32_e32 v12, v126, v10
	s_waitcnt vmcnt(4)
	v_fmac_f32_e32 v12, v127, v11
	ds_load_b128 v[8:11], v2 offset:352
	s_waitcnt lgkmcnt(1)
	v_fmac_f32_e32 v12, v128, v4
	s_delay_alu instid0(VALU_DEP_1) | instskip(NEXT) | instid1(VALU_DEP_1)
	v_fmac_f32_e32 v12, v129, v5
	v_fmac_f32_e32 v12, v130, v6
	s_waitcnt vmcnt(3)
	s_delay_alu instid0(VALU_DEP_1) | instskip(SKIP_3) | instid1(VALU_DEP_1)
	v_fmac_f32_e32 v12, v131, v7
	ds_load_b128 v[4:7], v2 offset:368
	s_waitcnt lgkmcnt(1)
	v_fmac_f32_e32 v12, v132, v8
	v_fmac_f32_e32 v12, v133, v9
	s_delay_alu instid0(VALU_DEP_1) | instskip(SKIP_1) | instid1(VALU_DEP_1)
	v_fmac_f32_e32 v12, v134, v10
	s_waitcnt vmcnt(2)
	v_fmac_f32_e32 v12, v135, v11
	ds_load_b128 v[8:11], v2 offset:384
	s_waitcnt lgkmcnt(1)
	v_fmac_f32_e32 v12, v136, v4
	ds_load_b32 v4, v2 offset:400
	v_fmac_f32_e32 v12, v137, v5
	s_delay_alu instid0(VALU_DEP_1) | instskip(SKIP_1) | instid1(VALU_DEP_1)
	v_fmac_f32_e32 v12, v138, v6
	s_waitcnt vmcnt(1)
	v_fmac_f32_e32 v12, v139, v7
	s_waitcnt lgkmcnt(1)
	s_delay_alu instid0(VALU_DEP_1) | instskip(NEXT) | instid1(VALU_DEP_1)
	v_fmac_f32_e32 v12, v140, v8
	v_fmac_f32_e32 v12, v141, v9
	s_delay_alu instid0(VALU_DEP_1) | instskip(SKIP_1) | instid1(VALU_DEP_1)
	v_fmac_f32_e32 v12, v142, v10
	s_waitcnt vmcnt(0)
	v_fmac_f32_e32 v12, v151, v11
	s_waitcnt lgkmcnt(0)
	s_delay_alu instid0(VALU_DEP_1) | instskip(NEXT) | instid1(VALU_DEP_1)
	v_fmac_f32_e32 v12, v152, v4
	v_sub_f32_e32 v3, v3, v12
	scratch_store_b32 off, v3, off offset:28
	v_cmpx_lt_u32_e32 6, v0
	s_cbranch_execz .LBB48_289
; %bb.288:
	scratch_load_b32 v3, off, off offset:24
	scratch_store_b32 off, v2, off offset:24
	s_waitcnt vmcnt(0)
	ds_store_b32 v1, v3
.LBB48_289:
	s_or_b32 exec_lo, exec_lo, s0
	s_waitcnt lgkmcnt(0)
	s_waitcnt_vscnt null, 0x0
	s_barrier
	buffer_gl0_inv
	s_clause 0xa
	scratch_load_b128 v[3:6], off, off offset:24
	scratch_load_b128 v[7:10], off, off offset:40
	;; [unrolled: 1-line block ×10, first 2 shown]
	scratch_load_b96 v[143:145], off, off offset:184
	ds_load_2addr_b32 v[11:12], v2 offset0:59 offset1:60
	ds_load_2addr_b32 v[146:147], v2 offset0:61 offset1:62
	;; [unrolled: 1-line block ×4, first 2 shown]
	s_mov_b32 s0, exec_lo
	s_waitcnt vmcnt(10) lgkmcnt(3)
	v_fma_f32 v152, v4, v11, 0
	s_delay_alu instid0(VALU_DEP_1) | instskip(SKIP_4) | instid1(VALU_DEP_1)
	v_fmac_f32_e32 v152, v5, v12
	ds_load_2addr_b32 v[4:5], v2 offset0:67 offset1:68
	s_waitcnt lgkmcnt(3)
	v_fmac_f32_e32 v152, v6, v146
	s_waitcnt vmcnt(9)
	v_fmac_f32_e32 v152, v7, v147
	ds_load_2addr_b32 v[6:7], v2 offset0:69 offset1:70
	s_waitcnt lgkmcnt(3)
	v_fmac_f32_e32 v152, v8, v148
	s_delay_alu instid0(VALU_DEP_1) | instskip(SKIP_1) | instid1(VALU_DEP_1)
	v_fmac_f32_e32 v152, v9, v149
	s_waitcnt lgkmcnt(2)
	v_fmac_f32_e32 v152, v10, v150
	ds_load_2addr_b32 v[8:9], v2 offset0:71 offset1:72
	ds_load_2addr_b32 v[10:11], v2 offset0:73 offset1:74
	s_waitcnt vmcnt(8)
	v_fmac_f32_e32 v152, v111, v151
	s_waitcnt lgkmcnt(3)
	s_delay_alu instid0(VALU_DEP_1) | instskip(NEXT) | instid1(VALU_DEP_1)
	v_fmac_f32_e32 v152, v112, v4
	v_fmac_f32_e32 v152, v113, v5
	ds_load_2addr_b32 v[4:5], v2 offset0:75 offset1:76
	s_waitcnt lgkmcnt(3)
	v_fmac_f32_e32 v152, v114, v6
	s_waitcnt vmcnt(7)
	s_delay_alu instid0(VALU_DEP_1) | instskip(SKIP_3) | instid1(VALU_DEP_1)
	v_fmac_f32_e32 v152, v115, v7
	ds_load_2addr_b32 v[6:7], v2 offset0:77 offset1:78
	s_waitcnt lgkmcnt(3)
	v_fmac_f32_e32 v152, v116, v8
	v_fmac_f32_e32 v152, v117, v9
	s_waitcnt lgkmcnt(2)
	s_delay_alu instid0(VALU_DEP_1) | instskip(SKIP_1) | instid1(VALU_DEP_1)
	v_fmac_f32_e32 v152, v118, v10
	s_waitcnt vmcnt(6)
	v_fmac_f32_e32 v152, v119, v11
	ds_load_2addr_b32 v[8:9], v2 offset0:79 offset1:80
	ds_load_2addr_b32 v[10:11], v2 offset0:81 offset1:82
	s_waitcnt lgkmcnt(3)
	v_fmac_f32_e32 v152, v120, v4
	s_delay_alu instid0(VALU_DEP_1) | instskip(SKIP_4) | instid1(VALU_DEP_1)
	v_fmac_f32_e32 v152, v121, v5
	ds_load_2addr_b32 v[4:5], v2 offset0:83 offset1:84
	s_waitcnt lgkmcnt(3)
	v_fmac_f32_e32 v152, v122, v6
	s_waitcnt vmcnt(5)
	v_fmac_f32_e32 v152, v123, v7
	ds_load_2addr_b32 v[6:7], v2 offset0:85 offset1:86
	s_waitcnt lgkmcnt(3)
	v_fmac_f32_e32 v152, v124, v8
	s_delay_alu instid0(VALU_DEP_1) | instskip(SKIP_1) | instid1(VALU_DEP_1)
	v_fmac_f32_e32 v152, v125, v9
	s_waitcnt lgkmcnt(2)
	v_fmac_f32_e32 v152, v126, v10
	s_waitcnt vmcnt(4)
	s_delay_alu instid0(VALU_DEP_1) | instskip(SKIP_4) | instid1(VALU_DEP_1)
	v_fmac_f32_e32 v152, v127, v11
	ds_load_2addr_b32 v[8:9], v2 offset0:87 offset1:88
	ds_load_2addr_b32 v[10:11], v2 offset0:89 offset1:90
	s_waitcnt lgkmcnt(3)
	v_fmac_f32_e32 v152, v128, v4
	v_fmac_f32_e32 v152, v129, v5
	ds_load_2addr_b32 v[4:5], v2 offset0:91 offset1:92
	s_waitcnt lgkmcnt(3)
	v_fmac_f32_e32 v152, v130, v6
	s_waitcnt vmcnt(3)
	s_delay_alu instid0(VALU_DEP_1) | instskip(SKIP_3) | instid1(VALU_DEP_1)
	v_fmac_f32_e32 v152, v131, v7
	ds_load_2addr_b32 v[6:7], v2 offset0:93 offset1:94
	s_waitcnt lgkmcnt(3)
	v_fmac_f32_e32 v152, v132, v8
	v_fmac_f32_e32 v152, v133, v9
	s_waitcnt lgkmcnt(2)
	s_delay_alu instid0(VALU_DEP_1) | instskip(SKIP_1) | instid1(VALU_DEP_1)
	v_fmac_f32_e32 v152, v134, v10
	s_waitcnt vmcnt(2)
	v_fmac_f32_e32 v152, v135, v11
	ds_load_2addr_b32 v[8:9], v2 offset0:95 offset1:96
	ds_load_2addr_b32 v[10:11], v2 offset0:97 offset1:98
	s_waitcnt lgkmcnt(3)
	v_fmac_f32_e32 v152, v136, v4
	s_delay_alu instid0(VALU_DEP_1) | instskip(SKIP_4) | instid1(VALU_DEP_1)
	v_fmac_f32_e32 v152, v137, v5
	ds_load_2addr_b32 v[4:5], v2 offset0:99 offset1:100
	s_waitcnt lgkmcnt(3)
	v_fmac_f32_e32 v152, v138, v6
	s_waitcnt vmcnt(1)
	v_fmac_f32_e32 v152, v139, v7
	s_waitcnt lgkmcnt(2)
	s_delay_alu instid0(VALU_DEP_1) | instskip(NEXT) | instid1(VALU_DEP_1)
	v_fmac_f32_e32 v152, v140, v8
	v_fmac_f32_e32 v152, v141, v9
	s_waitcnt lgkmcnt(1)
	s_delay_alu instid0(VALU_DEP_1) | instskip(SKIP_1) | instid1(VALU_DEP_1)
	v_fmac_f32_e32 v152, v142, v10
	s_waitcnt vmcnt(0)
	v_fmac_f32_e32 v152, v143, v11
	s_waitcnt lgkmcnt(0)
	s_delay_alu instid0(VALU_DEP_1) | instskip(NEXT) | instid1(VALU_DEP_1)
	v_fmac_f32_e32 v152, v144, v4
	v_fmac_f32_e32 v152, v145, v5
	s_delay_alu instid0(VALU_DEP_1)
	v_sub_f32_e32 v2, v3, v152
	scratch_store_b32 off, v2, off offset:24
	v_cmpx_lt_u32_e32 5, v0
	s_cbranch_execz .LBB48_291
; %bb.290:
	scratch_load_b32 v2, off, off offset:20
	v_mov_b32_e32 v3, 0
	scratch_store_b32 off, v3, off offset:20
	s_waitcnt vmcnt(0)
	ds_store_b32 v1, v2
.LBB48_291:
	s_or_b32 exec_lo, exec_lo, s0
	s_waitcnt lgkmcnt(0)
	s_waitcnt_vscnt null, 0x0
	s_barrier
	buffer_gl0_inv
	s_clause 0xa
	scratch_load_b128 v[3:6], off, off offset:20
	scratch_load_b128 v[7:10], off, off offset:36
	;; [unrolled: 1-line block ×11, first 2 shown]
	v_mov_b32_e32 v2, 0
	ds_load_2addr_b64 v[147:150], v2 offset0:29 offset1:30
	ds_load_2addr_b64 v[151:154], v2 offset0:31 offset1:32
	s_mov_b32 s0, exec_lo
	s_waitcnt vmcnt(10) lgkmcnt(1)
	v_fma_f32 v12, v4, v147, 0
	s_delay_alu instid0(VALU_DEP_1) | instskip(NEXT) | instid1(VALU_DEP_1)
	v_fmac_f32_e32 v12, v5, v148
	v_fmac_f32_e32 v12, v6, v149
	s_waitcnt vmcnt(9)
	s_delay_alu instid0(VALU_DEP_1) | instskip(SKIP_3) | instid1(VALU_DEP_1)
	v_fmac_f32_e32 v12, v7, v150
	ds_load_2addr_b64 v[4:7], v2 offset0:33 offset1:34
	s_waitcnt lgkmcnt(1)
	v_fmac_f32_e32 v12, v8, v151
	v_fmac_f32_e32 v12, v9, v152
	s_delay_alu instid0(VALU_DEP_1) | instskip(SKIP_4) | instid1(VALU_DEP_1)
	v_fmac_f32_e32 v12, v10, v153
	ds_load_2addr_b64 v[8:11], v2 offset0:35 offset1:36
	s_waitcnt vmcnt(8)
	v_fmac_f32_e32 v12, v111, v154
	s_waitcnt lgkmcnt(1)
	v_fmac_f32_e32 v12, v112, v4
	s_delay_alu instid0(VALU_DEP_1) | instskip(NEXT) | instid1(VALU_DEP_1)
	v_fmac_f32_e32 v12, v113, v5
	v_fmac_f32_e32 v12, v114, v6
	s_waitcnt vmcnt(7)
	s_delay_alu instid0(VALU_DEP_1) | instskip(SKIP_3) | instid1(VALU_DEP_1)
	v_fmac_f32_e32 v12, v115, v7
	ds_load_2addr_b64 v[4:7], v2 offset0:37 offset1:38
	s_waitcnt lgkmcnt(1)
	v_fmac_f32_e32 v12, v116, v8
	v_fmac_f32_e32 v12, v117, v9
	s_delay_alu instid0(VALU_DEP_1) | instskip(SKIP_1) | instid1(VALU_DEP_1)
	v_fmac_f32_e32 v12, v118, v10
	s_waitcnt vmcnt(6)
	v_fmac_f32_e32 v12, v119, v11
	ds_load_2addr_b64 v[8:11], v2 offset0:39 offset1:40
	s_waitcnt lgkmcnt(1)
	v_fmac_f32_e32 v12, v120, v4
	s_delay_alu instid0(VALU_DEP_1) | instskip(NEXT) | instid1(VALU_DEP_1)
	v_fmac_f32_e32 v12, v121, v5
	v_fmac_f32_e32 v12, v122, v6
	s_waitcnt vmcnt(5)
	s_delay_alu instid0(VALU_DEP_1) | instskip(SKIP_3) | instid1(VALU_DEP_1)
	v_fmac_f32_e32 v12, v123, v7
	ds_load_2addr_b64 v[4:7], v2 offset0:41 offset1:42
	s_waitcnt lgkmcnt(1)
	v_fmac_f32_e32 v12, v124, v8
	v_fmac_f32_e32 v12, v125, v9
	s_delay_alu instid0(VALU_DEP_1) | instskip(SKIP_1) | instid1(VALU_DEP_1)
	v_fmac_f32_e32 v12, v126, v10
	s_waitcnt vmcnt(4)
	v_fmac_f32_e32 v12, v127, v11
	ds_load_2addr_b64 v[8:11], v2 offset0:43 offset1:44
	;; [unrolled: 17-line block ×3, first 2 shown]
	s_waitcnt lgkmcnt(1)
	v_fmac_f32_e32 v12, v136, v4
	s_delay_alu instid0(VALU_DEP_1)
	v_fmac_f32_e32 v12, v137, v5
	ds_load_b64 v[4:5], v2 offset:392
	v_fmac_f32_e32 v12, v138, v6
	ds_load_b32 v6, v2 offset:400
	s_waitcnt vmcnt(1)
	v_fmac_f32_e32 v12, v139, v7
	s_waitcnt lgkmcnt(2)
	s_delay_alu instid0(VALU_DEP_1) | instskip(NEXT) | instid1(VALU_DEP_1)
	v_fmac_f32_e32 v12, v140, v8
	v_fmac_f32_e32 v12, v141, v9
	s_delay_alu instid0(VALU_DEP_1) | instskip(SKIP_1) | instid1(VALU_DEP_1)
	v_fmac_f32_e32 v12, v142, v10
	s_waitcnt vmcnt(0)
	v_fmac_f32_e32 v12, v143, v11
	s_waitcnt lgkmcnt(1)
	s_delay_alu instid0(VALU_DEP_1) | instskip(NEXT) | instid1(VALU_DEP_1)
	v_fmac_f32_e32 v12, v144, v4
	v_fmac_f32_e32 v12, v145, v5
	s_waitcnt lgkmcnt(0)
	s_delay_alu instid0(VALU_DEP_1) | instskip(NEXT) | instid1(VALU_DEP_1)
	v_fmac_f32_e32 v12, v146, v6
	v_sub_f32_e32 v3, v3, v12
	scratch_store_b32 off, v3, off offset:20
	v_cmpx_lt_u32_e32 4, v0
	s_cbranch_execz .LBB48_293
; %bb.292:
	scratch_load_b32 v3, off, off offset:16
	scratch_store_b32 off, v2, off offset:16
	s_waitcnt vmcnt(0)
	ds_store_b32 v1, v3
.LBB48_293:
	s_or_b32 exec_lo, exec_lo, s0
	s_waitcnt lgkmcnt(0)
	s_waitcnt_vscnt null, 0x0
	s_barrier
	buffer_gl0_inv
	s_clause 0xb
	scratch_load_b128 v[3:6], off, off offset:16
	scratch_load_b128 v[7:10], off, off offset:32
	;; [unrolled: 1-line block ×11, first 2 shown]
	scratch_load_b32 v153, off, off offset:192
	ds_load_2addr_b32 v[11:12], v2 offset0:57 offset1:58
	ds_load_2addr_b32 v[147:148], v2 offset0:59 offset1:60
	;; [unrolled: 1-line block ×4, first 2 shown]
	s_mov_b32 s0, exec_lo
	s_waitcnt vmcnt(11) lgkmcnt(3)
	v_fma_f32 v154, v4, v11, 0
	s_delay_alu instid0(VALU_DEP_1) | instskip(SKIP_4) | instid1(VALU_DEP_1)
	v_fmac_f32_e32 v154, v5, v12
	ds_load_2addr_b32 v[4:5], v2 offset0:65 offset1:66
	s_waitcnt lgkmcnt(3)
	v_fmac_f32_e32 v154, v6, v147
	s_waitcnt vmcnt(10)
	v_fmac_f32_e32 v154, v7, v148
	ds_load_2addr_b32 v[6:7], v2 offset0:67 offset1:68
	s_waitcnt lgkmcnt(3)
	v_fmac_f32_e32 v154, v8, v149
	s_delay_alu instid0(VALU_DEP_1) | instskip(SKIP_1) | instid1(VALU_DEP_1)
	v_fmac_f32_e32 v154, v9, v150
	s_waitcnt lgkmcnt(2)
	v_fmac_f32_e32 v154, v10, v151
	ds_load_2addr_b32 v[8:9], v2 offset0:69 offset1:70
	ds_load_2addr_b32 v[10:11], v2 offset0:71 offset1:72
	s_waitcnt vmcnt(9)
	v_fmac_f32_e32 v154, v111, v152
	s_waitcnt lgkmcnt(3)
	s_delay_alu instid0(VALU_DEP_1) | instskip(NEXT) | instid1(VALU_DEP_1)
	v_fmac_f32_e32 v154, v112, v4
	v_fmac_f32_e32 v154, v113, v5
	ds_load_2addr_b32 v[4:5], v2 offset0:73 offset1:74
	s_waitcnt lgkmcnt(3)
	v_fmac_f32_e32 v154, v114, v6
	s_waitcnt vmcnt(8)
	s_delay_alu instid0(VALU_DEP_1) | instskip(SKIP_3) | instid1(VALU_DEP_1)
	v_fmac_f32_e32 v154, v115, v7
	ds_load_2addr_b32 v[6:7], v2 offset0:75 offset1:76
	s_waitcnt lgkmcnt(3)
	v_fmac_f32_e32 v154, v116, v8
	v_fmac_f32_e32 v154, v117, v9
	s_waitcnt lgkmcnt(2)
	s_delay_alu instid0(VALU_DEP_1) | instskip(SKIP_1) | instid1(VALU_DEP_1)
	v_fmac_f32_e32 v154, v118, v10
	s_waitcnt vmcnt(7)
	v_fmac_f32_e32 v154, v119, v11
	ds_load_2addr_b32 v[8:9], v2 offset0:77 offset1:78
	ds_load_2addr_b32 v[10:11], v2 offset0:79 offset1:80
	s_waitcnt lgkmcnt(3)
	v_fmac_f32_e32 v154, v120, v4
	s_delay_alu instid0(VALU_DEP_1) | instskip(SKIP_4) | instid1(VALU_DEP_1)
	v_fmac_f32_e32 v154, v121, v5
	ds_load_2addr_b32 v[4:5], v2 offset0:81 offset1:82
	s_waitcnt lgkmcnt(3)
	v_fmac_f32_e32 v154, v122, v6
	s_waitcnt vmcnt(6)
	v_fmac_f32_e32 v154, v123, v7
	ds_load_2addr_b32 v[6:7], v2 offset0:83 offset1:84
	s_waitcnt lgkmcnt(3)
	v_fmac_f32_e32 v154, v124, v8
	s_delay_alu instid0(VALU_DEP_1) | instskip(SKIP_1) | instid1(VALU_DEP_1)
	v_fmac_f32_e32 v154, v125, v9
	s_waitcnt lgkmcnt(2)
	v_fmac_f32_e32 v154, v126, v10
	s_waitcnt vmcnt(5)
	s_delay_alu instid0(VALU_DEP_1) | instskip(SKIP_4) | instid1(VALU_DEP_1)
	v_fmac_f32_e32 v154, v127, v11
	ds_load_2addr_b32 v[8:9], v2 offset0:85 offset1:86
	ds_load_2addr_b32 v[10:11], v2 offset0:87 offset1:88
	s_waitcnt lgkmcnt(3)
	v_fmac_f32_e32 v154, v128, v4
	v_fmac_f32_e32 v154, v129, v5
	ds_load_2addr_b32 v[4:5], v2 offset0:89 offset1:90
	s_waitcnt lgkmcnt(3)
	v_fmac_f32_e32 v154, v130, v6
	s_waitcnt vmcnt(4)
	s_delay_alu instid0(VALU_DEP_1) | instskip(SKIP_3) | instid1(VALU_DEP_1)
	v_fmac_f32_e32 v154, v131, v7
	ds_load_2addr_b32 v[6:7], v2 offset0:91 offset1:92
	s_waitcnt lgkmcnt(3)
	v_fmac_f32_e32 v154, v132, v8
	v_fmac_f32_e32 v154, v133, v9
	s_waitcnt lgkmcnt(2)
	s_delay_alu instid0(VALU_DEP_1) | instskip(SKIP_1) | instid1(VALU_DEP_1)
	v_fmac_f32_e32 v154, v134, v10
	s_waitcnt vmcnt(3)
	v_fmac_f32_e32 v154, v135, v11
	ds_load_2addr_b32 v[8:9], v2 offset0:93 offset1:94
	ds_load_2addr_b32 v[10:11], v2 offset0:95 offset1:96
	s_waitcnt lgkmcnt(3)
	v_fmac_f32_e32 v154, v136, v4
	s_delay_alu instid0(VALU_DEP_1) | instskip(SKIP_4) | instid1(VALU_DEP_1)
	v_fmac_f32_e32 v154, v137, v5
	ds_load_2addr_b32 v[4:5], v2 offset0:97 offset1:98
	s_waitcnt lgkmcnt(3)
	v_fmac_f32_e32 v154, v138, v6
	s_waitcnt vmcnt(2)
	v_fmac_f32_e32 v154, v139, v7
	ds_load_2addr_b32 v[6:7], v2 offset0:99 offset1:100
	s_waitcnt lgkmcnt(3)
	v_fmac_f32_e32 v154, v140, v8
	s_delay_alu instid0(VALU_DEP_1) | instskip(SKIP_1) | instid1(VALU_DEP_1)
	v_fmac_f32_e32 v154, v141, v9
	s_waitcnt lgkmcnt(2)
	v_fmac_f32_e32 v154, v142, v10
	s_waitcnt vmcnt(1)
	s_delay_alu instid0(VALU_DEP_1) | instskip(SKIP_1) | instid1(VALU_DEP_1)
	v_fmac_f32_e32 v154, v143, v11
	s_waitcnt lgkmcnt(1)
	v_fmac_f32_e32 v154, v144, v4
	s_delay_alu instid0(VALU_DEP_1) | instskip(SKIP_1) | instid1(VALU_DEP_1)
	v_fmac_f32_e32 v154, v145, v5
	s_waitcnt lgkmcnt(0)
	v_fmac_f32_e32 v154, v146, v6
	s_waitcnt vmcnt(0)
	s_delay_alu instid0(VALU_DEP_1) | instskip(NEXT) | instid1(VALU_DEP_1)
	v_fmac_f32_e32 v154, v153, v7
	v_sub_f32_e32 v2, v3, v154
	scratch_store_b32 off, v2, off offset:16
	v_cmpx_lt_u32_e32 3, v0
	s_cbranch_execz .LBB48_295
; %bb.294:
	scratch_load_b32 v2, off, off offset:12
	v_mov_b32_e32 v3, 0
	scratch_store_b32 off, v3, off offset:12
	s_waitcnt vmcnt(0)
	ds_store_b32 v1, v2
.LBB48_295:
	s_or_b32 exec_lo, exec_lo, s0
	s_waitcnt lgkmcnt(0)
	s_waitcnt_vscnt null, 0x0
	s_barrier
	buffer_gl0_inv
	s_clause 0xb
	scratch_load_b128 v[3:6], off, off offset:12
	scratch_load_b128 v[7:10], off, off offset:28
	;; [unrolled: 1-line block ×11, first 2 shown]
	scratch_load_b64 v[155:156], off, off offset:188
	v_mov_b32_e32 v2, 0
	ds_load_b128 v[147:150], v2 offset:224
	ds_load_b128 v[151:154], v2 offset:240
	s_mov_b32 s0, exec_lo
	s_waitcnt vmcnt(11) lgkmcnt(1)
	v_fma_f32 v12, v4, v147, 0
	s_delay_alu instid0(VALU_DEP_1) | instskip(NEXT) | instid1(VALU_DEP_1)
	v_fmac_f32_e32 v12, v5, v148
	v_fmac_f32_e32 v12, v6, v149
	s_waitcnt vmcnt(10)
	s_delay_alu instid0(VALU_DEP_1) | instskip(SKIP_3) | instid1(VALU_DEP_1)
	v_fmac_f32_e32 v12, v7, v150
	ds_load_b128 v[4:7], v2 offset:256
	s_waitcnt lgkmcnt(1)
	v_fmac_f32_e32 v12, v8, v151
	v_fmac_f32_e32 v12, v9, v152
	s_delay_alu instid0(VALU_DEP_1) | instskip(SKIP_4) | instid1(VALU_DEP_1)
	v_fmac_f32_e32 v12, v10, v153
	ds_load_b128 v[8:11], v2 offset:272
	s_waitcnt vmcnt(9)
	v_fmac_f32_e32 v12, v111, v154
	s_waitcnt lgkmcnt(1)
	v_fmac_f32_e32 v12, v112, v4
	s_delay_alu instid0(VALU_DEP_1) | instskip(NEXT) | instid1(VALU_DEP_1)
	v_fmac_f32_e32 v12, v113, v5
	v_fmac_f32_e32 v12, v114, v6
	s_waitcnt vmcnt(8)
	s_delay_alu instid0(VALU_DEP_1) | instskip(SKIP_3) | instid1(VALU_DEP_1)
	v_fmac_f32_e32 v12, v115, v7
	ds_load_b128 v[4:7], v2 offset:288
	s_waitcnt lgkmcnt(1)
	v_fmac_f32_e32 v12, v116, v8
	v_fmac_f32_e32 v12, v117, v9
	s_delay_alu instid0(VALU_DEP_1) | instskip(SKIP_1) | instid1(VALU_DEP_1)
	v_fmac_f32_e32 v12, v118, v10
	s_waitcnt vmcnt(7)
	v_fmac_f32_e32 v12, v119, v11
	ds_load_b128 v[8:11], v2 offset:304
	s_waitcnt lgkmcnt(1)
	v_fmac_f32_e32 v12, v120, v4
	s_delay_alu instid0(VALU_DEP_1) | instskip(NEXT) | instid1(VALU_DEP_1)
	v_fmac_f32_e32 v12, v121, v5
	v_fmac_f32_e32 v12, v122, v6
	s_waitcnt vmcnt(6)
	s_delay_alu instid0(VALU_DEP_1) | instskip(SKIP_3) | instid1(VALU_DEP_1)
	v_fmac_f32_e32 v12, v123, v7
	ds_load_b128 v[4:7], v2 offset:320
	s_waitcnt lgkmcnt(1)
	v_fmac_f32_e32 v12, v124, v8
	v_fmac_f32_e32 v12, v125, v9
	s_delay_alu instid0(VALU_DEP_1) | instskip(SKIP_1) | instid1(VALU_DEP_1)
	v_fmac_f32_e32 v12, v126, v10
	s_waitcnt vmcnt(5)
	v_fmac_f32_e32 v12, v127, v11
	ds_load_b128 v[8:11], v2 offset:336
	;; [unrolled: 17-line block ×3, first 2 shown]
	s_waitcnt lgkmcnt(1)
	v_fmac_f32_e32 v12, v136, v4
	s_delay_alu instid0(VALU_DEP_1) | instskip(NEXT) | instid1(VALU_DEP_1)
	v_fmac_f32_e32 v12, v137, v5
	v_fmac_f32_e32 v12, v138, v6
	s_waitcnt vmcnt(2)
	s_delay_alu instid0(VALU_DEP_1)
	v_fmac_f32_e32 v12, v139, v7
	ds_load_b128 v[4:7], v2 offset:384
	s_waitcnt lgkmcnt(1)
	v_fmac_f32_e32 v12, v140, v8
	ds_load_b32 v8, v2 offset:400
	v_fmac_f32_e32 v12, v141, v9
	s_delay_alu instid0(VALU_DEP_1) | instskip(SKIP_1) | instid1(VALU_DEP_1)
	v_fmac_f32_e32 v12, v142, v10
	s_waitcnt vmcnt(1)
	v_fmac_f32_e32 v12, v143, v11
	s_waitcnt lgkmcnt(1)
	s_delay_alu instid0(VALU_DEP_1) | instskip(NEXT) | instid1(VALU_DEP_1)
	v_fmac_f32_e32 v12, v144, v4
	v_fmac_f32_e32 v12, v145, v5
	s_delay_alu instid0(VALU_DEP_1) | instskip(SKIP_1) | instid1(VALU_DEP_1)
	v_fmac_f32_e32 v12, v146, v6
	s_waitcnt vmcnt(0)
	v_fmac_f32_e32 v12, v155, v7
	s_waitcnt lgkmcnt(0)
	s_delay_alu instid0(VALU_DEP_1) | instskip(NEXT) | instid1(VALU_DEP_1)
	v_fmac_f32_e32 v12, v156, v8
	v_sub_f32_e32 v3, v3, v12
	scratch_store_b32 off, v3, off offset:12
	v_cmpx_lt_u32_e32 2, v0
	s_cbranch_execz .LBB48_297
; %bb.296:
	scratch_load_b32 v3, off, off offset:8
	scratch_store_b32 off, v2, off offset:8
	s_waitcnt vmcnt(0)
	ds_store_b32 v1, v3
.LBB48_297:
	s_or_b32 exec_lo, exec_lo, s0
	s_waitcnt lgkmcnt(0)
	s_waitcnt_vscnt null, 0x0
	s_barrier
	buffer_gl0_inv
	s_clause 0xb
	scratch_load_b128 v[3:6], off, off offset:8
	scratch_load_b128 v[7:10], off, off offset:24
	;; [unrolled: 1-line block ×11, first 2 shown]
	scratch_load_b96 v[147:149], off, off offset:184
	ds_load_2addr_b32 v[11:12], v2 offset0:55 offset1:56
	ds_load_2addr_b32 v[150:151], v2 offset0:57 offset1:58
	;; [unrolled: 1-line block ×4, first 2 shown]
	s_mov_b32 s0, exec_lo
	s_waitcnt vmcnt(11) lgkmcnt(3)
	v_fma_f32 v156, v4, v11, 0
	s_delay_alu instid0(VALU_DEP_1) | instskip(SKIP_4) | instid1(VALU_DEP_1)
	v_fmac_f32_e32 v156, v5, v12
	ds_load_2addr_b32 v[4:5], v2 offset0:63 offset1:64
	s_waitcnt lgkmcnt(3)
	v_fmac_f32_e32 v156, v6, v150
	s_waitcnt vmcnt(10)
	v_fmac_f32_e32 v156, v7, v151
	ds_load_2addr_b32 v[6:7], v2 offset0:65 offset1:66
	s_waitcnt lgkmcnt(3)
	v_fmac_f32_e32 v156, v8, v152
	s_delay_alu instid0(VALU_DEP_1) | instskip(SKIP_1) | instid1(VALU_DEP_1)
	v_fmac_f32_e32 v156, v9, v153
	s_waitcnt lgkmcnt(2)
	v_fmac_f32_e32 v156, v10, v154
	ds_load_2addr_b32 v[8:9], v2 offset0:67 offset1:68
	ds_load_2addr_b32 v[10:11], v2 offset0:69 offset1:70
	s_waitcnt vmcnt(9)
	v_fmac_f32_e32 v156, v111, v155
	s_waitcnt lgkmcnt(3)
	s_delay_alu instid0(VALU_DEP_1) | instskip(NEXT) | instid1(VALU_DEP_1)
	v_fmac_f32_e32 v156, v112, v4
	v_fmac_f32_e32 v156, v113, v5
	ds_load_2addr_b32 v[4:5], v2 offset0:71 offset1:72
	s_waitcnt lgkmcnt(3)
	v_fmac_f32_e32 v156, v114, v6
	s_waitcnt vmcnt(8)
	s_delay_alu instid0(VALU_DEP_1) | instskip(SKIP_3) | instid1(VALU_DEP_1)
	v_fmac_f32_e32 v156, v115, v7
	ds_load_2addr_b32 v[6:7], v2 offset0:73 offset1:74
	s_waitcnt lgkmcnt(3)
	v_fmac_f32_e32 v156, v116, v8
	v_fmac_f32_e32 v156, v117, v9
	s_waitcnt lgkmcnt(2)
	s_delay_alu instid0(VALU_DEP_1) | instskip(SKIP_1) | instid1(VALU_DEP_1)
	v_fmac_f32_e32 v156, v118, v10
	s_waitcnt vmcnt(7)
	v_fmac_f32_e32 v156, v119, v11
	ds_load_2addr_b32 v[8:9], v2 offset0:75 offset1:76
	ds_load_2addr_b32 v[10:11], v2 offset0:77 offset1:78
	s_waitcnt lgkmcnt(3)
	v_fmac_f32_e32 v156, v120, v4
	s_delay_alu instid0(VALU_DEP_1) | instskip(SKIP_4) | instid1(VALU_DEP_1)
	v_fmac_f32_e32 v156, v121, v5
	ds_load_2addr_b32 v[4:5], v2 offset0:79 offset1:80
	s_waitcnt lgkmcnt(3)
	v_fmac_f32_e32 v156, v122, v6
	s_waitcnt vmcnt(6)
	v_fmac_f32_e32 v156, v123, v7
	ds_load_2addr_b32 v[6:7], v2 offset0:81 offset1:82
	s_waitcnt lgkmcnt(3)
	v_fmac_f32_e32 v156, v124, v8
	s_delay_alu instid0(VALU_DEP_1) | instskip(SKIP_1) | instid1(VALU_DEP_1)
	v_fmac_f32_e32 v156, v125, v9
	s_waitcnt lgkmcnt(2)
	v_fmac_f32_e32 v156, v126, v10
	s_waitcnt vmcnt(5)
	s_delay_alu instid0(VALU_DEP_1) | instskip(SKIP_4) | instid1(VALU_DEP_1)
	v_fmac_f32_e32 v156, v127, v11
	ds_load_2addr_b32 v[8:9], v2 offset0:83 offset1:84
	ds_load_2addr_b32 v[10:11], v2 offset0:85 offset1:86
	s_waitcnt lgkmcnt(3)
	v_fmac_f32_e32 v156, v128, v4
	v_fmac_f32_e32 v156, v129, v5
	ds_load_2addr_b32 v[4:5], v2 offset0:87 offset1:88
	s_waitcnt lgkmcnt(3)
	v_fmac_f32_e32 v156, v130, v6
	s_waitcnt vmcnt(4)
	s_delay_alu instid0(VALU_DEP_1) | instskip(SKIP_3) | instid1(VALU_DEP_1)
	v_fmac_f32_e32 v156, v131, v7
	ds_load_2addr_b32 v[6:7], v2 offset0:89 offset1:90
	s_waitcnt lgkmcnt(3)
	v_fmac_f32_e32 v156, v132, v8
	v_fmac_f32_e32 v156, v133, v9
	s_waitcnt lgkmcnt(2)
	s_delay_alu instid0(VALU_DEP_1) | instskip(SKIP_1) | instid1(VALU_DEP_1)
	v_fmac_f32_e32 v156, v134, v10
	s_waitcnt vmcnt(3)
	v_fmac_f32_e32 v156, v135, v11
	ds_load_2addr_b32 v[8:9], v2 offset0:91 offset1:92
	ds_load_2addr_b32 v[10:11], v2 offset0:93 offset1:94
	s_waitcnt lgkmcnt(3)
	v_fmac_f32_e32 v156, v136, v4
	s_delay_alu instid0(VALU_DEP_1) | instskip(SKIP_4) | instid1(VALU_DEP_1)
	v_fmac_f32_e32 v156, v137, v5
	ds_load_2addr_b32 v[4:5], v2 offset0:95 offset1:96
	s_waitcnt lgkmcnt(3)
	v_fmac_f32_e32 v156, v138, v6
	s_waitcnt vmcnt(2)
	v_fmac_f32_e32 v156, v139, v7
	ds_load_2addr_b32 v[6:7], v2 offset0:97 offset1:98
	s_waitcnt lgkmcnt(3)
	v_fmac_f32_e32 v156, v140, v8
	s_delay_alu instid0(VALU_DEP_1) | instskip(SKIP_4) | instid1(VALU_DEP_1)
	v_fmac_f32_e32 v156, v141, v9
	ds_load_2addr_b32 v[8:9], v2 offset0:99 offset1:100
	s_waitcnt lgkmcnt(3)
	v_fmac_f32_e32 v156, v142, v10
	s_waitcnt vmcnt(1)
	v_fmac_f32_e32 v156, v143, v11
	s_waitcnt lgkmcnt(2)
	s_delay_alu instid0(VALU_DEP_1) | instskip(NEXT) | instid1(VALU_DEP_1)
	v_fmac_f32_e32 v156, v144, v4
	v_fmac_f32_e32 v156, v145, v5
	s_waitcnt lgkmcnt(1)
	s_delay_alu instid0(VALU_DEP_1) | instskip(SKIP_1) | instid1(VALU_DEP_1)
	v_fmac_f32_e32 v156, v146, v6
	s_waitcnt vmcnt(0)
	v_fmac_f32_e32 v156, v147, v7
	s_waitcnt lgkmcnt(0)
	s_delay_alu instid0(VALU_DEP_1) | instskip(NEXT) | instid1(VALU_DEP_1)
	v_fmac_f32_e32 v156, v148, v8
	v_fmac_f32_e32 v156, v149, v9
	s_delay_alu instid0(VALU_DEP_1)
	v_sub_f32_e32 v2, v3, v156
	scratch_store_b32 off, v2, off offset:8
	v_cmpx_lt_u32_e32 1, v0
	s_cbranch_execz .LBB48_299
; %bb.298:
	scratch_load_b32 v2, off, off offset:4
	v_mov_b32_e32 v3, 0
	scratch_store_b32 off, v3, off offset:4
	s_waitcnt vmcnt(0)
	ds_store_b32 v1, v2
.LBB48_299:
	s_or_b32 exec_lo, exec_lo, s0
	s_waitcnt lgkmcnt(0)
	s_waitcnt_vscnt null, 0x0
	s_barrier
	buffer_gl0_inv
	s_clause 0xb
	scratch_load_b128 v[5:8], off, off offset:4
	scratch_load_b128 v[9:12], off, off offset:20
	;; [unrolled: 1-line block ×12, first 2 shown]
	v_mov_b32_e32 v4, 0
	ds_load_2addr_b64 v[151:154], v4 offset0:27 offset1:28
	ds_load_2addr_b64 v[155:158], v4 offset0:29 offset1:30
	s_mov_b32 s0, exec_lo
	s_waitcnt vmcnt(11) lgkmcnt(1)
	v_fma_f32 v159, v6, v151, 0
	s_delay_alu instid0(VALU_DEP_1) | instskip(SKIP_3) | instid1(VALU_DEP_1)
	v_fmac_f32_e32 v159, v7, v152
	ds_load_b64 v[2:3], v4 offset:392
	v_fmac_f32_e32 v159, v8, v153
	s_waitcnt vmcnt(10)
	v_fmac_f32_e32 v159, v9, v154
	ds_load_2addr_b64 v[6:9], v4 offset0:31 offset1:32
	ds_load_2addr_b64 v[151:154], v4 offset0:33 offset1:34
	s_waitcnt lgkmcnt(3)
	v_fmac_f32_e32 v159, v10, v155
	s_delay_alu instid0(VALU_DEP_1) | instskip(NEXT) | instid1(VALU_DEP_1)
	v_fmac_f32_e32 v159, v11, v156
	v_fmac_f32_e32 v159, v12, v157
	s_waitcnt vmcnt(9)
	s_delay_alu instid0(VALU_DEP_1) | instskip(SKIP_1) | instid1(VALU_DEP_1)
	v_fmac_f32_e32 v159, v111, v158
	s_waitcnt lgkmcnt(1)
	v_fmac_f32_e32 v159, v112, v6
	s_delay_alu instid0(VALU_DEP_1) | instskip(NEXT) | instid1(VALU_DEP_1)
	v_fmac_f32_e32 v159, v113, v7
	v_fmac_f32_e32 v159, v114, v8
	ds_load_2addr_b64 v[111:114], v4 offset0:37 offset1:38
	s_waitcnt vmcnt(8)
	v_fmac_f32_e32 v159, v115, v9
	ds_load_2addr_b64 v[6:9], v4 offset0:35 offset1:36
	s_waitcnt lgkmcnt(2)
	v_fmac_f32_e32 v159, v116, v151
	s_delay_alu instid0(VALU_DEP_1) | instskip(NEXT) | instid1(VALU_DEP_1)
	v_fmac_f32_e32 v159, v117, v152
	v_fmac_f32_e32 v159, v118, v153
	s_waitcnt vmcnt(7)
	s_delay_alu instid0(VALU_DEP_1) | instskip(SKIP_1) | instid1(VALU_DEP_1)
	v_fmac_f32_e32 v159, v119, v154
	s_waitcnt lgkmcnt(0)
	v_fmac_f32_e32 v159, v120, v6
	s_delay_alu instid0(VALU_DEP_1) | instskip(NEXT) | instid1(VALU_DEP_1)
	v_fmac_f32_e32 v159, v121, v7
	v_fmac_f32_e32 v159, v122, v8
	s_waitcnt vmcnt(6)
	s_delay_alu instid0(VALU_DEP_1) | instskip(SKIP_2) | instid1(VALU_DEP_1)
	v_fmac_f32_e32 v159, v123, v9
	ds_load_2addr_b64 v[6:9], v4 offset0:39 offset1:40
	v_fmac_f32_e32 v159, v124, v111
	v_fmac_f32_e32 v159, v125, v112
	s_delay_alu instid0(VALU_DEP_1) | instskip(SKIP_1) | instid1(VALU_DEP_1)
	v_fmac_f32_e32 v159, v126, v113
	s_waitcnt vmcnt(5)
	v_fmac_f32_e32 v159, v127, v114
	ds_load_2addr_b64 v[111:114], v4 offset0:41 offset1:42
	s_waitcnt lgkmcnt(1)
	v_fmac_f32_e32 v159, v128, v6
	s_delay_alu instid0(VALU_DEP_1) | instskip(NEXT) | instid1(VALU_DEP_1)
	v_fmac_f32_e32 v159, v129, v7
	v_fmac_f32_e32 v159, v130, v8
	s_waitcnt vmcnt(4)
	s_delay_alu instid0(VALU_DEP_1) | instskip(SKIP_3) | instid1(VALU_DEP_1)
	v_fmac_f32_e32 v159, v131, v9
	ds_load_2addr_b64 v[6:9], v4 offset0:43 offset1:44
	s_waitcnt lgkmcnt(1)
	v_fmac_f32_e32 v159, v132, v111
	v_fmac_f32_e32 v159, v133, v112
	s_delay_alu instid0(VALU_DEP_1) | instskip(SKIP_1) | instid1(VALU_DEP_1)
	v_fmac_f32_e32 v159, v134, v113
	s_waitcnt vmcnt(3)
	v_fmac_f32_e32 v159, v135, v114
	ds_load_2addr_b64 v[111:114], v4 offset0:45 offset1:46
	s_waitcnt lgkmcnt(1)
	v_fmac_f32_e32 v159, v136, v6
	s_delay_alu instid0(VALU_DEP_1) | instskip(NEXT) | instid1(VALU_DEP_1)
	v_fmac_f32_e32 v159, v137, v7
	v_fmac_f32_e32 v159, v138, v8
	s_waitcnt vmcnt(2)
	s_delay_alu instid0(VALU_DEP_1) | instskip(SKIP_3) | instid1(VALU_DEP_1)
	v_fmac_f32_e32 v159, v139, v9
	ds_load_2addr_b64 v[6:9], v4 offset0:47 offset1:48
	s_waitcnt lgkmcnt(1)
	v_fmac_f32_e32 v159, v140, v111
	v_fmac_f32_e32 v159, v141, v112
	s_delay_alu instid0(VALU_DEP_1) | instskip(SKIP_1) | instid1(VALU_DEP_1)
	v_fmac_f32_e32 v159, v142, v113
	s_waitcnt vmcnt(1)
	v_fmac_f32_e32 v159, v143, v114
	s_waitcnt lgkmcnt(0)
	s_delay_alu instid0(VALU_DEP_1) | instskip(SKIP_2) | instid1(VALU_DEP_1)
	v_fmac_f32_e32 v159, v144, v6
	ds_load_b32 v6, v4 offset:400
	v_fmac_f32_e32 v159, v145, v7
	v_fmac_f32_e32 v159, v146, v8
	s_waitcnt vmcnt(0)
	s_delay_alu instid0(VALU_DEP_1) | instskip(NEXT) | instid1(VALU_DEP_1)
	v_fmac_f32_e32 v159, v147, v9
	v_fmac_f32_e32 v159, v148, v2
	s_delay_alu instid0(VALU_DEP_1) | instskip(SKIP_1) | instid1(VALU_DEP_1)
	v_fmac_f32_e32 v159, v149, v3
	s_waitcnt lgkmcnt(0)
	v_fmac_f32_e32 v159, v150, v6
	s_delay_alu instid0(VALU_DEP_1)
	v_sub_f32_e32 v2, v5, v159
	scratch_store_b32 off, v2, off offset:4
	v_cmpx_ne_u32_e32 0, v0
	s_cbranch_execz .LBB48_301
; %bb.300:
	scratch_load_b32 v0, off, off
	scratch_store_b32 off, v4, off
	s_waitcnt vmcnt(0)
	ds_store_b32 v1, v0
.LBB48_301:
	s_or_b32 exec_lo, exec_lo, s0
	s_waitcnt lgkmcnt(0)
	s_waitcnt_vscnt null, 0x0
	s_barrier
	buffer_gl0_inv
	s_clause 0xc
	scratch_load_b128 v[5:8], off, off
	scratch_load_b128 v[9:12], off, off offset:16
	scratch_load_b128 v[111:114], off, off offset:32
	;; [unrolled: 1-line block ×11, first 2 shown]
	scratch_load_b32 v155, off, off offset:192
	ds_load_2addr_b32 v[147:148], v4 offset0:53 offset1:54
	ds_load_2addr_b32 v[149:150], v4 offset0:55 offset1:56
	;; [unrolled: 1-line block ×4, first 2 shown]
	s_and_b32 vcc_lo, exec_lo, s16
	s_waitcnt vmcnt(12) lgkmcnt(3)
	v_fma_f32 v156, v6, v147, 0
	s_delay_alu instid0(VALU_DEP_1) | instskip(SKIP_4) | instid1(VALU_DEP_1)
	v_fmac_f32_e32 v156, v7, v148
	ds_load_2addr_b32 v[6:7], v4 offset0:61 offset1:62
	s_waitcnt lgkmcnt(3)
	v_fmac_f32_e32 v156, v8, v149
	s_waitcnt vmcnt(11)
	v_fmac_f32_e32 v156, v9, v150
	ds_load_2addr_b32 v[8:9], v4 offset0:63 offset1:64
	s_waitcnt lgkmcnt(3)
	v_fmac_f32_e32 v156, v10, v151
	s_delay_alu instid0(VALU_DEP_1)
	v_fmac_f32_e32 v156, v11, v152
	ds_load_2addr_b32 v[10:11], v4 offset0:65 offset1:66
	ds_load_2addr_b32 v[147:148], v4 offset0:67 offset1:68
	s_waitcnt lgkmcnt(4)
	v_fmac_f32_e32 v156, v12, v153
	s_waitcnt vmcnt(10)
	s_delay_alu instid0(VALU_DEP_1) | instskip(SKIP_1) | instid1(VALU_DEP_1)
	v_fmac_f32_e32 v156, v111, v154
	s_waitcnt lgkmcnt(3)
	v_fmac_f32_e32 v156, v112, v6
	s_delay_alu instid0(VALU_DEP_1) | instskip(SKIP_4) | instid1(VALU_DEP_1)
	v_fmac_f32_e32 v156, v113, v7
	ds_load_2addr_b32 v[6:7], v4 offset0:69 offset1:70
	s_waitcnt lgkmcnt(3)
	v_fmac_f32_e32 v156, v114, v8
	s_waitcnt vmcnt(9)
	v_fmac_f32_e32 v156, v115, v9
	ds_load_2addr_b32 v[8:9], v4 offset0:71 offset1:72
	s_waitcnt lgkmcnt(3)
	v_fmac_f32_e32 v156, v116, v10
	s_delay_alu instid0(VALU_DEP_1)
	v_fmac_f32_e32 v156, v117, v11
	ds_load_2addr_b32 v[10:11], v4 offset0:73 offset1:74
	ds_load_2addr_b32 v[111:112], v4 offset0:75 offset1:76
	s_waitcnt lgkmcnt(4)
	v_fmac_f32_e32 v156, v118, v147
	s_waitcnt vmcnt(8)
	s_delay_alu instid0(VALU_DEP_1) | instskip(SKIP_1) | instid1(VALU_DEP_1)
	v_fmac_f32_e32 v156, v119, v148
	s_waitcnt lgkmcnt(3)
	v_fmac_f32_e32 v156, v120, v6
	s_delay_alu instid0(VALU_DEP_1) | instskip(SKIP_4) | instid1(VALU_DEP_1)
	v_fmac_f32_e32 v156, v121, v7
	ds_load_2addr_b32 v[6:7], v4 offset0:77 offset1:78
	s_waitcnt lgkmcnt(3)
	v_fmac_f32_e32 v156, v122, v8
	s_waitcnt vmcnt(7)
	v_fmac_f32_e32 v156, v123, v9
	ds_load_2addr_b32 v[8:9], v4 offset0:79 offset1:80
	s_waitcnt lgkmcnt(3)
	v_fmac_f32_e32 v156, v124, v10
	s_delay_alu instid0(VALU_DEP_1) | instskip(SKIP_1) | instid1(VALU_DEP_1)
	v_fmac_f32_e32 v156, v125, v11
	s_waitcnt lgkmcnt(2)
	v_fmac_f32_e32 v156, v126, v111
	s_waitcnt vmcnt(6)
	s_delay_alu instid0(VALU_DEP_1) | instskip(SKIP_4) | instid1(VALU_DEP_1)
	v_fmac_f32_e32 v156, v127, v112
	ds_load_2addr_b32 v[10:11], v4 offset0:81 offset1:82
	ds_load_2addr_b32 v[111:112], v4 offset0:83 offset1:84
	s_waitcnt lgkmcnt(3)
	v_fmac_f32_e32 v156, v128, v6
	v_fmac_f32_e32 v156, v129, v7
	ds_load_2addr_b32 v[6:7], v4 offset0:85 offset1:86
	s_waitcnt lgkmcnt(3)
	v_fmac_f32_e32 v156, v130, v8
	s_waitcnt vmcnt(5)
	s_delay_alu instid0(VALU_DEP_1) | instskip(SKIP_3) | instid1(VALU_DEP_1)
	v_fmac_f32_e32 v156, v131, v9
	ds_load_2addr_b32 v[8:9], v4 offset0:87 offset1:88
	s_waitcnt lgkmcnt(3)
	v_fmac_f32_e32 v156, v132, v10
	v_fmac_f32_e32 v156, v133, v11
	s_waitcnt lgkmcnt(2)
	s_delay_alu instid0(VALU_DEP_1) | instskip(SKIP_1) | instid1(VALU_DEP_1)
	v_fmac_f32_e32 v156, v134, v111
	s_waitcnt vmcnt(4)
	v_fmac_f32_e32 v156, v135, v112
	ds_load_2addr_b32 v[10:11], v4 offset0:89 offset1:90
	ds_load_2addr_b32 v[111:112], v4 offset0:91 offset1:92
	s_waitcnt lgkmcnt(3)
	v_fmac_f32_e32 v156, v136, v6
	s_delay_alu instid0(VALU_DEP_1) | instskip(SKIP_4) | instid1(VALU_DEP_1)
	v_fmac_f32_e32 v156, v137, v7
	ds_load_2addr_b32 v[6:7], v4 offset0:93 offset1:94
	s_waitcnt lgkmcnt(3)
	v_fmac_f32_e32 v156, v138, v8
	s_waitcnt vmcnt(3)
	v_fmac_f32_e32 v156, v139, v9
	ds_load_2addr_b32 v[8:9], v4 offset0:95 offset1:96
	s_waitcnt lgkmcnt(3)
	v_fmac_f32_e32 v156, v140, v10
	s_delay_alu instid0(VALU_DEP_1) | instskip(SKIP_1) | instid1(VALU_DEP_1)
	v_fmac_f32_e32 v156, v141, v11
	s_waitcnt lgkmcnt(2)
	v_fmac_f32_e32 v156, v142, v111
	s_waitcnt vmcnt(2)
	s_delay_alu instid0(VALU_DEP_1) | instskip(SKIP_4) | instid1(VALU_DEP_1)
	v_fmac_f32_e32 v156, v143, v112
	ds_load_2addr_b32 v[10:11], v4 offset0:97 offset1:98
	ds_load_2addr_b32 v[111:112], v4 offset0:99 offset1:100
	s_waitcnt lgkmcnt(3)
	v_fmac_f32_e32 v156, v144, v6
	v_fmac_f32_e32 v156, v145, v7
	s_waitcnt lgkmcnt(2)
	s_delay_alu instid0(VALU_DEP_1) | instskip(SKIP_1) | instid1(VALU_DEP_1)
	v_fmac_f32_e32 v156, v146, v8
	s_waitcnt vmcnt(1)
	v_fmac_f32_e32 v156, v0, v9
	s_waitcnt lgkmcnt(1)
	s_delay_alu instid0(VALU_DEP_1) | instskip(NEXT) | instid1(VALU_DEP_1)
	v_fmac_f32_e32 v156, v1, v10
	v_fmac_f32_e32 v156, v2, v11
	s_waitcnt lgkmcnt(0)
	s_delay_alu instid0(VALU_DEP_1) | instskip(SKIP_1) | instid1(VALU_DEP_1)
	v_fmac_f32_e32 v156, v3, v111
	s_waitcnt vmcnt(0)
	v_fmac_f32_e32 v156, v155, v112
	s_delay_alu instid0(VALU_DEP_1)
	v_sub_f32_e32 v0, v5, v156
	scratch_store_b32 off, v0, off
	s_cbranch_vccz .LBB48_399
; %bb.302:
	v_dual_mov_b32 v0, s12 :: v_dual_mov_b32 v1, s13
	s_mov_b32 s0, exec_lo
	flat_load_b32 v0, v[0:1] offset:188
	s_waitcnt vmcnt(0) lgkmcnt(0)
	v_cmpx_ne_u32_e32 48, v0
	s_cbranch_execz .LBB48_304
; %bb.303:
	v_lshl_add_u32 v0, v0, 2, 0
	scratch_load_b32 v1, v0, off offset:-4
	s_waitcnt vmcnt(0)
	scratch_store_b32 off, v1, off offset:188
	scratch_store_b32 v0, v3, off offset:-4
.LBB48_304:
	s_or_b32 exec_lo, exec_lo, s0
	v_dual_mov_b32 v0, s12 :: v_dual_mov_b32 v1, s13
	s_mov_b32 s0, exec_lo
	flat_load_b32 v0, v[0:1] offset:184
	s_waitcnt vmcnt(0) lgkmcnt(0)
	v_cmpx_ne_u32_e32 47, v0
	s_cbranch_execz .LBB48_306
; %bb.305:
	v_lshl_add_u32 v0, v0, 2, 0
	scratch_load_b32 v1, v0, off offset:-4
	scratch_load_b32 v2, off, off offset:184
	s_waitcnt vmcnt(1)
	scratch_store_b32 off, v1, off offset:184
	s_waitcnt vmcnt(0)
	scratch_store_b32 v0, v2, off offset:-4
.LBB48_306:
	s_or_b32 exec_lo, exec_lo, s0
	v_dual_mov_b32 v0, s12 :: v_dual_mov_b32 v1, s13
	s_mov_b32 s0, exec_lo
	flat_load_b32 v0, v[0:1] offset:180
	s_waitcnt vmcnt(0) lgkmcnt(0)
	v_cmpx_ne_u32_e32 46, v0
	s_cbranch_execz .LBB48_308
; %bb.307:
	v_lshl_add_u32 v0, v0, 2, 0
	scratch_load_b32 v1, v0, off offset:-4
	scratch_load_b32 v2, off, off offset:180
	s_waitcnt vmcnt(1)
	scratch_store_b32 off, v1, off offset:180
	s_waitcnt vmcnt(0)
	scratch_store_b32 v0, v2, off offset:-4
.LBB48_308:
	;; [unrolled: 16-line block ×46, first 2 shown]
	s_or_b32 exec_lo, exec_lo, s0
	v_dual_mov_b32 v0, s12 :: v_dual_mov_b32 v1, s13
	s_mov_b32 s0, exec_lo
	flat_load_b32 v1, v[0:1]
	scratch_load_b32 v0, off, off
	s_waitcnt vmcnt(1) lgkmcnt(0)
	v_cmpx_ne_u32_e32 1, v1
	s_cbranch_execz .LBB48_398
; %bb.397:
	v_lshl_add_u32 v1, v1, 2, 0
	scratch_load_b32 v2, v1, off offset:-4
	s_waitcnt vmcnt(0)
	scratch_store_b32 off, v2, off
	scratch_store_b32 v1, v0, off offset:-4
	scratch_load_b32 v0, off, off
.LBB48_398:
	s_or_b32 exec_lo, exec_lo, s0
.LBB48_399:
	s_clause 0xb
	scratch_load_b128 v[1:4], off, off offset:4
	scratch_load_b128 v[5:8], off, off offset:20
	;; [unrolled: 1-line block ×12, first 2 shown]
	s_waitcnt vmcnt(12)
	global_store_b32 v[13:14], v0, off
	s_waitcnt vmcnt(11)
	s_clause 0x3
	global_store_b32 v[15:16], v1, off
	global_store_b32 v[17:18], v2, off
	global_store_b32 v[19:20], v3, off
	global_store_b32 v[21:22], v4, off
	s_waitcnt vmcnt(10)
	s_clause 0x3
	global_store_b32 v[23:24], v5, off
	global_store_b32 v[25:26], v6, off
	global_store_b32 v[27:28], v7, off
	;; [unrolled: 6-line block ×12, first 2 shown]
	global_store_b32 v[109:110], v146, off
	s_endpgm
	.section	.rodata,"a",@progbits
	.p2align	6, 0x0
	.amdhsa_kernel _ZN9rocsolver6v33100L18getri_kernel_smallILi49EfPfEEvT1_iilPiilS4_bb
		.amdhsa_group_segment_fixed_size 404
		.amdhsa_private_segment_fixed_size 208
		.amdhsa_kernarg_size 60
		.amdhsa_user_sgpr_count 15
		.amdhsa_user_sgpr_dispatch_ptr 0
		.amdhsa_user_sgpr_queue_ptr 0
		.amdhsa_user_sgpr_kernarg_segment_ptr 1
		.amdhsa_user_sgpr_dispatch_id 0
		.amdhsa_user_sgpr_private_segment_size 0
		.amdhsa_wavefront_size32 1
		.amdhsa_uses_dynamic_stack 0
		.amdhsa_enable_private_segment 1
		.amdhsa_system_sgpr_workgroup_id_x 1
		.amdhsa_system_sgpr_workgroup_id_y 0
		.amdhsa_system_sgpr_workgroup_id_z 0
		.amdhsa_system_sgpr_workgroup_info 0
		.amdhsa_system_vgpr_workitem_id 0
		.amdhsa_next_free_vgpr 160
		.amdhsa_next_free_sgpr 18
		.amdhsa_reserve_vcc 1
		.amdhsa_float_round_mode_32 0
		.amdhsa_float_round_mode_16_64 0
		.amdhsa_float_denorm_mode_32 3
		.amdhsa_float_denorm_mode_16_64 3
		.amdhsa_dx10_clamp 1
		.amdhsa_ieee_mode 1
		.amdhsa_fp16_overflow 0
		.amdhsa_workgroup_processor_mode 1
		.amdhsa_memory_ordered 1
		.amdhsa_forward_progress 0
		.amdhsa_shared_vgpr_count 0
		.amdhsa_exception_fp_ieee_invalid_op 0
		.amdhsa_exception_fp_denorm_src 0
		.amdhsa_exception_fp_ieee_div_zero 0
		.amdhsa_exception_fp_ieee_overflow 0
		.amdhsa_exception_fp_ieee_underflow 0
		.amdhsa_exception_fp_ieee_inexact 0
		.amdhsa_exception_int_div_zero 0
	.end_amdhsa_kernel
	.section	.text._ZN9rocsolver6v33100L18getri_kernel_smallILi49EfPfEEvT1_iilPiilS4_bb,"axG",@progbits,_ZN9rocsolver6v33100L18getri_kernel_smallILi49EfPfEEvT1_iilPiilS4_bb,comdat
.Lfunc_end48:
	.size	_ZN9rocsolver6v33100L18getri_kernel_smallILi49EfPfEEvT1_iilPiilS4_bb, .Lfunc_end48-_ZN9rocsolver6v33100L18getri_kernel_smallILi49EfPfEEvT1_iilPiilS4_bb
                                        ; -- End function
	.section	.AMDGPU.csdata,"",@progbits
; Kernel info:
; codeLenInByte = 35928
; NumSgprs: 20
; NumVgprs: 160
; ScratchSize: 208
; MemoryBound: 0
; FloatMode: 240
; IeeeMode: 1
; LDSByteSize: 404 bytes/workgroup (compile time only)
; SGPRBlocks: 2
; VGPRBlocks: 19
; NumSGPRsForWavesPerEU: 20
; NumVGPRsForWavesPerEU: 160
; Occupancy: 9
; WaveLimiterHint : 1
; COMPUTE_PGM_RSRC2:SCRATCH_EN: 1
; COMPUTE_PGM_RSRC2:USER_SGPR: 15
; COMPUTE_PGM_RSRC2:TRAP_HANDLER: 0
; COMPUTE_PGM_RSRC2:TGID_X_EN: 1
; COMPUTE_PGM_RSRC2:TGID_Y_EN: 0
; COMPUTE_PGM_RSRC2:TGID_Z_EN: 0
; COMPUTE_PGM_RSRC2:TIDIG_COMP_CNT: 0
	.section	.text._ZN9rocsolver6v33100L18getri_kernel_smallILi50EfPfEEvT1_iilPiilS4_bb,"axG",@progbits,_ZN9rocsolver6v33100L18getri_kernel_smallILi50EfPfEEvT1_iilPiilS4_bb,comdat
	.globl	_ZN9rocsolver6v33100L18getri_kernel_smallILi50EfPfEEvT1_iilPiilS4_bb ; -- Begin function _ZN9rocsolver6v33100L18getri_kernel_smallILi50EfPfEEvT1_iilPiilS4_bb
	.p2align	8
	.type	_ZN9rocsolver6v33100L18getri_kernel_smallILi50EfPfEEvT1_iilPiilS4_bb,@function
_ZN9rocsolver6v33100L18getri_kernel_smallILi50EfPfEEvT1_iilPiilS4_bb: ; @_ZN9rocsolver6v33100L18getri_kernel_smallILi50EfPfEEvT1_iilPiilS4_bb
; %bb.0:
	s_mov_b32 s2, exec_lo
	v_cmpx_gt_u32_e32 50, v0
	s_cbranch_execz .LBB49_208
; %bb.1:
	s_clause 0x2
	s_load_b32 s17, s[0:1], 0x38
	s_load_b128 s[8:11], s[0:1], 0x10
	s_load_b128 s[4:7], s[0:1], 0x28
	s_mov_b32 s14, s15
                                        ; implicit-def: $sgpr12_sgpr13
	s_waitcnt lgkmcnt(0)
	s_bitcmp1_b32 s17, 8
	s_cselect_b32 s16, -1, 0
	s_bfe_u32 s2, s17, 0x10008
	s_ashr_i32 s15, s15, 31
	s_cmp_eq_u32 s2, 0
	s_cbranch_scc1 .LBB49_3
; %bb.2:
	s_load_b32 s2, s[0:1], 0x20
	s_mul_i32 s3, s14, s5
	s_mul_hi_u32 s5, s14, s4
	s_mul_i32 s12, s15, s4
	s_add_i32 s3, s5, s3
	s_mul_i32 s4, s14, s4
	s_add_i32 s5, s3, s12
	s_delay_alu instid0(SALU_CYCLE_1)
	s_lshl_b64 s[4:5], s[4:5], 2
	s_waitcnt lgkmcnt(0)
	s_ashr_i32 s3, s2, 31
	s_add_u32 s4, s10, s4
	s_addc_u32 s5, s11, s5
	s_lshl_b64 s[2:3], s[2:3], 2
	s_delay_alu instid0(SALU_CYCLE_1)
	s_add_u32 s12, s4, s2
	s_addc_u32 s13, s5, s3
.LBB49_3:
	s_load_b128 s[0:3], s[0:1], 0x0
	s_mul_i32 s4, s14, s9
	s_mul_hi_u32 s5, s14, s8
	s_mul_i32 s9, s15, s8
	s_add_i32 s5, s5, s4
	s_mul_i32 s4, s14, s8
	s_add_i32 s5, s5, s9
	v_lshlrev_b32_e32 v101, 2, v0
	s_lshl_b64 s[4:5], s[4:5], 2
	s_waitcnt lgkmcnt(0)
	v_add3_u32 v3, s3, s3, v0
	s_ashr_i32 s9, s2, 31
	s_mov_b32 s8, s2
	s_add_u32 s2, s0, s4
	s_addc_u32 s4, s1, s5
	v_add_nc_u32_e32 v5, s3, v3
	s_lshl_b64 s[0:1], s[8:9], 2
	v_ashrrev_i32_e32 v4, 31, v3
	s_add_u32 s0, s2, s0
	s_addc_u32 s1, s4, s1
	v_add_nc_u32_e32 v7, s3, v5
	v_add_co_u32 v1, s2, s0, v101
	v_ashrrev_i32_e32 v6, 31, v5
	s_mov_b32 s10, s3
	s_delay_alu instid0(VALU_DEP_3) | instskip(SKIP_3) | instid1(VALU_DEP_3)
	v_add_nc_u32_e32 v9, s3, v7
	s_ashr_i32 s11, s3, 31
	v_add_co_ci_u32_e64 v2, null, s1, 0, s2
	v_lshlrev_b64 v[40:41], 2, v[3:4]
	v_add_nc_u32_e32 v11, s3, v9
	s_lshl_b64 s[4:5], s[10:11], 2
	v_lshlrev_b64 v[43:44], 2, v[5:6]
	v_add_co_u32 v3, vcc_lo, v1, s4
	s_delay_alu instid0(VALU_DEP_3) | instskip(SKIP_3) | instid1(VALU_DEP_4)
	v_add_nc_u32_e32 v13, s3, v11
	v_ashrrev_i32_e32 v8, 31, v7
	v_add_co_ci_u32_e32 v4, vcc_lo, s5, v2, vcc_lo
	v_add_co_u32 v5, vcc_lo, s0, v40
	v_add_nc_u32_e32 v15, s3, v13
	v_ashrrev_i32_e32 v10, 31, v9
	v_add_co_ci_u32_e32 v6, vcc_lo, s1, v41, vcc_lo
	v_lshlrev_b64 v[40:41], 2, v[7:8]
	s_delay_alu instid0(VALU_DEP_4) | instskip(SKIP_2) | instid1(VALU_DEP_3)
	v_add_nc_u32_e32 v17, s3, v15
	v_add_co_u32 v7, vcc_lo, s0, v43
	v_add_co_ci_u32_e32 v8, vcc_lo, s1, v44, vcc_lo
	v_add_nc_u32_e32 v19, s3, v17
	v_lshlrev_b64 v[43:44], 2, v[9:10]
	v_ashrrev_i32_e32 v12, 31, v11
	v_add_co_u32 v9, vcc_lo, s0, v40
	s_delay_alu instid0(VALU_DEP_4) | instskip(SKIP_3) | instid1(VALU_DEP_4)
	v_add_nc_u32_e32 v21, s3, v19
	v_ashrrev_i32_e32 v14, 31, v13
	v_add_co_ci_u32_e32 v10, vcc_lo, s1, v41, vcc_lo
	v_lshlrev_b64 v[40:41], 2, v[11:12]
	v_add_nc_u32_e32 v23, s3, v21
	v_add_co_u32 v11, vcc_lo, s0, v43
	v_add_co_ci_u32_e32 v12, vcc_lo, s1, v44, vcc_lo
	s_delay_alu instid0(VALU_DEP_3) | instskip(SKIP_3) | instid1(VALU_DEP_4)
	v_add_nc_u32_e32 v25, s3, v23
	v_lshlrev_b64 v[43:44], 2, v[13:14]
	v_ashrrev_i32_e32 v16, 31, v15
	v_add_co_u32 v13, vcc_lo, s0, v40
	v_add_nc_u32_e32 v27, s3, v25
	v_ashrrev_i32_e32 v18, 31, v17
	v_add_co_ci_u32_e32 v14, vcc_lo, s1, v41, vcc_lo
	v_lshlrev_b64 v[40:41], 2, v[15:16]
	s_delay_alu instid0(VALU_DEP_4) | instskip(SKIP_2) | instid1(VALU_DEP_3)
	v_add_nc_u32_e32 v29, s3, v27
	v_add_co_u32 v15, vcc_lo, s0, v43
	v_add_co_ci_u32_e32 v16, vcc_lo, s1, v44, vcc_lo
	v_add_nc_u32_e32 v31, s3, v29
	v_lshlrev_b64 v[43:44], 2, v[17:18]
	v_ashrrev_i32_e32 v20, 31, v19
	v_add_co_u32 v17, vcc_lo, s0, v40
	s_delay_alu instid0(VALU_DEP_4) | instskip(SKIP_3) | instid1(VALU_DEP_4)
	v_add_nc_u32_e32 v33, s3, v31
	v_ashrrev_i32_e32 v22, 31, v21
	v_add_co_ci_u32_e32 v18, vcc_lo, s1, v41, vcc_lo
	v_lshlrev_b64 v[40:41], 2, v[19:20]
	v_add_nc_u32_e32 v35, s3, v33
	v_add_co_u32 v19, vcc_lo, s0, v43
	v_add_co_ci_u32_e32 v20, vcc_lo, s1, v44, vcc_lo
	s_delay_alu instid0(VALU_DEP_3) | instskip(SKIP_3) | instid1(VALU_DEP_4)
	v_add_nc_u32_e32 v37, s3, v35
	v_lshlrev_b64 v[43:44], 2, v[21:22]
	v_ashrrev_i32_e32 v24, 31, v23
	;; [unrolled: 25-line block ×3, first 2 shown]
	v_add_co_u32 v29, vcc_lo, s0, v40
	v_add_nc_u32_e32 v53, s3, v51
	v_ashrrev_i32_e32 v34, 31, v33
	v_add_co_ci_u32_e32 v30, vcc_lo, s1, v41, vcc_lo
	v_lshlrev_b64 v[40:41], 2, v[31:32]
	s_delay_alu instid0(VALU_DEP_4) | instskip(SKIP_3) | instid1(VALU_DEP_4)
	v_add_nc_u32_e32 v55, s3, v53
	v_add_co_u32 v31, vcc_lo, s0, v43
	v_ashrrev_i32_e32 v36, 31, v35
	v_add_co_ci_u32_e32 v32, vcc_lo, s1, v44, vcc_lo
	v_add_nc_u32_e32 v57, s3, v55
	v_lshlrev_b64 v[43:44], 2, v[33:34]
	v_add_co_u32 v33, vcc_lo, s0, v40
	v_lshlrev_b64 v[66:67], 2, v[35:36]
	s_delay_alu instid0(VALU_DEP_4) | instskip(SKIP_3) | instid1(VALU_DEP_4)
	v_add_nc_u32_e32 v59, s3, v57
	v_ashrrev_i32_e32 v38, 31, v37
	v_add_co_ci_u32_e32 v34, vcc_lo, s1, v41, vcc_lo
	v_add_co_u32 v35, vcc_lo, s0, v43
	v_add_nc_u32_e32 v61, s3, v59
	v_ashrrev_i32_e32 v40, 31, v39
	v_add_co_ci_u32_e32 v36, vcc_lo, s1, v44, vcc_lo
	v_lshlrev_b64 v[82:83], 2, v[37:38]
	s_delay_alu instid0(VALU_DEP_4) | instskip(SKIP_3) | instid1(VALU_DEP_4)
	v_add_nc_u32_e32 v63, s3, v61
	v_add_co_u32 v37, vcc_lo, s0, v66
	v_ashrrev_i32_e32 v43, 31, v42
	v_add_co_ci_u32_e32 v38, vcc_lo, s1, v67, vcc_lo
	v_add_nc_u32_e32 v65, s3, v63
	v_lshlrev_b64 v[66:67], 2, v[39:40]
	v_ashrrev_i32_e32 v46, 31, v45
	v_add_co_u32 v39, vcc_lo, s0, v82
	s_delay_alu instid0(VALU_DEP_4) | instskip(SKIP_3) | instid1(VALU_DEP_4)
	v_add_nc_u32_e32 v69, s3, v65
	v_lshlrev_b64 v[43:44], 2, v[42:43]
	v_ashrrev_i32_e32 v48, 31, v47
	v_add_co_ci_u32_e32 v40, vcc_lo, s1, v83, vcc_lo
	v_add_nc_u32_e32 v71, s3, v69
	v_add_co_u32 v41, vcc_lo, s0, v66
	v_lshlrev_b64 v[45:46], 2, v[45:46]
	v_ashrrev_i32_e32 v50, 31, v49
	s_delay_alu instid0(VALU_DEP_4) | instskip(SKIP_2) | instid1(VALU_DEP_3)
	v_add_nc_u32_e32 v73, s3, v71
	v_add_co_ci_u32_e32 v42, vcc_lo, s1, v67, vcc_lo
	v_add_co_u32 v43, vcc_lo, s0, v43
	v_add_nc_u32_e32 v75, s3, v73
	v_lshlrev_b64 v[47:48], 2, v[47:48]
	v_ashrrev_i32_e32 v52, 31, v51
	v_add_co_ci_u32_e32 v44, vcc_lo, s1, v44, vcc_lo
	s_delay_alu instid0(VALU_DEP_4) | instskip(SKIP_3) | instid1(VALU_DEP_4)
	v_add_nc_u32_e32 v77, s3, v75
	v_add_co_u32 v45, vcc_lo, s0, v45
	v_lshlrev_b64 v[49:50], 2, v[49:50]
	v_ashrrev_i32_e32 v54, 31, v53
	v_add_nc_u32_e32 v79, s3, v77
	v_add_co_ci_u32_e32 v46, vcc_lo, s1, v46, vcc_lo
	v_add_co_u32 v47, vcc_lo, s0, v47
	s_delay_alu instid0(VALU_DEP_3) | instskip(SKIP_3) | instid1(VALU_DEP_4)
	v_add_nc_u32_e32 v81, s3, v79
	v_lshlrev_b64 v[51:52], 2, v[51:52]
	v_add_co_ci_u32_e32 v48, vcc_lo, s1, v48, vcc_lo
	v_add_co_u32 v49, vcc_lo, s0, v49
	v_add_nc_u32_e32 v84, s3, v81
	v_lshlrev_b64 v[53:54], 2, v[53:54]
	v_ashrrev_i32_e32 v56, 31, v55
	v_add_co_ci_u32_e32 v50, vcc_lo, s1, v50, vcc_lo
	s_delay_alu instid0(VALU_DEP_4) | instskip(SKIP_3) | instid1(VALU_DEP_4)
	v_add_nc_u32_e32 v86, s3, v84
	v_add_co_u32 v51, vcc_lo, s0, v51
	v_ashrrev_i32_e32 v58, 31, v57
	v_add_co_ci_u32_e32 v52, vcc_lo, s1, v52, vcc_lo
	v_add_nc_u32_e32 v88, s3, v86
	v_lshlrev_b64 v[66:67], 2, v[55:56]
	v_add_co_u32 v55, vcc_lo, s0, v53
	v_add_co_ci_u32_e32 v56, vcc_lo, s1, v54, vcc_lo
	s_delay_alu instid0(VALU_DEP_4) | instskip(SKIP_3) | instid1(VALU_DEP_4)
	v_add_nc_u32_e32 v90, s3, v88
	v_lshlrev_b64 v[53:54], 2, v[57:58]
	v_ashrrev_i32_e32 v60, 31, v59
	v_add_co_u32 v57, vcc_lo, s0, v66
	v_add_nc_u32_e32 v92, s3, v90
	v_add_co_ci_u32_e32 v58, vcc_lo, s1, v67, vcc_lo
	s_delay_alu instid0(VALU_DEP_4) | instskip(SKIP_1) | instid1(VALU_DEP_4)
	v_lshlrev_b64 v[66:67], 2, v[59:60]
	v_ashrrev_i32_e32 v62, 31, v61
	v_add_nc_u32_e32 v94, s3, v92
	v_add_co_u32 v59, vcc_lo, s0, v53
	v_add_co_ci_u32_e32 v60, vcc_lo, s1, v54, vcc_lo
	s_delay_alu instid0(VALU_DEP_3)
	v_add_nc_u32_e32 v96, s3, v94
	v_ashrrev_i32_e32 v64, 31, v63
	v_lshlrev_b64 v[99:100], 2, v[61:62]
	v_ashrrev_i32_e32 v70, 31, v69
	v_ashrrev_i32_e32 v72, 31, v71
	v_add_nc_u32_e32 v98, s3, v96
	v_ashrrev_i32_e32 v74, 31, v73
	v_ashrrev_i32_e32 v76, 31, v75
	v_lshlrev_b64 v[69:70], 2, v[69:70]
	v_lshlrev_b64 v[71:72], 2, v[71:72]
	v_add_nc_u32_e32 v143, s3, v98
	v_lshlrev_b64 v[73:74], 2, v[73:74]
	v_ashrrev_i32_e32 v78, 31, v77
	v_lshlrev_b64 v[75:76], 2, v[75:76]
	v_ashrrev_i32_e32 v80, 31, v79
	v_add_nc_u32_e32 v82, s3, v143
	v_ashrrev_i32_e32 v85, 31, v84
	v_lshlrev_b64 v[77:78], 2, v[77:78]
	v_ashrrev_i32_e32 v87, 31, v86
	v_lshlrev_b64 v[79:80], 2, v[79:80]
	v_ashrrev_i32_e32 v83, 31, v82
	v_ashrrev_i32_e32 v89, 31, v88
	;; [unrolled: 1-line block ×5, first 2 shown]
	v_lshlrev_b64 v[82:83], 2, v[82:83]
	v_ashrrev_i32_e32 v97, 31, v96
	v_ashrrev_i32_e32 v144, 31, v143
	s_clause 0x10
	global_load_b32 v102, v101, s[0:1]
	global_load_b32 v103, v[3:4], off
	global_load_b32 v104, v[5:6], off
	;; [unrolled: 1-line block ×16, first 2 shown]
	v_add_co_u32 v53, vcc_lo, s0, v82
	v_add_co_ci_u32_e32 v54, vcc_lo, s1, v83, vcc_lo
	v_add_co_u32 v61, vcc_lo, s0, v66
	v_ashrrev_i32_e32 v66, 31, v65
	v_add_co_ci_u32_e32 v62, vcc_lo, s1, v67, vcc_lo
	v_lshlrev_b64 v[67:68], 2, v[63:64]
	v_add_co_u32 v63, vcc_lo, s0, v99
	s_delay_alu instid0(VALU_DEP_4) | instskip(SKIP_1) | instid1(VALU_DEP_4)
	v_lshlrev_b64 v[82:83], 2, v[65:66]
	v_add_co_ci_u32_e32 v64, vcc_lo, s1, v100, vcc_lo
	v_add_co_u32 v65, vcc_lo, s0, v67
	v_add_co_ci_u32_e32 v66, vcc_lo, s1, v68, vcc_lo
	s_delay_alu instid0(VALU_DEP_4)
	v_add_co_u32 v67, vcc_lo, s0, v82
	v_add_co_ci_u32_e32 v68, vcc_lo, s1, v83, vcc_lo
	v_add_co_u32 v69, vcc_lo, s0, v69
	v_add_co_ci_u32_e32 v70, vcc_lo, s1, v70, vcc_lo
	;; [unrolled: 2-line block ×3, first 2 shown]
	v_add_co_u32 v73, vcc_lo, s0, v73
	v_ashrrev_i32_e32 v82, 31, v81
	v_add_co_ci_u32_e32 v74, vcc_lo, s1, v74, vcc_lo
	v_add_co_u32 v75, vcc_lo, s0, v75
	v_add_co_ci_u32_e32 v76, vcc_lo, s1, v76, vcc_lo
	v_add_co_u32 v77, vcc_lo, s0, v77
	v_lshlrev_b64 v[81:82], 2, v[81:82]
	v_add_co_ci_u32_e32 v78, vcc_lo, s1, v78, vcc_lo
	v_add_co_u32 v79, vcc_lo, s0, v79
	v_lshlrev_b64 v[83:84], 2, v[84:85]
	;; [unrolled: 3-line block ×7, first 2 shown]
	v_ashrrev_i32_e32 v99, 31, v98
	v_add_co_ci_u32_e32 v90, vcc_lo, s1, v90, vcc_lo
	v_add_co_u32 v91, vcc_lo, s0, v91
	v_lshlrev_b64 v[95:96], 2, v[96:97]
	v_add_co_ci_u32_e32 v92, vcc_lo, s1, v92, vcc_lo
	v_add_co_u32 v93, vcc_lo, s0, v93
	v_lshlrev_b64 v[97:98], 2, v[98:99]
	;; [unrolled: 3-line block ×3, first 2 shown]
	v_add_co_ci_u32_e32 v96, vcc_lo, s1, v96, vcc_lo
	v_add_co_u32 v97, vcc_lo, s0, v97
	v_add_co_ci_u32_e32 v98, vcc_lo, s1, v98, vcc_lo
	s_delay_alu instid0(VALU_DEP_4)
	v_add_co_u32 v99, vcc_lo, s0, v99
	s_clause 0x17
	global_load_b32 v119, v[35:36], off
	global_load_b32 v120, v[37:38], off
	global_load_b32 v121, v[39:40], off
	global_load_b32 v122, v[41:42], off
	global_load_b32 v123, v[43:44], off
	global_load_b32 v124, v[45:46], off
	global_load_b32 v125, v[47:48], off
	global_load_b32 v126, v[49:50], off
	global_load_b32 v127, v[51:52], off
	global_load_b32 v128, v[55:56], off
	global_load_b32 v129, v[57:58], off
	global_load_b32 v130, v[59:60], off
	global_load_b32 v131, v[61:62], off
	global_load_b32 v132, v[63:64], off
	global_load_b32 v133, v[65:66], off
	global_load_b32 v134, v[67:68], off
	global_load_b32 v135, v[69:70], off
	global_load_b32 v136, v[71:72], off
	global_load_b32 v137, v[73:74], off
	global_load_b32 v138, v[75:76], off
	global_load_b32 v139, v[77:78], off
	global_load_b32 v140, v[79:80], off
	global_load_b32 v141, v[81:82], off
	global_load_b32 v142, v[83:84], off
	v_add_co_ci_u32_e32 v100, vcc_lo, s1, v100, vcc_lo
	s_clause 0x8
	global_load_b32 v143, v[85:86], off
	global_load_b32 v144, v[87:88], off
	;; [unrolled: 1-line block ×9, first 2 shown]
	s_bitcmp0_b32 s17, 0
	s_mov_b32 s1, -1
	s_waitcnt vmcnt(46)
	scratch_store_b128 off, v[102:105], off
	s_waitcnt vmcnt(42)
	scratch_store_b128 off, v[106:109], off offset:16
	s_waitcnt vmcnt(38)
	scratch_store_b128 off, v[110:113], off offset:32
	;; [unrolled: 2-line block ×11, first 2 shown]
	s_waitcnt vmcnt(0)
	scratch_store_b64 off, v[150:151], off offset:192
	s_cbranch_scc1 .LBB49_206
; %bb.4:
	v_cmp_eq_u32_e64 s0, 0, v0
	s_delay_alu instid0(VALU_DEP_1)
	s_and_saveexec_b32 s1, s0
	s_cbranch_execz .LBB49_6
; %bb.5:
	v_mov_b32_e32 v102, 0
	ds_store_b32 v102, v102 offset:200
.LBB49_6:
	s_or_b32 exec_lo, exec_lo, s1
	s_waitcnt lgkmcnt(0)
	s_waitcnt_vscnt null, 0x0
	s_barrier
	buffer_gl0_inv
	scratch_load_b32 v102, v101, off
	s_mov_b32 s2, exec_lo
	s_waitcnt vmcnt(0)
	v_cmpx_eq_f32_e32 0, v102
	s_cbranch_execz .LBB49_10
; %bb.7:
	v_mov_b32_e32 v102, 0
	s_mov_b32 s3, 0
	ds_load_b32 v103, v102 offset:200
	s_waitcnt lgkmcnt(0)
	v_readfirstlane_b32 s1, v103
	v_add_nc_u32_e32 v103, 1, v0
	s_delay_alu instid0(VALU_DEP_2) | instskip(NEXT) | instid1(VALU_DEP_1)
	s_cmp_eq_u32 s1, 0
	v_cmp_gt_i32_e32 vcc_lo, s1, v103
	s_cselect_b32 s4, -1, 0
	s_delay_alu instid0(SALU_CYCLE_1) | instskip(NEXT) | instid1(SALU_CYCLE_1)
	s_or_b32 s4, s4, vcc_lo
	s_and_b32 exec_lo, exec_lo, s4
	s_cbranch_execz .LBB49_10
; %bb.8:
	v_mov_b32_e32 v104, s1
.LBB49_9:                               ; =>This Inner Loop Header: Depth=1
	ds_cmpstore_rtn_b32 v104, v102, v103, v104 offset:200
	s_waitcnt lgkmcnt(0)
	v_cmp_ne_u32_e32 vcc_lo, 0, v104
	v_cmp_le_i32_e64 s1, v104, v103
	s_delay_alu instid0(VALU_DEP_1) | instskip(NEXT) | instid1(SALU_CYCLE_1)
	s_and_b32 s1, vcc_lo, s1
	s_and_b32 s1, exec_lo, s1
	s_delay_alu instid0(SALU_CYCLE_1) | instskip(NEXT) | instid1(SALU_CYCLE_1)
	s_or_b32 s3, s1, s3
	s_and_not1_b32 exec_lo, exec_lo, s3
	s_cbranch_execnz .LBB49_9
.LBB49_10:
	s_or_b32 exec_lo, exec_lo, s2
	v_mov_b32_e32 v102, 0
	s_barrier
	buffer_gl0_inv
	ds_load_b32 v103, v102 offset:200
	s_and_saveexec_b32 s1, s0
	s_cbranch_execz .LBB49_12
; %bb.11:
	s_lshl_b64 s[2:3], s[14:15], 2
	s_delay_alu instid0(SALU_CYCLE_1)
	s_add_u32 s2, s6, s2
	s_addc_u32 s3, s7, s3
	s_waitcnt lgkmcnt(0)
	global_store_b32 v102, v103, s[2:3]
.LBB49_12:
	s_or_b32 exec_lo, exec_lo, s1
	s_waitcnt lgkmcnt(0)
	v_cmp_ne_u32_e32 vcc_lo, 0, v103
	s_mov_b32 s1, 0
	s_cbranch_vccnz .LBB49_206
; %bb.13:
	v_add_nc_u32_e32 v102, 0, v101
	scratch_load_b32 v103, v102, off
	s_waitcnt vmcnt(0)
	v_div_scale_f32 v104, null, v103, v103, 1.0
	v_div_scale_f32 v107, vcc_lo, 1.0, v103, 1.0
	s_delay_alu instid0(VALU_DEP_2) | instskip(SKIP_2) | instid1(VALU_DEP_1)
	v_rcp_f32_e32 v105, v104
	s_waitcnt_depctr 0xfff
	v_fma_f32 v106, -v104, v105, 1.0
	v_fmac_f32_e32 v105, v106, v105
	s_delay_alu instid0(VALU_DEP_1) | instskip(NEXT) | instid1(VALU_DEP_1)
	v_mul_f32_e32 v106, v107, v105
	v_fma_f32 v108, -v104, v106, v107
	s_delay_alu instid0(VALU_DEP_1) | instskip(NEXT) | instid1(VALU_DEP_1)
	v_fmac_f32_e32 v106, v108, v105
	v_fma_f32 v104, -v104, v106, v107
	s_delay_alu instid0(VALU_DEP_1) | instskip(NEXT) | instid1(VALU_DEP_1)
	v_div_fmas_f32 v104, v104, v105, v106
	v_div_fixup_f32 v103, v104, v103, 1.0
	scratch_store_b32 v102, v103, off
	scratch_load_b32 v104, off, off offset:4
	v_xor_b32_e32 v105, 0x80000000, v103
	v_add_nc_u32_e32 v103, 0xd0, v101
	s_waitcnt vmcnt(0)
	ds_store_2addr_b32 v101, v105, v104 offset1:52
	s_waitcnt lgkmcnt(0)
	s_waitcnt_vscnt null, 0x0
	s_barrier
	buffer_gl0_inv
	s_and_saveexec_b32 s1, s0
	s_cbranch_execz .LBB49_15
; %bb.14:
	scratch_load_b32 v104, v102, off
	ds_load_b32 v105, v103
	v_mov_b32_e32 v106, 0
	ds_load_b32 v106, v106 offset:4
	s_waitcnt vmcnt(0) lgkmcnt(1)
	v_fma_f32 v104, v104, v105, 0
	s_waitcnt lgkmcnt(0)
	s_delay_alu instid0(VALU_DEP_1)
	v_mul_f32_e32 v104, v104, v106
	scratch_store_b32 off, v104, off offset:4
.LBB49_15:
	s_or_b32 exec_lo, exec_lo, s1
	s_waitcnt_vscnt null, 0x0
	s_barrier
	buffer_gl0_inv
	scratch_load_b32 v104, off, off offset:8
	s_mov_b32 s1, exec_lo
	s_waitcnt vmcnt(0)
	ds_store_b32 v103, v104
	s_waitcnt lgkmcnt(0)
	s_barrier
	buffer_gl0_inv
	v_cmpx_gt_u32_e32 2, v0
	s_cbranch_execz .LBB49_17
; %bb.16:
	scratch_load_b32 v106, v102, off
	scratch_load_b32 v107, off, off offset:4
	ds_load_b32 v108, v103
	v_mov_b32_e32 v104, 0
	ds_load_2addr_b32 v[104:105], v104 offset0:2 offset1:53
	s_waitcnt vmcnt(1) lgkmcnt(1)
	v_fma_f32 v106, v106, v108, 0
	s_waitcnt vmcnt(0) lgkmcnt(0)
	s_delay_alu instid0(VALU_DEP_1) | instskip(NEXT) | instid1(VALU_DEP_1)
	v_fma_f32 v105, v107, v105, v106
	v_cndmask_b32_e64 v105, v106, v105, s0
	s_delay_alu instid0(VALU_DEP_1)
	v_mul_f32_e32 v104, v105, v104
	scratch_store_b32 off, v104, off offset:8
.LBB49_17:
	s_or_b32 exec_lo, exec_lo, s1
	s_waitcnt_vscnt null, 0x0
	s_barrier
	buffer_gl0_inv
	scratch_load_b32 v105, off, off offset:12
	v_add_nc_u32_e32 v104, -1, v0
	s_mov_b32 s0, exec_lo
	s_waitcnt vmcnt(0)
	ds_store_b32 v103, v105
	s_waitcnt lgkmcnt(0)
	s_barrier
	buffer_gl0_inv
	v_cmpx_gt_u32_e32 3, v0
	s_cbranch_execz .LBB49_21
; %bb.18:
	v_dual_mov_b32 v105, 0 :: v_dual_add_nc_u32 v106, -1, v0
	v_add_nc_u32_e32 v107, 0xd0, v101
	v_add_nc_u32_e32 v108, 0, v101
	s_mov_b32 s1, 0
.LBB49_19:                              ; =>This Inner Loop Header: Depth=1
	scratch_load_b32 v109, v108, off
	ds_load_b32 v110, v107
	v_add_nc_u32_e32 v106, 1, v106
	v_add_nc_u32_e32 v107, 4, v107
	v_add_nc_u32_e32 v108, 4, v108
	s_delay_alu instid0(VALU_DEP_3)
	v_cmp_lt_u32_e32 vcc_lo, 1, v106
	s_or_b32 s1, vcc_lo, s1
	s_waitcnt vmcnt(0) lgkmcnt(0)
	v_fmac_f32_e32 v105, v109, v110
	s_and_not1_b32 exec_lo, exec_lo, s1
	s_cbranch_execnz .LBB49_19
; %bb.20:
	s_or_b32 exec_lo, exec_lo, s1
	v_mov_b32_e32 v106, 0
	ds_load_b32 v106, v106 offset:12
	s_waitcnt lgkmcnt(0)
	v_mul_f32_e32 v105, v105, v106
	scratch_store_b32 off, v105, off offset:12
.LBB49_21:
	s_or_b32 exec_lo, exec_lo, s0
	s_waitcnt_vscnt null, 0x0
	s_barrier
	buffer_gl0_inv
	scratch_load_b32 v105, off, off offset:16
	s_mov_b32 s0, exec_lo
	s_waitcnt vmcnt(0)
	ds_store_b32 v103, v105
	s_waitcnt lgkmcnt(0)
	s_barrier
	buffer_gl0_inv
	v_cmpx_gt_u32_e32 4, v0
	s_cbranch_execz .LBB49_25
; %bb.22:
	v_dual_mov_b32 v105, 0 :: v_dual_add_nc_u32 v106, -1, v0
	v_add_nc_u32_e32 v107, 0xd0, v101
	v_add_nc_u32_e32 v108, 0, v101
	s_mov_b32 s1, 0
.LBB49_23:                              ; =>This Inner Loop Header: Depth=1
	scratch_load_b32 v109, v108, off
	ds_load_b32 v110, v107
	v_add_nc_u32_e32 v106, 1, v106
	v_add_nc_u32_e32 v107, 4, v107
	v_add_nc_u32_e32 v108, 4, v108
	s_delay_alu instid0(VALU_DEP_3)
	v_cmp_lt_u32_e32 vcc_lo, 2, v106
	s_or_b32 s1, vcc_lo, s1
	s_waitcnt vmcnt(0) lgkmcnt(0)
	v_fmac_f32_e32 v105, v109, v110
	s_and_not1_b32 exec_lo, exec_lo, s1
	s_cbranch_execnz .LBB49_23
; %bb.24:
	s_or_b32 exec_lo, exec_lo, s1
	v_mov_b32_e32 v106, 0
	ds_load_b32 v106, v106 offset:16
	s_waitcnt lgkmcnt(0)
	v_mul_f32_e32 v105, v105, v106
	scratch_store_b32 off, v105, off offset:16
.LBB49_25:
	s_or_b32 exec_lo, exec_lo, s0
	s_waitcnt_vscnt null, 0x0
	s_barrier
	buffer_gl0_inv
	scratch_load_b32 v105, off, off offset:20
	;; [unrolled: 39-line block ×21, first 2 shown]
	s_mov_b32 s0, exec_lo
	s_waitcnt vmcnt(0)
	ds_store_b32 v103, v105
	s_waitcnt lgkmcnt(0)
	s_barrier
	buffer_gl0_inv
	v_cmpx_gt_u32_e32 24, v0
	s_cbranch_execz .LBB49_105
; %bb.102:
	v_dual_mov_b32 v105, 0 :: v_dual_add_nc_u32 v106, -1, v0
	v_add_nc_u32_e32 v107, 0xd0, v101
	v_add_nc_u32_e32 v108, 0, v101
	s_mov_b32 s1, 0
.LBB49_103:                             ; =>This Inner Loop Header: Depth=1
	scratch_load_b32 v109, v108, off
	ds_load_b32 v110, v107
	v_add_nc_u32_e32 v106, 1, v106
	v_add_nc_u32_e32 v107, 4, v107
	v_add_nc_u32_e32 v108, 4, v108
	s_delay_alu instid0(VALU_DEP_3)
	v_cmp_lt_u32_e32 vcc_lo, 22, v106
	s_or_b32 s1, vcc_lo, s1
	s_waitcnt vmcnt(0) lgkmcnt(0)
	v_fmac_f32_e32 v105, v109, v110
	s_and_not1_b32 exec_lo, exec_lo, s1
	s_cbranch_execnz .LBB49_103
; %bb.104:
	s_or_b32 exec_lo, exec_lo, s1
	v_mov_b32_e32 v106, 0
	ds_load_b32 v106, v106 offset:96
	s_waitcnt lgkmcnt(0)
	v_mul_f32_e32 v105, v105, v106
	scratch_store_b32 off, v105, off offset:96
.LBB49_105:
	s_or_b32 exec_lo, exec_lo, s0
	s_waitcnt_vscnt null, 0x0
	s_barrier
	buffer_gl0_inv
	scratch_load_b32 v105, off, off offset:100
	s_mov_b32 s0, exec_lo
	s_waitcnt vmcnt(0)
	ds_store_b32 v103, v105
	s_waitcnt lgkmcnt(0)
	s_barrier
	buffer_gl0_inv
	v_cmpx_gt_u32_e32 25, v0
	s_cbranch_execz .LBB49_109
; %bb.106:
	v_dual_mov_b32 v105, 0 :: v_dual_add_nc_u32 v106, -1, v0
	v_add_nc_u32_e32 v107, 0xd0, v101
	v_add_nc_u32_e32 v108, 0, v101
	s_mov_b32 s1, 0
.LBB49_107:                             ; =>This Inner Loop Header: Depth=1
	scratch_load_b32 v109, v108, off
	ds_load_b32 v110, v107
	v_add_nc_u32_e32 v106, 1, v106
	v_add_nc_u32_e32 v107, 4, v107
	v_add_nc_u32_e32 v108, 4, v108
	s_delay_alu instid0(VALU_DEP_3)
	v_cmp_lt_u32_e32 vcc_lo, 23, v106
	s_or_b32 s1, vcc_lo, s1
	s_waitcnt vmcnt(0) lgkmcnt(0)
	v_fmac_f32_e32 v105, v109, v110
	s_and_not1_b32 exec_lo, exec_lo, s1
	s_cbranch_execnz .LBB49_107
; %bb.108:
	s_or_b32 exec_lo, exec_lo, s1
	v_mov_b32_e32 v106, 0
	ds_load_b32 v106, v106 offset:100
	s_waitcnt lgkmcnt(0)
	v_mul_f32_e32 v105, v105, v106
	scratch_store_b32 off, v105, off offset:100
.LBB49_109:
	s_or_b32 exec_lo, exec_lo, s0
	s_waitcnt_vscnt null, 0x0
	s_barrier
	buffer_gl0_inv
	scratch_load_b32 v105, off, off offset:104
	;; [unrolled: 39-line block ×24, first 2 shown]
	s_mov_b32 s0, exec_lo
	s_waitcnt vmcnt(0)
	ds_store_b32 v103, v105
	s_waitcnt lgkmcnt(0)
	s_barrier
	buffer_gl0_inv
	v_cmpx_gt_u32_e32 48, v0
	s_cbranch_execz .LBB49_201
; %bb.198:
	v_add_nc_u32_e32 v105, -1, v0
	v_add_nc_u32_e32 v106, 0xd0, v101
	v_add_nc_u32_e32 v107, 0, v101
	v_mov_b32_e32 v101, 0
	s_mov_b32 s1, 0
.LBB49_199:                             ; =>This Inner Loop Header: Depth=1
	scratch_load_b32 v108, v107, off
	ds_load_b32 v109, v106
	v_add_nc_u32_e32 v105, 1, v105
	v_add_nc_u32_e32 v106, 4, v106
	;; [unrolled: 1-line block ×3, first 2 shown]
	s_delay_alu instid0(VALU_DEP_3)
	v_cmp_lt_u32_e32 vcc_lo, 46, v105
	s_or_b32 s1, vcc_lo, s1
	s_waitcnt vmcnt(0) lgkmcnt(0)
	v_fmac_f32_e32 v101, v108, v109
	s_and_not1_b32 exec_lo, exec_lo, s1
	s_cbranch_execnz .LBB49_199
; %bb.200:
	s_or_b32 exec_lo, exec_lo, s1
	v_mov_b32_e32 v105, 0
	ds_load_b32 v105, v105 offset:192
	s_waitcnt lgkmcnt(0)
	v_mul_f32_e32 v101, v101, v105
	scratch_store_b32 off, v101, off offset:192
.LBB49_201:
	s_or_b32 exec_lo, exec_lo, s0
	s_waitcnt_vscnt null, 0x0
	s_barrier
	buffer_gl0_inv
	scratch_load_b32 v101, off, off offset:196
	s_mov_b32 s0, exec_lo
	s_waitcnt vmcnt(0)
	ds_store_b32 v103, v101
	s_waitcnt lgkmcnt(0)
	s_barrier
	buffer_gl0_inv
	v_cmpx_ne_u32_e32 49, v0
	s_cbranch_execz .LBB49_205
; %bb.202:
	v_mov_b32_e32 v101, 0
	s_mov_b32 s1, 0
.LBB49_203:                             ; =>This Inner Loop Header: Depth=1
	scratch_load_b32 v105, v102, off
	ds_load_b32 v106, v103
	v_add_nc_u32_e32 v104, 1, v104
	v_add_nc_u32_e32 v103, 4, v103
	;; [unrolled: 1-line block ×3, first 2 shown]
	s_waitcnt vmcnt(0) lgkmcnt(0)
	v_fmac_f32_e32 v101, v105, v106
	v_cmp_lt_u32_e32 vcc_lo, 47, v104
	s_or_b32 s1, vcc_lo, s1
	s_delay_alu instid0(SALU_CYCLE_1)
	s_and_not1_b32 exec_lo, exec_lo, s1
	s_cbranch_execnz .LBB49_203
; %bb.204:
	s_or_b32 exec_lo, exec_lo, s1
	v_mov_b32_e32 v102, 0
	ds_load_b32 v102, v102 offset:196
	s_waitcnt lgkmcnt(0)
	v_mul_f32_e32 v101, v101, v102
	scratch_store_b32 off, v101, off offset:196
.LBB49_205:
	s_or_b32 exec_lo, exec_lo, s0
	s_mov_b32 s1, -1
	s_waitcnt_vscnt null, 0x0
	s_barrier
	buffer_gl0_inv
.LBB49_206:
	s_and_b32 vcc_lo, exec_lo, s1
	s_cbranch_vccz .LBB49_208
; %bb.207:
	s_lshl_b64 s[0:1], s[14:15], 2
	v_mov_b32_e32 v101, 0
	s_add_u32 s0, s6, s0
	s_addc_u32 s1, s7, s1
	global_load_b32 v101, v101, s[0:1]
	s_waitcnt vmcnt(0)
	v_cmp_ne_u32_e32 vcc_lo, 0, v101
	s_cbranch_vccz .LBB49_209
.LBB49_208:
	s_endpgm
.LBB49_209:
	v_lshl_add_u32 v101, v0, 2, 0xd0
	s_mov_b32 s0, exec_lo
	v_cmpx_eq_u32_e32 49, v0
	s_cbranch_execz .LBB49_211
; %bb.210:
	scratch_load_b32 v102, off, off offset:192
	v_mov_b32_e32 v103, 0
	scratch_store_b32 off, v103, off offset:192
	s_waitcnt vmcnt(0)
	ds_store_b32 v101, v102
.LBB49_211:
	s_or_b32 exec_lo, exec_lo, s0
	s_waitcnt lgkmcnt(0)
	s_waitcnt_vscnt null, 0x0
	s_barrier
	buffer_gl0_inv
	scratch_load_b64 v[103:104], off, off offset:192
	v_mov_b32_e32 v102, 0
	s_mov_b32 s0, exec_lo
	ds_load_b32 v105, v102 offset:404
	s_waitcnt vmcnt(0) lgkmcnt(0)
	v_fma_f32 v104, v104, v105, 0
	s_delay_alu instid0(VALU_DEP_1)
	v_sub_f32_e32 v103, v103, v104
	scratch_store_b32 off, v103, off offset:192
	v_cmpx_lt_u32_e32 47, v0
	s_cbranch_execz .LBB49_213
; %bb.212:
	scratch_load_b32 v103, off, off offset:188
	scratch_store_b32 off, v102, off offset:188
	s_waitcnt vmcnt(0)
	ds_store_b32 v101, v103
.LBB49_213:
	s_or_b32 exec_lo, exec_lo, s0
	s_waitcnt lgkmcnt(0)
	s_waitcnt_vscnt null, 0x0
	s_barrier
	buffer_gl0_inv
	scratch_load_b96 v[103:105], off, off offset:188
	ds_load_b64 v[106:107], v102 offset:400
	s_mov_b32 s0, exec_lo
	s_waitcnt vmcnt(0) lgkmcnt(0)
	v_fma_f32 v102, v104, v106, 0
	s_delay_alu instid0(VALU_DEP_1) | instskip(NEXT) | instid1(VALU_DEP_1)
	v_fmac_f32_e32 v102, v105, v107
	v_sub_f32_e32 v102, v103, v102
	scratch_store_b32 off, v102, off offset:188
	v_cmpx_lt_u32_e32 46, v0
	s_cbranch_execz .LBB49_215
; %bb.214:
	scratch_load_b32 v102, off, off offset:184
	v_mov_b32_e32 v103, 0
	scratch_store_b32 off, v103, off offset:184
	s_waitcnt vmcnt(0)
	ds_store_b32 v101, v102
.LBB49_215:
	s_or_b32 exec_lo, exec_lo, s0
	s_waitcnt lgkmcnt(0)
	s_waitcnt_vscnt null, 0x0
	s_barrier
	buffer_gl0_inv
	scratch_load_b128 v[103:106], off, off offset:184
	v_mov_b32_e32 v102, 0
	ds_load_2addr_b32 v[107:108], v102 offset0:99 offset1:100
	ds_load_b32 v109, v102 offset:404
	s_mov_b32 s0, exec_lo
	s_waitcnt vmcnt(0) lgkmcnt(1)
	v_fma_f32 v104, v104, v107, 0
	s_delay_alu instid0(VALU_DEP_1) | instskip(SKIP_1) | instid1(VALU_DEP_1)
	v_fmac_f32_e32 v104, v105, v108
	s_waitcnt lgkmcnt(0)
	v_fmac_f32_e32 v104, v106, v109
	s_delay_alu instid0(VALU_DEP_1)
	v_sub_f32_e32 v103, v103, v104
	scratch_store_b32 off, v103, off offset:184
	v_cmpx_lt_u32_e32 45, v0
	s_cbranch_execz .LBB49_217
; %bb.216:
	scratch_load_b32 v103, off, off offset:180
	scratch_store_b32 off, v102, off offset:180
	s_waitcnt vmcnt(0)
	ds_store_b32 v101, v103
.LBB49_217:
	s_or_b32 exec_lo, exec_lo, s0
	s_waitcnt lgkmcnt(0)
	s_waitcnt_vscnt null, 0x0
	s_barrier
	buffer_gl0_inv
	s_clause 0x1
	scratch_load_b128 v[103:106], off, off offset:180
	scratch_load_b32 v111, off, off offset:196
	ds_load_2addr_b64 v[107:110], v102 offset0:49 offset1:50
	s_mov_b32 s0, exec_lo
	s_waitcnt vmcnt(1) lgkmcnt(0)
	v_fma_f32 v102, v104, v107, 0
	s_delay_alu instid0(VALU_DEP_1) | instskip(NEXT) | instid1(VALU_DEP_1)
	v_fmac_f32_e32 v102, v105, v108
	v_fmac_f32_e32 v102, v106, v109
	s_waitcnt vmcnt(0)
	s_delay_alu instid0(VALU_DEP_1) | instskip(NEXT) | instid1(VALU_DEP_1)
	v_fmac_f32_e32 v102, v111, v110
	v_sub_f32_e32 v102, v103, v102
	scratch_store_b32 off, v102, off offset:180
	v_cmpx_lt_u32_e32 44, v0
	s_cbranch_execz .LBB49_219
; %bb.218:
	scratch_load_b32 v102, off, off offset:176
	v_mov_b32_e32 v103, 0
	scratch_store_b32 off, v103, off offset:176
	s_waitcnt vmcnt(0)
	ds_store_b32 v101, v102
.LBB49_219:
	s_or_b32 exec_lo, exec_lo, s0
	s_waitcnt lgkmcnt(0)
	s_waitcnt_vscnt null, 0x0
	s_barrier
	buffer_gl0_inv
	s_clause 0x1
	scratch_load_b128 v[103:106], off, off offset:176
	scratch_load_b64 v[107:108], off, off offset:192
	v_mov_b32_e32 v102, 0
	ds_load_2addr_b32 v[109:110], v102 offset0:97 offset1:98
	ds_load_2addr_b32 v[111:112], v102 offset0:99 offset1:100
	ds_load_b32 v113, v102 offset:404
	s_mov_b32 s0, exec_lo
	s_waitcnt vmcnt(1) lgkmcnt(2)
	v_fma_f32 v104, v104, v109, 0
	s_delay_alu instid0(VALU_DEP_1) | instskip(SKIP_1) | instid1(VALU_DEP_1)
	v_fmac_f32_e32 v104, v105, v110
	s_waitcnt lgkmcnt(1)
	v_fmac_f32_e32 v104, v106, v111
	s_waitcnt vmcnt(0)
	s_delay_alu instid0(VALU_DEP_1) | instskip(SKIP_1) | instid1(VALU_DEP_1)
	v_fmac_f32_e32 v104, v107, v112
	s_waitcnt lgkmcnt(0)
	v_fmac_f32_e32 v104, v108, v113
	s_delay_alu instid0(VALU_DEP_1)
	v_sub_f32_e32 v103, v103, v104
	scratch_store_b32 off, v103, off offset:176
	v_cmpx_lt_u32_e32 43, v0
	s_cbranch_execz .LBB49_221
; %bb.220:
	scratch_load_b32 v103, off, off offset:172
	scratch_store_b32 off, v102, off offset:172
	s_waitcnt vmcnt(0)
	ds_store_b32 v101, v103
.LBB49_221:
	s_or_b32 exec_lo, exec_lo, s0
	s_waitcnt lgkmcnt(0)
	s_waitcnt_vscnt null, 0x0
	s_barrier
	buffer_gl0_inv
	s_clause 0x1
	scratch_load_b128 v[103:106], off, off offset:172
	scratch_load_b96 v[111:113], off, off offset:188
	ds_load_b128 v[107:110], v102 offset:384
	ds_load_b64 v[114:115], v102 offset:400
	s_mov_b32 s0, exec_lo
	s_waitcnt vmcnt(1) lgkmcnt(1)
	v_fma_f32 v102, v104, v107, 0
	s_delay_alu instid0(VALU_DEP_1) | instskip(NEXT) | instid1(VALU_DEP_1)
	v_fmac_f32_e32 v102, v105, v108
	v_fmac_f32_e32 v102, v106, v109
	s_waitcnt vmcnt(0)
	s_delay_alu instid0(VALU_DEP_1) | instskip(SKIP_1) | instid1(VALU_DEP_1)
	v_fmac_f32_e32 v102, v111, v110
	s_waitcnt lgkmcnt(0)
	v_fmac_f32_e32 v102, v112, v114
	s_delay_alu instid0(VALU_DEP_1) | instskip(NEXT) | instid1(VALU_DEP_1)
	v_fmac_f32_e32 v102, v113, v115
	v_sub_f32_e32 v102, v103, v102
	scratch_store_b32 off, v102, off offset:172
	v_cmpx_lt_u32_e32 42, v0
	s_cbranch_execz .LBB49_223
; %bb.222:
	scratch_load_b32 v102, off, off offset:168
	v_mov_b32_e32 v103, 0
	scratch_store_b32 off, v103, off offset:168
	s_waitcnt vmcnt(0)
	ds_store_b32 v101, v102
.LBB49_223:
	s_or_b32 exec_lo, exec_lo, s0
	s_waitcnt lgkmcnt(0)
	s_waitcnt_vscnt null, 0x0
	s_barrier
	buffer_gl0_inv
	s_clause 0x1
	scratch_load_b128 v[103:106], off, off offset:168
	scratch_load_b128 v[107:110], off, off offset:184
	v_mov_b32_e32 v102, 0
	ds_load_2addr_b32 v[111:112], v102 offset0:95 offset1:96
	ds_load_2addr_b32 v[113:114], v102 offset0:97 offset1:98
	;; [unrolled: 1-line block ×3, first 2 shown]
	ds_load_b32 v117, v102 offset:404
	s_mov_b32 s0, exec_lo
	s_waitcnt vmcnt(1) lgkmcnt(3)
	v_fma_f32 v104, v104, v111, 0
	s_delay_alu instid0(VALU_DEP_1) | instskip(SKIP_1) | instid1(VALU_DEP_1)
	v_fmac_f32_e32 v104, v105, v112
	s_waitcnt lgkmcnt(2)
	v_fmac_f32_e32 v104, v106, v113
	s_waitcnt vmcnt(0)
	s_delay_alu instid0(VALU_DEP_1) | instskip(SKIP_1) | instid1(VALU_DEP_1)
	v_fmac_f32_e32 v104, v107, v114
	s_waitcnt lgkmcnt(1)
	v_fmac_f32_e32 v104, v108, v115
	s_delay_alu instid0(VALU_DEP_1) | instskip(SKIP_1) | instid1(VALU_DEP_1)
	v_fmac_f32_e32 v104, v109, v116
	s_waitcnt lgkmcnt(0)
	v_fmac_f32_e32 v104, v110, v117
	s_delay_alu instid0(VALU_DEP_1)
	v_sub_f32_e32 v103, v103, v104
	scratch_store_b32 off, v103, off offset:168
	v_cmpx_lt_u32_e32 41, v0
	s_cbranch_execz .LBB49_225
; %bb.224:
	scratch_load_b32 v103, off, off offset:164
	scratch_store_b32 off, v102, off offset:164
	s_waitcnt vmcnt(0)
	ds_store_b32 v101, v103
.LBB49_225:
	s_or_b32 exec_lo, exec_lo, s0
	s_waitcnt lgkmcnt(0)
	s_waitcnt_vscnt null, 0x0
	s_barrier
	buffer_gl0_inv
	s_clause 0x2
	scratch_load_b128 v[103:106], off, off offset:164
	scratch_load_b128 v[107:110], off, off offset:180
	scratch_load_b32 v119, off, off offset:196
	ds_load_2addr_b64 v[111:114], v102 offset0:47 offset1:48
	ds_load_2addr_b64 v[115:118], v102 offset0:49 offset1:50
	s_mov_b32 s0, exec_lo
	s_waitcnt vmcnt(2) lgkmcnt(1)
	v_fma_f32 v102, v104, v111, 0
	s_delay_alu instid0(VALU_DEP_1) | instskip(NEXT) | instid1(VALU_DEP_1)
	v_fmac_f32_e32 v102, v105, v112
	v_fmac_f32_e32 v102, v106, v113
	s_waitcnt vmcnt(1)
	s_delay_alu instid0(VALU_DEP_1) | instskip(SKIP_1) | instid1(VALU_DEP_1)
	v_fmac_f32_e32 v102, v107, v114
	s_waitcnt lgkmcnt(0)
	v_fmac_f32_e32 v102, v108, v115
	s_delay_alu instid0(VALU_DEP_1) | instskip(NEXT) | instid1(VALU_DEP_1)
	v_fmac_f32_e32 v102, v109, v116
	v_fmac_f32_e32 v102, v110, v117
	s_waitcnt vmcnt(0)
	s_delay_alu instid0(VALU_DEP_1) | instskip(NEXT) | instid1(VALU_DEP_1)
	v_fmac_f32_e32 v102, v119, v118
	v_sub_f32_e32 v102, v103, v102
	scratch_store_b32 off, v102, off offset:164
	v_cmpx_lt_u32_e32 40, v0
	s_cbranch_execz .LBB49_227
; %bb.226:
	scratch_load_b32 v102, off, off offset:160
	v_mov_b32_e32 v103, 0
	scratch_store_b32 off, v103, off offset:160
	s_waitcnt vmcnt(0)
	ds_store_b32 v101, v102
.LBB49_227:
	s_or_b32 exec_lo, exec_lo, s0
	s_waitcnt lgkmcnt(0)
	s_waitcnt_vscnt null, 0x0
	s_barrier
	buffer_gl0_inv
	s_clause 0x2
	scratch_load_b128 v[103:106], off, off offset:160
	scratch_load_b128 v[107:110], off, off offset:176
	scratch_load_b64 v[111:112], off, off offset:192
	v_mov_b32_e32 v102, 0
	ds_load_2addr_b32 v[113:114], v102 offset0:93 offset1:94
	ds_load_2addr_b32 v[115:116], v102 offset0:95 offset1:96
	;; [unrolled: 1-line block ×4, first 2 shown]
	s_mov_b32 s0, exec_lo
	s_waitcnt vmcnt(2) lgkmcnt(3)
	v_fma_f32 v104, v104, v113, 0
	s_delay_alu instid0(VALU_DEP_1) | instskip(SKIP_4) | instid1(VALU_DEP_1)
	v_fmac_f32_e32 v104, v105, v114
	ds_load_b32 v105, v102 offset:404
	s_waitcnt lgkmcnt(3)
	v_fmac_f32_e32 v104, v106, v115
	s_waitcnt vmcnt(1)
	v_fmac_f32_e32 v104, v107, v116
	s_waitcnt lgkmcnt(2)
	s_delay_alu instid0(VALU_DEP_1) | instskip(NEXT) | instid1(VALU_DEP_1)
	v_fmac_f32_e32 v104, v108, v117
	v_fmac_f32_e32 v104, v109, v118
	s_waitcnt lgkmcnt(1)
	s_delay_alu instid0(VALU_DEP_1) | instskip(SKIP_1) | instid1(VALU_DEP_1)
	v_fmac_f32_e32 v104, v110, v119
	s_waitcnt vmcnt(0)
	v_fmac_f32_e32 v104, v111, v120
	s_waitcnt lgkmcnt(0)
	s_delay_alu instid0(VALU_DEP_1) | instskip(NEXT) | instid1(VALU_DEP_1)
	v_fmac_f32_e32 v104, v112, v105
	v_sub_f32_e32 v103, v103, v104
	scratch_store_b32 off, v103, off offset:160
	v_cmpx_lt_u32_e32 39, v0
	s_cbranch_execz .LBB49_229
; %bb.228:
	scratch_load_b32 v103, off, off offset:156
	scratch_store_b32 off, v102, off offset:156
	s_waitcnt vmcnt(0)
	ds_store_b32 v101, v103
.LBB49_229:
	s_or_b32 exec_lo, exec_lo, s0
	s_waitcnt lgkmcnt(0)
	s_waitcnt_vscnt null, 0x0
	s_barrier
	buffer_gl0_inv
	s_clause 0x2
	scratch_load_b128 v[103:106], off, off offset:156
	scratch_load_b128 v[107:110], off, off offset:172
	scratch_load_b96 v[119:121], off, off offset:188
	ds_load_b128 v[111:114], v102 offset:368
	ds_load_b128 v[115:118], v102 offset:384
	s_mov_b32 s0, exec_lo
	s_waitcnt vmcnt(2) lgkmcnt(1)
	v_fma_f32 v111, v104, v111, 0
	s_delay_alu instid0(VALU_DEP_1) | instskip(SKIP_3) | instid1(VALU_DEP_1)
	v_fmac_f32_e32 v111, v105, v112
	ds_load_b64 v[104:105], v102 offset:400
	v_fmac_f32_e32 v111, v106, v113
	s_waitcnt vmcnt(1)
	v_fmac_f32_e32 v111, v107, v114
	s_waitcnt lgkmcnt(1)
	s_delay_alu instid0(VALU_DEP_1) | instskip(NEXT) | instid1(VALU_DEP_1)
	v_fmac_f32_e32 v111, v108, v115
	v_fmac_f32_e32 v111, v109, v116
	s_delay_alu instid0(VALU_DEP_1) | instskip(SKIP_1) | instid1(VALU_DEP_1)
	v_fmac_f32_e32 v111, v110, v117
	s_waitcnt vmcnt(0)
	v_fmac_f32_e32 v111, v119, v118
	s_waitcnt lgkmcnt(0)
	s_delay_alu instid0(VALU_DEP_1) | instskip(NEXT) | instid1(VALU_DEP_1)
	v_fmac_f32_e32 v111, v120, v104
	v_fmac_f32_e32 v111, v121, v105
	s_delay_alu instid0(VALU_DEP_1)
	v_sub_f32_e32 v102, v103, v111
	scratch_store_b32 off, v102, off offset:156
	v_cmpx_lt_u32_e32 38, v0
	s_cbranch_execz .LBB49_231
; %bb.230:
	scratch_load_b32 v102, off, off offset:152
	v_mov_b32_e32 v103, 0
	scratch_store_b32 off, v103, off offset:152
	s_waitcnt vmcnt(0)
	ds_store_b32 v101, v102
.LBB49_231:
	s_or_b32 exec_lo, exec_lo, s0
	s_waitcnt lgkmcnt(0)
	s_waitcnt_vscnt null, 0x0
	s_barrier
	buffer_gl0_inv
	s_clause 0x2
	scratch_load_b128 v[103:106], off, off offset:152
	scratch_load_b128 v[107:110], off, off offset:168
	;; [unrolled: 1-line block ×3, first 2 shown]
	v_mov_b32_e32 v102, 0
	ds_load_2addr_b32 v[115:116], v102 offset0:91 offset1:92
	ds_load_2addr_b32 v[117:118], v102 offset0:93 offset1:94
	ds_load_2addr_b32 v[119:120], v102 offset0:95 offset1:96
	ds_load_2addr_b32 v[121:122], v102 offset0:97 offset1:98
	s_mov_b32 s0, exec_lo
	s_waitcnt vmcnt(2) lgkmcnt(3)
	v_fma_f32 v115, v104, v115, 0
	s_delay_alu instid0(VALU_DEP_1)
	v_fmac_f32_e32 v115, v105, v116
	ds_load_2addr_b32 v[104:105], v102 offset0:99 offset1:100
	s_waitcnt lgkmcnt(3)
	v_fmac_f32_e32 v115, v106, v117
	ds_load_b32 v106, v102 offset:404
	s_waitcnt vmcnt(1)
	v_fmac_f32_e32 v115, v107, v118
	s_waitcnt lgkmcnt(3)
	s_delay_alu instid0(VALU_DEP_1) | instskip(NEXT) | instid1(VALU_DEP_1)
	v_fmac_f32_e32 v115, v108, v119
	v_fmac_f32_e32 v115, v109, v120
	s_waitcnt lgkmcnt(2)
	s_delay_alu instid0(VALU_DEP_1) | instskip(SKIP_1) | instid1(VALU_DEP_1)
	v_fmac_f32_e32 v115, v110, v121
	s_waitcnt vmcnt(0)
	v_fmac_f32_e32 v115, v111, v122
	s_waitcnt lgkmcnt(1)
	s_delay_alu instid0(VALU_DEP_1) | instskip(NEXT) | instid1(VALU_DEP_1)
	v_fmac_f32_e32 v115, v112, v104
	v_fmac_f32_e32 v115, v113, v105
	s_waitcnt lgkmcnt(0)
	s_delay_alu instid0(VALU_DEP_1) | instskip(NEXT) | instid1(VALU_DEP_1)
	v_fmac_f32_e32 v115, v114, v106
	v_sub_f32_e32 v103, v103, v115
	scratch_store_b32 off, v103, off offset:152
	v_cmpx_lt_u32_e32 37, v0
	s_cbranch_execz .LBB49_233
; %bb.232:
	scratch_load_b32 v103, off, off offset:148
	scratch_store_b32 off, v102, off offset:148
	s_waitcnt vmcnt(0)
	ds_store_b32 v101, v103
.LBB49_233:
	s_or_b32 exec_lo, exec_lo, s0
	s_waitcnt lgkmcnt(0)
	s_waitcnt_vscnt null, 0x0
	s_barrier
	buffer_gl0_inv
	s_clause 0x3
	scratch_load_b128 v[103:106], off, off offset:148
	scratch_load_b128 v[107:110], off, off offset:164
	;; [unrolled: 1-line block ×3, first 2 shown]
	scratch_load_b32 v123, off, off offset:196
	ds_load_2addr_b64 v[115:118], v102 offset0:45 offset1:46
	ds_load_2addr_b64 v[119:122], v102 offset0:47 offset1:48
	s_mov_b32 s0, exec_lo
	s_waitcnt vmcnt(3) lgkmcnt(1)
	v_fma_f32 v115, v104, v115, 0
	s_delay_alu instid0(VALU_DEP_1) | instskip(NEXT) | instid1(VALU_DEP_1)
	v_fmac_f32_e32 v115, v105, v116
	v_fmac_f32_e32 v115, v106, v117
	s_waitcnt vmcnt(2)
	s_delay_alu instid0(VALU_DEP_1) | instskip(SKIP_3) | instid1(VALU_DEP_1)
	v_fmac_f32_e32 v115, v107, v118
	ds_load_2addr_b64 v[104:107], v102 offset0:49 offset1:50
	s_waitcnt lgkmcnt(1)
	v_fmac_f32_e32 v115, v108, v119
	v_fmac_f32_e32 v115, v109, v120
	s_delay_alu instid0(VALU_DEP_1) | instskip(SKIP_1) | instid1(VALU_DEP_1)
	v_fmac_f32_e32 v115, v110, v121
	s_waitcnt vmcnt(1)
	v_fmac_f32_e32 v115, v111, v122
	s_waitcnt lgkmcnt(0)
	s_delay_alu instid0(VALU_DEP_1) | instskip(NEXT) | instid1(VALU_DEP_1)
	v_fmac_f32_e32 v115, v112, v104
	v_fmac_f32_e32 v115, v113, v105
	s_delay_alu instid0(VALU_DEP_1) | instskip(SKIP_1) | instid1(VALU_DEP_1)
	v_fmac_f32_e32 v115, v114, v106
	s_waitcnt vmcnt(0)
	v_fmac_f32_e32 v115, v123, v107
	s_delay_alu instid0(VALU_DEP_1)
	v_sub_f32_e32 v102, v103, v115
	scratch_store_b32 off, v102, off offset:148
	v_cmpx_lt_u32_e32 36, v0
	s_cbranch_execz .LBB49_235
; %bb.234:
	scratch_load_b32 v102, off, off offset:144
	v_mov_b32_e32 v103, 0
	scratch_store_b32 off, v103, off offset:144
	s_waitcnt vmcnt(0)
	ds_store_b32 v101, v102
.LBB49_235:
	s_or_b32 exec_lo, exec_lo, s0
	s_waitcnt lgkmcnt(0)
	s_waitcnt_vscnt null, 0x0
	s_barrier
	buffer_gl0_inv
	s_clause 0x3
	scratch_load_b128 v[103:106], off, off offset:144
	scratch_load_b128 v[107:110], off, off offset:160
	;; [unrolled: 1-line block ×3, first 2 shown]
	scratch_load_b64 v[115:116], off, off offset:192
	v_mov_b32_e32 v102, 0
	ds_load_2addr_b32 v[117:118], v102 offset0:89 offset1:90
	ds_load_2addr_b32 v[119:120], v102 offset0:91 offset1:92
	;; [unrolled: 1-line block ×4, first 2 shown]
	s_mov_b32 s0, exec_lo
	s_waitcnt vmcnt(3) lgkmcnt(3)
	v_fma_f32 v117, v104, v117, 0
	s_delay_alu instid0(VALU_DEP_1) | instskip(SKIP_4) | instid1(VALU_DEP_1)
	v_fmac_f32_e32 v117, v105, v118
	ds_load_2addr_b32 v[104:105], v102 offset0:97 offset1:98
	s_waitcnt lgkmcnt(3)
	v_fmac_f32_e32 v117, v106, v119
	s_waitcnt vmcnt(2)
	v_fmac_f32_e32 v117, v107, v120
	ds_load_2addr_b32 v[106:107], v102 offset0:99 offset1:100
	s_waitcnt lgkmcnt(3)
	v_fmac_f32_e32 v117, v108, v121
	ds_load_b32 v108, v102 offset:404
	v_fmac_f32_e32 v117, v109, v122
	s_waitcnt lgkmcnt(3)
	s_delay_alu instid0(VALU_DEP_1) | instskip(SKIP_1) | instid1(VALU_DEP_1)
	v_fmac_f32_e32 v117, v110, v123
	s_waitcnt vmcnt(1)
	v_fmac_f32_e32 v117, v111, v124
	s_waitcnt lgkmcnt(2)
	s_delay_alu instid0(VALU_DEP_1) | instskip(NEXT) | instid1(VALU_DEP_1)
	v_fmac_f32_e32 v117, v112, v104
	v_fmac_f32_e32 v117, v113, v105
	s_waitcnt lgkmcnt(1)
	s_delay_alu instid0(VALU_DEP_1) | instskip(SKIP_1) | instid1(VALU_DEP_1)
	v_fmac_f32_e32 v117, v114, v106
	s_waitcnt vmcnt(0)
	v_fmac_f32_e32 v117, v115, v107
	s_waitcnt lgkmcnt(0)
	s_delay_alu instid0(VALU_DEP_1) | instskip(NEXT) | instid1(VALU_DEP_1)
	v_fmac_f32_e32 v117, v116, v108
	v_sub_f32_e32 v103, v103, v117
	scratch_store_b32 off, v103, off offset:144
	v_cmpx_lt_u32_e32 35, v0
	s_cbranch_execz .LBB49_237
; %bb.236:
	scratch_load_b32 v103, off, off offset:140
	scratch_store_b32 off, v102, off offset:140
	s_waitcnt vmcnt(0)
	ds_store_b32 v101, v103
.LBB49_237:
	s_or_b32 exec_lo, exec_lo, s0
	s_waitcnt lgkmcnt(0)
	s_waitcnt_vscnt null, 0x0
	s_barrier
	buffer_gl0_inv
	s_clause 0x3
	scratch_load_b128 v[103:106], off, off offset:140
	scratch_load_b128 v[107:110], off, off offset:156
	;; [unrolled: 1-line block ×3, first 2 shown]
	scratch_load_b96 v[123:125], off, off offset:188
	ds_load_b128 v[115:118], v102 offset:352
	ds_load_b128 v[119:122], v102 offset:368
	s_mov_b32 s0, exec_lo
	s_waitcnt vmcnt(3) lgkmcnt(1)
	v_fma_f32 v115, v104, v115, 0
	s_delay_alu instid0(VALU_DEP_1) | instskip(NEXT) | instid1(VALU_DEP_1)
	v_fmac_f32_e32 v115, v105, v116
	v_fmac_f32_e32 v115, v106, v117
	s_waitcnt vmcnt(2)
	s_delay_alu instid0(VALU_DEP_1) | instskip(SKIP_3) | instid1(VALU_DEP_1)
	v_fmac_f32_e32 v115, v107, v118
	ds_load_b128 v[104:107], v102 offset:384
	s_waitcnt lgkmcnt(1)
	v_fmac_f32_e32 v115, v108, v119
	v_fmac_f32_e32 v115, v109, v120
	ds_load_b64 v[108:109], v102 offset:400
	v_fmac_f32_e32 v115, v110, v121
	s_waitcnt vmcnt(1)
	s_delay_alu instid0(VALU_DEP_1) | instskip(SKIP_1) | instid1(VALU_DEP_1)
	v_fmac_f32_e32 v115, v111, v122
	s_waitcnt lgkmcnt(1)
	v_fmac_f32_e32 v115, v112, v104
	s_delay_alu instid0(VALU_DEP_1) | instskip(NEXT) | instid1(VALU_DEP_1)
	v_fmac_f32_e32 v115, v113, v105
	v_fmac_f32_e32 v115, v114, v106
	s_waitcnt vmcnt(0)
	s_delay_alu instid0(VALU_DEP_1) | instskip(SKIP_1) | instid1(VALU_DEP_1)
	v_fmac_f32_e32 v115, v123, v107
	s_waitcnt lgkmcnt(0)
	v_fmac_f32_e32 v115, v124, v108
	s_delay_alu instid0(VALU_DEP_1) | instskip(NEXT) | instid1(VALU_DEP_1)
	v_fmac_f32_e32 v115, v125, v109
	v_sub_f32_e32 v102, v103, v115
	scratch_store_b32 off, v102, off offset:140
	v_cmpx_lt_u32_e32 34, v0
	s_cbranch_execz .LBB49_239
; %bb.238:
	scratch_load_b32 v102, off, off offset:136
	v_mov_b32_e32 v103, 0
	scratch_store_b32 off, v103, off offset:136
	s_waitcnt vmcnt(0)
	ds_store_b32 v101, v102
.LBB49_239:
	s_or_b32 exec_lo, exec_lo, s0
	s_waitcnt lgkmcnt(0)
	s_waitcnt_vscnt null, 0x0
	s_barrier
	buffer_gl0_inv
	s_clause 0x3
	scratch_load_b128 v[103:106], off, off offset:136
	scratch_load_b128 v[107:110], off, off offset:152
	;; [unrolled: 1-line block ×4, first 2 shown]
	v_mov_b32_e32 v102, 0
	ds_load_2addr_b32 v[119:120], v102 offset0:87 offset1:88
	ds_load_2addr_b32 v[121:122], v102 offset0:89 offset1:90
	;; [unrolled: 1-line block ×4, first 2 shown]
	s_mov_b32 s0, exec_lo
	s_waitcnt vmcnt(3) lgkmcnt(3)
	v_fma_f32 v119, v104, v119, 0
	s_delay_alu instid0(VALU_DEP_1) | instskip(SKIP_4) | instid1(VALU_DEP_1)
	v_fmac_f32_e32 v119, v105, v120
	ds_load_2addr_b32 v[104:105], v102 offset0:95 offset1:96
	s_waitcnt lgkmcnt(3)
	v_fmac_f32_e32 v119, v106, v121
	s_waitcnt vmcnt(2)
	v_fmac_f32_e32 v119, v107, v122
	ds_load_2addr_b32 v[106:107], v102 offset0:97 offset1:98
	s_waitcnt lgkmcnt(3)
	v_fmac_f32_e32 v119, v108, v123
	s_delay_alu instid0(VALU_DEP_1) | instskip(SKIP_1) | instid1(VALU_DEP_1)
	v_fmac_f32_e32 v119, v109, v124
	s_waitcnt lgkmcnt(2)
	v_fmac_f32_e32 v119, v110, v125
	ds_load_2addr_b32 v[108:109], v102 offset0:99 offset1:100
	ds_load_b32 v110, v102 offset:404
	s_waitcnt vmcnt(1)
	v_fmac_f32_e32 v119, v111, v126
	s_waitcnt lgkmcnt(3)
	s_delay_alu instid0(VALU_DEP_1) | instskip(NEXT) | instid1(VALU_DEP_1)
	v_fmac_f32_e32 v119, v112, v104
	v_fmac_f32_e32 v119, v113, v105
	s_waitcnt lgkmcnt(2)
	s_delay_alu instid0(VALU_DEP_1) | instskip(SKIP_1) | instid1(VALU_DEP_1)
	v_fmac_f32_e32 v119, v114, v106
	s_waitcnt vmcnt(0)
	v_fmac_f32_e32 v119, v115, v107
	s_waitcnt lgkmcnt(1)
	s_delay_alu instid0(VALU_DEP_1) | instskip(NEXT) | instid1(VALU_DEP_1)
	v_fmac_f32_e32 v119, v116, v108
	v_fmac_f32_e32 v119, v117, v109
	s_waitcnt lgkmcnt(0)
	s_delay_alu instid0(VALU_DEP_1) | instskip(NEXT) | instid1(VALU_DEP_1)
	v_fmac_f32_e32 v119, v118, v110
	v_sub_f32_e32 v103, v103, v119
	scratch_store_b32 off, v103, off offset:136
	v_cmpx_lt_u32_e32 33, v0
	s_cbranch_execz .LBB49_241
; %bb.240:
	scratch_load_b32 v103, off, off offset:132
	scratch_store_b32 off, v102, off offset:132
	s_waitcnt vmcnt(0)
	ds_store_b32 v101, v103
.LBB49_241:
	s_or_b32 exec_lo, exec_lo, s0
	s_waitcnt lgkmcnt(0)
	s_waitcnt_vscnt null, 0x0
	s_barrier
	buffer_gl0_inv
	s_clause 0x4
	scratch_load_b128 v[103:106], off, off offset:132
	scratch_load_b128 v[107:110], off, off offset:148
	;; [unrolled: 1-line block ×4, first 2 shown]
	scratch_load_b32 v127, off, off offset:196
	ds_load_2addr_b64 v[119:122], v102 offset0:43 offset1:44
	ds_load_2addr_b64 v[123:126], v102 offset0:45 offset1:46
	s_mov_b32 s0, exec_lo
	s_waitcnt vmcnt(4) lgkmcnt(1)
	v_fma_f32 v119, v104, v119, 0
	s_delay_alu instid0(VALU_DEP_1) | instskip(NEXT) | instid1(VALU_DEP_1)
	v_fmac_f32_e32 v119, v105, v120
	v_fmac_f32_e32 v119, v106, v121
	s_waitcnt vmcnt(3)
	s_delay_alu instid0(VALU_DEP_1) | instskip(SKIP_3) | instid1(VALU_DEP_1)
	v_fmac_f32_e32 v119, v107, v122
	ds_load_2addr_b64 v[104:107], v102 offset0:47 offset1:48
	s_waitcnt lgkmcnt(1)
	v_fmac_f32_e32 v119, v108, v123
	v_fmac_f32_e32 v119, v109, v124
	s_delay_alu instid0(VALU_DEP_1) | instskip(SKIP_1) | instid1(VALU_DEP_1)
	v_fmac_f32_e32 v119, v110, v125
	s_waitcnt vmcnt(2)
	v_fmac_f32_e32 v119, v111, v126
	ds_load_2addr_b64 v[108:111], v102 offset0:49 offset1:50
	s_waitcnt lgkmcnt(1)
	v_fmac_f32_e32 v119, v112, v104
	s_delay_alu instid0(VALU_DEP_1) | instskip(NEXT) | instid1(VALU_DEP_1)
	v_fmac_f32_e32 v119, v113, v105
	v_fmac_f32_e32 v119, v114, v106
	s_waitcnt vmcnt(1)
	s_delay_alu instid0(VALU_DEP_1) | instskip(SKIP_1) | instid1(VALU_DEP_1)
	v_fmac_f32_e32 v119, v115, v107
	s_waitcnt lgkmcnt(0)
	v_fmac_f32_e32 v119, v116, v108
	s_delay_alu instid0(VALU_DEP_1) | instskip(NEXT) | instid1(VALU_DEP_1)
	v_fmac_f32_e32 v119, v117, v109
	v_fmac_f32_e32 v119, v118, v110
	s_waitcnt vmcnt(0)
	s_delay_alu instid0(VALU_DEP_1) | instskip(NEXT) | instid1(VALU_DEP_1)
	v_fmac_f32_e32 v119, v127, v111
	v_sub_f32_e32 v102, v103, v119
	scratch_store_b32 off, v102, off offset:132
	v_cmpx_lt_u32_e32 32, v0
	s_cbranch_execz .LBB49_243
; %bb.242:
	scratch_load_b32 v102, off, off offset:128
	v_mov_b32_e32 v103, 0
	scratch_store_b32 off, v103, off offset:128
	s_waitcnt vmcnt(0)
	ds_store_b32 v101, v102
.LBB49_243:
	s_or_b32 exec_lo, exec_lo, s0
	s_waitcnt lgkmcnt(0)
	s_waitcnt_vscnt null, 0x0
	s_barrier
	buffer_gl0_inv
	s_clause 0x4
	scratch_load_b128 v[103:106], off, off offset:128
	scratch_load_b128 v[107:110], off, off offset:144
	scratch_load_b128 v[111:114], off, off offset:160
	scratch_load_b128 v[115:118], off, off offset:176
	scratch_load_b64 v[119:120], off, off offset:192
	v_mov_b32_e32 v102, 0
	ds_load_2addr_b32 v[121:122], v102 offset0:85 offset1:86
	ds_load_2addr_b32 v[123:124], v102 offset0:87 offset1:88
	;; [unrolled: 1-line block ×4, first 2 shown]
	s_mov_b32 s0, exec_lo
	s_waitcnt vmcnt(4) lgkmcnt(3)
	v_fma_f32 v121, v104, v121, 0
	s_delay_alu instid0(VALU_DEP_1) | instskip(SKIP_4) | instid1(VALU_DEP_1)
	v_fmac_f32_e32 v121, v105, v122
	ds_load_2addr_b32 v[104:105], v102 offset0:93 offset1:94
	s_waitcnt lgkmcnt(3)
	v_fmac_f32_e32 v121, v106, v123
	s_waitcnt vmcnt(3)
	v_fmac_f32_e32 v121, v107, v124
	ds_load_2addr_b32 v[106:107], v102 offset0:95 offset1:96
	s_waitcnt lgkmcnt(3)
	v_fmac_f32_e32 v121, v108, v125
	s_delay_alu instid0(VALU_DEP_1) | instskip(SKIP_1) | instid1(VALU_DEP_1)
	v_fmac_f32_e32 v121, v109, v126
	s_waitcnt lgkmcnt(2)
	v_fmac_f32_e32 v121, v110, v127
	s_waitcnt vmcnt(2)
	s_delay_alu instid0(VALU_DEP_1)
	v_fmac_f32_e32 v121, v111, v128
	ds_load_2addr_b32 v[108:109], v102 offset0:97 offset1:98
	ds_load_2addr_b32 v[110:111], v102 offset0:99 offset1:100
	s_waitcnt lgkmcnt(3)
	v_fmac_f32_e32 v121, v112, v104
	ds_load_b32 v104, v102 offset:404
	v_fmac_f32_e32 v121, v113, v105
	s_waitcnt lgkmcnt(3)
	s_delay_alu instid0(VALU_DEP_1) | instskip(SKIP_1) | instid1(VALU_DEP_1)
	v_fmac_f32_e32 v121, v114, v106
	s_waitcnt vmcnt(1)
	v_fmac_f32_e32 v121, v115, v107
	s_waitcnt lgkmcnt(2)
	s_delay_alu instid0(VALU_DEP_1) | instskip(NEXT) | instid1(VALU_DEP_1)
	v_fmac_f32_e32 v121, v116, v108
	v_fmac_f32_e32 v121, v117, v109
	s_waitcnt lgkmcnt(1)
	s_delay_alu instid0(VALU_DEP_1) | instskip(SKIP_1) | instid1(VALU_DEP_1)
	v_fmac_f32_e32 v121, v118, v110
	s_waitcnt vmcnt(0)
	v_fmac_f32_e32 v121, v119, v111
	s_waitcnt lgkmcnt(0)
	s_delay_alu instid0(VALU_DEP_1) | instskip(NEXT) | instid1(VALU_DEP_1)
	v_fmac_f32_e32 v121, v120, v104
	v_sub_f32_e32 v103, v103, v121
	scratch_store_b32 off, v103, off offset:128
	v_cmpx_lt_u32_e32 31, v0
	s_cbranch_execz .LBB49_245
; %bb.244:
	scratch_load_b32 v103, off, off offset:124
	scratch_store_b32 off, v102, off offset:124
	s_waitcnt vmcnt(0)
	ds_store_b32 v101, v103
.LBB49_245:
	s_or_b32 exec_lo, exec_lo, s0
	s_waitcnt lgkmcnt(0)
	s_waitcnt_vscnt null, 0x0
	s_barrier
	buffer_gl0_inv
	s_clause 0x4
	scratch_load_b128 v[103:106], off, off offset:124
	scratch_load_b128 v[107:110], off, off offset:140
	;; [unrolled: 1-line block ×4, first 2 shown]
	scratch_load_b96 v[127:129], off, off offset:188
	ds_load_b128 v[119:122], v102 offset:336
	ds_load_b128 v[123:126], v102 offset:352
	s_mov_b32 s0, exec_lo
	s_waitcnt vmcnt(4) lgkmcnt(1)
	v_fma_f32 v119, v104, v119, 0
	s_delay_alu instid0(VALU_DEP_1) | instskip(NEXT) | instid1(VALU_DEP_1)
	v_fmac_f32_e32 v119, v105, v120
	v_fmac_f32_e32 v119, v106, v121
	s_waitcnt vmcnt(3)
	s_delay_alu instid0(VALU_DEP_1) | instskip(SKIP_3) | instid1(VALU_DEP_1)
	v_fmac_f32_e32 v119, v107, v122
	ds_load_b128 v[104:107], v102 offset:368
	s_waitcnt lgkmcnt(1)
	v_fmac_f32_e32 v119, v108, v123
	v_fmac_f32_e32 v119, v109, v124
	s_delay_alu instid0(VALU_DEP_1) | instskip(SKIP_1) | instid1(VALU_DEP_1)
	v_fmac_f32_e32 v119, v110, v125
	s_waitcnt vmcnt(2)
	v_fmac_f32_e32 v119, v111, v126
	ds_load_b128 v[108:111], v102 offset:384
	s_waitcnt lgkmcnt(1)
	v_fmac_f32_e32 v119, v112, v104
	s_delay_alu instid0(VALU_DEP_1) | instskip(SKIP_3) | instid1(VALU_DEP_1)
	v_fmac_f32_e32 v119, v113, v105
	ds_load_b64 v[104:105], v102 offset:400
	v_fmac_f32_e32 v119, v114, v106
	s_waitcnt vmcnt(1)
	v_fmac_f32_e32 v119, v115, v107
	s_waitcnt lgkmcnt(1)
	s_delay_alu instid0(VALU_DEP_1) | instskip(NEXT) | instid1(VALU_DEP_1)
	v_fmac_f32_e32 v119, v116, v108
	v_fmac_f32_e32 v119, v117, v109
	s_delay_alu instid0(VALU_DEP_1) | instskip(SKIP_1) | instid1(VALU_DEP_1)
	v_fmac_f32_e32 v119, v118, v110
	s_waitcnt vmcnt(0)
	v_fmac_f32_e32 v119, v127, v111
	s_waitcnt lgkmcnt(0)
	s_delay_alu instid0(VALU_DEP_1) | instskip(NEXT) | instid1(VALU_DEP_1)
	v_fmac_f32_e32 v119, v128, v104
	v_fmac_f32_e32 v119, v129, v105
	s_delay_alu instid0(VALU_DEP_1)
	v_sub_f32_e32 v102, v103, v119
	scratch_store_b32 off, v102, off offset:124
	v_cmpx_lt_u32_e32 30, v0
	s_cbranch_execz .LBB49_247
; %bb.246:
	scratch_load_b32 v102, off, off offset:120
	v_mov_b32_e32 v103, 0
	scratch_store_b32 off, v103, off offset:120
	s_waitcnt vmcnt(0)
	ds_store_b32 v101, v102
.LBB49_247:
	s_or_b32 exec_lo, exec_lo, s0
	s_waitcnt lgkmcnt(0)
	s_waitcnt_vscnt null, 0x0
	s_barrier
	buffer_gl0_inv
	s_clause 0x4
	scratch_load_b128 v[103:106], off, off offset:120
	scratch_load_b128 v[107:110], off, off offset:136
	;; [unrolled: 1-line block ×5, first 2 shown]
	v_mov_b32_e32 v102, 0
	ds_load_2addr_b32 v[123:124], v102 offset0:83 offset1:84
	ds_load_2addr_b32 v[125:126], v102 offset0:85 offset1:86
	;; [unrolled: 1-line block ×4, first 2 shown]
	s_mov_b32 s0, exec_lo
	s_waitcnt vmcnt(4) lgkmcnt(3)
	v_fma_f32 v123, v104, v123, 0
	s_delay_alu instid0(VALU_DEP_1) | instskip(SKIP_4) | instid1(VALU_DEP_1)
	v_fmac_f32_e32 v123, v105, v124
	ds_load_2addr_b32 v[104:105], v102 offset0:91 offset1:92
	s_waitcnt lgkmcnt(3)
	v_fmac_f32_e32 v123, v106, v125
	s_waitcnt vmcnt(3)
	v_fmac_f32_e32 v123, v107, v126
	ds_load_2addr_b32 v[106:107], v102 offset0:93 offset1:94
	s_waitcnt lgkmcnt(3)
	v_fmac_f32_e32 v123, v108, v127
	s_delay_alu instid0(VALU_DEP_1) | instskip(SKIP_1) | instid1(VALU_DEP_1)
	v_fmac_f32_e32 v123, v109, v128
	s_waitcnt lgkmcnt(2)
	v_fmac_f32_e32 v123, v110, v129
	s_waitcnt vmcnt(2)
	s_delay_alu instid0(VALU_DEP_1) | instskip(SKIP_4) | instid1(VALU_DEP_1)
	v_fmac_f32_e32 v123, v111, v130
	ds_load_2addr_b32 v[108:109], v102 offset0:95 offset1:96
	ds_load_2addr_b32 v[110:111], v102 offset0:97 offset1:98
	s_waitcnt lgkmcnt(3)
	v_fmac_f32_e32 v123, v112, v104
	v_fmac_f32_e32 v123, v113, v105
	ds_load_2addr_b32 v[104:105], v102 offset0:99 offset1:100
	s_waitcnt lgkmcnt(3)
	v_fmac_f32_e32 v123, v114, v106
	ds_load_b32 v106, v102 offset:404
	s_waitcnt vmcnt(1)
	v_fmac_f32_e32 v123, v115, v107
	s_waitcnt lgkmcnt(3)
	s_delay_alu instid0(VALU_DEP_1) | instskip(NEXT) | instid1(VALU_DEP_1)
	v_fmac_f32_e32 v123, v116, v108
	v_fmac_f32_e32 v123, v117, v109
	s_waitcnt lgkmcnt(2)
	s_delay_alu instid0(VALU_DEP_1) | instskip(SKIP_1) | instid1(VALU_DEP_1)
	v_fmac_f32_e32 v123, v118, v110
	s_waitcnt vmcnt(0)
	v_fmac_f32_e32 v123, v119, v111
	s_waitcnt lgkmcnt(1)
	s_delay_alu instid0(VALU_DEP_1) | instskip(NEXT) | instid1(VALU_DEP_1)
	v_fmac_f32_e32 v123, v120, v104
	v_fmac_f32_e32 v123, v121, v105
	s_waitcnt lgkmcnt(0)
	s_delay_alu instid0(VALU_DEP_1) | instskip(NEXT) | instid1(VALU_DEP_1)
	v_fmac_f32_e32 v123, v122, v106
	v_sub_f32_e32 v103, v103, v123
	scratch_store_b32 off, v103, off offset:120
	v_cmpx_lt_u32_e32 29, v0
	s_cbranch_execz .LBB49_249
; %bb.248:
	scratch_load_b32 v103, off, off offset:116
	scratch_store_b32 off, v102, off offset:116
	s_waitcnt vmcnt(0)
	ds_store_b32 v101, v103
.LBB49_249:
	s_or_b32 exec_lo, exec_lo, s0
	s_waitcnt lgkmcnt(0)
	s_waitcnt_vscnt null, 0x0
	s_barrier
	buffer_gl0_inv
	s_clause 0x5
	scratch_load_b128 v[103:106], off, off offset:116
	scratch_load_b128 v[107:110], off, off offset:132
	;; [unrolled: 1-line block ×5, first 2 shown]
	scratch_load_b32 v131, off, off offset:196
	ds_load_2addr_b64 v[123:126], v102 offset0:41 offset1:42
	ds_load_2addr_b64 v[127:130], v102 offset0:43 offset1:44
	s_mov_b32 s0, exec_lo
	s_waitcnt vmcnt(5) lgkmcnt(1)
	v_fma_f32 v123, v104, v123, 0
	s_delay_alu instid0(VALU_DEP_1) | instskip(NEXT) | instid1(VALU_DEP_1)
	v_fmac_f32_e32 v123, v105, v124
	v_fmac_f32_e32 v123, v106, v125
	s_waitcnt vmcnt(4)
	s_delay_alu instid0(VALU_DEP_1) | instskip(SKIP_3) | instid1(VALU_DEP_1)
	v_fmac_f32_e32 v123, v107, v126
	ds_load_2addr_b64 v[104:107], v102 offset0:45 offset1:46
	s_waitcnt lgkmcnt(1)
	v_fmac_f32_e32 v123, v108, v127
	v_fmac_f32_e32 v123, v109, v128
	s_delay_alu instid0(VALU_DEP_1) | instskip(SKIP_1) | instid1(VALU_DEP_1)
	v_fmac_f32_e32 v123, v110, v129
	s_waitcnt vmcnt(3)
	v_fmac_f32_e32 v123, v111, v130
	ds_load_2addr_b64 v[108:111], v102 offset0:47 offset1:48
	s_waitcnt lgkmcnt(1)
	v_fmac_f32_e32 v123, v112, v104
	s_delay_alu instid0(VALU_DEP_1) | instskip(NEXT) | instid1(VALU_DEP_1)
	v_fmac_f32_e32 v123, v113, v105
	v_fmac_f32_e32 v123, v114, v106
	s_waitcnt vmcnt(2)
	s_delay_alu instid0(VALU_DEP_1) | instskip(SKIP_3) | instid1(VALU_DEP_1)
	v_fmac_f32_e32 v123, v115, v107
	ds_load_2addr_b64 v[104:107], v102 offset0:49 offset1:50
	s_waitcnt lgkmcnt(1)
	v_fmac_f32_e32 v123, v116, v108
	v_fmac_f32_e32 v123, v117, v109
	s_delay_alu instid0(VALU_DEP_1) | instskip(SKIP_1) | instid1(VALU_DEP_1)
	v_fmac_f32_e32 v123, v118, v110
	s_waitcnt vmcnt(1)
	v_fmac_f32_e32 v123, v119, v111
	s_waitcnt lgkmcnt(0)
	s_delay_alu instid0(VALU_DEP_1) | instskip(NEXT) | instid1(VALU_DEP_1)
	v_fmac_f32_e32 v123, v120, v104
	v_fmac_f32_e32 v123, v121, v105
	s_delay_alu instid0(VALU_DEP_1) | instskip(SKIP_1) | instid1(VALU_DEP_1)
	v_fmac_f32_e32 v123, v122, v106
	s_waitcnt vmcnt(0)
	v_fmac_f32_e32 v123, v131, v107
	s_delay_alu instid0(VALU_DEP_1)
	v_sub_f32_e32 v102, v103, v123
	scratch_store_b32 off, v102, off offset:116
	v_cmpx_lt_u32_e32 28, v0
	s_cbranch_execz .LBB49_251
; %bb.250:
	scratch_load_b32 v102, off, off offset:112
	v_mov_b32_e32 v103, 0
	scratch_store_b32 off, v103, off offset:112
	s_waitcnt vmcnt(0)
	ds_store_b32 v101, v102
.LBB49_251:
	s_or_b32 exec_lo, exec_lo, s0
	s_waitcnt lgkmcnt(0)
	s_waitcnt_vscnt null, 0x0
	s_barrier
	buffer_gl0_inv
	s_clause 0x5
	scratch_load_b128 v[103:106], off, off offset:112
	scratch_load_b128 v[107:110], off, off offset:128
	;; [unrolled: 1-line block ×5, first 2 shown]
	scratch_load_b64 v[123:124], off, off offset:192
	v_mov_b32_e32 v102, 0
	ds_load_2addr_b32 v[125:126], v102 offset0:81 offset1:82
	ds_load_2addr_b32 v[127:128], v102 offset0:83 offset1:84
	;; [unrolled: 1-line block ×4, first 2 shown]
	s_mov_b32 s0, exec_lo
	s_waitcnt vmcnt(5) lgkmcnt(3)
	v_fma_f32 v125, v104, v125, 0
	s_delay_alu instid0(VALU_DEP_1) | instskip(SKIP_4) | instid1(VALU_DEP_1)
	v_fmac_f32_e32 v125, v105, v126
	ds_load_2addr_b32 v[104:105], v102 offset0:89 offset1:90
	s_waitcnt lgkmcnt(3)
	v_fmac_f32_e32 v125, v106, v127
	s_waitcnt vmcnt(4)
	v_fmac_f32_e32 v125, v107, v128
	ds_load_2addr_b32 v[106:107], v102 offset0:91 offset1:92
	s_waitcnt lgkmcnt(3)
	v_fmac_f32_e32 v125, v108, v129
	s_delay_alu instid0(VALU_DEP_1) | instskip(SKIP_1) | instid1(VALU_DEP_1)
	v_fmac_f32_e32 v125, v109, v130
	s_waitcnt lgkmcnt(2)
	v_fmac_f32_e32 v125, v110, v131
	s_waitcnt vmcnt(3)
	s_delay_alu instid0(VALU_DEP_1) | instskip(SKIP_4) | instid1(VALU_DEP_1)
	v_fmac_f32_e32 v125, v111, v132
	ds_load_2addr_b32 v[108:109], v102 offset0:93 offset1:94
	ds_load_2addr_b32 v[110:111], v102 offset0:95 offset1:96
	s_waitcnt lgkmcnt(3)
	v_fmac_f32_e32 v125, v112, v104
	v_fmac_f32_e32 v125, v113, v105
	ds_load_2addr_b32 v[104:105], v102 offset0:97 offset1:98
	s_waitcnt lgkmcnt(3)
	v_fmac_f32_e32 v125, v114, v106
	s_waitcnt vmcnt(2)
	s_delay_alu instid0(VALU_DEP_1)
	v_fmac_f32_e32 v125, v115, v107
	ds_load_2addr_b32 v[106:107], v102 offset0:99 offset1:100
	s_waitcnt lgkmcnt(3)
	v_fmac_f32_e32 v125, v116, v108
	ds_load_b32 v108, v102 offset:404
	v_fmac_f32_e32 v125, v117, v109
	s_waitcnt lgkmcnt(3)
	s_delay_alu instid0(VALU_DEP_1) | instskip(SKIP_1) | instid1(VALU_DEP_1)
	v_fmac_f32_e32 v125, v118, v110
	s_waitcnt vmcnt(1)
	v_fmac_f32_e32 v125, v119, v111
	s_waitcnt lgkmcnt(2)
	s_delay_alu instid0(VALU_DEP_1) | instskip(NEXT) | instid1(VALU_DEP_1)
	v_fmac_f32_e32 v125, v120, v104
	v_fmac_f32_e32 v125, v121, v105
	s_waitcnt lgkmcnt(1)
	s_delay_alu instid0(VALU_DEP_1) | instskip(SKIP_1) | instid1(VALU_DEP_1)
	v_fmac_f32_e32 v125, v122, v106
	s_waitcnt vmcnt(0)
	v_fmac_f32_e32 v125, v123, v107
	s_waitcnt lgkmcnt(0)
	s_delay_alu instid0(VALU_DEP_1) | instskip(NEXT) | instid1(VALU_DEP_1)
	v_fmac_f32_e32 v125, v124, v108
	v_sub_f32_e32 v103, v103, v125
	scratch_store_b32 off, v103, off offset:112
	v_cmpx_lt_u32_e32 27, v0
	s_cbranch_execz .LBB49_253
; %bb.252:
	scratch_load_b32 v103, off, off offset:108
	scratch_store_b32 off, v102, off offset:108
	s_waitcnt vmcnt(0)
	ds_store_b32 v101, v103
.LBB49_253:
	s_or_b32 exec_lo, exec_lo, s0
	s_waitcnt lgkmcnt(0)
	s_waitcnt_vscnt null, 0x0
	s_barrier
	buffer_gl0_inv
	s_clause 0x5
	scratch_load_b128 v[103:106], off, off offset:108
	scratch_load_b128 v[107:110], off, off offset:124
	;; [unrolled: 1-line block ×5, first 2 shown]
	scratch_load_b96 v[131:133], off, off offset:188
	ds_load_b128 v[123:126], v102 offset:320
	ds_load_b128 v[127:130], v102 offset:336
	s_mov_b32 s0, exec_lo
	s_waitcnt vmcnt(5) lgkmcnt(1)
	v_fma_f32 v123, v104, v123, 0
	s_delay_alu instid0(VALU_DEP_1) | instskip(NEXT) | instid1(VALU_DEP_1)
	v_fmac_f32_e32 v123, v105, v124
	v_fmac_f32_e32 v123, v106, v125
	s_waitcnt vmcnt(4)
	s_delay_alu instid0(VALU_DEP_1) | instskip(SKIP_3) | instid1(VALU_DEP_1)
	v_fmac_f32_e32 v123, v107, v126
	ds_load_b128 v[104:107], v102 offset:352
	s_waitcnt lgkmcnt(1)
	v_fmac_f32_e32 v123, v108, v127
	v_fmac_f32_e32 v123, v109, v128
	s_delay_alu instid0(VALU_DEP_1) | instskip(SKIP_1) | instid1(VALU_DEP_1)
	v_fmac_f32_e32 v123, v110, v129
	s_waitcnt vmcnt(3)
	v_fmac_f32_e32 v123, v111, v130
	ds_load_b128 v[108:111], v102 offset:368
	s_waitcnt lgkmcnt(1)
	v_fmac_f32_e32 v123, v112, v104
	s_delay_alu instid0(VALU_DEP_1) | instskip(NEXT) | instid1(VALU_DEP_1)
	v_fmac_f32_e32 v123, v113, v105
	v_fmac_f32_e32 v123, v114, v106
	s_waitcnt vmcnt(2)
	s_delay_alu instid0(VALU_DEP_1) | instskip(SKIP_3) | instid1(VALU_DEP_1)
	v_fmac_f32_e32 v123, v115, v107
	ds_load_b128 v[104:107], v102 offset:384
	s_waitcnt lgkmcnt(1)
	v_fmac_f32_e32 v123, v116, v108
	v_fmac_f32_e32 v123, v117, v109
	ds_load_b64 v[108:109], v102 offset:400
	v_fmac_f32_e32 v123, v118, v110
	s_waitcnt vmcnt(1)
	s_delay_alu instid0(VALU_DEP_1) | instskip(SKIP_1) | instid1(VALU_DEP_1)
	v_fmac_f32_e32 v123, v119, v111
	s_waitcnt lgkmcnt(1)
	v_fmac_f32_e32 v123, v120, v104
	s_delay_alu instid0(VALU_DEP_1) | instskip(NEXT) | instid1(VALU_DEP_1)
	v_fmac_f32_e32 v123, v121, v105
	v_fmac_f32_e32 v123, v122, v106
	s_waitcnt vmcnt(0)
	s_delay_alu instid0(VALU_DEP_1) | instskip(SKIP_1) | instid1(VALU_DEP_1)
	v_fmac_f32_e32 v123, v131, v107
	s_waitcnt lgkmcnt(0)
	v_fmac_f32_e32 v123, v132, v108
	s_delay_alu instid0(VALU_DEP_1) | instskip(NEXT) | instid1(VALU_DEP_1)
	v_fmac_f32_e32 v123, v133, v109
	v_sub_f32_e32 v102, v103, v123
	scratch_store_b32 off, v102, off offset:108
	v_cmpx_lt_u32_e32 26, v0
	s_cbranch_execz .LBB49_255
; %bb.254:
	scratch_load_b32 v102, off, off offset:104
	v_mov_b32_e32 v103, 0
	scratch_store_b32 off, v103, off offset:104
	s_waitcnt vmcnt(0)
	ds_store_b32 v101, v102
.LBB49_255:
	s_or_b32 exec_lo, exec_lo, s0
	s_waitcnt lgkmcnt(0)
	s_waitcnt_vscnt null, 0x0
	s_barrier
	buffer_gl0_inv
	s_clause 0x5
	scratch_load_b128 v[103:106], off, off offset:104
	scratch_load_b128 v[107:110], off, off offset:120
	;; [unrolled: 1-line block ×6, first 2 shown]
	v_mov_b32_e32 v102, 0
	ds_load_2addr_b32 v[127:128], v102 offset0:79 offset1:80
	ds_load_2addr_b32 v[129:130], v102 offset0:81 offset1:82
	;; [unrolled: 1-line block ×4, first 2 shown]
	s_mov_b32 s0, exec_lo
	s_waitcnt vmcnt(5) lgkmcnt(3)
	v_fma_f32 v127, v104, v127, 0
	s_delay_alu instid0(VALU_DEP_1) | instskip(SKIP_4) | instid1(VALU_DEP_1)
	v_fmac_f32_e32 v127, v105, v128
	ds_load_2addr_b32 v[104:105], v102 offset0:87 offset1:88
	s_waitcnt lgkmcnt(3)
	v_fmac_f32_e32 v127, v106, v129
	s_waitcnt vmcnt(4)
	v_fmac_f32_e32 v127, v107, v130
	ds_load_2addr_b32 v[106:107], v102 offset0:89 offset1:90
	s_waitcnt lgkmcnt(3)
	v_fmac_f32_e32 v127, v108, v131
	s_delay_alu instid0(VALU_DEP_1) | instskip(SKIP_1) | instid1(VALU_DEP_1)
	v_fmac_f32_e32 v127, v109, v132
	s_waitcnt lgkmcnt(2)
	v_fmac_f32_e32 v127, v110, v133
	s_waitcnt vmcnt(3)
	s_delay_alu instid0(VALU_DEP_1) | instskip(SKIP_4) | instid1(VALU_DEP_1)
	v_fmac_f32_e32 v127, v111, v134
	ds_load_2addr_b32 v[108:109], v102 offset0:91 offset1:92
	ds_load_2addr_b32 v[110:111], v102 offset0:93 offset1:94
	s_waitcnt lgkmcnt(3)
	v_fmac_f32_e32 v127, v112, v104
	v_fmac_f32_e32 v127, v113, v105
	ds_load_2addr_b32 v[104:105], v102 offset0:95 offset1:96
	s_waitcnt lgkmcnt(3)
	v_fmac_f32_e32 v127, v114, v106
	s_waitcnt vmcnt(2)
	s_delay_alu instid0(VALU_DEP_1) | instskip(SKIP_3) | instid1(VALU_DEP_1)
	v_fmac_f32_e32 v127, v115, v107
	ds_load_2addr_b32 v[106:107], v102 offset0:97 offset1:98
	s_waitcnt lgkmcnt(3)
	v_fmac_f32_e32 v127, v116, v108
	v_fmac_f32_e32 v127, v117, v109
	s_waitcnt lgkmcnt(2)
	s_delay_alu instid0(VALU_DEP_1)
	v_fmac_f32_e32 v127, v118, v110
	ds_load_2addr_b32 v[108:109], v102 offset0:99 offset1:100
	ds_load_b32 v110, v102 offset:404
	s_waitcnt vmcnt(1)
	v_fmac_f32_e32 v127, v119, v111
	s_waitcnt lgkmcnt(3)
	s_delay_alu instid0(VALU_DEP_1) | instskip(NEXT) | instid1(VALU_DEP_1)
	v_fmac_f32_e32 v127, v120, v104
	v_fmac_f32_e32 v127, v121, v105
	s_waitcnt lgkmcnt(2)
	s_delay_alu instid0(VALU_DEP_1) | instskip(SKIP_1) | instid1(VALU_DEP_1)
	v_fmac_f32_e32 v127, v122, v106
	s_waitcnt vmcnt(0)
	v_fmac_f32_e32 v127, v123, v107
	s_waitcnt lgkmcnt(1)
	s_delay_alu instid0(VALU_DEP_1) | instskip(NEXT) | instid1(VALU_DEP_1)
	v_fmac_f32_e32 v127, v124, v108
	v_fmac_f32_e32 v127, v125, v109
	s_waitcnt lgkmcnt(0)
	s_delay_alu instid0(VALU_DEP_1) | instskip(NEXT) | instid1(VALU_DEP_1)
	v_fmac_f32_e32 v127, v126, v110
	v_sub_f32_e32 v103, v103, v127
	scratch_store_b32 off, v103, off offset:104
	v_cmpx_lt_u32_e32 25, v0
	s_cbranch_execz .LBB49_257
; %bb.256:
	scratch_load_b32 v103, off, off offset:100
	scratch_store_b32 off, v102, off offset:100
	s_waitcnt vmcnt(0)
	ds_store_b32 v101, v103
.LBB49_257:
	s_or_b32 exec_lo, exec_lo, s0
	s_waitcnt lgkmcnt(0)
	s_waitcnt_vscnt null, 0x0
	s_barrier
	buffer_gl0_inv
	s_clause 0x6
	scratch_load_b128 v[103:106], off, off offset:100
	scratch_load_b128 v[107:110], off, off offset:116
	;; [unrolled: 1-line block ×6, first 2 shown]
	scratch_load_b32 v135, off, off offset:196
	ds_load_2addr_b64 v[127:130], v102 offset0:39 offset1:40
	ds_load_2addr_b64 v[131:134], v102 offset0:41 offset1:42
	s_mov_b32 s0, exec_lo
	s_waitcnt vmcnt(6) lgkmcnt(1)
	v_fma_f32 v127, v104, v127, 0
	s_delay_alu instid0(VALU_DEP_1) | instskip(NEXT) | instid1(VALU_DEP_1)
	v_fmac_f32_e32 v127, v105, v128
	v_fmac_f32_e32 v127, v106, v129
	s_waitcnt vmcnt(5)
	s_delay_alu instid0(VALU_DEP_1) | instskip(SKIP_3) | instid1(VALU_DEP_1)
	v_fmac_f32_e32 v127, v107, v130
	ds_load_2addr_b64 v[104:107], v102 offset0:43 offset1:44
	s_waitcnt lgkmcnt(1)
	v_fmac_f32_e32 v127, v108, v131
	v_fmac_f32_e32 v127, v109, v132
	s_delay_alu instid0(VALU_DEP_1) | instskip(SKIP_1) | instid1(VALU_DEP_1)
	v_fmac_f32_e32 v127, v110, v133
	s_waitcnt vmcnt(4)
	v_fmac_f32_e32 v127, v111, v134
	ds_load_2addr_b64 v[108:111], v102 offset0:45 offset1:46
	s_waitcnt lgkmcnt(1)
	v_fmac_f32_e32 v127, v112, v104
	s_delay_alu instid0(VALU_DEP_1) | instskip(NEXT) | instid1(VALU_DEP_1)
	v_fmac_f32_e32 v127, v113, v105
	v_fmac_f32_e32 v127, v114, v106
	s_waitcnt vmcnt(3)
	s_delay_alu instid0(VALU_DEP_1) | instskip(SKIP_3) | instid1(VALU_DEP_1)
	v_fmac_f32_e32 v127, v115, v107
	ds_load_2addr_b64 v[104:107], v102 offset0:47 offset1:48
	s_waitcnt lgkmcnt(1)
	v_fmac_f32_e32 v127, v116, v108
	v_fmac_f32_e32 v127, v117, v109
	s_delay_alu instid0(VALU_DEP_1) | instskip(SKIP_1) | instid1(VALU_DEP_1)
	v_fmac_f32_e32 v127, v118, v110
	s_waitcnt vmcnt(2)
	v_fmac_f32_e32 v127, v119, v111
	ds_load_2addr_b64 v[108:111], v102 offset0:49 offset1:50
	s_waitcnt lgkmcnt(1)
	v_fmac_f32_e32 v127, v120, v104
	s_delay_alu instid0(VALU_DEP_1) | instskip(NEXT) | instid1(VALU_DEP_1)
	v_fmac_f32_e32 v127, v121, v105
	v_fmac_f32_e32 v127, v122, v106
	s_waitcnt vmcnt(1)
	s_delay_alu instid0(VALU_DEP_1) | instskip(SKIP_1) | instid1(VALU_DEP_1)
	v_fmac_f32_e32 v127, v123, v107
	s_waitcnt lgkmcnt(0)
	v_fmac_f32_e32 v127, v124, v108
	s_delay_alu instid0(VALU_DEP_1) | instskip(NEXT) | instid1(VALU_DEP_1)
	v_fmac_f32_e32 v127, v125, v109
	v_fmac_f32_e32 v127, v126, v110
	s_waitcnt vmcnt(0)
	s_delay_alu instid0(VALU_DEP_1) | instskip(NEXT) | instid1(VALU_DEP_1)
	v_fmac_f32_e32 v127, v135, v111
	v_sub_f32_e32 v102, v103, v127
	scratch_store_b32 off, v102, off offset:100
	v_cmpx_lt_u32_e32 24, v0
	s_cbranch_execz .LBB49_259
; %bb.258:
	scratch_load_b32 v102, off, off offset:96
	v_mov_b32_e32 v103, 0
	scratch_store_b32 off, v103, off offset:96
	s_waitcnt vmcnt(0)
	ds_store_b32 v101, v102
.LBB49_259:
	s_or_b32 exec_lo, exec_lo, s0
	s_waitcnt lgkmcnt(0)
	s_waitcnt_vscnt null, 0x0
	s_barrier
	buffer_gl0_inv
	s_clause 0x6
	scratch_load_b128 v[103:106], off, off offset:96
	scratch_load_b128 v[107:110], off, off offset:112
	;; [unrolled: 1-line block ×6, first 2 shown]
	scratch_load_b64 v[127:128], off, off offset:192
	v_mov_b32_e32 v102, 0
	ds_load_2addr_b32 v[129:130], v102 offset0:77 offset1:78
	ds_load_2addr_b32 v[131:132], v102 offset0:79 offset1:80
	;; [unrolled: 1-line block ×4, first 2 shown]
	s_mov_b32 s0, exec_lo
	s_waitcnt vmcnt(6) lgkmcnt(3)
	v_fma_f32 v129, v104, v129, 0
	s_delay_alu instid0(VALU_DEP_1) | instskip(SKIP_4) | instid1(VALU_DEP_1)
	v_fmac_f32_e32 v129, v105, v130
	ds_load_2addr_b32 v[104:105], v102 offset0:85 offset1:86
	s_waitcnt lgkmcnt(3)
	v_fmac_f32_e32 v129, v106, v131
	s_waitcnt vmcnt(5)
	v_fmac_f32_e32 v129, v107, v132
	ds_load_2addr_b32 v[106:107], v102 offset0:87 offset1:88
	s_waitcnt lgkmcnt(3)
	v_fmac_f32_e32 v129, v108, v133
	s_delay_alu instid0(VALU_DEP_1) | instskip(SKIP_1) | instid1(VALU_DEP_1)
	v_fmac_f32_e32 v129, v109, v134
	s_waitcnt lgkmcnt(2)
	v_fmac_f32_e32 v129, v110, v135
	s_waitcnt vmcnt(4)
	s_delay_alu instid0(VALU_DEP_1) | instskip(SKIP_4) | instid1(VALU_DEP_1)
	v_fmac_f32_e32 v129, v111, v136
	ds_load_2addr_b32 v[108:109], v102 offset0:89 offset1:90
	ds_load_2addr_b32 v[110:111], v102 offset0:91 offset1:92
	s_waitcnt lgkmcnt(3)
	v_fmac_f32_e32 v129, v112, v104
	v_fmac_f32_e32 v129, v113, v105
	ds_load_2addr_b32 v[104:105], v102 offset0:93 offset1:94
	s_waitcnt lgkmcnt(3)
	v_fmac_f32_e32 v129, v114, v106
	s_waitcnt vmcnt(3)
	s_delay_alu instid0(VALU_DEP_1) | instskip(SKIP_3) | instid1(VALU_DEP_1)
	v_fmac_f32_e32 v129, v115, v107
	ds_load_2addr_b32 v[106:107], v102 offset0:95 offset1:96
	s_waitcnt lgkmcnt(3)
	v_fmac_f32_e32 v129, v116, v108
	v_fmac_f32_e32 v129, v117, v109
	s_waitcnt lgkmcnt(2)
	s_delay_alu instid0(VALU_DEP_1) | instskip(SKIP_1) | instid1(VALU_DEP_1)
	v_fmac_f32_e32 v129, v118, v110
	s_waitcnt vmcnt(2)
	v_fmac_f32_e32 v129, v119, v111
	ds_load_2addr_b32 v[108:109], v102 offset0:97 offset1:98
	ds_load_2addr_b32 v[110:111], v102 offset0:99 offset1:100
	s_waitcnt lgkmcnt(3)
	v_fmac_f32_e32 v129, v120, v104
	ds_load_b32 v104, v102 offset:404
	v_fmac_f32_e32 v129, v121, v105
	s_waitcnt lgkmcnt(3)
	s_delay_alu instid0(VALU_DEP_1) | instskip(SKIP_1) | instid1(VALU_DEP_1)
	v_fmac_f32_e32 v129, v122, v106
	s_waitcnt vmcnt(1)
	v_fmac_f32_e32 v129, v123, v107
	s_waitcnt lgkmcnt(2)
	s_delay_alu instid0(VALU_DEP_1) | instskip(NEXT) | instid1(VALU_DEP_1)
	v_fmac_f32_e32 v129, v124, v108
	v_fmac_f32_e32 v129, v125, v109
	s_waitcnt lgkmcnt(1)
	s_delay_alu instid0(VALU_DEP_1) | instskip(SKIP_1) | instid1(VALU_DEP_1)
	v_fmac_f32_e32 v129, v126, v110
	s_waitcnt vmcnt(0)
	v_fmac_f32_e32 v129, v127, v111
	s_waitcnt lgkmcnt(0)
	s_delay_alu instid0(VALU_DEP_1) | instskip(NEXT) | instid1(VALU_DEP_1)
	v_fmac_f32_e32 v129, v128, v104
	v_sub_f32_e32 v103, v103, v129
	scratch_store_b32 off, v103, off offset:96
	v_cmpx_lt_u32_e32 23, v0
	s_cbranch_execz .LBB49_261
; %bb.260:
	scratch_load_b32 v103, off, off offset:92
	scratch_store_b32 off, v102, off offset:92
	s_waitcnt vmcnt(0)
	ds_store_b32 v101, v103
.LBB49_261:
	s_or_b32 exec_lo, exec_lo, s0
	s_waitcnt lgkmcnt(0)
	s_waitcnt_vscnt null, 0x0
	s_barrier
	buffer_gl0_inv
	s_clause 0x6
	scratch_load_b128 v[103:106], off, off offset:92
	scratch_load_b128 v[107:110], off, off offset:108
	;; [unrolled: 1-line block ×6, first 2 shown]
	scratch_load_b96 v[135:137], off, off offset:188
	ds_load_b128 v[127:130], v102 offset:304
	ds_load_b128 v[131:134], v102 offset:320
	s_mov_b32 s0, exec_lo
	s_waitcnt vmcnt(6) lgkmcnt(1)
	v_fma_f32 v127, v104, v127, 0
	s_delay_alu instid0(VALU_DEP_1) | instskip(NEXT) | instid1(VALU_DEP_1)
	v_fmac_f32_e32 v127, v105, v128
	v_fmac_f32_e32 v127, v106, v129
	s_waitcnt vmcnt(5)
	s_delay_alu instid0(VALU_DEP_1) | instskip(SKIP_3) | instid1(VALU_DEP_1)
	v_fmac_f32_e32 v127, v107, v130
	ds_load_b128 v[104:107], v102 offset:336
	s_waitcnt lgkmcnt(1)
	v_fmac_f32_e32 v127, v108, v131
	v_fmac_f32_e32 v127, v109, v132
	s_delay_alu instid0(VALU_DEP_1) | instskip(SKIP_1) | instid1(VALU_DEP_1)
	v_fmac_f32_e32 v127, v110, v133
	s_waitcnt vmcnt(4)
	v_fmac_f32_e32 v127, v111, v134
	ds_load_b128 v[108:111], v102 offset:352
	s_waitcnt lgkmcnt(1)
	v_fmac_f32_e32 v127, v112, v104
	s_delay_alu instid0(VALU_DEP_1) | instskip(NEXT) | instid1(VALU_DEP_1)
	v_fmac_f32_e32 v127, v113, v105
	v_fmac_f32_e32 v127, v114, v106
	s_waitcnt vmcnt(3)
	s_delay_alu instid0(VALU_DEP_1) | instskip(SKIP_3) | instid1(VALU_DEP_1)
	v_fmac_f32_e32 v127, v115, v107
	ds_load_b128 v[104:107], v102 offset:368
	s_waitcnt lgkmcnt(1)
	v_fmac_f32_e32 v127, v116, v108
	v_fmac_f32_e32 v127, v117, v109
	s_delay_alu instid0(VALU_DEP_1) | instskip(SKIP_1) | instid1(VALU_DEP_1)
	v_fmac_f32_e32 v127, v118, v110
	s_waitcnt vmcnt(2)
	v_fmac_f32_e32 v127, v119, v111
	ds_load_b128 v[108:111], v102 offset:384
	s_waitcnt lgkmcnt(1)
	v_fmac_f32_e32 v127, v120, v104
	s_delay_alu instid0(VALU_DEP_1) | instskip(SKIP_3) | instid1(VALU_DEP_1)
	v_fmac_f32_e32 v127, v121, v105
	ds_load_b64 v[104:105], v102 offset:400
	v_fmac_f32_e32 v127, v122, v106
	s_waitcnt vmcnt(1)
	v_fmac_f32_e32 v127, v123, v107
	s_waitcnt lgkmcnt(1)
	s_delay_alu instid0(VALU_DEP_1) | instskip(NEXT) | instid1(VALU_DEP_1)
	v_fmac_f32_e32 v127, v124, v108
	v_fmac_f32_e32 v127, v125, v109
	s_delay_alu instid0(VALU_DEP_1) | instskip(SKIP_1) | instid1(VALU_DEP_1)
	v_fmac_f32_e32 v127, v126, v110
	s_waitcnt vmcnt(0)
	v_fmac_f32_e32 v127, v135, v111
	s_waitcnt lgkmcnt(0)
	s_delay_alu instid0(VALU_DEP_1) | instskip(NEXT) | instid1(VALU_DEP_1)
	v_fmac_f32_e32 v127, v136, v104
	v_fmac_f32_e32 v127, v137, v105
	s_delay_alu instid0(VALU_DEP_1)
	v_sub_f32_e32 v102, v103, v127
	scratch_store_b32 off, v102, off offset:92
	v_cmpx_lt_u32_e32 22, v0
	s_cbranch_execz .LBB49_263
; %bb.262:
	scratch_load_b32 v102, off, off offset:88
	v_mov_b32_e32 v103, 0
	scratch_store_b32 off, v103, off offset:88
	s_waitcnt vmcnt(0)
	ds_store_b32 v101, v102
.LBB49_263:
	s_or_b32 exec_lo, exec_lo, s0
	s_waitcnt lgkmcnt(0)
	s_waitcnt_vscnt null, 0x0
	s_barrier
	buffer_gl0_inv
	s_clause 0x6
	scratch_load_b128 v[103:106], off, off offset:88
	scratch_load_b128 v[107:110], off, off offset:104
	;; [unrolled: 1-line block ×7, first 2 shown]
	v_mov_b32_e32 v102, 0
	ds_load_2addr_b32 v[131:132], v102 offset0:75 offset1:76
	ds_load_2addr_b32 v[133:134], v102 offset0:77 offset1:78
	;; [unrolled: 1-line block ×4, first 2 shown]
	s_mov_b32 s0, exec_lo
	s_waitcnt vmcnt(6) lgkmcnt(3)
	v_fma_f32 v131, v104, v131, 0
	s_delay_alu instid0(VALU_DEP_1) | instskip(SKIP_4) | instid1(VALU_DEP_1)
	v_fmac_f32_e32 v131, v105, v132
	ds_load_2addr_b32 v[104:105], v102 offset0:83 offset1:84
	s_waitcnt lgkmcnt(3)
	v_fmac_f32_e32 v131, v106, v133
	s_waitcnt vmcnt(5)
	v_fmac_f32_e32 v131, v107, v134
	ds_load_2addr_b32 v[106:107], v102 offset0:85 offset1:86
	s_waitcnt lgkmcnt(3)
	v_fmac_f32_e32 v131, v108, v135
	s_delay_alu instid0(VALU_DEP_1) | instskip(SKIP_1) | instid1(VALU_DEP_1)
	v_fmac_f32_e32 v131, v109, v136
	s_waitcnt lgkmcnt(2)
	v_fmac_f32_e32 v131, v110, v137
	s_waitcnt vmcnt(4)
	s_delay_alu instid0(VALU_DEP_1) | instskip(SKIP_4) | instid1(VALU_DEP_1)
	v_fmac_f32_e32 v131, v111, v138
	ds_load_2addr_b32 v[108:109], v102 offset0:87 offset1:88
	ds_load_2addr_b32 v[110:111], v102 offset0:89 offset1:90
	s_waitcnt lgkmcnt(3)
	v_fmac_f32_e32 v131, v112, v104
	v_fmac_f32_e32 v131, v113, v105
	ds_load_2addr_b32 v[104:105], v102 offset0:91 offset1:92
	s_waitcnt lgkmcnt(3)
	v_fmac_f32_e32 v131, v114, v106
	s_waitcnt vmcnt(3)
	s_delay_alu instid0(VALU_DEP_1) | instskip(SKIP_3) | instid1(VALU_DEP_1)
	v_fmac_f32_e32 v131, v115, v107
	ds_load_2addr_b32 v[106:107], v102 offset0:93 offset1:94
	s_waitcnt lgkmcnt(3)
	v_fmac_f32_e32 v131, v116, v108
	v_fmac_f32_e32 v131, v117, v109
	s_waitcnt lgkmcnt(2)
	s_delay_alu instid0(VALU_DEP_1) | instskip(SKIP_1) | instid1(VALU_DEP_1)
	v_fmac_f32_e32 v131, v118, v110
	s_waitcnt vmcnt(2)
	v_fmac_f32_e32 v131, v119, v111
	ds_load_2addr_b32 v[108:109], v102 offset0:95 offset1:96
	ds_load_2addr_b32 v[110:111], v102 offset0:97 offset1:98
	s_waitcnt lgkmcnt(3)
	v_fmac_f32_e32 v131, v120, v104
	s_delay_alu instid0(VALU_DEP_1)
	v_fmac_f32_e32 v131, v121, v105
	ds_load_2addr_b32 v[104:105], v102 offset0:99 offset1:100
	s_waitcnt lgkmcnt(3)
	v_fmac_f32_e32 v131, v122, v106
	ds_load_b32 v106, v102 offset:404
	s_waitcnt vmcnt(1)
	v_fmac_f32_e32 v131, v123, v107
	s_waitcnt lgkmcnt(3)
	s_delay_alu instid0(VALU_DEP_1) | instskip(NEXT) | instid1(VALU_DEP_1)
	v_fmac_f32_e32 v131, v124, v108
	v_fmac_f32_e32 v131, v125, v109
	s_waitcnt lgkmcnt(2)
	s_delay_alu instid0(VALU_DEP_1) | instskip(SKIP_1) | instid1(VALU_DEP_1)
	v_fmac_f32_e32 v131, v126, v110
	s_waitcnt vmcnt(0)
	v_fmac_f32_e32 v131, v127, v111
	s_waitcnt lgkmcnt(1)
	s_delay_alu instid0(VALU_DEP_1) | instskip(NEXT) | instid1(VALU_DEP_1)
	v_fmac_f32_e32 v131, v128, v104
	v_fmac_f32_e32 v131, v129, v105
	s_waitcnt lgkmcnt(0)
	s_delay_alu instid0(VALU_DEP_1) | instskip(NEXT) | instid1(VALU_DEP_1)
	v_fmac_f32_e32 v131, v130, v106
	v_sub_f32_e32 v103, v103, v131
	scratch_store_b32 off, v103, off offset:88
	v_cmpx_lt_u32_e32 21, v0
	s_cbranch_execz .LBB49_265
; %bb.264:
	scratch_load_b32 v103, off, off offset:84
	scratch_store_b32 off, v102, off offset:84
	s_waitcnt vmcnt(0)
	ds_store_b32 v101, v103
.LBB49_265:
	s_or_b32 exec_lo, exec_lo, s0
	s_waitcnt lgkmcnt(0)
	s_waitcnt_vscnt null, 0x0
	s_barrier
	buffer_gl0_inv
	s_clause 0x7
	scratch_load_b128 v[103:106], off, off offset:84
	scratch_load_b128 v[107:110], off, off offset:100
	;; [unrolled: 1-line block ×7, first 2 shown]
	scratch_load_b32 v139, off, off offset:196
	ds_load_2addr_b64 v[131:134], v102 offset0:37 offset1:38
	ds_load_2addr_b64 v[135:138], v102 offset0:39 offset1:40
	s_mov_b32 s0, exec_lo
	s_waitcnt vmcnt(7) lgkmcnt(1)
	v_fma_f32 v131, v104, v131, 0
	s_delay_alu instid0(VALU_DEP_1) | instskip(NEXT) | instid1(VALU_DEP_1)
	v_fmac_f32_e32 v131, v105, v132
	v_fmac_f32_e32 v131, v106, v133
	s_waitcnt vmcnt(6)
	s_delay_alu instid0(VALU_DEP_1) | instskip(SKIP_3) | instid1(VALU_DEP_1)
	v_fmac_f32_e32 v131, v107, v134
	ds_load_2addr_b64 v[104:107], v102 offset0:41 offset1:42
	s_waitcnt lgkmcnt(1)
	v_fmac_f32_e32 v131, v108, v135
	v_fmac_f32_e32 v131, v109, v136
	s_delay_alu instid0(VALU_DEP_1) | instskip(SKIP_1) | instid1(VALU_DEP_1)
	v_fmac_f32_e32 v131, v110, v137
	s_waitcnt vmcnt(5)
	v_fmac_f32_e32 v131, v111, v138
	ds_load_2addr_b64 v[108:111], v102 offset0:43 offset1:44
	s_waitcnt lgkmcnt(1)
	v_fmac_f32_e32 v131, v112, v104
	s_delay_alu instid0(VALU_DEP_1) | instskip(NEXT) | instid1(VALU_DEP_1)
	v_fmac_f32_e32 v131, v113, v105
	v_fmac_f32_e32 v131, v114, v106
	s_waitcnt vmcnt(4)
	s_delay_alu instid0(VALU_DEP_1) | instskip(SKIP_3) | instid1(VALU_DEP_1)
	v_fmac_f32_e32 v131, v115, v107
	ds_load_2addr_b64 v[104:107], v102 offset0:45 offset1:46
	s_waitcnt lgkmcnt(1)
	v_fmac_f32_e32 v131, v116, v108
	v_fmac_f32_e32 v131, v117, v109
	s_delay_alu instid0(VALU_DEP_1) | instskip(SKIP_1) | instid1(VALU_DEP_1)
	v_fmac_f32_e32 v131, v118, v110
	s_waitcnt vmcnt(3)
	v_fmac_f32_e32 v131, v119, v111
	ds_load_2addr_b64 v[108:111], v102 offset0:47 offset1:48
	s_waitcnt lgkmcnt(1)
	v_fmac_f32_e32 v131, v120, v104
	s_delay_alu instid0(VALU_DEP_1) | instskip(NEXT) | instid1(VALU_DEP_1)
	v_fmac_f32_e32 v131, v121, v105
	v_fmac_f32_e32 v131, v122, v106
	s_waitcnt vmcnt(2)
	s_delay_alu instid0(VALU_DEP_1) | instskip(SKIP_3) | instid1(VALU_DEP_1)
	v_fmac_f32_e32 v131, v123, v107
	ds_load_2addr_b64 v[104:107], v102 offset0:49 offset1:50
	s_waitcnt lgkmcnt(1)
	v_fmac_f32_e32 v131, v124, v108
	v_fmac_f32_e32 v131, v125, v109
	s_delay_alu instid0(VALU_DEP_1) | instskip(SKIP_1) | instid1(VALU_DEP_1)
	v_fmac_f32_e32 v131, v126, v110
	s_waitcnt vmcnt(1)
	v_fmac_f32_e32 v131, v127, v111
	s_waitcnt lgkmcnt(0)
	s_delay_alu instid0(VALU_DEP_1) | instskip(NEXT) | instid1(VALU_DEP_1)
	v_fmac_f32_e32 v131, v128, v104
	v_fmac_f32_e32 v131, v129, v105
	s_delay_alu instid0(VALU_DEP_1) | instskip(SKIP_1) | instid1(VALU_DEP_1)
	v_fmac_f32_e32 v131, v130, v106
	s_waitcnt vmcnt(0)
	v_fmac_f32_e32 v131, v139, v107
	s_delay_alu instid0(VALU_DEP_1)
	v_sub_f32_e32 v102, v103, v131
	scratch_store_b32 off, v102, off offset:84
	v_cmpx_lt_u32_e32 20, v0
	s_cbranch_execz .LBB49_267
; %bb.266:
	scratch_load_b32 v102, off, off offset:80
	v_mov_b32_e32 v103, 0
	scratch_store_b32 off, v103, off offset:80
	s_waitcnt vmcnt(0)
	ds_store_b32 v101, v102
.LBB49_267:
	s_or_b32 exec_lo, exec_lo, s0
	s_waitcnt lgkmcnt(0)
	s_waitcnt_vscnt null, 0x0
	s_barrier
	buffer_gl0_inv
	s_clause 0x7
	scratch_load_b128 v[103:106], off, off offset:80
	scratch_load_b128 v[107:110], off, off offset:96
	;; [unrolled: 1-line block ×7, first 2 shown]
	scratch_load_b64 v[131:132], off, off offset:192
	v_mov_b32_e32 v102, 0
	ds_load_2addr_b32 v[133:134], v102 offset0:73 offset1:74
	ds_load_2addr_b32 v[135:136], v102 offset0:75 offset1:76
	;; [unrolled: 1-line block ×4, first 2 shown]
	s_mov_b32 s0, exec_lo
	s_waitcnt vmcnt(7) lgkmcnt(3)
	v_fma_f32 v133, v104, v133, 0
	s_delay_alu instid0(VALU_DEP_1) | instskip(SKIP_4) | instid1(VALU_DEP_1)
	v_fmac_f32_e32 v133, v105, v134
	ds_load_2addr_b32 v[104:105], v102 offset0:81 offset1:82
	s_waitcnt lgkmcnt(3)
	v_fmac_f32_e32 v133, v106, v135
	s_waitcnt vmcnt(6)
	v_fmac_f32_e32 v133, v107, v136
	ds_load_2addr_b32 v[106:107], v102 offset0:83 offset1:84
	s_waitcnt lgkmcnt(3)
	v_fmac_f32_e32 v133, v108, v137
	s_delay_alu instid0(VALU_DEP_1) | instskip(SKIP_1) | instid1(VALU_DEP_1)
	v_fmac_f32_e32 v133, v109, v138
	s_waitcnt lgkmcnt(2)
	v_fmac_f32_e32 v133, v110, v139
	s_waitcnt vmcnt(5)
	s_delay_alu instid0(VALU_DEP_1) | instskip(SKIP_4) | instid1(VALU_DEP_1)
	v_fmac_f32_e32 v133, v111, v140
	ds_load_2addr_b32 v[108:109], v102 offset0:85 offset1:86
	ds_load_2addr_b32 v[110:111], v102 offset0:87 offset1:88
	s_waitcnt lgkmcnt(3)
	v_fmac_f32_e32 v133, v112, v104
	v_fmac_f32_e32 v133, v113, v105
	ds_load_2addr_b32 v[104:105], v102 offset0:89 offset1:90
	s_waitcnt lgkmcnt(3)
	v_fmac_f32_e32 v133, v114, v106
	s_waitcnt vmcnt(4)
	s_delay_alu instid0(VALU_DEP_1) | instskip(SKIP_3) | instid1(VALU_DEP_1)
	v_fmac_f32_e32 v133, v115, v107
	ds_load_2addr_b32 v[106:107], v102 offset0:91 offset1:92
	s_waitcnt lgkmcnt(3)
	v_fmac_f32_e32 v133, v116, v108
	v_fmac_f32_e32 v133, v117, v109
	s_waitcnt lgkmcnt(2)
	s_delay_alu instid0(VALU_DEP_1) | instskip(SKIP_1) | instid1(VALU_DEP_1)
	v_fmac_f32_e32 v133, v118, v110
	s_waitcnt vmcnt(3)
	v_fmac_f32_e32 v133, v119, v111
	ds_load_2addr_b32 v[108:109], v102 offset0:93 offset1:94
	ds_load_2addr_b32 v[110:111], v102 offset0:95 offset1:96
	s_waitcnt lgkmcnt(3)
	v_fmac_f32_e32 v133, v120, v104
	s_delay_alu instid0(VALU_DEP_1) | instskip(SKIP_4) | instid1(VALU_DEP_1)
	v_fmac_f32_e32 v133, v121, v105
	ds_load_2addr_b32 v[104:105], v102 offset0:97 offset1:98
	s_waitcnt lgkmcnt(3)
	v_fmac_f32_e32 v133, v122, v106
	s_waitcnt vmcnt(2)
	v_fmac_f32_e32 v133, v123, v107
	ds_load_2addr_b32 v[106:107], v102 offset0:99 offset1:100
	s_waitcnt lgkmcnt(3)
	v_fmac_f32_e32 v133, v124, v108
	ds_load_b32 v108, v102 offset:404
	v_fmac_f32_e32 v133, v125, v109
	s_waitcnt lgkmcnt(3)
	s_delay_alu instid0(VALU_DEP_1) | instskip(SKIP_1) | instid1(VALU_DEP_1)
	v_fmac_f32_e32 v133, v126, v110
	s_waitcnt vmcnt(1)
	v_fmac_f32_e32 v133, v127, v111
	s_waitcnt lgkmcnt(2)
	s_delay_alu instid0(VALU_DEP_1) | instskip(NEXT) | instid1(VALU_DEP_1)
	v_fmac_f32_e32 v133, v128, v104
	v_fmac_f32_e32 v133, v129, v105
	s_waitcnt lgkmcnt(1)
	s_delay_alu instid0(VALU_DEP_1) | instskip(SKIP_1) | instid1(VALU_DEP_1)
	v_fmac_f32_e32 v133, v130, v106
	s_waitcnt vmcnt(0)
	v_fmac_f32_e32 v133, v131, v107
	s_waitcnt lgkmcnt(0)
	s_delay_alu instid0(VALU_DEP_1) | instskip(NEXT) | instid1(VALU_DEP_1)
	v_fmac_f32_e32 v133, v132, v108
	v_sub_f32_e32 v103, v103, v133
	scratch_store_b32 off, v103, off offset:80
	v_cmpx_lt_u32_e32 19, v0
	s_cbranch_execz .LBB49_269
; %bb.268:
	scratch_load_b32 v103, off, off offset:76
	scratch_store_b32 off, v102, off offset:76
	s_waitcnt vmcnt(0)
	ds_store_b32 v101, v103
.LBB49_269:
	s_or_b32 exec_lo, exec_lo, s0
	s_waitcnt lgkmcnt(0)
	s_waitcnt_vscnt null, 0x0
	s_barrier
	buffer_gl0_inv
	s_clause 0x7
	scratch_load_b128 v[103:106], off, off offset:76
	scratch_load_b128 v[107:110], off, off offset:92
	;; [unrolled: 1-line block ×7, first 2 shown]
	scratch_load_b96 v[139:141], off, off offset:188
	ds_load_b128 v[131:134], v102 offset:288
	ds_load_b128 v[135:138], v102 offset:304
	s_mov_b32 s0, exec_lo
	s_waitcnt vmcnt(7) lgkmcnt(1)
	v_fma_f32 v131, v104, v131, 0
	s_delay_alu instid0(VALU_DEP_1) | instskip(NEXT) | instid1(VALU_DEP_1)
	v_fmac_f32_e32 v131, v105, v132
	v_fmac_f32_e32 v131, v106, v133
	s_waitcnt vmcnt(6)
	s_delay_alu instid0(VALU_DEP_1) | instskip(SKIP_3) | instid1(VALU_DEP_1)
	v_fmac_f32_e32 v131, v107, v134
	ds_load_b128 v[104:107], v102 offset:320
	s_waitcnt lgkmcnt(1)
	v_fmac_f32_e32 v131, v108, v135
	v_fmac_f32_e32 v131, v109, v136
	s_delay_alu instid0(VALU_DEP_1) | instskip(SKIP_1) | instid1(VALU_DEP_1)
	v_fmac_f32_e32 v131, v110, v137
	s_waitcnt vmcnt(5)
	v_fmac_f32_e32 v131, v111, v138
	ds_load_b128 v[108:111], v102 offset:336
	s_waitcnt lgkmcnt(1)
	v_fmac_f32_e32 v131, v112, v104
	s_delay_alu instid0(VALU_DEP_1) | instskip(NEXT) | instid1(VALU_DEP_1)
	v_fmac_f32_e32 v131, v113, v105
	v_fmac_f32_e32 v131, v114, v106
	s_waitcnt vmcnt(4)
	s_delay_alu instid0(VALU_DEP_1) | instskip(SKIP_3) | instid1(VALU_DEP_1)
	v_fmac_f32_e32 v131, v115, v107
	ds_load_b128 v[104:107], v102 offset:352
	s_waitcnt lgkmcnt(1)
	v_fmac_f32_e32 v131, v116, v108
	v_fmac_f32_e32 v131, v117, v109
	s_delay_alu instid0(VALU_DEP_1) | instskip(SKIP_1) | instid1(VALU_DEP_1)
	v_fmac_f32_e32 v131, v118, v110
	s_waitcnt vmcnt(3)
	v_fmac_f32_e32 v131, v119, v111
	ds_load_b128 v[108:111], v102 offset:368
	s_waitcnt lgkmcnt(1)
	v_fmac_f32_e32 v131, v120, v104
	s_delay_alu instid0(VALU_DEP_1) | instskip(NEXT) | instid1(VALU_DEP_1)
	v_fmac_f32_e32 v131, v121, v105
	v_fmac_f32_e32 v131, v122, v106
	s_waitcnt vmcnt(2)
	s_delay_alu instid0(VALU_DEP_1) | instskip(SKIP_3) | instid1(VALU_DEP_1)
	v_fmac_f32_e32 v131, v123, v107
	ds_load_b128 v[104:107], v102 offset:384
	s_waitcnt lgkmcnt(1)
	v_fmac_f32_e32 v131, v124, v108
	v_fmac_f32_e32 v131, v125, v109
	ds_load_b64 v[108:109], v102 offset:400
	v_fmac_f32_e32 v131, v126, v110
	s_waitcnt vmcnt(1)
	s_delay_alu instid0(VALU_DEP_1) | instskip(SKIP_1) | instid1(VALU_DEP_1)
	v_fmac_f32_e32 v131, v127, v111
	s_waitcnt lgkmcnt(1)
	v_fmac_f32_e32 v131, v128, v104
	s_delay_alu instid0(VALU_DEP_1) | instskip(NEXT) | instid1(VALU_DEP_1)
	v_fmac_f32_e32 v131, v129, v105
	v_fmac_f32_e32 v131, v130, v106
	s_waitcnt vmcnt(0)
	s_delay_alu instid0(VALU_DEP_1) | instskip(SKIP_1) | instid1(VALU_DEP_1)
	v_fmac_f32_e32 v131, v139, v107
	s_waitcnt lgkmcnt(0)
	v_fmac_f32_e32 v131, v140, v108
	s_delay_alu instid0(VALU_DEP_1) | instskip(NEXT) | instid1(VALU_DEP_1)
	v_fmac_f32_e32 v131, v141, v109
	v_sub_f32_e32 v102, v103, v131
	scratch_store_b32 off, v102, off offset:76
	v_cmpx_lt_u32_e32 18, v0
	s_cbranch_execz .LBB49_271
; %bb.270:
	scratch_load_b32 v102, off, off offset:72
	v_mov_b32_e32 v103, 0
	scratch_store_b32 off, v103, off offset:72
	s_waitcnt vmcnt(0)
	ds_store_b32 v101, v102
.LBB49_271:
	s_or_b32 exec_lo, exec_lo, s0
	s_waitcnt lgkmcnt(0)
	s_waitcnt_vscnt null, 0x0
	s_barrier
	buffer_gl0_inv
	s_clause 0x7
	scratch_load_b128 v[103:106], off, off offset:72
	scratch_load_b128 v[107:110], off, off offset:88
	;; [unrolled: 1-line block ×8, first 2 shown]
	v_mov_b32_e32 v102, 0
	ds_load_2addr_b32 v[135:136], v102 offset0:71 offset1:72
	ds_load_2addr_b32 v[137:138], v102 offset0:73 offset1:74
	;; [unrolled: 1-line block ×4, first 2 shown]
	s_mov_b32 s0, exec_lo
	s_waitcnt vmcnt(7) lgkmcnt(3)
	v_fma_f32 v135, v104, v135, 0
	s_delay_alu instid0(VALU_DEP_1) | instskip(SKIP_4) | instid1(VALU_DEP_1)
	v_fmac_f32_e32 v135, v105, v136
	ds_load_2addr_b32 v[104:105], v102 offset0:79 offset1:80
	s_waitcnt lgkmcnt(3)
	v_fmac_f32_e32 v135, v106, v137
	s_waitcnt vmcnt(6)
	v_fmac_f32_e32 v135, v107, v138
	ds_load_2addr_b32 v[106:107], v102 offset0:81 offset1:82
	s_waitcnt lgkmcnt(3)
	v_fmac_f32_e32 v135, v108, v139
	s_delay_alu instid0(VALU_DEP_1) | instskip(SKIP_1) | instid1(VALU_DEP_1)
	v_fmac_f32_e32 v135, v109, v140
	s_waitcnt lgkmcnt(2)
	v_fmac_f32_e32 v135, v110, v141
	s_waitcnt vmcnt(5)
	s_delay_alu instid0(VALU_DEP_1) | instskip(SKIP_4) | instid1(VALU_DEP_1)
	v_fmac_f32_e32 v135, v111, v142
	ds_load_2addr_b32 v[108:109], v102 offset0:83 offset1:84
	ds_load_2addr_b32 v[110:111], v102 offset0:85 offset1:86
	s_waitcnt lgkmcnt(3)
	v_fmac_f32_e32 v135, v112, v104
	v_fmac_f32_e32 v135, v113, v105
	ds_load_2addr_b32 v[104:105], v102 offset0:87 offset1:88
	s_waitcnt lgkmcnt(3)
	v_fmac_f32_e32 v135, v114, v106
	s_waitcnt vmcnt(4)
	s_delay_alu instid0(VALU_DEP_1) | instskip(SKIP_3) | instid1(VALU_DEP_1)
	v_fmac_f32_e32 v135, v115, v107
	ds_load_2addr_b32 v[106:107], v102 offset0:89 offset1:90
	s_waitcnt lgkmcnt(3)
	v_fmac_f32_e32 v135, v116, v108
	v_fmac_f32_e32 v135, v117, v109
	s_waitcnt lgkmcnt(2)
	s_delay_alu instid0(VALU_DEP_1) | instskip(SKIP_1) | instid1(VALU_DEP_1)
	v_fmac_f32_e32 v135, v118, v110
	s_waitcnt vmcnt(3)
	v_fmac_f32_e32 v135, v119, v111
	ds_load_2addr_b32 v[108:109], v102 offset0:91 offset1:92
	ds_load_2addr_b32 v[110:111], v102 offset0:93 offset1:94
	s_waitcnt lgkmcnt(3)
	v_fmac_f32_e32 v135, v120, v104
	s_delay_alu instid0(VALU_DEP_1) | instskip(SKIP_4) | instid1(VALU_DEP_1)
	v_fmac_f32_e32 v135, v121, v105
	ds_load_2addr_b32 v[104:105], v102 offset0:95 offset1:96
	s_waitcnt lgkmcnt(3)
	v_fmac_f32_e32 v135, v122, v106
	s_waitcnt vmcnt(2)
	v_fmac_f32_e32 v135, v123, v107
	ds_load_2addr_b32 v[106:107], v102 offset0:97 offset1:98
	s_waitcnt lgkmcnt(3)
	v_fmac_f32_e32 v135, v124, v108
	s_delay_alu instid0(VALU_DEP_1) | instskip(SKIP_1) | instid1(VALU_DEP_1)
	v_fmac_f32_e32 v135, v125, v109
	s_waitcnt lgkmcnt(2)
	v_fmac_f32_e32 v135, v126, v110
	ds_load_2addr_b32 v[108:109], v102 offset0:99 offset1:100
	ds_load_b32 v110, v102 offset:404
	s_waitcnt vmcnt(1)
	v_fmac_f32_e32 v135, v127, v111
	s_waitcnt lgkmcnt(3)
	s_delay_alu instid0(VALU_DEP_1) | instskip(NEXT) | instid1(VALU_DEP_1)
	v_fmac_f32_e32 v135, v128, v104
	v_fmac_f32_e32 v135, v129, v105
	s_waitcnt lgkmcnt(2)
	s_delay_alu instid0(VALU_DEP_1) | instskip(SKIP_1) | instid1(VALU_DEP_1)
	v_fmac_f32_e32 v135, v130, v106
	s_waitcnt vmcnt(0)
	v_fmac_f32_e32 v135, v131, v107
	s_waitcnt lgkmcnt(1)
	s_delay_alu instid0(VALU_DEP_1) | instskip(NEXT) | instid1(VALU_DEP_1)
	v_fmac_f32_e32 v135, v132, v108
	v_fmac_f32_e32 v135, v133, v109
	s_waitcnt lgkmcnt(0)
	s_delay_alu instid0(VALU_DEP_1) | instskip(NEXT) | instid1(VALU_DEP_1)
	v_fmac_f32_e32 v135, v134, v110
	v_sub_f32_e32 v103, v103, v135
	scratch_store_b32 off, v103, off offset:72
	v_cmpx_lt_u32_e32 17, v0
	s_cbranch_execz .LBB49_273
; %bb.272:
	scratch_load_b32 v103, off, off offset:68
	scratch_store_b32 off, v102, off offset:68
	s_waitcnt vmcnt(0)
	ds_store_b32 v101, v103
.LBB49_273:
	s_or_b32 exec_lo, exec_lo, s0
	s_waitcnt lgkmcnt(0)
	s_waitcnt_vscnt null, 0x0
	s_barrier
	buffer_gl0_inv
	s_clause 0x8
	scratch_load_b128 v[103:106], off, off offset:68
	scratch_load_b128 v[107:110], off, off offset:84
	;; [unrolled: 1-line block ×8, first 2 shown]
	scratch_load_b32 v143, off, off offset:196
	ds_load_2addr_b64 v[135:138], v102 offset0:35 offset1:36
	ds_load_2addr_b64 v[139:142], v102 offset0:37 offset1:38
	s_mov_b32 s0, exec_lo
	s_waitcnt vmcnt(8) lgkmcnt(1)
	v_fma_f32 v135, v104, v135, 0
	s_delay_alu instid0(VALU_DEP_1) | instskip(NEXT) | instid1(VALU_DEP_1)
	v_fmac_f32_e32 v135, v105, v136
	v_fmac_f32_e32 v135, v106, v137
	s_waitcnt vmcnt(7)
	s_delay_alu instid0(VALU_DEP_1) | instskip(SKIP_3) | instid1(VALU_DEP_1)
	v_fmac_f32_e32 v135, v107, v138
	ds_load_2addr_b64 v[104:107], v102 offset0:39 offset1:40
	s_waitcnt lgkmcnt(1)
	v_fmac_f32_e32 v135, v108, v139
	v_fmac_f32_e32 v135, v109, v140
	s_delay_alu instid0(VALU_DEP_1) | instskip(SKIP_1) | instid1(VALU_DEP_1)
	v_fmac_f32_e32 v135, v110, v141
	s_waitcnt vmcnt(6)
	v_fmac_f32_e32 v135, v111, v142
	ds_load_2addr_b64 v[108:111], v102 offset0:41 offset1:42
	s_waitcnt lgkmcnt(1)
	v_fmac_f32_e32 v135, v112, v104
	s_delay_alu instid0(VALU_DEP_1) | instskip(NEXT) | instid1(VALU_DEP_1)
	v_fmac_f32_e32 v135, v113, v105
	v_fmac_f32_e32 v135, v114, v106
	s_waitcnt vmcnt(5)
	s_delay_alu instid0(VALU_DEP_1) | instskip(SKIP_3) | instid1(VALU_DEP_1)
	v_fmac_f32_e32 v135, v115, v107
	ds_load_2addr_b64 v[104:107], v102 offset0:43 offset1:44
	s_waitcnt lgkmcnt(1)
	v_fmac_f32_e32 v135, v116, v108
	v_fmac_f32_e32 v135, v117, v109
	s_delay_alu instid0(VALU_DEP_1) | instskip(SKIP_1) | instid1(VALU_DEP_1)
	v_fmac_f32_e32 v135, v118, v110
	s_waitcnt vmcnt(4)
	v_fmac_f32_e32 v135, v119, v111
	ds_load_2addr_b64 v[108:111], v102 offset0:45 offset1:46
	s_waitcnt lgkmcnt(1)
	v_fmac_f32_e32 v135, v120, v104
	;; [unrolled: 17-line block ×3, first 2 shown]
	s_delay_alu instid0(VALU_DEP_1) | instskip(NEXT) | instid1(VALU_DEP_1)
	v_fmac_f32_e32 v135, v129, v105
	v_fmac_f32_e32 v135, v130, v106
	s_waitcnt vmcnt(1)
	s_delay_alu instid0(VALU_DEP_1) | instskip(SKIP_1) | instid1(VALU_DEP_1)
	v_fmac_f32_e32 v135, v131, v107
	s_waitcnt lgkmcnt(0)
	v_fmac_f32_e32 v135, v132, v108
	s_delay_alu instid0(VALU_DEP_1) | instskip(NEXT) | instid1(VALU_DEP_1)
	v_fmac_f32_e32 v135, v133, v109
	v_fmac_f32_e32 v135, v134, v110
	s_waitcnt vmcnt(0)
	s_delay_alu instid0(VALU_DEP_1) | instskip(NEXT) | instid1(VALU_DEP_1)
	v_fmac_f32_e32 v135, v143, v111
	v_sub_f32_e32 v102, v103, v135
	scratch_store_b32 off, v102, off offset:68
	v_cmpx_lt_u32_e32 16, v0
	s_cbranch_execz .LBB49_275
; %bb.274:
	scratch_load_b32 v102, off, off offset:64
	v_mov_b32_e32 v103, 0
	scratch_store_b32 off, v103, off offset:64
	s_waitcnt vmcnt(0)
	ds_store_b32 v101, v102
.LBB49_275:
	s_or_b32 exec_lo, exec_lo, s0
	s_waitcnt lgkmcnt(0)
	s_waitcnt_vscnt null, 0x0
	s_barrier
	buffer_gl0_inv
	s_clause 0x8
	scratch_load_b128 v[103:106], off, off offset:64
	scratch_load_b128 v[107:110], off, off offset:80
	;; [unrolled: 1-line block ×8, first 2 shown]
	scratch_load_b64 v[135:136], off, off offset:192
	v_mov_b32_e32 v102, 0
	ds_load_2addr_b32 v[137:138], v102 offset0:69 offset1:70
	ds_load_2addr_b32 v[139:140], v102 offset0:71 offset1:72
	;; [unrolled: 1-line block ×4, first 2 shown]
	s_mov_b32 s0, exec_lo
	s_waitcnt vmcnt(8) lgkmcnt(3)
	v_fma_f32 v137, v104, v137, 0
	s_delay_alu instid0(VALU_DEP_1) | instskip(SKIP_4) | instid1(VALU_DEP_1)
	v_fmac_f32_e32 v137, v105, v138
	ds_load_2addr_b32 v[104:105], v102 offset0:77 offset1:78
	s_waitcnt lgkmcnt(3)
	v_fmac_f32_e32 v137, v106, v139
	s_waitcnt vmcnt(7)
	v_fmac_f32_e32 v137, v107, v140
	ds_load_2addr_b32 v[106:107], v102 offset0:79 offset1:80
	s_waitcnt lgkmcnt(3)
	v_fmac_f32_e32 v137, v108, v141
	s_delay_alu instid0(VALU_DEP_1) | instskip(SKIP_1) | instid1(VALU_DEP_1)
	v_fmac_f32_e32 v137, v109, v142
	s_waitcnt lgkmcnt(2)
	v_fmac_f32_e32 v137, v110, v143
	s_waitcnt vmcnt(6)
	s_delay_alu instid0(VALU_DEP_1) | instskip(SKIP_4) | instid1(VALU_DEP_1)
	v_fmac_f32_e32 v137, v111, v144
	ds_load_2addr_b32 v[108:109], v102 offset0:81 offset1:82
	ds_load_2addr_b32 v[110:111], v102 offset0:83 offset1:84
	s_waitcnt lgkmcnt(3)
	v_fmac_f32_e32 v137, v112, v104
	v_fmac_f32_e32 v137, v113, v105
	ds_load_2addr_b32 v[104:105], v102 offset0:85 offset1:86
	s_waitcnt lgkmcnt(3)
	v_fmac_f32_e32 v137, v114, v106
	s_waitcnt vmcnt(5)
	s_delay_alu instid0(VALU_DEP_1) | instskip(SKIP_3) | instid1(VALU_DEP_1)
	v_fmac_f32_e32 v137, v115, v107
	ds_load_2addr_b32 v[106:107], v102 offset0:87 offset1:88
	s_waitcnt lgkmcnt(3)
	v_fmac_f32_e32 v137, v116, v108
	v_fmac_f32_e32 v137, v117, v109
	s_waitcnt lgkmcnt(2)
	s_delay_alu instid0(VALU_DEP_1) | instskip(SKIP_1) | instid1(VALU_DEP_1)
	v_fmac_f32_e32 v137, v118, v110
	s_waitcnt vmcnt(4)
	v_fmac_f32_e32 v137, v119, v111
	ds_load_2addr_b32 v[108:109], v102 offset0:89 offset1:90
	ds_load_2addr_b32 v[110:111], v102 offset0:91 offset1:92
	s_waitcnt lgkmcnt(3)
	v_fmac_f32_e32 v137, v120, v104
	s_delay_alu instid0(VALU_DEP_1) | instskip(SKIP_4) | instid1(VALU_DEP_1)
	v_fmac_f32_e32 v137, v121, v105
	ds_load_2addr_b32 v[104:105], v102 offset0:93 offset1:94
	s_waitcnt lgkmcnt(3)
	v_fmac_f32_e32 v137, v122, v106
	s_waitcnt vmcnt(3)
	v_fmac_f32_e32 v137, v123, v107
	ds_load_2addr_b32 v[106:107], v102 offset0:95 offset1:96
	s_waitcnt lgkmcnt(3)
	v_fmac_f32_e32 v137, v124, v108
	s_delay_alu instid0(VALU_DEP_1) | instskip(SKIP_1) | instid1(VALU_DEP_1)
	v_fmac_f32_e32 v137, v125, v109
	s_waitcnt lgkmcnt(2)
	v_fmac_f32_e32 v137, v126, v110
	s_waitcnt vmcnt(2)
	s_delay_alu instid0(VALU_DEP_1)
	v_fmac_f32_e32 v137, v127, v111
	ds_load_2addr_b32 v[108:109], v102 offset0:97 offset1:98
	ds_load_2addr_b32 v[110:111], v102 offset0:99 offset1:100
	s_waitcnt lgkmcnt(3)
	v_fmac_f32_e32 v137, v128, v104
	ds_load_b32 v104, v102 offset:404
	v_fmac_f32_e32 v137, v129, v105
	s_waitcnt lgkmcnt(3)
	s_delay_alu instid0(VALU_DEP_1) | instskip(SKIP_1) | instid1(VALU_DEP_1)
	v_fmac_f32_e32 v137, v130, v106
	s_waitcnt vmcnt(1)
	v_fmac_f32_e32 v137, v131, v107
	s_waitcnt lgkmcnt(2)
	s_delay_alu instid0(VALU_DEP_1) | instskip(NEXT) | instid1(VALU_DEP_1)
	v_fmac_f32_e32 v137, v132, v108
	v_fmac_f32_e32 v137, v133, v109
	s_waitcnt lgkmcnt(1)
	s_delay_alu instid0(VALU_DEP_1) | instskip(SKIP_1) | instid1(VALU_DEP_1)
	v_fmac_f32_e32 v137, v134, v110
	s_waitcnt vmcnt(0)
	v_fmac_f32_e32 v137, v135, v111
	s_waitcnt lgkmcnt(0)
	s_delay_alu instid0(VALU_DEP_1) | instskip(NEXT) | instid1(VALU_DEP_1)
	v_fmac_f32_e32 v137, v136, v104
	v_sub_f32_e32 v103, v103, v137
	scratch_store_b32 off, v103, off offset:64
	v_cmpx_lt_u32_e32 15, v0
	s_cbranch_execz .LBB49_277
; %bb.276:
	scratch_load_b32 v103, off, off offset:60
	scratch_store_b32 off, v102, off offset:60
	s_waitcnt vmcnt(0)
	ds_store_b32 v101, v103
.LBB49_277:
	s_or_b32 exec_lo, exec_lo, s0
	s_waitcnt lgkmcnt(0)
	s_waitcnt_vscnt null, 0x0
	s_barrier
	buffer_gl0_inv
	s_clause 0x8
	scratch_load_b128 v[103:106], off, off offset:60
	scratch_load_b128 v[107:110], off, off offset:76
	scratch_load_b128 v[111:114], off, off offset:92
	scratch_load_b128 v[115:118], off, off offset:108
	scratch_load_b128 v[119:122], off, off offset:124
	scratch_load_b128 v[123:126], off, off offset:140
	scratch_load_b128 v[127:130], off, off offset:156
	scratch_load_b128 v[131:134], off, off offset:172
	scratch_load_b96 v[143:145], off, off offset:188
	ds_load_b128 v[135:138], v102 offset:272
	ds_load_b128 v[139:142], v102 offset:288
	s_mov_b32 s0, exec_lo
	s_waitcnt vmcnt(8) lgkmcnt(1)
	v_fma_f32 v135, v104, v135, 0
	s_delay_alu instid0(VALU_DEP_1) | instskip(NEXT) | instid1(VALU_DEP_1)
	v_fmac_f32_e32 v135, v105, v136
	v_fmac_f32_e32 v135, v106, v137
	s_waitcnt vmcnt(7)
	s_delay_alu instid0(VALU_DEP_1) | instskip(SKIP_3) | instid1(VALU_DEP_1)
	v_fmac_f32_e32 v135, v107, v138
	ds_load_b128 v[104:107], v102 offset:304
	s_waitcnt lgkmcnt(1)
	v_fmac_f32_e32 v135, v108, v139
	v_fmac_f32_e32 v135, v109, v140
	s_delay_alu instid0(VALU_DEP_1) | instskip(SKIP_1) | instid1(VALU_DEP_1)
	v_fmac_f32_e32 v135, v110, v141
	s_waitcnt vmcnt(6)
	v_fmac_f32_e32 v135, v111, v142
	ds_load_b128 v[108:111], v102 offset:320
	s_waitcnt lgkmcnt(1)
	v_fmac_f32_e32 v135, v112, v104
	s_delay_alu instid0(VALU_DEP_1) | instskip(NEXT) | instid1(VALU_DEP_1)
	v_fmac_f32_e32 v135, v113, v105
	v_fmac_f32_e32 v135, v114, v106
	s_waitcnt vmcnt(5)
	s_delay_alu instid0(VALU_DEP_1) | instskip(SKIP_3) | instid1(VALU_DEP_1)
	v_fmac_f32_e32 v135, v115, v107
	ds_load_b128 v[104:107], v102 offset:336
	s_waitcnt lgkmcnt(1)
	v_fmac_f32_e32 v135, v116, v108
	v_fmac_f32_e32 v135, v117, v109
	s_delay_alu instid0(VALU_DEP_1) | instskip(SKIP_1) | instid1(VALU_DEP_1)
	v_fmac_f32_e32 v135, v118, v110
	s_waitcnt vmcnt(4)
	v_fmac_f32_e32 v135, v119, v111
	ds_load_b128 v[108:111], v102 offset:352
	s_waitcnt lgkmcnt(1)
	v_fmac_f32_e32 v135, v120, v104
	;; [unrolled: 17-line block ×3, first 2 shown]
	s_delay_alu instid0(VALU_DEP_1) | instskip(SKIP_3) | instid1(VALU_DEP_1)
	v_fmac_f32_e32 v135, v129, v105
	ds_load_b64 v[104:105], v102 offset:400
	v_fmac_f32_e32 v135, v130, v106
	s_waitcnt vmcnt(1)
	v_fmac_f32_e32 v135, v131, v107
	s_waitcnt lgkmcnt(1)
	s_delay_alu instid0(VALU_DEP_1) | instskip(NEXT) | instid1(VALU_DEP_1)
	v_fmac_f32_e32 v135, v132, v108
	v_fmac_f32_e32 v135, v133, v109
	s_delay_alu instid0(VALU_DEP_1) | instskip(SKIP_1) | instid1(VALU_DEP_1)
	v_fmac_f32_e32 v135, v134, v110
	s_waitcnt vmcnt(0)
	v_fmac_f32_e32 v135, v143, v111
	s_waitcnt lgkmcnt(0)
	s_delay_alu instid0(VALU_DEP_1) | instskip(NEXT) | instid1(VALU_DEP_1)
	v_fmac_f32_e32 v135, v144, v104
	v_fmac_f32_e32 v135, v145, v105
	s_delay_alu instid0(VALU_DEP_1)
	v_sub_f32_e32 v102, v103, v135
	scratch_store_b32 off, v102, off offset:60
	v_cmpx_lt_u32_e32 14, v0
	s_cbranch_execz .LBB49_279
; %bb.278:
	scratch_load_b32 v102, off, off offset:56
	v_mov_b32_e32 v103, 0
	scratch_store_b32 off, v103, off offset:56
	s_waitcnt vmcnt(0)
	ds_store_b32 v101, v102
.LBB49_279:
	s_or_b32 exec_lo, exec_lo, s0
	s_waitcnt lgkmcnt(0)
	s_waitcnt_vscnt null, 0x0
	s_barrier
	buffer_gl0_inv
	s_clause 0x8
	scratch_load_b128 v[103:106], off, off offset:56
	scratch_load_b128 v[107:110], off, off offset:72
	;; [unrolled: 1-line block ×9, first 2 shown]
	v_mov_b32_e32 v102, 0
	ds_load_2addr_b32 v[139:140], v102 offset0:67 offset1:68
	ds_load_2addr_b32 v[141:142], v102 offset0:69 offset1:70
	;; [unrolled: 1-line block ×4, first 2 shown]
	s_mov_b32 s0, exec_lo
	s_waitcnt vmcnt(8) lgkmcnt(3)
	v_fma_f32 v139, v104, v139, 0
	s_delay_alu instid0(VALU_DEP_1) | instskip(SKIP_4) | instid1(VALU_DEP_1)
	v_fmac_f32_e32 v139, v105, v140
	ds_load_2addr_b32 v[104:105], v102 offset0:75 offset1:76
	s_waitcnt lgkmcnt(3)
	v_fmac_f32_e32 v139, v106, v141
	s_waitcnt vmcnt(7)
	v_fmac_f32_e32 v139, v107, v142
	ds_load_2addr_b32 v[106:107], v102 offset0:77 offset1:78
	s_waitcnt lgkmcnt(3)
	v_fmac_f32_e32 v139, v108, v143
	s_delay_alu instid0(VALU_DEP_1) | instskip(SKIP_1) | instid1(VALU_DEP_1)
	v_fmac_f32_e32 v139, v109, v144
	s_waitcnt lgkmcnt(2)
	v_fmac_f32_e32 v139, v110, v145
	s_waitcnt vmcnt(6)
	s_delay_alu instid0(VALU_DEP_1) | instskip(SKIP_4) | instid1(VALU_DEP_1)
	v_fmac_f32_e32 v139, v111, v146
	ds_load_2addr_b32 v[108:109], v102 offset0:79 offset1:80
	ds_load_2addr_b32 v[110:111], v102 offset0:81 offset1:82
	s_waitcnt lgkmcnt(3)
	v_fmac_f32_e32 v139, v112, v104
	v_fmac_f32_e32 v139, v113, v105
	ds_load_2addr_b32 v[104:105], v102 offset0:83 offset1:84
	s_waitcnt lgkmcnt(3)
	v_fmac_f32_e32 v139, v114, v106
	s_waitcnt vmcnt(5)
	s_delay_alu instid0(VALU_DEP_1) | instskip(SKIP_3) | instid1(VALU_DEP_1)
	v_fmac_f32_e32 v139, v115, v107
	ds_load_2addr_b32 v[106:107], v102 offset0:85 offset1:86
	s_waitcnt lgkmcnt(3)
	v_fmac_f32_e32 v139, v116, v108
	v_fmac_f32_e32 v139, v117, v109
	s_waitcnt lgkmcnt(2)
	s_delay_alu instid0(VALU_DEP_1) | instskip(SKIP_1) | instid1(VALU_DEP_1)
	v_fmac_f32_e32 v139, v118, v110
	s_waitcnt vmcnt(4)
	v_fmac_f32_e32 v139, v119, v111
	ds_load_2addr_b32 v[108:109], v102 offset0:87 offset1:88
	ds_load_2addr_b32 v[110:111], v102 offset0:89 offset1:90
	s_waitcnt lgkmcnt(3)
	v_fmac_f32_e32 v139, v120, v104
	s_delay_alu instid0(VALU_DEP_1) | instskip(SKIP_4) | instid1(VALU_DEP_1)
	v_fmac_f32_e32 v139, v121, v105
	ds_load_2addr_b32 v[104:105], v102 offset0:91 offset1:92
	s_waitcnt lgkmcnt(3)
	v_fmac_f32_e32 v139, v122, v106
	s_waitcnt vmcnt(3)
	v_fmac_f32_e32 v139, v123, v107
	ds_load_2addr_b32 v[106:107], v102 offset0:93 offset1:94
	s_waitcnt lgkmcnt(3)
	v_fmac_f32_e32 v139, v124, v108
	s_delay_alu instid0(VALU_DEP_1) | instskip(SKIP_1) | instid1(VALU_DEP_1)
	v_fmac_f32_e32 v139, v125, v109
	s_waitcnt lgkmcnt(2)
	v_fmac_f32_e32 v139, v126, v110
	s_waitcnt vmcnt(2)
	s_delay_alu instid0(VALU_DEP_1) | instskip(SKIP_4) | instid1(VALU_DEP_1)
	v_fmac_f32_e32 v139, v127, v111
	ds_load_2addr_b32 v[108:109], v102 offset0:95 offset1:96
	ds_load_2addr_b32 v[110:111], v102 offset0:97 offset1:98
	s_waitcnt lgkmcnt(3)
	v_fmac_f32_e32 v139, v128, v104
	v_fmac_f32_e32 v139, v129, v105
	ds_load_2addr_b32 v[104:105], v102 offset0:99 offset1:100
	s_waitcnt lgkmcnt(3)
	v_fmac_f32_e32 v139, v130, v106
	ds_load_b32 v106, v102 offset:404
	s_waitcnt vmcnt(1)
	v_fmac_f32_e32 v139, v131, v107
	s_waitcnt lgkmcnt(3)
	s_delay_alu instid0(VALU_DEP_1) | instskip(NEXT) | instid1(VALU_DEP_1)
	v_fmac_f32_e32 v139, v132, v108
	v_fmac_f32_e32 v139, v133, v109
	s_waitcnt lgkmcnt(2)
	s_delay_alu instid0(VALU_DEP_1) | instskip(SKIP_1) | instid1(VALU_DEP_1)
	v_fmac_f32_e32 v139, v134, v110
	s_waitcnt vmcnt(0)
	v_fmac_f32_e32 v139, v135, v111
	s_waitcnt lgkmcnt(1)
	s_delay_alu instid0(VALU_DEP_1) | instskip(NEXT) | instid1(VALU_DEP_1)
	v_fmac_f32_e32 v139, v136, v104
	v_fmac_f32_e32 v139, v137, v105
	s_waitcnt lgkmcnt(0)
	s_delay_alu instid0(VALU_DEP_1) | instskip(NEXT) | instid1(VALU_DEP_1)
	v_fmac_f32_e32 v139, v138, v106
	v_sub_f32_e32 v103, v103, v139
	scratch_store_b32 off, v103, off offset:56
	v_cmpx_lt_u32_e32 13, v0
	s_cbranch_execz .LBB49_281
; %bb.280:
	scratch_load_b32 v103, off, off offset:52
	scratch_store_b32 off, v102, off offset:52
	s_waitcnt vmcnt(0)
	ds_store_b32 v101, v103
.LBB49_281:
	s_or_b32 exec_lo, exec_lo, s0
	s_waitcnt lgkmcnt(0)
	s_waitcnt_vscnt null, 0x0
	s_barrier
	buffer_gl0_inv
	s_clause 0x9
	scratch_load_b128 v[103:106], off, off offset:52
	scratch_load_b128 v[107:110], off, off offset:68
	;; [unrolled: 1-line block ×9, first 2 shown]
	scratch_load_b32 v147, off, off offset:196
	ds_load_2addr_b64 v[139:142], v102 offset0:33 offset1:34
	ds_load_2addr_b64 v[143:146], v102 offset0:35 offset1:36
	s_mov_b32 s0, exec_lo
	s_waitcnt vmcnt(9) lgkmcnt(1)
	v_fma_f32 v139, v104, v139, 0
	s_delay_alu instid0(VALU_DEP_1) | instskip(NEXT) | instid1(VALU_DEP_1)
	v_fmac_f32_e32 v139, v105, v140
	v_fmac_f32_e32 v139, v106, v141
	s_waitcnt vmcnt(8)
	s_delay_alu instid0(VALU_DEP_1) | instskip(SKIP_3) | instid1(VALU_DEP_1)
	v_fmac_f32_e32 v139, v107, v142
	ds_load_2addr_b64 v[104:107], v102 offset0:37 offset1:38
	s_waitcnt lgkmcnt(1)
	v_fmac_f32_e32 v139, v108, v143
	v_fmac_f32_e32 v139, v109, v144
	s_delay_alu instid0(VALU_DEP_1) | instskip(SKIP_1) | instid1(VALU_DEP_1)
	v_fmac_f32_e32 v139, v110, v145
	s_waitcnt vmcnt(7)
	v_fmac_f32_e32 v139, v111, v146
	ds_load_2addr_b64 v[108:111], v102 offset0:39 offset1:40
	s_waitcnt lgkmcnt(1)
	v_fmac_f32_e32 v139, v112, v104
	s_delay_alu instid0(VALU_DEP_1) | instskip(NEXT) | instid1(VALU_DEP_1)
	v_fmac_f32_e32 v139, v113, v105
	v_fmac_f32_e32 v139, v114, v106
	s_waitcnt vmcnt(6)
	s_delay_alu instid0(VALU_DEP_1) | instskip(SKIP_3) | instid1(VALU_DEP_1)
	v_fmac_f32_e32 v139, v115, v107
	ds_load_2addr_b64 v[104:107], v102 offset0:41 offset1:42
	s_waitcnt lgkmcnt(1)
	v_fmac_f32_e32 v139, v116, v108
	v_fmac_f32_e32 v139, v117, v109
	s_delay_alu instid0(VALU_DEP_1) | instskip(SKIP_1) | instid1(VALU_DEP_1)
	v_fmac_f32_e32 v139, v118, v110
	s_waitcnt vmcnt(5)
	v_fmac_f32_e32 v139, v119, v111
	ds_load_2addr_b64 v[108:111], v102 offset0:43 offset1:44
	s_waitcnt lgkmcnt(1)
	v_fmac_f32_e32 v139, v120, v104
	s_delay_alu instid0(VALU_DEP_1) | instskip(NEXT) | instid1(VALU_DEP_1)
	v_fmac_f32_e32 v139, v121, v105
	v_fmac_f32_e32 v139, v122, v106
	s_waitcnt vmcnt(4)
	s_delay_alu instid0(VALU_DEP_1) | instskip(SKIP_3) | instid1(VALU_DEP_1)
	v_fmac_f32_e32 v139, v123, v107
	ds_load_2addr_b64 v[104:107], v102 offset0:45 offset1:46
	s_waitcnt lgkmcnt(1)
	v_fmac_f32_e32 v139, v124, v108
	v_fmac_f32_e32 v139, v125, v109
	s_delay_alu instid0(VALU_DEP_1) | instskip(SKIP_1) | instid1(VALU_DEP_1)
	v_fmac_f32_e32 v139, v126, v110
	s_waitcnt vmcnt(3)
	v_fmac_f32_e32 v139, v127, v111
	ds_load_2addr_b64 v[108:111], v102 offset0:47 offset1:48
	s_waitcnt lgkmcnt(1)
	v_fmac_f32_e32 v139, v128, v104
	s_delay_alu instid0(VALU_DEP_1) | instskip(NEXT) | instid1(VALU_DEP_1)
	v_fmac_f32_e32 v139, v129, v105
	v_fmac_f32_e32 v139, v130, v106
	s_waitcnt vmcnt(2)
	s_delay_alu instid0(VALU_DEP_1) | instskip(SKIP_3) | instid1(VALU_DEP_1)
	v_fmac_f32_e32 v139, v131, v107
	ds_load_2addr_b64 v[104:107], v102 offset0:49 offset1:50
	s_waitcnt lgkmcnt(1)
	v_fmac_f32_e32 v139, v132, v108
	v_fmac_f32_e32 v139, v133, v109
	s_delay_alu instid0(VALU_DEP_1) | instskip(SKIP_1) | instid1(VALU_DEP_1)
	v_fmac_f32_e32 v139, v134, v110
	s_waitcnt vmcnt(1)
	v_fmac_f32_e32 v139, v135, v111
	s_waitcnt lgkmcnt(0)
	s_delay_alu instid0(VALU_DEP_1) | instskip(NEXT) | instid1(VALU_DEP_1)
	v_fmac_f32_e32 v139, v136, v104
	v_fmac_f32_e32 v139, v137, v105
	s_delay_alu instid0(VALU_DEP_1) | instskip(SKIP_1) | instid1(VALU_DEP_1)
	v_fmac_f32_e32 v139, v138, v106
	s_waitcnt vmcnt(0)
	v_fmac_f32_e32 v139, v147, v107
	s_delay_alu instid0(VALU_DEP_1)
	v_sub_f32_e32 v102, v103, v139
	scratch_store_b32 off, v102, off offset:52
	v_cmpx_lt_u32_e32 12, v0
	s_cbranch_execz .LBB49_283
; %bb.282:
	scratch_load_b32 v102, off, off offset:48
	v_mov_b32_e32 v103, 0
	scratch_store_b32 off, v103, off offset:48
	s_waitcnt vmcnt(0)
	ds_store_b32 v101, v102
.LBB49_283:
	s_or_b32 exec_lo, exec_lo, s0
	s_waitcnt lgkmcnt(0)
	s_waitcnt_vscnt null, 0x0
	s_barrier
	buffer_gl0_inv
	s_clause 0x9
	scratch_load_b128 v[103:106], off, off offset:48
	scratch_load_b128 v[107:110], off, off offset:64
	;; [unrolled: 1-line block ×9, first 2 shown]
	scratch_load_b64 v[139:140], off, off offset:192
	v_mov_b32_e32 v102, 0
	ds_load_2addr_b32 v[141:142], v102 offset0:65 offset1:66
	ds_load_2addr_b32 v[143:144], v102 offset0:67 offset1:68
	;; [unrolled: 1-line block ×4, first 2 shown]
	s_mov_b32 s0, exec_lo
	s_waitcnt vmcnt(9) lgkmcnt(3)
	v_fma_f32 v141, v104, v141, 0
	s_delay_alu instid0(VALU_DEP_1) | instskip(SKIP_4) | instid1(VALU_DEP_1)
	v_fmac_f32_e32 v141, v105, v142
	ds_load_2addr_b32 v[104:105], v102 offset0:73 offset1:74
	s_waitcnt lgkmcnt(3)
	v_fmac_f32_e32 v141, v106, v143
	s_waitcnt vmcnt(8)
	v_fmac_f32_e32 v141, v107, v144
	ds_load_2addr_b32 v[106:107], v102 offset0:75 offset1:76
	s_waitcnt lgkmcnt(3)
	v_fmac_f32_e32 v141, v108, v145
	s_delay_alu instid0(VALU_DEP_1) | instskip(SKIP_1) | instid1(VALU_DEP_1)
	v_fmac_f32_e32 v141, v109, v146
	s_waitcnt lgkmcnt(2)
	v_fmac_f32_e32 v141, v110, v147
	s_waitcnt vmcnt(7)
	s_delay_alu instid0(VALU_DEP_1) | instskip(SKIP_4) | instid1(VALU_DEP_1)
	v_fmac_f32_e32 v141, v111, v148
	ds_load_2addr_b32 v[108:109], v102 offset0:77 offset1:78
	ds_load_2addr_b32 v[110:111], v102 offset0:79 offset1:80
	s_waitcnt lgkmcnt(3)
	v_fmac_f32_e32 v141, v112, v104
	v_fmac_f32_e32 v141, v113, v105
	ds_load_2addr_b32 v[104:105], v102 offset0:81 offset1:82
	s_waitcnt lgkmcnt(3)
	v_fmac_f32_e32 v141, v114, v106
	s_waitcnt vmcnt(6)
	s_delay_alu instid0(VALU_DEP_1) | instskip(SKIP_3) | instid1(VALU_DEP_1)
	v_fmac_f32_e32 v141, v115, v107
	ds_load_2addr_b32 v[106:107], v102 offset0:83 offset1:84
	s_waitcnt lgkmcnt(3)
	v_fmac_f32_e32 v141, v116, v108
	v_fmac_f32_e32 v141, v117, v109
	s_waitcnt lgkmcnt(2)
	s_delay_alu instid0(VALU_DEP_1) | instskip(SKIP_1) | instid1(VALU_DEP_1)
	v_fmac_f32_e32 v141, v118, v110
	s_waitcnt vmcnt(5)
	v_fmac_f32_e32 v141, v119, v111
	ds_load_2addr_b32 v[108:109], v102 offset0:85 offset1:86
	ds_load_2addr_b32 v[110:111], v102 offset0:87 offset1:88
	s_waitcnt lgkmcnt(3)
	v_fmac_f32_e32 v141, v120, v104
	s_delay_alu instid0(VALU_DEP_1) | instskip(SKIP_4) | instid1(VALU_DEP_1)
	v_fmac_f32_e32 v141, v121, v105
	ds_load_2addr_b32 v[104:105], v102 offset0:89 offset1:90
	s_waitcnt lgkmcnt(3)
	v_fmac_f32_e32 v141, v122, v106
	s_waitcnt vmcnt(4)
	v_fmac_f32_e32 v141, v123, v107
	ds_load_2addr_b32 v[106:107], v102 offset0:91 offset1:92
	s_waitcnt lgkmcnt(3)
	v_fmac_f32_e32 v141, v124, v108
	s_delay_alu instid0(VALU_DEP_1) | instskip(SKIP_1) | instid1(VALU_DEP_1)
	v_fmac_f32_e32 v141, v125, v109
	s_waitcnt lgkmcnt(2)
	v_fmac_f32_e32 v141, v126, v110
	s_waitcnt vmcnt(3)
	s_delay_alu instid0(VALU_DEP_1) | instskip(SKIP_4) | instid1(VALU_DEP_1)
	v_fmac_f32_e32 v141, v127, v111
	ds_load_2addr_b32 v[108:109], v102 offset0:93 offset1:94
	ds_load_2addr_b32 v[110:111], v102 offset0:95 offset1:96
	s_waitcnt lgkmcnt(3)
	v_fmac_f32_e32 v141, v128, v104
	v_fmac_f32_e32 v141, v129, v105
	ds_load_2addr_b32 v[104:105], v102 offset0:97 offset1:98
	s_waitcnt lgkmcnt(3)
	v_fmac_f32_e32 v141, v130, v106
	s_waitcnt vmcnt(2)
	s_delay_alu instid0(VALU_DEP_1)
	v_fmac_f32_e32 v141, v131, v107
	ds_load_2addr_b32 v[106:107], v102 offset0:99 offset1:100
	s_waitcnt lgkmcnt(3)
	v_fmac_f32_e32 v141, v132, v108
	ds_load_b32 v108, v102 offset:404
	v_fmac_f32_e32 v141, v133, v109
	s_waitcnt lgkmcnt(3)
	s_delay_alu instid0(VALU_DEP_1) | instskip(SKIP_1) | instid1(VALU_DEP_1)
	v_fmac_f32_e32 v141, v134, v110
	s_waitcnt vmcnt(1)
	v_fmac_f32_e32 v141, v135, v111
	s_waitcnt lgkmcnt(2)
	s_delay_alu instid0(VALU_DEP_1) | instskip(NEXT) | instid1(VALU_DEP_1)
	v_fmac_f32_e32 v141, v136, v104
	v_fmac_f32_e32 v141, v137, v105
	s_waitcnt lgkmcnt(1)
	s_delay_alu instid0(VALU_DEP_1) | instskip(SKIP_1) | instid1(VALU_DEP_1)
	v_fmac_f32_e32 v141, v138, v106
	s_waitcnt vmcnt(0)
	v_fmac_f32_e32 v141, v139, v107
	s_waitcnt lgkmcnt(0)
	s_delay_alu instid0(VALU_DEP_1) | instskip(NEXT) | instid1(VALU_DEP_1)
	v_fmac_f32_e32 v141, v140, v108
	v_sub_f32_e32 v103, v103, v141
	scratch_store_b32 off, v103, off offset:48
	v_cmpx_lt_u32_e32 11, v0
	s_cbranch_execz .LBB49_285
; %bb.284:
	scratch_load_b32 v103, off, off offset:44
	scratch_store_b32 off, v102, off offset:44
	s_waitcnt vmcnt(0)
	ds_store_b32 v101, v103
.LBB49_285:
	s_or_b32 exec_lo, exec_lo, s0
	s_waitcnt lgkmcnt(0)
	s_waitcnt_vscnt null, 0x0
	s_barrier
	buffer_gl0_inv
	s_clause 0x9
	scratch_load_b128 v[103:106], off, off offset:44
	scratch_load_b128 v[107:110], off, off offset:60
	;; [unrolled: 1-line block ×9, first 2 shown]
	scratch_load_b96 v[147:149], off, off offset:188
	ds_load_b128 v[139:142], v102 offset:256
	ds_load_b128 v[143:146], v102 offset:272
	s_mov_b32 s0, exec_lo
	s_waitcnt vmcnt(9) lgkmcnt(1)
	v_fma_f32 v139, v104, v139, 0
	s_delay_alu instid0(VALU_DEP_1) | instskip(NEXT) | instid1(VALU_DEP_1)
	v_fmac_f32_e32 v139, v105, v140
	v_fmac_f32_e32 v139, v106, v141
	s_waitcnt vmcnt(8)
	s_delay_alu instid0(VALU_DEP_1) | instskip(SKIP_3) | instid1(VALU_DEP_1)
	v_fmac_f32_e32 v139, v107, v142
	ds_load_b128 v[104:107], v102 offset:288
	s_waitcnt lgkmcnt(1)
	v_fmac_f32_e32 v139, v108, v143
	v_fmac_f32_e32 v139, v109, v144
	s_delay_alu instid0(VALU_DEP_1) | instskip(SKIP_1) | instid1(VALU_DEP_1)
	v_fmac_f32_e32 v139, v110, v145
	s_waitcnt vmcnt(7)
	v_fmac_f32_e32 v139, v111, v146
	ds_load_b128 v[108:111], v102 offset:304
	s_waitcnt lgkmcnt(1)
	v_fmac_f32_e32 v139, v112, v104
	s_delay_alu instid0(VALU_DEP_1) | instskip(NEXT) | instid1(VALU_DEP_1)
	v_fmac_f32_e32 v139, v113, v105
	v_fmac_f32_e32 v139, v114, v106
	s_waitcnt vmcnt(6)
	s_delay_alu instid0(VALU_DEP_1) | instskip(SKIP_3) | instid1(VALU_DEP_1)
	v_fmac_f32_e32 v139, v115, v107
	ds_load_b128 v[104:107], v102 offset:320
	s_waitcnt lgkmcnt(1)
	v_fmac_f32_e32 v139, v116, v108
	v_fmac_f32_e32 v139, v117, v109
	s_delay_alu instid0(VALU_DEP_1) | instskip(SKIP_1) | instid1(VALU_DEP_1)
	v_fmac_f32_e32 v139, v118, v110
	s_waitcnt vmcnt(5)
	v_fmac_f32_e32 v139, v119, v111
	ds_load_b128 v[108:111], v102 offset:336
	s_waitcnt lgkmcnt(1)
	v_fmac_f32_e32 v139, v120, v104
	;; [unrolled: 17-line block ×3, first 2 shown]
	s_delay_alu instid0(VALU_DEP_1) | instskip(NEXT) | instid1(VALU_DEP_1)
	v_fmac_f32_e32 v139, v129, v105
	v_fmac_f32_e32 v139, v130, v106
	s_waitcnt vmcnt(2)
	s_delay_alu instid0(VALU_DEP_1) | instskip(SKIP_3) | instid1(VALU_DEP_1)
	v_fmac_f32_e32 v139, v131, v107
	ds_load_b128 v[104:107], v102 offset:384
	s_waitcnt lgkmcnt(1)
	v_fmac_f32_e32 v139, v132, v108
	v_fmac_f32_e32 v139, v133, v109
	ds_load_b64 v[108:109], v102 offset:400
	v_fmac_f32_e32 v139, v134, v110
	s_waitcnt vmcnt(1)
	s_delay_alu instid0(VALU_DEP_1) | instskip(SKIP_1) | instid1(VALU_DEP_1)
	v_fmac_f32_e32 v139, v135, v111
	s_waitcnt lgkmcnt(1)
	v_fmac_f32_e32 v139, v136, v104
	s_delay_alu instid0(VALU_DEP_1) | instskip(NEXT) | instid1(VALU_DEP_1)
	v_fmac_f32_e32 v139, v137, v105
	v_fmac_f32_e32 v139, v138, v106
	s_waitcnt vmcnt(0)
	s_delay_alu instid0(VALU_DEP_1) | instskip(SKIP_1) | instid1(VALU_DEP_1)
	v_fmac_f32_e32 v139, v147, v107
	s_waitcnt lgkmcnt(0)
	v_fmac_f32_e32 v139, v148, v108
	s_delay_alu instid0(VALU_DEP_1) | instskip(NEXT) | instid1(VALU_DEP_1)
	v_fmac_f32_e32 v139, v149, v109
	v_sub_f32_e32 v102, v103, v139
	scratch_store_b32 off, v102, off offset:44
	v_cmpx_lt_u32_e32 10, v0
	s_cbranch_execz .LBB49_287
; %bb.286:
	scratch_load_b32 v102, off, off offset:40
	v_mov_b32_e32 v103, 0
	scratch_store_b32 off, v103, off offset:40
	s_waitcnt vmcnt(0)
	ds_store_b32 v101, v102
.LBB49_287:
	s_or_b32 exec_lo, exec_lo, s0
	s_waitcnt lgkmcnt(0)
	s_waitcnt_vscnt null, 0x0
	s_barrier
	buffer_gl0_inv
	s_clause 0x9
	scratch_load_b128 v[103:106], off, off offset:40
	scratch_load_b128 v[107:110], off, off offset:56
	;; [unrolled: 1-line block ×10, first 2 shown]
	v_mov_b32_e32 v102, 0
	ds_load_2addr_b32 v[143:144], v102 offset0:63 offset1:64
	ds_load_2addr_b32 v[145:146], v102 offset0:65 offset1:66
	;; [unrolled: 1-line block ×4, first 2 shown]
	s_mov_b32 s0, exec_lo
	s_waitcnt vmcnt(9) lgkmcnt(3)
	v_fma_f32 v143, v104, v143, 0
	s_delay_alu instid0(VALU_DEP_1) | instskip(SKIP_4) | instid1(VALU_DEP_1)
	v_fmac_f32_e32 v143, v105, v144
	ds_load_2addr_b32 v[104:105], v102 offset0:71 offset1:72
	s_waitcnt lgkmcnt(3)
	v_fmac_f32_e32 v143, v106, v145
	s_waitcnt vmcnt(8)
	v_fmac_f32_e32 v143, v107, v146
	ds_load_2addr_b32 v[106:107], v102 offset0:73 offset1:74
	s_waitcnt lgkmcnt(3)
	v_fmac_f32_e32 v143, v108, v147
	s_delay_alu instid0(VALU_DEP_1) | instskip(SKIP_1) | instid1(VALU_DEP_1)
	v_fmac_f32_e32 v143, v109, v148
	s_waitcnt lgkmcnt(2)
	v_fmac_f32_e32 v143, v110, v149
	s_waitcnt vmcnt(7)
	s_delay_alu instid0(VALU_DEP_1) | instskip(SKIP_4) | instid1(VALU_DEP_1)
	v_fmac_f32_e32 v143, v111, v150
	ds_load_2addr_b32 v[108:109], v102 offset0:75 offset1:76
	ds_load_2addr_b32 v[110:111], v102 offset0:77 offset1:78
	s_waitcnt lgkmcnt(3)
	v_fmac_f32_e32 v143, v112, v104
	v_fmac_f32_e32 v143, v113, v105
	ds_load_2addr_b32 v[104:105], v102 offset0:79 offset1:80
	s_waitcnt lgkmcnt(3)
	v_fmac_f32_e32 v143, v114, v106
	s_waitcnt vmcnt(6)
	s_delay_alu instid0(VALU_DEP_1) | instskip(SKIP_3) | instid1(VALU_DEP_1)
	v_fmac_f32_e32 v143, v115, v107
	ds_load_2addr_b32 v[106:107], v102 offset0:81 offset1:82
	s_waitcnt lgkmcnt(3)
	v_fmac_f32_e32 v143, v116, v108
	v_fmac_f32_e32 v143, v117, v109
	s_waitcnt lgkmcnt(2)
	s_delay_alu instid0(VALU_DEP_1) | instskip(SKIP_1) | instid1(VALU_DEP_1)
	v_fmac_f32_e32 v143, v118, v110
	s_waitcnt vmcnt(5)
	v_fmac_f32_e32 v143, v119, v111
	ds_load_2addr_b32 v[108:109], v102 offset0:83 offset1:84
	ds_load_2addr_b32 v[110:111], v102 offset0:85 offset1:86
	s_waitcnt lgkmcnt(3)
	v_fmac_f32_e32 v143, v120, v104
	s_delay_alu instid0(VALU_DEP_1) | instskip(SKIP_4) | instid1(VALU_DEP_1)
	v_fmac_f32_e32 v143, v121, v105
	ds_load_2addr_b32 v[104:105], v102 offset0:87 offset1:88
	s_waitcnt lgkmcnt(3)
	v_fmac_f32_e32 v143, v122, v106
	s_waitcnt vmcnt(4)
	v_fmac_f32_e32 v143, v123, v107
	ds_load_2addr_b32 v[106:107], v102 offset0:89 offset1:90
	s_waitcnt lgkmcnt(3)
	v_fmac_f32_e32 v143, v124, v108
	s_delay_alu instid0(VALU_DEP_1) | instskip(SKIP_1) | instid1(VALU_DEP_1)
	v_fmac_f32_e32 v143, v125, v109
	s_waitcnt lgkmcnt(2)
	v_fmac_f32_e32 v143, v126, v110
	s_waitcnt vmcnt(3)
	s_delay_alu instid0(VALU_DEP_1) | instskip(SKIP_4) | instid1(VALU_DEP_1)
	v_fmac_f32_e32 v143, v127, v111
	ds_load_2addr_b32 v[108:109], v102 offset0:91 offset1:92
	ds_load_2addr_b32 v[110:111], v102 offset0:93 offset1:94
	s_waitcnt lgkmcnt(3)
	v_fmac_f32_e32 v143, v128, v104
	v_fmac_f32_e32 v143, v129, v105
	ds_load_2addr_b32 v[104:105], v102 offset0:95 offset1:96
	s_waitcnt lgkmcnt(3)
	v_fmac_f32_e32 v143, v130, v106
	s_waitcnt vmcnt(2)
	s_delay_alu instid0(VALU_DEP_1) | instskip(SKIP_3) | instid1(VALU_DEP_1)
	v_fmac_f32_e32 v143, v131, v107
	ds_load_2addr_b32 v[106:107], v102 offset0:97 offset1:98
	s_waitcnt lgkmcnt(3)
	v_fmac_f32_e32 v143, v132, v108
	v_fmac_f32_e32 v143, v133, v109
	s_waitcnt lgkmcnt(2)
	s_delay_alu instid0(VALU_DEP_1)
	v_fmac_f32_e32 v143, v134, v110
	ds_load_2addr_b32 v[108:109], v102 offset0:99 offset1:100
	ds_load_b32 v110, v102 offset:404
	s_waitcnt vmcnt(1)
	v_fmac_f32_e32 v143, v135, v111
	s_waitcnt lgkmcnt(3)
	s_delay_alu instid0(VALU_DEP_1) | instskip(NEXT) | instid1(VALU_DEP_1)
	v_fmac_f32_e32 v143, v136, v104
	v_fmac_f32_e32 v143, v137, v105
	s_waitcnt lgkmcnt(2)
	s_delay_alu instid0(VALU_DEP_1) | instskip(SKIP_1) | instid1(VALU_DEP_1)
	v_fmac_f32_e32 v143, v138, v106
	s_waitcnt vmcnt(0)
	v_fmac_f32_e32 v143, v139, v107
	s_waitcnt lgkmcnt(1)
	s_delay_alu instid0(VALU_DEP_1) | instskip(NEXT) | instid1(VALU_DEP_1)
	v_fmac_f32_e32 v143, v140, v108
	v_fmac_f32_e32 v143, v141, v109
	s_waitcnt lgkmcnt(0)
	s_delay_alu instid0(VALU_DEP_1) | instskip(NEXT) | instid1(VALU_DEP_1)
	v_fmac_f32_e32 v143, v142, v110
	v_sub_f32_e32 v103, v103, v143
	scratch_store_b32 off, v103, off offset:40
	v_cmpx_lt_u32_e32 9, v0
	s_cbranch_execz .LBB49_289
; %bb.288:
	scratch_load_b32 v103, off, off offset:36
	scratch_store_b32 off, v102, off offset:36
	s_waitcnt vmcnt(0)
	ds_store_b32 v101, v103
.LBB49_289:
	s_or_b32 exec_lo, exec_lo, s0
	s_waitcnt lgkmcnt(0)
	s_waitcnt_vscnt null, 0x0
	s_barrier
	buffer_gl0_inv
	s_clause 0xa
	scratch_load_b128 v[103:106], off, off offset:36
	scratch_load_b128 v[107:110], off, off offset:52
	;; [unrolled: 1-line block ×10, first 2 shown]
	scratch_load_b32 v151, off, off offset:196
	ds_load_2addr_b64 v[143:146], v102 offset0:31 offset1:32
	ds_load_2addr_b64 v[147:150], v102 offset0:33 offset1:34
	s_mov_b32 s0, exec_lo
	s_waitcnt vmcnt(10) lgkmcnt(1)
	v_fma_f32 v143, v104, v143, 0
	s_delay_alu instid0(VALU_DEP_1) | instskip(NEXT) | instid1(VALU_DEP_1)
	v_fmac_f32_e32 v143, v105, v144
	v_fmac_f32_e32 v143, v106, v145
	s_waitcnt vmcnt(9)
	s_delay_alu instid0(VALU_DEP_1) | instskip(SKIP_3) | instid1(VALU_DEP_1)
	v_fmac_f32_e32 v143, v107, v146
	ds_load_2addr_b64 v[104:107], v102 offset0:35 offset1:36
	s_waitcnt lgkmcnt(1)
	v_fmac_f32_e32 v143, v108, v147
	v_fmac_f32_e32 v143, v109, v148
	s_delay_alu instid0(VALU_DEP_1) | instskip(SKIP_1) | instid1(VALU_DEP_1)
	v_fmac_f32_e32 v143, v110, v149
	s_waitcnt vmcnt(8)
	v_fmac_f32_e32 v143, v111, v150
	ds_load_2addr_b64 v[108:111], v102 offset0:37 offset1:38
	s_waitcnt lgkmcnt(1)
	v_fmac_f32_e32 v143, v112, v104
	s_delay_alu instid0(VALU_DEP_1) | instskip(NEXT) | instid1(VALU_DEP_1)
	v_fmac_f32_e32 v143, v113, v105
	v_fmac_f32_e32 v143, v114, v106
	s_waitcnt vmcnt(7)
	s_delay_alu instid0(VALU_DEP_1) | instskip(SKIP_3) | instid1(VALU_DEP_1)
	v_fmac_f32_e32 v143, v115, v107
	ds_load_2addr_b64 v[104:107], v102 offset0:39 offset1:40
	s_waitcnt lgkmcnt(1)
	v_fmac_f32_e32 v143, v116, v108
	v_fmac_f32_e32 v143, v117, v109
	s_delay_alu instid0(VALU_DEP_1) | instskip(SKIP_1) | instid1(VALU_DEP_1)
	v_fmac_f32_e32 v143, v118, v110
	s_waitcnt vmcnt(6)
	v_fmac_f32_e32 v143, v119, v111
	ds_load_2addr_b64 v[108:111], v102 offset0:41 offset1:42
	s_waitcnt lgkmcnt(1)
	v_fmac_f32_e32 v143, v120, v104
	;; [unrolled: 17-line block ×4, first 2 shown]
	s_delay_alu instid0(VALU_DEP_1) | instskip(NEXT) | instid1(VALU_DEP_1)
	v_fmac_f32_e32 v143, v137, v105
	v_fmac_f32_e32 v143, v138, v106
	s_waitcnt vmcnt(1)
	s_delay_alu instid0(VALU_DEP_1) | instskip(SKIP_1) | instid1(VALU_DEP_1)
	v_fmac_f32_e32 v143, v139, v107
	s_waitcnt lgkmcnt(0)
	v_fmac_f32_e32 v143, v140, v108
	s_delay_alu instid0(VALU_DEP_1) | instskip(NEXT) | instid1(VALU_DEP_1)
	v_fmac_f32_e32 v143, v141, v109
	v_fmac_f32_e32 v143, v142, v110
	s_waitcnt vmcnt(0)
	s_delay_alu instid0(VALU_DEP_1) | instskip(NEXT) | instid1(VALU_DEP_1)
	v_fmac_f32_e32 v143, v151, v111
	v_sub_f32_e32 v102, v103, v143
	scratch_store_b32 off, v102, off offset:36
	v_cmpx_lt_u32_e32 8, v0
	s_cbranch_execz .LBB49_291
; %bb.290:
	scratch_load_b32 v102, off, off offset:32
	v_mov_b32_e32 v103, 0
	scratch_store_b32 off, v103, off offset:32
	s_waitcnt vmcnt(0)
	ds_store_b32 v101, v102
.LBB49_291:
	s_or_b32 exec_lo, exec_lo, s0
	s_waitcnt lgkmcnt(0)
	s_waitcnt_vscnt null, 0x0
	s_barrier
	buffer_gl0_inv
	s_clause 0xa
	scratch_load_b128 v[103:106], off, off offset:32
	scratch_load_b128 v[107:110], off, off offset:48
	;; [unrolled: 1-line block ×10, first 2 shown]
	scratch_load_b64 v[143:144], off, off offset:192
	v_mov_b32_e32 v102, 0
	ds_load_2addr_b32 v[145:146], v102 offset0:61 offset1:62
	ds_load_2addr_b32 v[147:148], v102 offset0:63 offset1:64
	;; [unrolled: 1-line block ×4, first 2 shown]
	s_mov_b32 s0, exec_lo
	s_waitcnt vmcnt(10) lgkmcnt(3)
	v_fma_f32 v145, v104, v145, 0
	s_delay_alu instid0(VALU_DEP_1) | instskip(SKIP_4) | instid1(VALU_DEP_1)
	v_fmac_f32_e32 v145, v105, v146
	ds_load_2addr_b32 v[104:105], v102 offset0:69 offset1:70
	s_waitcnt lgkmcnt(3)
	v_fmac_f32_e32 v145, v106, v147
	s_waitcnt vmcnt(9)
	v_fmac_f32_e32 v145, v107, v148
	ds_load_2addr_b32 v[106:107], v102 offset0:71 offset1:72
	s_waitcnt lgkmcnt(3)
	v_fmac_f32_e32 v145, v108, v149
	s_delay_alu instid0(VALU_DEP_1) | instskip(SKIP_1) | instid1(VALU_DEP_1)
	v_fmac_f32_e32 v145, v109, v150
	s_waitcnt lgkmcnt(2)
	v_fmac_f32_e32 v145, v110, v151
	s_waitcnt vmcnt(8)
	s_delay_alu instid0(VALU_DEP_1) | instskip(SKIP_4) | instid1(VALU_DEP_1)
	v_fmac_f32_e32 v145, v111, v152
	ds_load_2addr_b32 v[108:109], v102 offset0:73 offset1:74
	ds_load_2addr_b32 v[110:111], v102 offset0:75 offset1:76
	s_waitcnt lgkmcnt(3)
	v_fmac_f32_e32 v145, v112, v104
	v_fmac_f32_e32 v145, v113, v105
	ds_load_2addr_b32 v[104:105], v102 offset0:77 offset1:78
	s_waitcnt lgkmcnt(3)
	v_fmac_f32_e32 v145, v114, v106
	s_waitcnt vmcnt(7)
	s_delay_alu instid0(VALU_DEP_1) | instskip(SKIP_3) | instid1(VALU_DEP_1)
	v_fmac_f32_e32 v145, v115, v107
	ds_load_2addr_b32 v[106:107], v102 offset0:79 offset1:80
	s_waitcnt lgkmcnt(3)
	v_fmac_f32_e32 v145, v116, v108
	v_fmac_f32_e32 v145, v117, v109
	s_waitcnt lgkmcnt(2)
	s_delay_alu instid0(VALU_DEP_1) | instskip(SKIP_1) | instid1(VALU_DEP_1)
	v_fmac_f32_e32 v145, v118, v110
	s_waitcnt vmcnt(6)
	v_fmac_f32_e32 v145, v119, v111
	ds_load_2addr_b32 v[108:109], v102 offset0:81 offset1:82
	ds_load_2addr_b32 v[110:111], v102 offset0:83 offset1:84
	s_waitcnt lgkmcnt(3)
	v_fmac_f32_e32 v145, v120, v104
	s_delay_alu instid0(VALU_DEP_1) | instskip(SKIP_4) | instid1(VALU_DEP_1)
	v_fmac_f32_e32 v145, v121, v105
	ds_load_2addr_b32 v[104:105], v102 offset0:85 offset1:86
	s_waitcnt lgkmcnt(3)
	v_fmac_f32_e32 v145, v122, v106
	s_waitcnt vmcnt(5)
	v_fmac_f32_e32 v145, v123, v107
	ds_load_2addr_b32 v[106:107], v102 offset0:87 offset1:88
	s_waitcnt lgkmcnt(3)
	v_fmac_f32_e32 v145, v124, v108
	s_delay_alu instid0(VALU_DEP_1) | instskip(SKIP_1) | instid1(VALU_DEP_1)
	v_fmac_f32_e32 v145, v125, v109
	s_waitcnt lgkmcnt(2)
	v_fmac_f32_e32 v145, v126, v110
	s_waitcnt vmcnt(4)
	s_delay_alu instid0(VALU_DEP_1) | instskip(SKIP_4) | instid1(VALU_DEP_1)
	v_fmac_f32_e32 v145, v127, v111
	ds_load_2addr_b32 v[108:109], v102 offset0:89 offset1:90
	ds_load_2addr_b32 v[110:111], v102 offset0:91 offset1:92
	s_waitcnt lgkmcnt(3)
	v_fmac_f32_e32 v145, v128, v104
	v_fmac_f32_e32 v145, v129, v105
	ds_load_2addr_b32 v[104:105], v102 offset0:93 offset1:94
	s_waitcnt lgkmcnt(3)
	v_fmac_f32_e32 v145, v130, v106
	s_waitcnt vmcnt(3)
	s_delay_alu instid0(VALU_DEP_1) | instskip(SKIP_3) | instid1(VALU_DEP_1)
	v_fmac_f32_e32 v145, v131, v107
	ds_load_2addr_b32 v[106:107], v102 offset0:95 offset1:96
	s_waitcnt lgkmcnt(3)
	v_fmac_f32_e32 v145, v132, v108
	v_fmac_f32_e32 v145, v133, v109
	s_waitcnt lgkmcnt(2)
	s_delay_alu instid0(VALU_DEP_1) | instskip(SKIP_1) | instid1(VALU_DEP_1)
	v_fmac_f32_e32 v145, v134, v110
	s_waitcnt vmcnt(2)
	v_fmac_f32_e32 v145, v135, v111
	ds_load_2addr_b32 v[108:109], v102 offset0:97 offset1:98
	ds_load_2addr_b32 v[110:111], v102 offset0:99 offset1:100
	s_waitcnt lgkmcnt(3)
	v_fmac_f32_e32 v145, v136, v104
	ds_load_b32 v104, v102 offset:404
	v_fmac_f32_e32 v145, v137, v105
	s_waitcnt lgkmcnt(3)
	s_delay_alu instid0(VALU_DEP_1) | instskip(SKIP_1) | instid1(VALU_DEP_1)
	v_fmac_f32_e32 v145, v138, v106
	s_waitcnt vmcnt(1)
	v_fmac_f32_e32 v145, v139, v107
	s_waitcnt lgkmcnt(2)
	s_delay_alu instid0(VALU_DEP_1) | instskip(NEXT) | instid1(VALU_DEP_1)
	v_fmac_f32_e32 v145, v140, v108
	v_fmac_f32_e32 v145, v141, v109
	s_waitcnt lgkmcnt(1)
	s_delay_alu instid0(VALU_DEP_1) | instskip(SKIP_1) | instid1(VALU_DEP_1)
	v_fmac_f32_e32 v145, v142, v110
	s_waitcnt vmcnt(0)
	v_fmac_f32_e32 v145, v143, v111
	s_waitcnt lgkmcnt(0)
	s_delay_alu instid0(VALU_DEP_1) | instskip(NEXT) | instid1(VALU_DEP_1)
	v_fmac_f32_e32 v145, v144, v104
	v_sub_f32_e32 v103, v103, v145
	scratch_store_b32 off, v103, off offset:32
	v_cmpx_lt_u32_e32 7, v0
	s_cbranch_execz .LBB49_293
; %bb.292:
	scratch_load_b32 v103, off, off offset:28
	scratch_store_b32 off, v102, off offset:28
	s_waitcnt vmcnt(0)
	ds_store_b32 v101, v103
.LBB49_293:
	s_or_b32 exec_lo, exec_lo, s0
	s_waitcnt lgkmcnt(0)
	s_waitcnt_vscnt null, 0x0
	s_barrier
	buffer_gl0_inv
	s_clause 0xa
	scratch_load_b128 v[103:106], off, off offset:28
	scratch_load_b128 v[107:110], off, off offset:44
	;; [unrolled: 1-line block ×10, first 2 shown]
	scratch_load_b96 v[151:153], off, off offset:188
	ds_load_b128 v[143:146], v102 offset:240
	ds_load_b128 v[147:150], v102 offset:256
	s_mov_b32 s0, exec_lo
	s_waitcnt vmcnt(10) lgkmcnt(1)
	v_fma_f32 v143, v104, v143, 0
	s_delay_alu instid0(VALU_DEP_1) | instskip(NEXT) | instid1(VALU_DEP_1)
	v_fmac_f32_e32 v143, v105, v144
	v_fmac_f32_e32 v143, v106, v145
	s_waitcnt vmcnt(9)
	s_delay_alu instid0(VALU_DEP_1) | instskip(SKIP_3) | instid1(VALU_DEP_1)
	v_fmac_f32_e32 v143, v107, v146
	ds_load_b128 v[104:107], v102 offset:272
	s_waitcnt lgkmcnt(1)
	v_fmac_f32_e32 v143, v108, v147
	v_fmac_f32_e32 v143, v109, v148
	s_delay_alu instid0(VALU_DEP_1) | instskip(SKIP_1) | instid1(VALU_DEP_1)
	v_fmac_f32_e32 v143, v110, v149
	s_waitcnt vmcnt(8)
	v_fmac_f32_e32 v143, v111, v150
	ds_load_b128 v[108:111], v102 offset:288
	s_waitcnt lgkmcnt(1)
	v_fmac_f32_e32 v143, v112, v104
	s_delay_alu instid0(VALU_DEP_1) | instskip(NEXT) | instid1(VALU_DEP_1)
	v_fmac_f32_e32 v143, v113, v105
	v_fmac_f32_e32 v143, v114, v106
	s_waitcnt vmcnt(7)
	s_delay_alu instid0(VALU_DEP_1) | instskip(SKIP_3) | instid1(VALU_DEP_1)
	v_fmac_f32_e32 v143, v115, v107
	ds_load_b128 v[104:107], v102 offset:304
	s_waitcnt lgkmcnt(1)
	v_fmac_f32_e32 v143, v116, v108
	v_fmac_f32_e32 v143, v117, v109
	s_delay_alu instid0(VALU_DEP_1) | instskip(SKIP_1) | instid1(VALU_DEP_1)
	v_fmac_f32_e32 v143, v118, v110
	s_waitcnt vmcnt(6)
	v_fmac_f32_e32 v143, v119, v111
	ds_load_b128 v[108:111], v102 offset:320
	s_waitcnt lgkmcnt(1)
	v_fmac_f32_e32 v143, v120, v104
	;; [unrolled: 17-line block ×4, first 2 shown]
	s_delay_alu instid0(VALU_DEP_1) | instskip(SKIP_3) | instid1(VALU_DEP_1)
	v_fmac_f32_e32 v143, v137, v105
	ds_load_b64 v[104:105], v102 offset:400
	v_fmac_f32_e32 v143, v138, v106
	s_waitcnt vmcnt(1)
	v_fmac_f32_e32 v143, v139, v107
	s_waitcnt lgkmcnt(1)
	s_delay_alu instid0(VALU_DEP_1) | instskip(NEXT) | instid1(VALU_DEP_1)
	v_fmac_f32_e32 v143, v140, v108
	v_fmac_f32_e32 v143, v141, v109
	s_delay_alu instid0(VALU_DEP_1) | instskip(SKIP_1) | instid1(VALU_DEP_1)
	v_fmac_f32_e32 v143, v142, v110
	s_waitcnt vmcnt(0)
	v_fmac_f32_e32 v143, v151, v111
	s_waitcnt lgkmcnt(0)
	s_delay_alu instid0(VALU_DEP_1) | instskip(NEXT) | instid1(VALU_DEP_1)
	v_fmac_f32_e32 v143, v152, v104
	v_fmac_f32_e32 v143, v153, v105
	s_delay_alu instid0(VALU_DEP_1)
	v_sub_f32_e32 v102, v103, v143
	scratch_store_b32 off, v102, off offset:28
	v_cmpx_lt_u32_e32 6, v0
	s_cbranch_execz .LBB49_295
; %bb.294:
	scratch_load_b32 v102, off, off offset:24
	v_mov_b32_e32 v103, 0
	scratch_store_b32 off, v103, off offset:24
	s_waitcnt vmcnt(0)
	ds_store_b32 v101, v102
.LBB49_295:
	s_or_b32 exec_lo, exec_lo, s0
	s_waitcnt lgkmcnt(0)
	s_waitcnt_vscnt null, 0x0
	s_barrier
	buffer_gl0_inv
	s_clause 0xa
	scratch_load_b128 v[103:106], off, off offset:24
	scratch_load_b128 v[107:110], off, off offset:40
	;; [unrolled: 1-line block ×11, first 2 shown]
	v_mov_b32_e32 v102, 0
	ds_load_2addr_b32 v[147:148], v102 offset0:59 offset1:60
	ds_load_2addr_b32 v[149:150], v102 offset0:61 offset1:62
	;; [unrolled: 1-line block ×4, first 2 shown]
	s_mov_b32 s0, exec_lo
	s_waitcnt vmcnt(10) lgkmcnt(3)
	v_fma_f32 v147, v104, v147, 0
	s_delay_alu instid0(VALU_DEP_1) | instskip(SKIP_4) | instid1(VALU_DEP_1)
	v_fmac_f32_e32 v147, v105, v148
	ds_load_2addr_b32 v[104:105], v102 offset0:67 offset1:68
	s_waitcnt lgkmcnt(3)
	v_fmac_f32_e32 v147, v106, v149
	s_waitcnt vmcnt(9)
	v_fmac_f32_e32 v147, v107, v150
	ds_load_2addr_b32 v[106:107], v102 offset0:69 offset1:70
	s_waitcnt lgkmcnt(3)
	v_fmac_f32_e32 v147, v108, v151
	s_delay_alu instid0(VALU_DEP_1) | instskip(SKIP_1) | instid1(VALU_DEP_1)
	v_fmac_f32_e32 v147, v109, v152
	s_waitcnt lgkmcnt(2)
	v_fmac_f32_e32 v147, v110, v153
	s_waitcnt vmcnt(8)
	s_delay_alu instid0(VALU_DEP_1) | instskip(SKIP_4) | instid1(VALU_DEP_1)
	v_fmac_f32_e32 v147, v111, v154
	ds_load_2addr_b32 v[108:109], v102 offset0:71 offset1:72
	ds_load_2addr_b32 v[110:111], v102 offset0:73 offset1:74
	s_waitcnt lgkmcnt(3)
	v_fmac_f32_e32 v147, v112, v104
	v_fmac_f32_e32 v147, v113, v105
	ds_load_2addr_b32 v[104:105], v102 offset0:75 offset1:76
	s_waitcnt lgkmcnt(3)
	v_fmac_f32_e32 v147, v114, v106
	s_waitcnt vmcnt(7)
	s_delay_alu instid0(VALU_DEP_1) | instskip(SKIP_3) | instid1(VALU_DEP_1)
	v_fmac_f32_e32 v147, v115, v107
	ds_load_2addr_b32 v[106:107], v102 offset0:77 offset1:78
	s_waitcnt lgkmcnt(3)
	v_fmac_f32_e32 v147, v116, v108
	v_fmac_f32_e32 v147, v117, v109
	s_waitcnt lgkmcnt(2)
	s_delay_alu instid0(VALU_DEP_1) | instskip(SKIP_1) | instid1(VALU_DEP_1)
	v_fmac_f32_e32 v147, v118, v110
	s_waitcnt vmcnt(6)
	v_fmac_f32_e32 v147, v119, v111
	ds_load_2addr_b32 v[108:109], v102 offset0:79 offset1:80
	ds_load_2addr_b32 v[110:111], v102 offset0:81 offset1:82
	s_waitcnt lgkmcnt(3)
	v_fmac_f32_e32 v147, v120, v104
	s_delay_alu instid0(VALU_DEP_1) | instskip(SKIP_4) | instid1(VALU_DEP_1)
	v_fmac_f32_e32 v147, v121, v105
	ds_load_2addr_b32 v[104:105], v102 offset0:83 offset1:84
	s_waitcnt lgkmcnt(3)
	v_fmac_f32_e32 v147, v122, v106
	s_waitcnt vmcnt(5)
	v_fmac_f32_e32 v147, v123, v107
	ds_load_2addr_b32 v[106:107], v102 offset0:85 offset1:86
	s_waitcnt lgkmcnt(3)
	v_fmac_f32_e32 v147, v124, v108
	s_delay_alu instid0(VALU_DEP_1) | instskip(SKIP_1) | instid1(VALU_DEP_1)
	v_fmac_f32_e32 v147, v125, v109
	s_waitcnt lgkmcnt(2)
	v_fmac_f32_e32 v147, v126, v110
	s_waitcnt vmcnt(4)
	s_delay_alu instid0(VALU_DEP_1) | instskip(SKIP_4) | instid1(VALU_DEP_1)
	v_fmac_f32_e32 v147, v127, v111
	ds_load_2addr_b32 v[108:109], v102 offset0:87 offset1:88
	ds_load_2addr_b32 v[110:111], v102 offset0:89 offset1:90
	s_waitcnt lgkmcnt(3)
	v_fmac_f32_e32 v147, v128, v104
	v_fmac_f32_e32 v147, v129, v105
	ds_load_2addr_b32 v[104:105], v102 offset0:91 offset1:92
	s_waitcnt lgkmcnt(3)
	v_fmac_f32_e32 v147, v130, v106
	s_waitcnt vmcnt(3)
	s_delay_alu instid0(VALU_DEP_1) | instskip(SKIP_3) | instid1(VALU_DEP_1)
	v_fmac_f32_e32 v147, v131, v107
	ds_load_2addr_b32 v[106:107], v102 offset0:93 offset1:94
	s_waitcnt lgkmcnt(3)
	v_fmac_f32_e32 v147, v132, v108
	v_fmac_f32_e32 v147, v133, v109
	s_waitcnt lgkmcnt(2)
	s_delay_alu instid0(VALU_DEP_1) | instskip(SKIP_1) | instid1(VALU_DEP_1)
	v_fmac_f32_e32 v147, v134, v110
	s_waitcnt vmcnt(2)
	v_fmac_f32_e32 v147, v135, v111
	ds_load_2addr_b32 v[108:109], v102 offset0:95 offset1:96
	ds_load_2addr_b32 v[110:111], v102 offset0:97 offset1:98
	s_waitcnt lgkmcnt(3)
	v_fmac_f32_e32 v147, v136, v104
	s_delay_alu instid0(VALU_DEP_1)
	v_fmac_f32_e32 v147, v137, v105
	ds_load_2addr_b32 v[104:105], v102 offset0:99 offset1:100
	s_waitcnt lgkmcnt(3)
	v_fmac_f32_e32 v147, v138, v106
	ds_load_b32 v106, v102 offset:404
	s_waitcnt vmcnt(1)
	v_fmac_f32_e32 v147, v139, v107
	s_waitcnt lgkmcnt(3)
	s_delay_alu instid0(VALU_DEP_1) | instskip(NEXT) | instid1(VALU_DEP_1)
	v_fmac_f32_e32 v147, v140, v108
	v_fmac_f32_e32 v147, v141, v109
	s_waitcnt lgkmcnt(2)
	s_delay_alu instid0(VALU_DEP_1) | instskip(SKIP_1) | instid1(VALU_DEP_1)
	v_fmac_f32_e32 v147, v142, v110
	s_waitcnt vmcnt(0)
	v_fmac_f32_e32 v147, v143, v111
	s_waitcnt lgkmcnt(1)
	s_delay_alu instid0(VALU_DEP_1) | instskip(NEXT) | instid1(VALU_DEP_1)
	v_fmac_f32_e32 v147, v144, v104
	v_fmac_f32_e32 v147, v145, v105
	s_waitcnt lgkmcnt(0)
	s_delay_alu instid0(VALU_DEP_1) | instskip(NEXT) | instid1(VALU_DEP_1)
	v_fmac_f32_e32 v147, v146, v106
	v_sub_f32_e32 v103, v103, v147
	scratch_store_b32 off, v103, off offset:24
	v_cmpx_lt_u32_e32 5, v0
	s_cbranch_execz .LBB49_297
; %bb.296:
	scratch_load_b32 v103, off, off offset:20
	scratch_store_b32 off, v102, off offset:20
	s_waitcnt vmcnt(0)
	ds_store_b32 v101, v103
.LBB49_297:
	s_or_b32 exec_lo, exec_lo, s0
	s_waitcnt lgkmcnt(0)
	s_waitcnt_vscnt null, 0x0
	s_barrier
	buffer_gl0_inv
	s_clause 0xb
	scratch_load_b128 v[103:106], off, off offset:20
	scratch_load_b128 v[107:110], off, off offset:36
	;; [unrolled: 1-line block ×11, first 2 shown]
	scratch_load_b32 v155, off, off offset:196
	ds_load_2addr_b64 v[147:150], v102 offset0:29 offset1:30
	ds_load_2addr_b64 v[151:154], v102 offset0:31 offset1:32
	s_mov_b32 s0, exec_lo
	s_waitcnt vmcnt(11) lgkmcnt(1)
	v_fma_f32 v147, v104, v147, 0
	s_delay_alu instid0(VALU_DEP_1) | instskip(NEXT) | instid1(VALU_DEP_1)
	v_fmac_f32_e32 v147, v105, v148
	v_fmac_f32_e32 v147, v106, v149
	s_waitcnt vmcnt(10)
	s_delay_alu instid0(VALU_DEP_1) | instskip(SKIP_3) | instid1(VALU_DEP_1)
	v_fmac_f32_e32 v147, v107, v150
	ds_load_2addr_b64 v[104:107], v102 offset0:33 offset1:34
	s_waitcnt lgkmcnt(1)
	v_fmac_f32_e32 v147, v108, v151
	v_fmac_f32_e32 v147, v109, v152
	s_delay_alu instid0(VALU_DEP_1) | instskip(SKIP_1) | instid1(VALU_DEP_1)
	v_fmac_f32_e32 v147, v110, v153
	s_waitcnt vmcnt(9)
	v_fmac_f32_e32 v147, v111, v154
	ds_load_2addr_b64 v[108:111], v102 offset0:35 offset1:36
	s_waitcnt lgkmcnt(1)
	v_fmac_f32_e32 v147, v112, v104
	s_delay_alu instid0(VALU_DEP_1) | instskip(NEXT) | instid1(VALU_DEP_1)
	v_fmac_f32_e32 v147, v113, v105
	v_fmac_f32_e32 v147, v114, v106
	s_waitcnt vmcnt(8)
	s_delay_alu instid0(VALU_DEP_1) | instskip(SKIP_3) | instid1(VALU_DEP_1)
	v_fmac_f32_e32 v147, v115, v107
	ds_load_2addr_b64 v[104:107], v102 offset0:37 offset1:38
	s_waitcnt lgkmcnt(1)
	v_fmac_f32_e32 v147, v116, v108
	v_fmac_f32_e32 v147, v117, v109
	s_delay_alu instid0(VALU_DEP_1) | instskip(SKIP_1) | instid1(VALU_DEP_1)
	v_fmac_f32_e32 v147, v118, v110
	s_waitcnt vmcnt(7)
	v_fmac_f32_e32 v147, v119, v111
	ds_load_2addr_b64 v[108:111], v102 offset0:39 offset1:40
	s_waitcnt lgkmcnt(1)
	v_fmac_f32_e32 v147, v120, v104
	;; [unrolled: 17-line block ×4, first 2 shown]
	s_delay_alu instid0(VALU_DEP_1) | instskip(NEXT) | instid1(VALU_DEP_1)
	v_fmac_f32_e32 v147, v137, v105
	v_fmac_f32_e32 v147, v138, v106
	s_waitcnt vmcnt(2)
	s_delay_alu instid0(VALU_DEP_1) | instskip(SKIP_3) | instid1(VALU_DEP_1)
	v_fmac_f32_e32 v147, v139, v107
	ds_load_2addr_b64 v[104:107], v102 offset0:49 offset1:50
	s_waitcnt lgkmcnt(1)
	v_fmac_f32_e32 v147, v140, v108
	v_fmac_f32_e32 v147, v141, v109
	s_delay_alu instid0(VALU_DEP_1) | instskip(SKIP_1) | instid1(VALU_DEP_1)
	v_fmac_f32_e32 v147, v142, v110
	s_waitcnt vmcnt(1)
	v_fmac_f32_e32 v147, v143, v111
	s_waitcnt lgkmcnt(0)
	s_delay_alu instid0(VALU_DEP_1) | instskip(NEXT) | instid1(VALU_DEP_1)
	v_fmac_f32_e32 v147, v144, v104
	v_fmac_f32_e32 v147, v145, v105
	s_delay_alu instid0(VALU_DEP_1) | instskip(SKIP_1) | instid1(VALU_DEP_1)
	v_fmac_f32_e32 v147, v146, v106
	s_waitcnt vmcnt(0)
	v_fmac_f32_e32 v147, v155, v107
	s_delay_alu instid0(VALU_DEP_1)
	v_sub_f32_e32 v102, v103, v147
	scratch_store_b32 off, v102, off offset:20
	v_cmpx_lt_u32_e32 4, v0
	s_cbranch_execz .LBB49_299
; %bb.298:
	scratch_load_b32 v102, off, off offset:16
	v_mov_b32_e32 v103, 0
	scratch_store_b32 off, v103, off offset:16
	s_waitcnt vmcnt(0)
	ds_store_b32 v101, v102
.LBB49_299:
	s_or_b32 exec_lo, exec_lo, s0
	s_waitcnt lgkmcnt(0)
	s_waitcnt_vscnt null, 0x0
	s_barrier
	buffer_gl0_inv
	s_clause 0xb
	scratch_load_b128 v[103:106], off, off offset:16
	scratch_load_b128 v[107:110], off, off offset:32
	;; [unrolled: 1-line block ×11, first 2 shown]
	scratch_load_b64 v[147:148], off, off offset:192
	v_mov_b32_e32 v102, 0
	ds_load_2addr_b32 v[149:150], v102 offset0:57 offset1:58
	ds_load_2addr_b32 v[151:152], v102 offset0:59 offset1:60
	;; [unrolled: 1-line block ×4, first 2 shown]
	s_mov_b32 s0, exec_lo
	s_waitcnt vmcnt(11) lgkmcnt(3)
	v_fma_f32 v149, v104, v149, 0
	s_delay_alu instid0(VALU_DEP_1) | instskip(SKIP_4) | instid1(VALU_DEP_1)
	v_fmac_f32_e32 v149, v105, v150
	ds_load_2addr_b32 v[104:105], v102 offset0:65 offset1:66
	s_waitcnt lgkmcnt(3)
	v_fmac_f32_e32 v149, v106, v151
	s_waitcnt vmcnt(10)
	v_fmac_f32_e32 v149, v107, v152
	ds_load_2addr_b32 v[106:107], v102 offset0:67 offset1:68
	s_waitcnt lgkmcnt(3)
	v_fmac_f32_e32 v149, v108, v153
	s_delay_alu instid0(VALU_DEP_1) | instskip(SKIP_1) | instid1(VALU_DEP_1)
	v_fmac_f32_e32 v149, v109, v154
	s_waitcnt lgkmcnt(2)
	v_fmac_f32_e32 v149, v110, v155
	s_waitcnt vmcnt(9)
	s_delay_alu instid0(VALU_DEP_1) | instskip(SKIP_4) | instid1(VALU_DEP_1)
	v_fmac_f32_e32 v149, v111, v156
	ds_load_2addr_b32 v[108:109], v102 offset0:69 offset1:70
	ds_load_2addr_b32 v[110:111], v102 offset0:71 offset1:72
	s_waitcnt lgkmcnt(3)
	v_fmac_f32_e32 v149, v112, v104
	v_fmac_f32_e32 v149, v113, v105
	ds_load_2addr_b32 v[104:105], v102 offset0:73 offset1:74
	s_waitcnt lgkmcnt(3)
	v_fmac_f32_e32 v149, v114, v106
	s_waitcnt vmcnt(8)
	s_delay_alu instid0(VALU_DEP_1) | instskip(SKIP_3) | instid1(VALU_DEP_1)
	v_fmac_f32_e32 v149, v115, v107
	ds_load_2addr_b32 v[106:107], v102 offset0:75 offset1:76
	s_waitcnt lgkmcnt(3)
	v_fmac_f32_e32 v149, v116, v108
	v_fmac_f32_e32 v149, v117, v109
	s_waitcnt lgkmcnt(2)
	s_delay_alu instid0(VALU_DEP_1) | instskip(SKIP_1) | instid1(VALU_DEP_1)
	v_fmac_f32_e32 v149, v118, v110
	s_waitcnt vmcnt(7)
	v_fmac_f32_e32 v149, v119, v111
	ds_load_2addr_b32 v[108:109], v102 offset0:77 offset1:78
	ds_load_2addr_b32 v[110:111], v102 offset0:79 offset1:80
	s_waitcnt lgkmcnt(3)
	v_fmac_f32_e32 v149, v120, v104
	s_delay_alu instid0(VALU_DEP_1) | instskip(SKIP_4) | instid1(VALU_DEP_1)
	v_fmac_f32_e32 v149, v121, v105
	ds_load_2addr_b32 v[104:105], v102 offset0:81 offset1:82
	s_waitcnt lgkmcnt(3)
	v_fmac_f32_e32 v149, v122, v106
	s_waitcnt vmcnt(6)
	v_fmac_f32_e32 v149, v123, v107
	ds_load_2addr_b32 v[106:107], v102 offset0:83 offset1:84
	s_waitcnt lgkmcnt(3)
	v_fmac_f32_e32 v149, v124, v108
	s_delay_alu instid0(VALU_DEP_1) | instskip(SKIP_1) | instid1(VALU_DEP_1)
	v_fmac_f32_e32 v149, v125, v109
	s_waitcnt lgkmcnt(2)
	v_fmac_f32_e32 v149, v126, v110
	s_waitcnt vmcnt(5)
	s_delay_alu instid0(VALU_DEP_1) | instskip(SKIP_4) | instid1(VALU_DEP_1)
	v_fmac_f32_e32 v149, v127, v111
	ds_load_2addr_b32 v[108:109], v102 offset0:85 offset1:86
	ds_load_2addr_b32 v[110:111], v102 offset0:87 offset1:88
	s_waitcnt lgkmcnt(3)
	v_fmac_f32_e32 v149, v128, v104
	v_fmac_f32_e32 v149, v129, v105
	ds_load_2addr_b32 v[104:105], v102 offset0:89 offset1:90
	s_waitcnt lgkmcnt(3)
	v_fmac_f32_e32 v149, v130, v106
	s_waitcnt vmcnt(4)
	s_delay_alu instid0(VALU_DEP_1) | instskip(SKIP_3) | instid1(VALU_DEP_1)
	v_fmac_f32_e32 v149, v131, v107
	ds_load_2addr_b32 v[106:107], v102 offset0:91 offset1:92
	s_waitcnt lgkmcnt(3)
	v_fmac_f32_e32 v149, v132, v108
	v_fmac_f32_e32 v149, v133, v109
	s_waitcnt lgkmcnt(2)
	s_delay_alu instid0(VALU_DEP_1) | instskip(SKIP_1) | instid1(VALU_DEP_1)
	v_fmac_f32_e32 v149, v134, v110
	s_waitcnt vmcnt(3)
	v_fmac_f32_e32 v149, v135, v111
	ds_load_2addr_b32 v[108:109], v102 offset0:93 offset1:94
	ds_load_2addr_b32 v[110:111], v102 offset0:95 offset1:96
	s_waitcnt lgkmcnt(3)
	v_fmac_f32_e32 v149, v136, v104
	s_delay_alu instid0(VALU_DEP_1) | instskip(SKIP_4) | instid1(VALU_DEP_1)
	v_fmac_f32_e32 v149, v137, v105
	ds_load_2addr_b32 v[104:105], v102 offset0:97 offset1:98
	s_waitcnt lgkmcnt(3)
	v_fmac_f32_e32 v149, v138, v106
	s_waitcnt vmcnt(2)
	v_fmac_f32_e32 v149, v139, v107
	ds_load_2addr_b32 v[106:107], v102 offset0:99 offset1:100
	s_waitcnt lgkmcnt(3)
	v_fmac_f32_e32 v149, v140, v108
	ds_load_b32 v108, v102 offset:404
	v_fmac_f32_e32 v149, v141, v109
	s_waitcnt lgkmcnt(3)
	s_delay_alu instid0(VALU_DEP_1) | instskip(SKIP_1) | instid1(VALU_DEP_1)
	v_fmac_f32_e32 v149, v142, v110
	s_waitcnt vmcnt(1)
	v_fmac_f32_e32 v149, v143, v111
	s_waitcnt lgkmcnt(2)
	s_delay_alu instid0(VALU_DEP_1) | instskip(NEXT) | instid1(VALU_DEP_1)
	v_fmac_f32_e32 v149, v144, v104
	v_fmac_f32_e32 v149, v145, v105
	s_waitcnt lgkmcnt(1)
	s_delay_alu instid0(VALU_DEP_1) | instskip(SKIP_1) | instid1(VALU_DEP_1)
	v_fmac_f32_e32 v149, v146, v106
	s_waitcnt vmcnt(0)
	v_fmac_f32_e32 v149, v147, v107
	s_waitcnt lgkmcnt(0)
	s_delay_alu instid0(VALU_DEP_1) | instskip(NEXT) | instid1(VALU_DEP_1)
	v_fmac_f32_e32 v149, v148, v108
	v_sub_f32_e32 v103, v103, v149
	scratch_store_b32 off, v103, off offset:16
	v_cmpx_lt_u32_e32 3, v0
	s_cbranch_execz .LBB49_301
; %bb.300:
	scratch_load_b32 v103, off, off offset:12
	scratch_store_b32 off, v102, off offset:12
	s_waitcnt vmcnt(0)
	ds_store_b32 v101, v103
.LBB49_301:
	s_or_b32 exec_lo, exec_lo, s0
	s_waitcnt lgkmcnt(0)
	s_waitcnt_vscnt null, 0x0
	s_barrier
	buffer_gl0_inv
	s_clause 0xb
	scratch_load_b128 v[103:106], off, off offset:12
	scratch_load_b128 v[107:110], off, off offset:28
	;; [unrolled: 1-line block ×11, first 2 shown]
	scratch_load_b96 v[155:157], off, off offset:188
	ds_load_b128 v[147:150], v102 offset:224
	ds_load_b128 v[151:154], v102 offset:240
	s_mov_b32 s0, exec_lo
	s_waitcnt vmcnt(11) lgkmcnt(1)
	v_fma_f32 v147, v104, v147, 0
	s_delay_alu instid0(VALU_DEP_1) | instskip(NEXT) | instid1(VALU_DEP_1)
	v_fmac_f32_e32 v147, v105, v148
	v_fmac_f32_e32 v147, v106, v149
	s_waitcnt vmcnt(10)
	s_delay_alu instid0(VALU_DEP_1) | instskip(SKIP_3) | instid1(VALU_DEP_1)
	v_fmac_f32_e32 v147, v107, v150
	ds_load_b128 v[104:107], v102 offset:256
	s_waitcnt lgkmcnt(1)
	v_fmac_f32_e32 v147, v108, v151
	v_fmac_f32_e32 v147, v109, v152
	s_delay_alu instid0(VALU_DEP_1) | instskip(SKIP_1) | instid1(VALU_DEP_1)
	v_fmac_f32_e32 v147, v110, v153
	s_waitcnt vmcnt(9)
	v_fmac_f32_e32 v147, v111, v154
	ds_load_b128 v[108:111], v102 offset:272
	s_waitcnt lgkmcnt(1)
	v_fmac_f32_e32 v147, v112, v104
	s_delay_alu instid0(VALU_DEP_1) | instskip(NEXT) | instid1(VALU_DEP_1)
	v_fmac_f32_e32 v147, v113, v105
	v_fmac_f32_e32 v147, v114, v106
	s_waitcnt vmcnt(8)
	s_delay_alu instid0(VALU_DEP_1) | instskip(SKIP_3) | instid1(VALU_DEP_1)
	v_fmac_f32_e32 v147, v115, v107
	ds_load_b128 v[104:107], v102 offset:288
	s_waitcnt lgkmcnt(1)
	v_fmac_f32_e32 v147, v116, v108
	v_fmac_f32_e32 v147, v117, v109
	s_delay_alu instid0(VALU_DEP_1) | instskip(SKIP_1) | instid1(VALU_DEP_1)
	v_fmac_f32_e32 v147, v118, v110
	s_waitcnt vmcnt(7)
	v_fmac_f32_e32 v147, v119, v111
	ds_load_b128 v[108:111], v102 offset:304
	s_waitcnt lgkmcnt(1)
	v_fmac_f32_e32 v147, v120, v104
	;; [unrolled: 17-line block ×4, first 2 shown]
	s_delay_alu instid0(VALU_DEP_1) | instskip(NEXT) | instid1(VALU_DEP_1)
	v_fmac_f32_e32 v147, v137, v105
	v_fmac_f32_e32 v147, v138, v106
	s_waitcnt vmcnt(2)
	s_delay_alu instid0(VALU_DEP_1) | instskip(SKIP_3) | instid1(VALU_DEP_1)
	v_fmac_f32_e32 v147, v139, v107
	ds_load_b128 v[104:107], v102 offset:384
	s_waitcnt lgkmcnt(1)
	v_fmac_f32_e32 v147, v140, v108
	v_fmac_f32_e32 v147, v141, v109
	ds_load_b64 v[108:109], v102 offset:400
	v_fmac_f32_e32 v147, v142, v110
	s_waitcnt vmcnt(1)
	s_delay_alu instid0(VALU_DEP_1) | instskip(SKIP_1) | instid1(VALU_DEP_1)
	v_fmac_f32_e32 v147, v143, v111
	s_waitcnt lgkmcnt(1)
	v_fmac_f32_e32 v147, v144, v104
	s_delay_alu instid0(VALU_DEP_1) | instskip(NEXT) | instid1(VALU_DEP_1)
	v_fmac_f32_e32 v147, v145, v105
	v_fmac_f32_e32 v147, v146, v106
	s_waitcnt vmcnt(0)
	s_delay_alu instid0(VALU_DEP_1) | instskip(SKIP_1) | instid1(VALU_DEP_1)
	v_fmac_f32_e32 v147, v155, v107
	s_waitcnt lgkmcnt(0)
	v_fmac_f32_e32 v147, v156, v108
	s_delay_alu instid0(VALU_DEP_1) | instskip(NEXT) | instid1(VALU_DEP_1)
	v_fmac_f32_e32 v147, v157, v109
	v_sub_f32_e32 v102, v103, v147
	scratch_store_b32 off, v102, off offset:12
	v_cmpx_lt_u32_e32 2, v0
	s_cbranch_execz .LBB49_303
; %bb.302:
	scratch_load_b32 v102, off, off offset:8
	v_mov_b32_e32 v103, 0
	scratch_store_b32 off, v103, off offset:8
	s_waitcnt vmcnt(0)
	ds_store_b32 v101, v102
.LBB49_303:
	s_or_b32 exec_lo, exec_lo, s0
	s_waitcnt lgkmcnt(0)
	s_waitcnt_vscnt null, 0x0
	s_barrier
	buffer_gl0_inv
	s_clause 0xb
	scratch_load_b128 v[103:106], off, off offset:8
	scratch_load_b128 v[107:110], off, off offset:24
	;; [unrolled: 1-line block ×12, first 2 shown]
	v_mov_b32_e32 v102, 0
	ds_load_2addr_b32 v[151:152], v102 offset0:55 offset1:56
	ds_load_2addr_b32 v[153:154], v102 offset0:57 offset1:58
	;; [unrolled: 1-line block ×4, first 2 shown]
	s_mov_b32 s0, exec_lo
	s_waitcnt vmcnt(11) lgkmcnt(3)
	v_fma_f32 v151, v104, v151, 0
	s_delay_alu instid0(VALU_DEP_1) | instskip(SKIP_4) | instid1(VALU_DEP_1)
	v_fmac_f32_e32 v151, v105, v152
	ds_load_2addr_b32 v[104:105], v102 offset0:63 offset1:64
	s_waitcnt lgkmcnt(3)
	v_fmac_f32_e32 v151, v106, v153
	s_waitcnt vmcnt(10)
	v_fmac_f32_e32 v151, v107, v154
	ds_load_2addr_b32 v[106:107], v102 offset0:65 offset1:66
	s_waitcnt lgkmcnt(3)
	v_fmac_f32_e32 v151, v108, v155
	s_delay_alu instid0(VALU_DEP_1) | instskip(SKIP_1) | instid1(VALU_DEP_1)
	v_fmac_f32_e32 v151, v109, v156
	s_waitcnt lgkmcnt(2)
	v_fmac_f32_e32 v151, v110, v157
	s_waitcnt vmcnt(9)
	s_delay_alu instid0(VALU_DEP_1) | instskip(SKIP_4) | instid1(VALU_DEP_1)
	v_fmac_f32_e32 v151, v111, v158
	ds_load_2addr_b32 v[108:109], v102 offset0:67 offset1:68
	ds_load_2addr_b32 v[110:111], v102 offset0:69 offset1:70
	s_waitcnt lgkmcnt(3)
	v_fmac_f32_e32 v151, v112, v104
	v_fmac_f32_e32 v151, v113, v105
	ds_load_2addr_b32 v[104:105], v102 offset0:71 offset1:72
	s_waitcnt lgkmcnt(3)
	v_fmac_f32_e32 v151, v114, v106
	s_waitcnt vmcnt(8)
	s_delay_alu instid0(VALU_DEP_1) | instskip(SKIP_3) | instid1(VALU_DEP_1)
	v_fmac_f32_e32 v151, v115, v107
	ds_load_2addr_b32 v[106:107], v102 offset0:73 offset1:74
	s_waitcnt lgkmcnt(3)
	v_fmac_f32_e32 v151, v116, v108
	v_fmac_f32_e32 v151, v117, v109
	s_waitcnt lgkmcnt(2)
	s_delay_alu instid0(VALU_DEP_1) | instskip(SKIP_1) | instid1(VALU_DEP_1)
	v_fmac_f32_e32 v151, v118, v110
	s_waitcnt vmcnt(7)
	v_fmac_f32_e32 v151, v119, v111
	ds_load_2addr_b32 v[108:109], v102 offset0:75 offset1:76
	ds_load_2addr_b32 v[110:111], v102 offset0:77 offset1:78
	s_waitcnt lgkmcnt(3)
	v_fmac_f32_e32 v151, v120, v104
	s_delay_alu instid0(VALU_DEP_1) | instskip(SKIP_4) | instid1(VALU_DEP_1)
	v_fmac_f32_e32 v151, v121, v105
	ds_load_2addr_b32 v[104:105], v102 offset0:79 offset1:80
	s_waitcnt lgkmcnt(3)
	v_fmac_f32_e32 v151, v122, v106
	s_waitcnt vmcnt(6)
	v_fmac_f32_e32 v151, v123, v107
	ds_load_2addr_b32 v[106:107], v102 offset0:81 offset1:82
	s_waitcnt lgkmcnt(3)
	v_fmac_f32_e32 v151, v124, v108
	s_delay_alu instid0(VALU_DEP_1) | instskip(SKIP_1) | instid1(VALU_DEP_1)
	v_fmac_f32_e32 v151, v125, v109
	s_waitcnt lgkmcnt(2)
	v_fmac_f32_e32 v151, v126, v110
	s_waitcnt vmcnt(5)
	s_delay_alu instid0(VALU_DEP_1) | instskip(SKIP_4) | instid1(VALU_DEP_1)
	v_fmac_f32_e32 v151, v127, v111
	ds_load_2addr_b32 v[108:109], v102 offset0:83 offset1:84
	ds_load_2addr_b32 v[110:111], v102 offset0:85 offset1:86
	s_waitcnt lgkmcnt(3)
	v_fmac_f32_e32 v151, v128, v104
	v_fmac_f32_e32 v151, v129, v105
	ds_load_2addr_b32 v[104:105], v102 offset0:87 offset1:88
	s_waitcnt lgkmcnt(3)
	v_fmac_f32_e32 v151, v130, v106
	s_waitcnt vmcnt(4)
	s_delay_alu instid0(VALU_DEP_1) | instskip(SKIP_3) | instid1(VALU_DEP_1)
	v_fmac_f32_e32 v151, v131, v107
	ds_load_2addr_b32 v[106:107], v102 offset0:89 offset1:90
	s_waitcnt lgkmcnt(3)
	v_fmac_f32_e32 v151, v132, v108
	v_fmac_f32_e32 v151, v133, v109
	s_waitcnt lgkmcnt(2)
	s_delay_alu instid0(VALU_DEP_1) | instskip(SKIP_1) | instid1(VALU_DEP_1)
	v_fmac_f32_e32 v151, v134, v110
	s_waitcnt vmcnt(3)
	v_fmac_f32_e32 v151, v135, v111
	ds_load_2addr_b32 v[108:109], v102 offset0:91 offset1:92
	ds_load_2addr_b32 v[110:111], v102 offset0:93 offset1:94
	s_waitcnt lgkmcnt(3)
	v_fmac_f32_e32 v151, v136, v104
	s_delay_alu instid0(VALU_DEP_1) | instskip(SKIP_4) | instid1(VALU_DEP_1)
	v_fmac_f32_e32 v151, v137, v105
	ds_load_2addr_b32 v[104:105], v102 offset0:95 offset1:96
	s_waitcnt lgkmcnt(3)
	v_fmac_f32_e32 v151, v138, v106
	s_waitcnt vmcnt(2)
	v_fmac_f32_e32 v151, v139, v107
	ds_load_2addr_b32 v[106:107], v102 offset0:97 offset1:98
	s_waitcnt lgkmcnt(3)
	v_fmac_f32_e32 v151, v140, v108
	s_delay_alu instid0(VALU_DEP_1) | instskip(SKIP_1) | instid1(VALU_DEP_1)
	v_fmac_f32_e32 v151, v141, v109
	s_waitcnt lgkmcnt(2)
	v_fmac_f32_e32 v151, v142, v110
	ds_load_2addr_b32 v[108:109], v102 offset0:99 offset1:100
	ds_load_b32 v110, v102 offset:404
	s_waitcnt vmcnt(1)
	v_fmac_f32_e32 v151, v143, v111
	s_waitcnt lgkmcnt(3)
	s_delay_alu instid0(VALU_DEP_1) | instskip(NEXT) | instid1(VALU_DEP_1)
	v_fmac_f32_e32 v151, v144, v104
	v_fmac_f32_e32 v151, v145, v105
	s_waitcnt lgkmcnt(2)
	s_delay_alu instid0(VALU_DEP_1) | instskip(SKIP_1) | instid1(VALU_DEP_1)
	v_fmac_f32_e32 v151, v146, v106
	s_waitcnt vmcnt(0)
	v_fmac_f32_e32 v151, v147, v107
	s_waitcnt lgkmcnt(1)
	s_delay_alu instid0(VALU_DEP_1) | instskip(NEXT) | instid1(VALU_DEP_1)
	v_fmac_f32_e32 v151, v148, v108
	v_fmac_f32_e32 v151, v149, v109
	s_waitcnt lgkmcnt(0)
	s_delay_alu instid0(VALU_DEP_1) | instskip(NEXT) | instid1(VALU_DEP_1)
	v_fmac_f32_e32 v151, v150, v110
	v_sub_f32_e32 v103, v103, v151
	scratch_store_b32 off, v103, off offset:8
	v_cmpx_lt_u32_e32 1, v0
	s_cbranch_execz .LBB49_305
; %bb.304:
	scratch_load_b32 v103, off, off offset:4
	scratch_store_b32 off, v102, off offset:4
	s_waitcnt vmcnt(0)
	ds_store_b32 v101, v103
.LBB49_305:
	s_or_b32 exec_lo, exec_lo, s0
	s_waitcnt lgkmcnt(0)
	s_waitcnt_vscnt null, 0x0
	s_barrier
	buffer_gl0_inv
	s_clause 0xc
	scratch_load_b128 v[103:106], off, off offset:4
	scratch_load_b128 v[107:110], off, off offset:20
	;; [unrolled: 1-line block ×12, first 2 shown]
	scratch_load_b32 v159, off, off offset:196
	ds_load_2addr_b64 v[151:154], v102 offset0:27 offset1:28
	ds_load_2addr_b64 v[155:158], v102 offset0:29 offset1:30
	s_mov_b32 s0, exec_lo
	s_waitcnt vmcnt(12) lgkmcnt(1)
	v_fma_f32 v151, v104, v151, 0
	s_delay_alu instid0(VALU_DEP_1) | instskip(NEXT) | instid1(VALU_DEP_1)
	v_fmac_f32_e32 v151, v105, v152
	v_fmac_f32_e32 v151, v106, v153
	s_waitcnt vmcnt(11)
	s_delay_alu instid0(VALU_DEP_1) | instskip(SKIP_3) | instid1(VALU_DEP_1)
	v_fmac_f32_e32 v151, v107, v154
	ds_load_2addr_b64 v[104:107], v102 offset0:31 offset1:32
	s_waitcnt lgkmcnt(1)
	v_fmac_f32_e32 v151, v108, v155
	v_fmac_f32_e32 v151, v109, v156
	s_delay_alu instid0(VALU_DEP_1) | instskip(SKIP_1) | instid1(VALU_DEP_1)
	v_fmac_f32_e32 v151, v110, v157
	s_waitcnt vmcnt(10)
	v_fmac_f32_e32 v151, v111, v158
	ds_load_2addr_b64 v[108:111], v102 offset0:33 offset1:34
	s_waitcnt lgkmcnt(1)
	v_fmac_f32_e32 v151, v112, v104
	s_delay_alu instid0(VALU_DEP_1) | instskip(NEXT) | instid1(VALU_DEP_1)
	v_fmac_f32_e32 v151, v113, v105
	v_fmac_f32_e32 v151, v114, v106
	s_waitcnt vmcnt(9)
	s_delay_alu instid0(VALU_DEP_1) | instskip(SKIP_3) | instid1(VALU_DEP_1)
	v_fmac_f32_e32 v151, v115, v107
	ds_load_2addr_b64 v[104:107], v102 offset0:35 offset1:36
	s_waitcnt lgkmcnt(1)
	v_fmac_f32_e32 v151, v116, v108
	v_fmac_f32_e32 v151, v117, v109
	s_delay_alu instid0(VALU_DEP_1) | instskip(SKIP_1) | instid1(VALU_DEP_1)
	v_fmac_f32_e32 v151, v118, v110
	s_waitcnt vmcnt(8)
	v_fmac_f32_e32 v151, v119, v111
	ds_load_2addr_b64 v[108:111], v102 offset0:37 offset1:38
	s_waitcnt lgkmcnt(1)
	v_fmac_f32_e32 v151, v120, v104
	;; [unrolled: 17-line block ×5, first 2 shown]
	s_delay_alu instid0(VALU_DEP_1) | instskip(NEXT) | instid1(VALU_DEP_1)
	v_fmac_f32_e32 v151, v145, v105
	v_fmac_f32_e32 v151, v146, v106
	s_waitcnt vmcnt(1)
	s_delay_alu instid0(VALU_DEP_1) | instskip(SKIP_1) | instid1(VALU_DEP_1)
	v_fmac_f32_e32 v151, v147, v107
	s_waitcnt lgkmcnt(0)
	v_fmac_f32_e32 v151, v148, v108
	s_delay_alu instid0(VALU_DEP_1) | instskip(NEXT) | instid1(VALU_DEP_1)
	v_fmac_f32_e32 v151, v149, v109
	v_fmac_f32_e32 v151, v150, v110
	s_waitcnt vmcnt(0)
	s_delay_alu instid0(VALU_DEP_1) | instskip(NEXT) | instid1(VALU_DEP_1)
	v_fmac_f32_e32 v151, v159, v111
	v_sub_f32_e32 v102, v103, v151
	scratch_store_b32 off, v102, off offset:4
	v_cmpx_ne_u32_e32 0, v0
	s_cbranch_execz .LBB49_307
; %bb.306:
	scratch_load_b32 v0, off, off
	v_mov_b32_e32 v102, 0
	scratch_store_b32 off, v102, off
	s_waitcnt vmcnt(0)
	ds_store_b32 v101, v0
.LBB49_307:
	s_or_b32 exec_lo, exec_lo, s0
	s_waitcnt lgkmcnt(0)
	s_waitcnt_vscnt null, 0x0
	s_barrier
	buffer_gl0_inv
	s_clause 0xc
	scratch_load_b128 v[103:106], off, off
	scratch_load_b128 v[107:110], off, off offset:16
	scratch_load_b128 v[111:114], off, off offset:32
	;; [unrolled: 1-line block ×11, first 2 shown]
	scratch_load_b64 v[101:102], off, off offset:192
	v_mov_b32_e32 v0, 0
	ds_load_2addr_b32 v[151:152], v0 offset0:53 offset1:54
	ds_load_2addr_b32 v[153:154], v0 offset0:55 offset1:56
	;; [unrolled: 1-line block ×4, first 2 shown]
	s_and_b32 vcc_lo, exec_lo, s16
	s_waitcnt vmcnt(12) lgkmcnt(3)
	v_fma_f32 v151, v104, v151, 0
	s_delay_alu instid0(VALU_DEP_1) | instskip(SKIP_4) | instid1(VALU_DEP_1)
	v_fmac_f32_e32 v151, v105, v152
	ds_load_2addr_b32 v[104:105], v0 offset0:61 offset1:62
	s_waitcnt lgkmcnt(3)
	v_fmac_f32_e32 v151, v106, v153
	s_waitcnt vmcnt(11)
	v_fmac_f32_e32 v151, v107, v154
	ds_load_2addr_b32 v[106:107], v0 offset0:63 offset1:64
	s_waitcnt lgkmcnt(3)
	v_fmac_f32_e32 v151, v108, v155
	s_delay_alu instid0(VALU_DEP_1) | instskip(SKIP_1) | instid1(VALU_DEP_1)
	v_fmac_f32_e32 v151, v109, v156
	s_waitcnt lgkmcnt(2)
	v_fmac_f32_e32 v151, v110, v157
	s_waitcnt vmcnt(10)
	s_delay_alu instid0(VALU_DEP_1) | instskip(SKIP_4) | instid1(VALU_DEP_1)
	v_fmac_f32_e32 v151, v111, v158
	ds_load_2addr_b32 v[108:109], v0 offset0:65 offset1:66
	ds_load_2addr_b32 v[110:111], v0 offset0:67 offset1:68
	s_waitcnt lgkmcnt(3)
	v_fmac_f32_e32 v151, v112, v104
	v_fmac_f32_e32 v151, v113, v105
	ds_load_2addr_b32 v[104:105], v0 offset0:69 offset1:70
	s_waitcnt lgkmcnt(3)
	v_fmac_f32_e32 v151, v114, v106
	s_waitcnt vmcnt(9)
	s_delay_alu instid0(VALU_DEP_1) | instskip(SKIP_3) | instid1(VALU_DEP_1)
	v_fmac_f32_e32 v151, v115, v107
	ds_load_2addr_b32 v[106:107], v0 offset0:71 offset1:72
	s_waitcnt lgkmcnt(3)
	v_fmac_f32_e32 v151, v116, v108
	v_fmac_f32_e32 v151, v117, v109
	s_waitcnt lgkmcnt(2)
	s_delay_alu instid0(VALU_DEP_1) | instskip(SKIP_1) | instid1(VALU_DEP_1)
	v_fmac_f32_e32 v151, v118, v110
	s_waitcnt vmcnt(8)
	v_fmac_f32_e32 v151, v119, v111
	ds_load_2addr_b32 v[108:109], v0 offset0:73 offset1:74
	ds_load_2addr_b32 v[110:111], v0 offset0:75 offset1:76
	s_waitcnt lgkmcnt(3)
	v_fmac_f32_e32 v151, v120, v104
	s_delay_alu instid0(VALU_DEP_1) | instskip(SKIP_4) | instid1(VALU_DEP_1)
	v_fmac_f32_e32 v151, v121, v105
	ds_load_2addr_b32 v[104:105], v0 offset0:77 offset1:78
	s_waitcnt lgkmcnt(3)
	v_fmac_f32_e32 v151, v122, v106
	s_waitcnt vmcnt(7)
	v_fmac_f32_e32 v151, v123, v107
	ds_load_2addr_b32 v[106:107], v0 offset0:79 offset1:80
	s_waitcnt lgkmcnt(3)
	v_fmac_f32_e32 v151, v124, v108
	s_delay_alu instid0(VALU_DEP_1) | instskip(SKIP_1) | instid1(VALU_DEP_1)
	v_fmac_f32_e32 v151, v125, v109
	s_waitcnt lgkmcnt(2)
	v_fmac_f32_e32 v151, v126, v110
	s_waitcnt vmcnt(6)
	s_delay_alu instid0(VALU_DEP_1) | instskip(SKIP_4) | instid1(VALU_DEP_1)
	v_fmac_f32_e32 v151, v127, v111
	ds_load_2addr_b32 v[108:109], v0 offset0:81 offset1:82
	ds_load_2addr_b32 v[110:111], v0 offset0:83 offset1:84
	s_waitcnt lgkmcnt(3)
	v_fmac_f32_e32 v151, v128, v104
	v_fmac_f32_e32 v151, v129, v105
	ds_load_2addr_b32 v[104:105], v0 offset0:85 offset1:86
	s_waitcnt lgkmcnt(3)
	v_fmac_f32_e32 v151, v130, v106
	s_waitcnt vmcnt(5)
	s_delay_alu instid0(VALU_DEP_1) | instskip(SKIP_3) | instid1(VALU_DEP_1)
	v_fmac_f32_e32 v151, v131, v107
	ds_load_2addr_b32 v[106:107], v0 offset0:87 offset1:88
	s_waitcnt lgkmcnt(3)
	v_fmac_f32_e32 v151, v132, v108
	v_fmac_f32_e32 v151, v133, v109
	s_waitcnt lgkmcnt(2)
	s_delay_alu instid0(VALU_DEP_1) | instskip(SKIP_1) | instid1(VALU_DEP_1)
	v_fmac_f32_e32 v151, v134, v110
	s_waitcnt vmcnt(4)
	v_fmac_f32_e32 v151, v135, v111
	ds_load_2addr_b32 v[108:109], v0 offset0:89 offset1:90
	ds_load_2addr_b32 v[110:111], v0 offset0:91 offset1:92
	s_waitcnt lgkmcnt(3)
	v_fmac_f32_e32 v151, v136, v104
	s_delay_alu instid0(VALU_DEP_1) | instskip(SKIP_4) | instid1(VALU_DEP_1)
	v_fmac_f32_e32 v151, v137, v105
	ds_load_2addr_b32 v[104:105], v0 offset0:93 offset1:94
	s_waitcnt lgkmcnt(3)
	v_fmac_f32_e32 v151, v138, v106
	s_waitcnt vmcnt(3)
	v_fmac_f32_e32 v151, v139, v107
	ds_load_2addr_b32 v[106:107], v0 offset0:95 offset1:96
	s_waitcnt lgkmcnt(3)
	v_fmac_f32_e32 v151, v140, v108
	s_delay_alu instid0(VALU_DEP_1) | instskip(SKIP_1) | instid1(VALU_DEP_1)
	v_fmac_f32_e32 v151, v141, v109
	s_waitcnt lgkmcnt(2)
	v_fmac_f32_e32 v151, v142, v110
	s_waitcnt vmcnt(2)
	s_delay_alu instid0(VALU_DEP_1)
	v_fmac_f32_e32 v151, v143, v111
	ds_load_2addr_b32 v[108:109], v0 offset0:97 offset1:98
	ds_load_2addr_b32 v[110:111], v0 offset0:99 offset1:100
	ds_load_b32 v0, v0 offset:404
	s_waitcnt lgkmcnt(4)
	v_fmac_f32_e32 v151, v144, v104
	s_delay_alu instid0(VALU_DEP_1) | instskip(SKIP_1) | instid1(VALU_DEP_1)
	v_fmac_f32_e32 v151, v145, v105
	s_waitcnt lgkmcnt(3)
	v_fmac_f32_e32 v151, v146, v106
	s_waitcnt vmcnt(1)
	s_delay_alu instid0(VALU_DEP_1) | instskip(SKIP_1) | instid1(VALU_DEP_1)
	v_fmac_f32_e32 v151, v147, v107
	s_waitcnt lgkmcnt(2)
	v_fmac_f32_e32 v151, v148, v108
	s_delay_alu instid0(VALU_DEP_1) | instskip(SKIP_1) | instid1(VALU_DEP_1)
	v_fmac_f32_e32 v151, v149, v109
	s_waitcnt lgkmcnt(1)
	v_fmac_f32_e32 v151, v150, v110
	s_waitcnt vmcnt(0)
	s_delay_alu instid0(VALU_DEP_1) | instskip(SKIP_1) | instid1(VALU_DEP_1)
	v_fmac_f32_e32 v151, v101, v111
	s_waitcnt lgkmcnt(0)
	v_fmac_f32_e32 v151, v102, v0
	s_delay_alu instid0(VALU_DEP_1)
	v_sub_f32_e32 v0, v103, v151
	scratch_store_b32 off, v0, off
	s_cbranch_vccz .LBB49_407
; %bb.308:
	v_dual_mov_b32 v103, s13 :: v_dual_mov_b32 v102, s12
	s_mov_b32 s0, exec_lo
	flat_load_b32 v0, v[102:103] offset:192
	s_waitcnt vmcnt(0) lgkmcnt(0)
	v_cmpx_ne_u32_e32 49, v0
	s_cbranch_execz .LBB49_310
; %bb.309:
	v_lshl_add_u32 v0, v0, 2, 0
	scratch_load_b32 v102, v0, off offset:-4
	s_waitcnt vmcnt(0)
	scratch_store_b32 off, v102, off offset:192
	scratch_store_b32 v0, v101, off offset:-4
.LBB49_310:
	s_or_b32 exec_lo, exec_lo, s0
	v_dual_mov_b32 v102, s13 :: v_dual_mov_b32 v101, s12
	s_mov_b32 s0, exec_lo
	flat_load_b32 v0, v[101:102] offset:188
	s_waitcnt vmcnt(0) lgkmcnt(0)
	v_cmpx_ne_u32_e32 48, v0
	s_cbranch_execz .LBB49_312
; %bb.311:
	v_lshl_add_u32 v0, v0, 2, 0
	scratch_load_b32 v101, v0, off offset:-4
	scratch_load_b32 v102, off, off offset:188
	s_waitcnt vmcnt(1)
	scratch_store_b32 off, v101, off offset:188
	s_waitcnt vmcnt(0)
	scratch_store_b32 v0, v102, off offset:-4
.LBB49_312:
	s_or_b32 exec_lo, exec_lo, s0
	v_dual_mov_b32 v102, s13 :: v_dual_mov_b32 v101, s12
	s_mov_b32 s0, exec_lo
	flat_load_b32 v0, v[101:102] offset:184
	s_waitcnt vmcnt(0) lgkmcnt(0)
	v_cmpx_ne_u32_e32 47, v0
	s_cbranch_execz .LBB49_314
; %bb.313:
	v_lshl_add_u32 v0, v0, 2, 0
	scratch_load_b32 v101, v0, off offset:-4
	scratch_load_b32 v102, off, off offset:184
	s_waitcnt vmcnt(1)
	scratch_store_b32 off, v101, off offset:184
	s_waitcnt vmcnt(0)
	scratch_store_b32 v0, v102, off offset:-4
.LBB49_314:
	;; [unrolled: 16-line block ×47, first 2 shown]
	s_or_b32 exec_lo, exec_lo, s0
	v_dual_mov_b32 v102, s13 :: v_dual_mov_b32 v101, s12
	s_mov_b32 s0, exec_lo
	flat_load_b32 v101, v[101:102]
	scratch_load_b32 v0, off, off
	s_waitcnt vmcnt(1) lgkmcnt(0)
	v_cmpx_ne_u32_e32 1, v101
	s_cbranch_execz .LBB49_406
; %bb.405:
	v_lshl_add_u32 v101, v101, 2, 0
	scratch_load_b32 v102, v101, off offset:-4
	s_waitcnt vmcnt(0)
	scratch_store_b32 off, v102, off
	scratch_store_b32 v101, v0, off offset:-4
	scratch_load_b32 v0, off, off
.LBB49_406:
	s_or_b32 exec_lo, exec_lo, s0
.LBB49_407:
	s_clause 0xc
	scratch_load_b128 v[101:104], off, off offset:4
	scratch_load_b128 v[105:108], off, off offset:20
	;; [unrolled: 1-line block ×12, first 2 shown]
	scratch_load_b32 v149, off, off offset:196
	s_waitcnt vmcnt(13)
	global_store_b32 v[1:2], v0, off
	s_waitcnt vmcnt(12)
	s_clause 0x3
	global_store_b32 v[3:4], v101, off
	global_store_b32 v[5:6], v102, off
	global_store_b32 v[7:8], v103, off
	global_store_b32 v[9:10], v104, off
	s_waitcnt vmcnt(11)
	s_clause 0x3
	global_store_b32 v[11:12], v105, off
	global_store_b32 v[13:14], v106, off
	global_store_b32 v[15:16], v107, off
	;; [unrolled: 6-line block ×12, first 2 shown]
	global_store_b32 v[99:100], v148, off
	s_waitcnt vmcnt(0)
	global_store_b32 v[53:54], v149, off
	s_endpgm
	.section	.rodata,"a",@progbits
	.p2align	6, 0x0
	.amdhsa_kernel _ZN9rocsolver6v33100L18getri_kernel_smallILi50EfPfEEvT1_iilPiilS4_bb
		.amdhsa_group_segment_fixed_size 408
		.amdhsa_private_segment_fixed_size 208
		.amdhsa_kernarg_size 60
		.amdhsa_user_sgpr_count 15
		.amdhsa_user_sgpr_dispatch_ptr 0
		.amdhsa_user_sgpr_queue_ptr 0
		.amdhsa_user_sgpr_kernarg_segment_ptr 1
		.amdhsa_user_sgpr_dispatch_id 0
		.amdhsa_user_sgpr_private_segment_size 0
		.amdhsa_wavefront_size32 1
		.amdhsa_uses_dynamic_stack 0
		.amdhsa_enable_private_segment 1
		.amdhsa_system_sgpr_workgroup_id_x 1
		.amdhsa_system_sgpr_workgroup_id_y 0
		.amdhsa_system_sgpr_workgroup_id_z 0
		.amdhsa_system_sgpr_workgroup_info 0
		.amdhsa_system_vgpr_workitem_id 0
		.amdhsa_next_free_vgpr 160
		.amdhsa_next_free_sgpr 18
		.amdhsa_reserve_vcc 1
		.amdhsa_float_round_mode_32 0
		.amdhsa_float_round_mode_16_64 0
		.amdhsa_float_denorm_mode_32 3
		.amdhsa_float_denorm_mode_16_64 3
		.amdhsa_dx10_clamp 1
		.amdhsa_ieee_mode 1
		.amdhsa_fp16_overflow 0
		.amdhsa_workgroup_processor_mode 1
		.amdhsa_memory_ordered 1
		.amdhsa_forward_progress 0
		.amdhsa_shared_vgpr_count 0
		.amdhsa_exception_fp_ieee_invalid_op 0
		.amdhsa_exception_fp_denorm_src 0
		.amdhsa_exception_fp_ieee_div_zero 0
		.amdhsa_exception_fp_ieee_overflow 0
		.amdhsa_exception_fp_ieee_underflow 0
		.amdhsa_exception_fp_ieee_inexact 0
		.amdhsa_exception_int_div_zero 0
	.end_amdhsa_kernel
	.section	.text._ZN9rocsolver6v33100L18getri_kernel_smallILi50EfPfEEvT1_iilPiilS4_bb,"axG",@progbits,_ZN9rocsolver6v33100L18getri_kernel_smallILi50EfPfEEvT1_iilPiilS4_bb,comdat
.Lfunc_end49:
	.size	_ZN9rocsolver6v33100L18getri_kernel_smallILi50EfPfEEvT1_iilPiilS4_bb, .Lfunc_end49-_ZN9rocsolver6v33100L18getri_kernel_smallILi50EfPfEEvT1_iilPiilS4_bb
                                        ; -- End function
	.section	.AMDGPU.csdata,"",@progbits
; Kernel info:
; codeLenInByte = 36972
; NumSgprs: 20
; NumVgprs: 160
; ScratchSize: 208
; MemoryBound: 0
; FloatMode: 240
; IeeeMode: 1
; LDSByteSize: 408 bytes/workgroup (compile time only)
; SGPRBlocks: 2
; VGPRBlocks: 19
; NumSGPRsForWavesPerEU: 20
; NumVGPRsForWavesPerEU: 160
; Occupancy: 9
; WaveLimiterHint : 1
; COMPUTE_PGM_RSRC2:SCRATCH_EN: 1
; COMPUTE_PGM_RSRC2:USER_SGPR: 15
; COMPUTE_PGM_RSRC2:TRAP_HANDLER: 0
; COMPUTE_PGM_RSRC2:TGID_X_EN: 1
; COMPUTE_PGM_RSRC2:TGID_Y_EN: 0
; COMPUTE_PGM_RSRC2:TGID_Z_EN: 0
; COMPUTE_PGM_RSRC2:TIDIG_COMP_CNT: 0
	.section	.text._ZN9rocsolver6v33100L18getri_kernel_smallILi51EfPfEEvT1_iilPiilS4_bb,"axG",@progbits,_ZN9rocsolver6v33100L18getri_kernel_smallILi51EfPfEEvT1_iilPiilS4_bb,comdat
	.globl	_ZN9rocsolver6v33100L18getri_kernel_smallILi51EfPfEEvT1_iilPiilS4_bb ; -- Begin function _ZN9rocsolver6v33100L18getri_kernel_smallILi51EfPfEEvT1_iilPiilS4_bb
	.p2align	8
	.type	_ZN9rocsolver6v33100L18getri_kernel_smallILi51EfPfEEvT1_iilPiilS4_bb,@function
_ZN9rocsolver6v33100L18getri_kernel_smallILi51EfPfEEvT1_iilPiilS4_bb: ; @_ZN9rocsolver6v33100L18getri_kernel_smallILi51EfPfEEvT1_iilPiilS4_bb
; %bb.0:
	s_mov_b32 s2, exec_lo
	v_cmpx_gt_u32_e32 51, v0
	s_cbranch_execz .LBB50_212
; %bb.1:
	s_clause 0x2
	s_load_b32 s17, s[0:1], 0x38
	s_load_b128 s[8:11], s[0:1], 0x10
	s_load_b128 s[4:7], s[0:1], 0x28
	s_mov_b32 s14, s15
                                        ; implicit-def: $sgpr12_sgpr13
	s_waitcnt lgkmcnt(0)
	s_bitcmp1_b32 s17, 8
	s_cselect_b32 s16, -1, 0
	s_bfe_u32 s2, s17, 0x10008
	s_ashr_i32 s15, s15, 31
	s_cmp_eq_u32 s2, 0
	s_cbranch_scc1 .LBB50_3
; %bb.2:
	s_load_b32 s2, s[0:1], 0x20
	s_mul_i32 s3, s14, s5
	s_mul_hi_u32 s5, s14, s4
	s_mul_i32 s12, s15, s4
	s_add_i32 s3, s5, s3
	s_mul_i32 s4, s14, s4
	s_add_i32 s5, s3, s12
	s_delay_alu instid0(SALU_CYCLE_1)
	s_lshl_b64 s[4:5], s[4:5], 2
	s_waitcnt lgkmcnt(0)
	s_ashr_i32 s3, s2, 31
	s_add_u32 s4, s10, s4
	s_addc_u32 s5, s11, s5
	s_lshl_b64 s[2:3], s[2:3], 2
	s_delay_alu instid0(SALU_CYCLE_1)
	s_add_u32 s12, s4, s2
	s_addc_u32 s13, s5, s3
.LBB50_3:
	s_load_b128 s[0:3], s[0:1], 0x0
	s_mul_i32 s4, s14, s9
	s_mul_hi_u32 s5, s14, s8
	s_mul_i32 s9, s15, s8
	s_add_i32 s5, s5, s4
	s_mul_i32 s4, s14, s8
	s_add_i32 s5, s5, s9
	v_lshlrev_b32_e32 v105, 2, v0
	s_lshl_b64 s[4:5], s[4:5], 2
	s_waitcnt lgkmcnt(0)
	v_add3_u32 v1, s3, s3, v0
	s_ashr_i32 s9, s2, 31
	s_mov_b32 s8, s2
	s_add_u32 s2, s0, s4
	s_addc_u32 s4, s1, s5
	v_add_nc_u32_e32 v7, s3, v1
	s_lshl_b64 s[0:1], s[8:9], 2
	v_ashrrev_i32_e32 v2, 31, v1
	s_add_u32 s0, s2, s0
	s_addc_u32 s1, s4, s1
	v_add_nc_u32_e32 v9, s3, v7
	v_add_co_u32 v3, s2, s0, v105
	s_mov_b32 s10, s3
	s_ashr_i32 s11, s3, 31
	s_delay_alu instid0(VALU_DEP_2) | instskip(SKIP_3) | instid1(VALU_DEP_4)
	v_add_nc_u32_e32 v11, s3, v9
	v_add_co_ci_u32_e64 v4, null, s1, 0, s2
	v_ashrrev_i32_e32 v8, 31, v7
	v_lshlrev_b64 v[1:2], 2, v[1:2]
	v_add_nc_u32_e32 v13, s3, v11
	s_lshl_b64 s[4:5], s[10:11], 2
	v_ashrrev_i32_e32 v10, 31, v9
	v_add_co_u32 v5, vcc_lo, v3, s4
	s_delay_alu instid0(VALU_DEP_3) | instskip(SKIP_3) | instid1(VALU_DEP_4)
	v_add_nc_u32_e32 v15, s3, v13
	v_add_co_ci_u32_e32 v6, vcc_lo, s5, v4, vcc_lo
	v_lshlrev_b64 v[46:47], 2, v[7:8]
	v_add_co_u32 v7, vcc_lo, s0, v1
	v_add_nc_u32_e32 v17, s3, v15
	v_add_co_ci_u32_e32 v8, vcc_lo, s1, v2, vcc_lo
	v_lshlrev_b64 v[1:2], 2, v[9:10]
	v_ashrrev_i32_e32 v12, 31, v11
	s_delay_alu instid0(VALU_DEP_4) | instskip(SKIP_3) | instid1(VALU_DEP_4)
	v_add_nc_u32_e32 v19, s3, v17
	v_add_co_u32 v9, vcc_lo, s0, v46
	v_ashrrev_i32_e32 v14, 31, v13
	v_add_co_ci_u32_e32 v10, vcc_lo, s1, v47, vcc_lo
	v_add_nc_u32_e32 v21, s3, v19
	v_lshlrev_b64 v[46:47], 2, v[11:12]
	v_add_co_u32 v11, vcc_lo, s0, v1
	v_add_co_ci_u32_e32 v12, vcc_lo, s1, v2, vcc_lo
	s_delay_alu instid0(VALU_DEP_4) | instskip(SKIP_3) | instid1(VALU_DEP_4)
	v_add_nc_u32_e32 v23, s3, v21
	v_lshlrev_b64 v[1:2], 2, v[13:14]
	v_ashrrev_i32_e32 v16, 31, v15
	v_add_co_u32 v13, vcc_lo, s0, v46
	v_add_nc_u32_e32 v25, s3, v23
	v_ashrrev_i32_e32 v18, 31, v17
	v_add_co_ci_u32_e32 v14, vcc_lo, s1, v47, vcc_lo
	v_lshlrev_b64 v[46:47], 2, v[15:16]
	s_delay_alu instid0(VALU_DEP_4) | instskip(SKIP_2) | instid1(VALU_DEP_3)
	v_add_nc_u32_e32 v27, s3, v25
	v_add_co_u32 v15, vcc_lo, s0, v1
	v_add_co_ci_u32_e32 v16, vcc_lo, s1, v2, vcc_lo
	v_add_nc_u32_e32 v29, s3, v27
	v_lshlrev_b64 v[1:2], 2, v[17:18]
	v_ashrrev_i32_e32 v20, 31, v19
	v_add_co_u32 v17, vcc_lo, s0, v46
	s_delay_alu instid0(VALU_DEP_4) | instskip(SKIP_3) | instid1(VALU_DEP_4)
	v_add_nc_u32_e32 v31, s3, v29
	v_ashrrev_i32_e32 v22, 31, v21
	v_add_co_ci_u32_e32 v18, vcc_lo, s1, v47, vcc_lo
	v_lshlrev_b64 v[46:47], 2, v[19:20]
	v_add_nc_u32_e32 v33, s3, v31
	v_add_co_u32 v19, vcc_lo, s0, v1
	v_add_co_ci_u32_e32 v20, vcc_lo, s1, v2, vcc_lo
	s_delay_alu instid0(VALU_DEP_3) | instskip(SKIP_3) | instid1(VALU_DEP_4)
	v_add_nc_u32_e32 v35, s3, v33
	v_lshlrev_b64 v[1:2], 2, v[21:22]
	v_ashrrev_i32_e32 v24, 31, v23
	v_add_co_u32 v21, vcc_lo, s0, v46
	v_add_nc_u32_e32 v37, s3, v35
	v_ashrrev_i32_e32 v26, 31, v25
	v_add_co_ci_u32_e32 v22, vcc_lo, s1, v47, vcc_lo
	v_lshlrev_b64 v[46:47], 2, v[23:24]
	s_delay_alu instid0(VALU_DEP_4) | instskip(SKIP_2) | instid1(VALU_DEP_3)
	v_add_nc_u32_e32 v39, s3, v37
	v_add_co_u32 v23, vcc_lo, s0, v1
	v_add_co_ci_u32_e32 v24, vcc_lo, s1, v2, vcc_lo
	v_add_nc_u32_e32 v41, s3, v39
	v_lshlrev_b64 v[1:2], 2, v[25:26]
	v_ashrrev_i32_e32 v28, 31, v27
	v_add_co_u32 v25, vcc_lo, s0, v46
	s_delay_alu instid0(VALU_DEP_4) | instskip(SKIP_3) | instid1(VALU_DEP_4)
	v_add_nc_u32_e32 v43, s3, v41
	v_ashrrev_i32_e32 v30, 31, v29
	v_add_co_ci_u32_e32 v26, vcc_lo, s1, v47, vcc_lo
	v_lshlrev_b64 v[46:47], 2, v[27:28]
	v_add_nc_u32_e32 v45, s3, v43
	v_add_co_u32 v27, vcc_lo, s0, v1
	v_add_co_ci_u32_e32 v28, vcc_lo, s1, v2, vcc_lo
	s_delay_alu instid0(VALU_DEP_3) | instskip(SKIP_3) | instid1(VALU_DEP_4)
	;; [unrolled: 25-line block ×4, first 2 shown]
	v_add_nc_u32_e32 v75, s3, v73
	v_lshlrev_b64 v[1:2], 2, v[45:46]
	v_ashrrev_i32_e32 v49, 31, v48
	v_add_co_u32 v45, vcc_lo, s0, v57
	v_add_nc_u32_e32 v77, s3, v75
	v_ashrrev_i32_e32 v51, 31, v50
	v_add_co_ci_u32_e32 v46, vcc_lo, s1, v58, vcc_lo
	v_lshlrev_b64 v[57:58], 2, v[48:49]
	s_delay_alu instid0(VALU_DEP_4) | instskip(SKIP_3) | instid1(VALU_DEP_4)
	v_add_nc_u32_e32 v79, s3, v77
	v_add_co_u32 v47, vcc_lo, s0, v1
	v_ashrrev_i32_e32 v53, 31, v52
	v_add_co_ci_u32_e32 v48, vcc_lo, s1, v2, vcc_lo
	v_add_nc_u32_e32 v81, s3, v79
	v_lshlrev_b64 v[1:2], 2, v[50:51]
	v_add_co_u32 v49, vcc_lo, s0, v57
	v_lshlrev_b64 v[68:69], 2, v[52:53]
	s_delay_alu instid0(VALU_DEP_4) | instskip(SKIP_3) | instid1(VALU_DEP_4)
	v_add_nc_u32_e32 v83, s3, v81
	v_ashrrev_i32_e32 v55, 31, v54
	v_add_co_ci_u32_e32 v50, vcc_lo, s1, v58, vcc_lo
	v_add_co_u32 v51, vcc_lo, s0, v1
	v_add_nc_u32_e32 v85, s3, v83
	v_ashrrev_i32_e32 v57, 31, v56
	v_add_co_ci_u32_e32 v52, vcc_lo, s1, v2, vcc_lo
	v_lshlrev_b64 v[1:2], 2, v[54:55]
	s_delay_alu instid0(VALU_DEP_4) | instskip(SKIP_3) | instid1(VALU_DEP_4)
	v_add_nc_u32_e32 v87, s3, v85
	v_add_co_u32 v53, vcc_lo, s0, v68
	v_lshlrev_b64 v[55:56], 2, v[56:57]
	v_ashrrev_i32_e32 v60, 31, v59
	v_add_nc_u32_e32 v89, s3, v87
	v_add_co_ci_u32_e32 v54, vcc_lo, s1, v69, vcc_lo
	v_add_co_u32 v57, vcc_lo, s0, v1
	s_delay_alu instid0(VALU_DEP_3) | instskip(SKIP_3) | instid1(VALU_DEP_4)
	v_add_nc_u32_e32 v91, s3, v89
	v_add_co_ci_u32_e32 v58, vcc_lo, s1, v2, vcc_lo
	v_lshlrev_b64 v[1:2], 2, v[59:60]
	v_ashrrev_i32_e32 v62, 31, v61
	v_add_nc_u32_e32 v93, s3, v91
	v_add_co_u32 v59, vcc_lo, s0, v55
	v_add_co_ci_u32_e32 v60, vcc_lo, s1, v56, vcc_lo
	s_delay_alu instid0(VALU_DEP_3) | instskip(SKIP_3) | instid1(VALU_DEP_4)
	v_add_nc_u32_e32 v95, s3, v93
	v_ashrrev_i32_e32 v64, 31, v63
	v_lshlrev_b64 v[131:132], 2, v[61:62]
	v_add_co_u32 v61, vcc_lo, s0, v1
	v_add_nc_u32_e32 v97, s3, v95
	v_add_co_ci_u32_e32 v62, vcc_lo, s1, v2, vcc_lo
	v_lshlrev_b64 v[1:2], 2, v[63:64]
	v_ashrrev_i32_e32 v66, 31, v65
	s_delay_alu instid0(VALU_DEP_4)
	v_add_nc_u32_e32 v99, s3, v97
	v_ashrrev_i32_e32 v72, 31, v71
	v_ashrrev_i32_e32 v74, 31, v73
	;; [unrolled: 1-line block ×4, first 2 shown]
	v_add_nc_u32_e32 v101, s3, v99
	v_ashrrev_i32_e32 v80, 31, v79
	v_lshlrev_b64 v[73:74], 2, v[73:74]
	v_ashrrev_i32_e32 v82, 31, v81
	v_lshlrev_b64 v[77:78], 2, v[77:78]
	v_add_nc_u32_e32 v103, s3, v101
	v_ashrrev_i32_e32 v84, 31, v83
	v_ashrrev_i32_e32 v86, 31, v85
	v_lshlrev_b64 v[81:82], 2, v[81:82]
	v_ashrrev_i32_e32 v88, 31, v87
	v_add_nc_u32_e32 v68, s3, v103
	v_ashrrev_i32_e32 v90, 31, v89
	v_lshlrev_b64 v[85:86], 2, v[85:86]
	v_ashrrev_i32_e32 v92, 31, v91
	v_ashrrev_i32_e32 v94, 31, v93
	;; [unrolled: 1-line block ×3, first 2 shown]
	v_lshlrev_b64 v[89:90], 2, v[89:90]
	v_ashrrev_i32_e32 v96, 31, v95
	v_ashrrev_i32_e32 v98, 31, v97
	v_lshlrev_b64 v[93:94], 2, v[93:94]
	v_lshlrev_b64 v[55:56], 2, v[68:69]
	v_ashrrev_i32_e32 v68, 31, v67
	v_lshlrev_b64 v[69:70], 2, v[65:66]
	v_ashrrev_i32_e32 v100, 31, v99
	;; [unrolled: 2-line block ×3, first 2 shown]
	v_add_co_u32 v55, vcc_lo, s0, v55
	v_add_co_ci_u32_e32 v56, vcc_lo, s1, v56, vcc_lo
	v_add_co_u32 v63, vcc_lo, s0, v131
	v_add_co_ci_u32_e32 v64, vcc_lo, s1, v132, vcc_lo
	;; [unrolled: 2-line block ×3, first 2 shown]
	v_lshlrev_b64 v[1:2], 2, v[67:68]
	v_add_co_u32 v67, vcc_lo, s0, v69
	v_add_co_ci_u32_e32 v68, vcc_lo, s1, v70, vcc_lo
	v_ashrrev_i32_e32 v104, 31, v103
	s_delay_alu instid0(VALU_DEP_4)
	v_add_co_u32 v69, vcc_lo, s0, v1
	v_add_co_ci_u32_e32 v70, vcc_lo, s1, v2, vcc_lo
	v_lshlrev_b64 v[1:2], 2, v[71:72]
	v_lshlrev_b64 v[101:102], 2, v[101:102]
	s_clause 0x18
	global_load_b32 v106, v105, s[0:1]
	global_load_b32 v107, v[5:6], off
	global_load_b32 v108, v[7:8], off
	;; [unrolled: 1-line block ×24, first 2 shown]
	v_add_co_u32 v71, vcc_lo, s0, v1
	v_add_co_ci_u32_e32 v72, vcc_lo, s1, v2, vcc_lo
	v_lshlrev_b64 v[1:2], 2, v[75:76]
	v_add_co_u32 v73, vcc_lo, s0, v73
	v_add_co_ci_u32_e32 v74, vcc_lo, s1, v74, vcc_lo
	s_clause 0x7
	global_load_b32 v131, v[53:54], off
	global_load_b32 v132, v[57:58], off
	;; [unrolled: 1-line block ×8, first 2 shown]
	v_add_co_u32 v75, vcc_lo, s0, v1
	v_add_co_ci_u32_e32 v76, vcc_lo, s1, v2, vcc_lo
	v_lshlrev_b64 v[1:2], 2, v[79:80]
	v_add_co_u32 v77, vcc_lo, s0, v77
	v_add_co_ci_u32_e32 v78, vcc_lo, s1, v78, vcc_lo
	s_bitcmp0_b32 s17, 0
	s_delay_alu instid0(VALU_DEP_3) | instskip(NEXT) | instid1(VALU_DEP_4)
	v_add_co_u32 v79, vcc_lo, s0, v1
	v_add_co_ci_u32_e32 v80, vcc_lo, s1, v2, vcc_lo
	v_lshlrev_b64 v[1:2], 2, v[83:84]
	v_add_co_u32 v81, vcc_lo, s0, v81
	v_add_co_ci_u32_e32 v82, vcc_lo, s1, v82, vcc_lo
	s_delay_alu instid0(VALU_DEP_3) | instskip(NEXT) | instid1(VALU_DEP_4)
	v_add_co_u32 v83, vcc_lo, s0, v1
	v_add_co_ci_u32_e32 v84, vcc_lo, s1, v2, vcc_lo
	v_lshlrev_b64 v[1:2], 2, v[87:88]
	v_add_co_u32 v85, vcc_lo, s0, v85
	v_add_co_ci_u32_e32 v86, vcc_lo, s1, v86, vcc_lo
	s_clause 0x7
	global_load_b32 v139, v[71:72], off
	global_load_b32 v140, v[73:74], off
	global_load_b32 v141, v[75:76], off
	global_load_b32 v142, v[77:78], off
	global_load_b32 v143, v[79:80], off
	global_load_b32 v144, v[81:82], off
	global_load_b32 v145, v[83:84], off
	global_load_b32 v146, v[85:86], off
	v_add_co_u32 v87, vcc_lo, s0, v1
	v_add_co_ci_u32_e32 v88, vcc_lo, s1, v2, vcc_lo
	v_lshlrev_b64 v[1:2], 2, v[91:92]
	v_add_co_u32 v89, vcc_lo, s0, v89
	v_add_co_ci_u32_e32 v90, vcc_lo, s1, v90, vcc_lo
	s_delay_alu instid0(VALU_DEP_3) | instskip(NEXT) | instid1(VALU_DEP_4)
	v_add_co_u32 v91, vcc_lo, s0, v1
	v_add_co_ci_u32_e32 v92, vcc_lo, s1, v2, vcc_lo
	v_lshlrev_b64 v[1:2], 2, v[95:96]
	v_add_co_u32 v93, vcc_lo, s0, v93
	v_add_co_ci_u32_e32 v94, vcc_lo, s1, v94, vcc_lo
	s_delay_alu instid0(VALU_DEP_3) | instskip(NEXT) | instid1(VALU_DEP_4)
	;; [unrolled: 6-line block ×4, first 2 shown]
	v_add_co_u32 v103, vcc_lo, s0, v1
	v_add_co_ci_u32_e32 v104, vcc_lo, s1, v2, vcc_lo
	s_clause 0x9
	global_load_b32 v147, v[87:88], off
	global_load_b32 v148, v[89:90], off
	;; [unrolled: 1-line block ×10, first 2 shown]
	s_mov_b32 s1, -1
	s_waitcnt vmcnt(47)
	scratch_store_b128 off, v[106:109], off
	s_waitcnt vmcnt(43)
	scratch_store_b128 off, v[110:113], off offset:16
	s_waitcnt vmcnt(39)
	scratch_store_b128 off, v[114:117], off offset:32
	;; [unrolled: 2-line block ×11, first 2 shown]
	s_waitcnt vmcnt(0)
	scratch_store_b96 off, v[154:156], off offset:192
	s_cbranch_scc1 .LBB50_210
; %bb.4:
	v_cmp_eq_u32_e64 s0, 0, v0
	s_delay_alu instid0(VALU_DEP_1)
	s_and_saveexec_b32 s1, s0
	s_cbranch_execz .LBB50_6
; %bb.5:
	v_mov_b32_e32 v1, 0
	ds_store_b32 v1, v1 offset:204
.LBB50_6:
	s_or_b32 exec_lo, exec_lo, s1
	s_waitcnt lgkmcnt(0)
	s_waitcnt_vscnt null, 0x0
	s_barrier
	buffer_gl0_inv
	scratch_load_b32 v1, v105, off
	s_mov_b32 s2, exec_lo
	s_waitcnt vmcnt(0)
	v_cmpx_eq_f32_e32 0, v1
	s_cbranch_execz .LBB50_10
; %bb.7:
	v_mov_b32_e32 v1, 0
	s_mov_b32 s3, 0
	ds_load_b32 v2, v1 offset:204
	s_waitcnt lgkmcnt(0)
	v_readfirstlane_b32 s1, v2
	v_add_nc_u32_e32 v2, 1, v0
	s_delay_alu instid0(VALU_DEP_2) | instskip(NEXT) | instid1(VALU_DEP_1)
	s_cmp_eq_u32 s1, 0
	v_cmp_gt_i32_e32 vcc_lo, s1, v2
	s_cselect_b32 s4, -1, 0
	s_delay_alu instid0(SALU_CYCLE_1) | instskip(NEXT) | instid1(SALU_CYCLE_1)
	s_or_b32 s4, s4, vcc_lo
	s_and_b32 exec_lo, exec_lo, s4
	s_cbranch_execz .LBB50_10
; %bb.8:
	v_mov_b32_e32 v106, s1
.LBB50_9:                               ; =>This Inner Loop Header: Depth=1
	ds_cmpstore_rtn_b32 v106, v1, v2, v106 offset:204
	s_waitcnt lgkmcnt(0)
	v_cmp_ne_u32_e32 vcc_lo, 0, v106
	v_cmp_le_i32_e64 s1, v106, v2
	s_delay_alu instid0(VALU_DEP_1) | instskip(NEXT) | instid1(SALU_CYCLE_1)
	s_and_b32 s1, vcc_lo, s1
	s_and_b32 s1, exec_lo, s1
	s_delay_alu instid0(SALU_CYCLE_1) | instskip(NEXT) | instid1(SALU_CYCLE_1)
	s_or_b32 s3, s1, s3
	s_and_not1_b32 exec_lo, exec_lo, s3
	s_cbranch_execnz .LBB50_9
.LBB50_10:
	s_or_b32 exec_lo, exec_lo, s2
	v_mov_b32_e32 v1, 0
	s_barrier
	buffer_gl0_inv
	ds_load_b32 v2, v1 offset:204
	s_and_saveexec_b32 s1, s0
	s_cbranch_execz .LBB50_12
; %bb.11:
	s_lshl_b64 s[2:3], s[14:15], 2
	s_delay_alu instid0(SALU_CYCLE_1)
	s_add_u32 s2, s6, s2
	s_addc_u32 s3, s7, s3
	s_waitcnt lgkmcnt(0)
	global_store_b32 v1, v2, s[2:3]
.LBB50_12:
	s_or_b32 exec_lo, exec_lo, s1
	s_waitcnt lgkmcnt(0)
	v_cmp_ne_u32_e32 vcc_lo, 0, v2
	s_mov_b32 s1, 0
	s_cbranch_vccnz .LBB50_210
; %bb.13:
	v_add_nc_u32_e32 v1, 0, v105
	scratch_load_b32 v2, v1, off
	s_waitcnt vmcnt(0)
	v_div_scale_f32 v106, null, v2, v2, 1.0
	v_div_scale_f32 v109, vcc_lo, 1.0, v2, 1.0
	s_delay_alu instid0(VALU_DEP_2) | instskip(SKIP_2) | instid1(VALU_DEP_1)
	v_rcp_f32_e32 v107, v106
	s_waitcnt_depctr 0xfff
	v_fma_f32 v108, -v106, v107, 1.0
	v_fmac_f32_e32 v107, v108, v107
	s_delay_alu instid0(VALU_DEP_1) | instskip(NEXT) | instid1(VALU_DEP_1)
	v_mul_f32_e32 v108, v109, v107
	v_fma_f32 v110, -v106, v108, v109
	s_delay_alu instid0(VALU_DEP_1) | instskip(NEXT) | instid1(VALU_DEP_1)
	v_fmac_f32_e32 v108, v110, v107
	v_fma_f32 v106, -v106, v108, v109
	s_delay_alu instid0(VALU_DEP_1) | instskip(NEXT) | instid1(VALU_DEP_1)
	v_div_fmas_f32 v106, v106, v107, v108
	v_div_fixup_f32 v2, v106, v2, 1.0
	scratch_store_b32 v1, v2, off
	scratch_load_b32 v106, off, off offset:4
	v_xor_b32_e32 v107, 0x80000000, v2
	v_add_nc_u32_e32 v2, 0xd0, v105
	s_waitcnt vmcnt(0)
	ds_store_2addr_b32 v105, v107, v106 offset1:52
	s_waitcnt lgkmcnt(0)
	s_waitcnt_vscnt null, 0x0
	s_barrier
	buffer_gl0_inv
	s_and_saveexec_b32 s1, s0
	s_cbranch_execz .LBB50_15
; %bb.14:
	scratch_load_b32 v106, v1, off
	ds_load_b32 v107, v2
	v_mov_b32_e32 v108, 0
	ds_load_b32 v108, v108 offset:4
	s_waitcnt vmcnt(0) lgkmcnt(1)
	v_fma_f32 v106, v106, v107, 0
	s_waitcnt lgkmcnt(0)
	s_delay_alu instid0(VALU_DEP_1)
	v_mul_f32_e32 v106, v106, v108
	scratch_store_b32 off, v106, off offset:4
.LBB50_15:
	s_or_b32 exec_lo, exec_lo, s1
	s_waitcnt_vscnt null, 0x0
	s_barrier
	buffer_gl0_inv
	scratch_load_b32 v106, off, off offset:8
	s_mov_b32 s1, exec_lo
	s_waitcnt vmcnt(0)
	ds_store_b32 v2, v106
	s_waitcnt lgkmcnt(0)
	s_barrier
	buffer_gl0_inv
	v_cmpx_gt_u32_e32 2, v0
	s_cbranch_execz .LBB50_17
; %bb.16:
	scratch_load_b32 v108, v1, off
	scratch_load_b32 v109, off, off offset:4
	ds_load_b32 v110, v2
	v_mov_b32_e32 v106, 0
	ds_load_2addr_b32 v[106:107], v106 offset0:2 offset1:53
	s_waitcnt vmcnt(1) lgkmcnt(1)
	v_fma_f32 v108, v108, v110, 0
	s_waitcnt vmcnt(0) lgkmcnt(0)
	s_delay_alu instid0(VALU_DEP_1) | instskip(NEXT) | instid1(VALU_DEP_1)
	v_fma_f32 v107, v109, v107, v108
	v_cndmask_b32_e64 v107, v108, v107, s0
	s_delay_alu instid0(VALU_DEP_1)
	v_mul_f32_e32 v106, v107, v106
	scratch_store_b32 off, v106, off offset:8
.LBB50_17:
	s_or_b32 exec_lo, exec_lo, s1
	s_waitcnt_vscnt null, 0x0
	s_barrier
	buffer_gl0_inv
	scratch_load_b32 v107, off, off offset:12
	v_add_nc_u32_e32 v106, -1, v0
	s_mov_b32 s0, exec_lo
	s_waitcnt vmcnt(0)
	ds_store_b32 v2, v107
	s_waitcnt lgkmcnt(0)
	s_barrier
	buffer_gl0_inv
	v_cmpx_gt_u32_e32 3, v0
	s_cbranch_execz .LBB50_21
; %bb.18:
	v_dual_mov_b32 v107, 0 :: v_dual_add_nc_u32 v108, -1, v0
	v_add_nc_u32_e32 v109, 0xd0, v105
	v_add_nc_u32_e32 v110, 0, v105
	s_mov_b32 s1, 0
.LBB50_19:                              ; =>This Inner Loop Header: Depth=1
	scratch_load_b32 v111, v110, off
	ds_load_b32 v112, v109
	v_add_nc_u32_e32 v108, 1, v108
	v_add_nc_u32_e32 v109, 4, v109
	v_add_nc_u32_e32 v110, 4, v110
	s_delay_alu instid0(VALU_DEP_3)
	v_cmp_lt_u32_e32 vcc_lo, 1, v108
	s_or_b32 s1, vcc_lo, s1
	s_waitcnt vmcnt(0) lgkmcnt(0)
	v_fmac_f32_e32 v107, v111, v112
	s_and_not1_b32 exec_lo, exec_lo, s1
	s_cbranch_execnz .LBB50_19
; %bb.20:
	s_or_b32 exec_lo, exec_lo, s1
	v_mov_b32_e32 v108, 0
	ds_load_b32 v108, v108 offset:12
	s_waitcnt lgkmcnt(0)
	v_mul_f32_e32 v107, v107, v108
	scratch_store_b32 off, v107, off offset:12
.LBB50_21:
	s_or_b32 exec_lo, exec_lo, s0
	s_waitcnt_vscnt null, 0x0
	s_barrier
	buffer_gl0_inv
	scratch_load_b32 v107, off, off offset:16
	s_mov_b32 s0, exec_lo
	s_waitcnt vmcnt(0)
	ds_store_b32 v2, v107
	s_waitcnt lgkmcnt(0)
	s_barrier
	buffer_gl0_inv
	v_cmpx_gt_u32_e32 4, v0
	s_cbranch_execz .LBB50_25
; %bb.22:
	v_dual_mov_b32 v107, 0 :: v_dual_add_nc_u32 v108, -1, v0
	v_add_nc_u32_e32 v109, 0xd0, v105
	v_add_nc_u32_e32 v110, 0, v105
	s_mov_b32 s1, 0
.LBB50_23:                              ; =>This Inner Loop Header: Depth=1
	scratch_load_b32 v111, v110, off
	ds_load_b32 v112, v109
	v_add_nc_u32_e32 v108, 1, v108
	v_add_nc_u32_e32 v109, 4, v109
	v_add_nc_u32_e32 v110, 4, v110
	s_delay_alu instid0(VALU_DEP_3)
	v_cmp_lt_u32_e32 vcc_lo, 2, v108
	s_or_b32 s1, vcc_lo, s1
	s_waitcnt vmcnt(0) lgkmcnt(0)
	v_fmac_f32_e32 v107, v111, v112
	s_and_not1_b32 exec_lo, exec_lo, s1
	s_cbranch_execnz .LBB50_23
; %bb.24:
	s_or_b32 exec_lo, exec_lo, s1
	v_mov_b32_e32 v108, 0
	ds_load_b32 v108, v108 offset:16
	s_waitcnt lgkmcnt(0)
	v_mul_f32_e32 v107, v107, v108
	scratch_store_b32 off, v107, off offset:16
.LBB50_25:
	s_or_b32 exec_lo, exec_lo, s0
	s_waitcnt_vscnt null, 0x0
	s_barrier
	buffer_gl0_inv
	scratch_load_b32 v107, off, off offset:20
	;; [unrolled: 39-line block ×21, first 2 shown]
	s_mov_b32 s0, exec_lo
	s_waitcnt vmcnt(0)
	ds_store_b32 v2, v107
	s_waitcnt lgkmcnt(0)
	s_barrier
	buffer_gl0_inv
	v_cmpx_gt_u32_e32 24, v0
	s_cbranch_execz .LBB50_105
; %bb.102:
	v_dual_mov_b32 v107, 0 :: v_dual_add_nc_u32 v108, -1, v0
	v_add_nc_u32_e32 v109, 0xd0, v105
	v_add_nc_u32_e32 v110, 0, v105
	s_mov_b32 s1, 0
.LBB50_103:                             ; =>This Inner Loop Header: Depth=1
	scratch_load_b32 v111, v110, off
	ds_load_b32 v112, v109
	v_add_nc_u32_e32 v108, 1, v108
	v_add_nc_u32_e32 v109, 4, v109
	v_add_nc_u32_e32 v110, 4, v110
	s_delay_alu instid0(VALU_DEP_3)
	v_cmp_lt_u32_e32 vcc_lo, 22, v108
	s_or_b32 s1, vcc_lo, s1
	s_waitcnt vmcnt(0) lgkmcnt(0)
	v_fmac_f32_e32 v107, v111, v112
	s_and_not1_b32 exec_lo, exec_lo, s1
	s_cbranch_execnz .LBB50_103
; %bb.104:
	s_or_b32 exec_lo, exec_lo, s1
	v_mov_b32_e32 v108, 0
	ds_load_b32 v108, v108 offset:96
	s_waitcnt lgkmcnt(0)
	v_mul_f32_e32 v107, v107, v108
	scratch_store_b32 off, v107, off offset:96
.LBB50_105:
	s_or_b32 exec_lo, exec_lo, s0
	s_waitcnt_vscnt null, 0x0
	s_barrier
	buffer_gl0_inv
	scratch_load_b32 v107, off, off offset:100
	s_mov_b32 s0, exec_lo
	s_waitcnt vmcnt(0)
	ds_store_b32 v2, v107
	s_waitcnt lgkmcnt(0)
	s_barrier
	buffer_gl0_inv
	v_cmpx_gt_u32_e32 25, v0
	s_cbranch_execz .LBB50_109
; %bb.106:
	v_dual_mov_b32 v107, 0 :: v_dual_add_nc_u32 v108, -1, v0
	v_add_nc_u32_e32 v109, 0xd0, v105
	v_add_nc_u32_e32 v110, 0, v105
	s_mov_b32 s1, 0
.LBB50_107:                             ; =>This Inner Loop Header: Depth=1
	scratch_load_b32 v111, v110, off
	ds_load_b32 v112, v109
	v_add_nc_u32_e32 v108, 1, v108
	v_add_nc_u32_e32 v109, 4, v109
	v_add_nc_u32_e32 v110, 4, v110
	s_delay_alu instid0(VALU_DEP_3)
	v_cmp_lt_u32_e32 vcc_lo, 23, v108
	s_or_b32 s1, vcc_lo, s1
	s_waitcnt vmcnt(0) lgkmcnt(0)
	v_fmac_f32_e32 v107, v111, v112
	s_and_not1_b32 exec_lo, exec_lo, s1
	s_cbranch_execnz .LBB50_107
; %bb.108:
	s_or_b32 exec_lo, exec_lo, s1
	v_mov_b32_e32 v108, 0
	ds_load_b32 v108, v108 offset:100
	s_waitcnt lgkmcnt(0)
	v_mul_f32_e32 v107, v107, v108
	scratch_store_b32 off, v107, off offset:100
.LBB50_109:
	s_or_b32 exec_lo, exec_lo, s0
	s_waitcnt_vscnt null, 0x0
	s_barrier
	buffer_gl0_inv
	scratch_load_b32 v107, off, off offset:104
	;; [unrolled: 39-line block ×25, first 2 shown]
	s_mov_b32 s0, exec_lo
	s_waitcnt vmcnt(0)
	ds_store_b32 v2, v107
	s_waitcnt lgkmcnt(0)
	s_barrier
	buffer_gl0_inv
	v_cmpx_gt_u32_e32 49, v0
	s_cbranch_execz .LBB50_205
; %bb.202:
	v_add_nc_u32_e32 v107, -1, v0
	v_add_nc_u32_e32 v108, 0xd0, v105
	v_add_nc_u32_e32 v109, 0, v105
	v_mov_b32_e32 v105, 0
	s_mov_b32 s1, 0
.LBB50_203:                             ; =>This Inner Loop Header: Depth=1
	scratch_load_b32 v110, v109, off
	ds_load_b32 v111, v108
	v_add_nc_u32_e32 v107, 1, v107
	v_add_nc_u32_e32 v108, 4, v108
	;; [unrolled: 1-line block ×3, first 2 shown]
	s_delay_alu instid0(VALU_DEP_3)
	v_cmp_lt_u32_e32 vcc_lo, 47, v107
	s_or_b32 s1, vcc_lo, s1
	s_waitcnt vmcnt(0) lgkmcnt(0)
	v_fmac_f32_e32 v105, v110, v111
	s_and_not1_b32 exec_lo, exec_lo, s1
	s_cbranch_execnz .LBB50_203
; %bb.204:
	s_or_b32 exec_lo, exec_lo, s1
	v_mov_b32_e32 v107, 0
	ds_load_b32 v107, v107 offset:196
	s_waitcnt lgkmcnt(0)
	v_mul_f32_e32 v105, v105, v107
	scratch_store_b32 off, v105, off offset:196
.LBB50_205:
	s_or_b32 exec_lo, exec_lo, s0
	s_waitcnt_vscnt null, 0x0
	s_barrier
	buffer_gl0_inv
	scratch_load_b32 v105, off, off offset:200
	s_mov_b32 s0, exec_lo
	s_waitcnt vmcnt(0)
	ds_store_b32 v2, v105
	s_waitcnt lgkmcnt(0)
	s_barrier
	buffer_gl0_inv
	v_cmpx_ne_u32_e32 50, v0
	s_cbranch_execz .LBB50_209
; %bb.206:
	v_mov_b32_e32 v105, 0
	s_mov_b32 s1, 0
.LBB50_207:                             ; =>This Inner Loop Header: Depth=1
	scratch_load_b32 v107, v1, off
	ds_load_b32 v108, v2
	v_add_nc_u32_e32 v106, 1, v106
	v_add_nc_u32_e32 v2, 4, v2
	;; [unrolled: 1-line block ×3, first 2 shown]
	s_waitcnt vmcnt(0) lgkmcnt(0)
	v_fmac_f32_e32 v105, v107, v108
	v_cmp_lt_u32_e32 vcc_lo, 48, v106
	s_or_b32 s1, vcc_lo, s1
	s_delay_alu instid0(SALU_CYCLE_1)
	s_and_not1_b32 exec_lo, exec_lo, s1
	s_cbranch_execnz .LBB50_207
; %bb.208:
	s_or_b32 exec_lo, exec_lo, s1
	v_mov_b32_e32 v1, 0
	ds_load_b32 v1, v1 offset:200
	s_waitcnt lgkmcnt(0)
	v_mul_f32_e32 v1, v105, v1
	scratch_store_b32 off, v1, off offset:200
.LBB50_209:
	s_or_b32 exec_lo, exec_lo, s0
	s_mov_b32 s1, -1
	s_waitcnt_vscnt null, 0x0
	s_barrier
	buffer_gl0_inv
.LBB50_210:
	s_and_b32 vcc_lo, exec_lo, s1
	s_cbranch_vccz .LBB50_212
; %bb.211:
	s_lshl_b64 s[0:1], s[14:15], 2
	v_mov_b32_e32 v1, 0
	s_add_u32 s0, s6, s0
	s_addc_u32 s1, s7, s1
	global_load_b32 v1, v1, s[0:1]
	s_waitcnt vmcnt(0)
	v_cmp_ne_u32_e32 vcc_lo, 0, v1
	s_cbranch_vccz .LBB50_213
.LBB50_212:
	s_endpgm
.LBB50_213:
	v_lshl_add_u32 v1, v0, 2, 0xd0
	s_mov_b32 s0, exec_lo
	v_cmpx_eq_u32_e32 50, v0
	s_cbranch_execz .LBB50_215
; %bb.214:
	scratch_load_b32 v2, off, off offset:196
	v_mov_b32_e32 v105, 0
	scratch_store_b32 off, v105, off offset:196
	s_waitcnt vmcnt(0)
	ds_store_b32 v1, v2
.LBB50_215:
	s_or_b32 exec_lo, exec_lo, s0
	s_waitcnt lgkmcnt(0)
	s_waitcnt_vscnt null, 0x0
	s_barrier
	buffer_gl0_inv
	scratch_load_b64 v[105:106], off, off offset:196
	v_mov_b32_e32 v2, 0
	s_mov_b32 s0, exec_lo
	ds_load_b32 v107, v2 offset:408
	s_waitcnt vmcnt(0) lgkmcnt(0)
	v_fma_f32 v106, v106, v107, 0
	s_delay_alu instid0(VALU_DEP_1)
	v_sub_f32_e32 v105, v105, v106
	scratch_store_b32 off, v105, off offset:196
	v_cmpx_lt_u32_e32 48, v0
	s_cbranch_execz .LBB50_217
; %bb.216:
	scratch_load_b32 v105, off, off offset:192
	scratch_store_b32 off, v2, off offset:192
	s_waitcnt vmcnt(0)
	ds_store_b32 v1, v105
.LBB50_217:
	s_or_b32 exec_lo, exec_lo, s0
	s_waitcnt lgkmcnt(0)
	s_waitcnt_vscnt null, 0x0
	s_barrier
	buffer_gl0_inv
	scratch_load_b96 v[105:107], off, off offset:192
	ds_load_2addr_b32 v[108:109], v2 offset0:101 offset1:102
	s_mov_b32 s0, exec_lo
	s_waitcnt vmcnt(0) lgkmcnt(0)
	v_fma_f32 v2, v106, v108, 0
	s_delay_alu instid0(VALU_DEP_1) | instskip(NEXT) | instid1(VALU_DEP_1)
	v_fmac_f32_e32 v2, v107, v109
	v_sub_f32_e32 v2, v105, v2
	scratch_store_b32 off, v2, off offset:192
	v_cmpx_lt_u32_e32 47, v0
	s_cbranch_execz .LBB50_219
; %bb.218:
	scratch_load_b32 v2, off, off offset:188
	v_mov_b32_e32 v105, 0
	scratch_store_b32 off, v105, off offset:188
	s_waitcnt vmcnt(0)
	ds_store_b32 v1, v2
.LBB50_219:
	s_or_b32 exec_lo, exec_lo, s0
	s_waitcnt lgkmcnt(0)
	s_waitcnt_vscnt null, 0x0
	s_barrier
	buffer_gl0_inv
	scratch_load_b128 v[105:108], off, off offset:188
	v_mov_b32_e32 v2, 0
	s_mov_b32 s0, exec_lo
	ds_load_b96 v[109:111], v2 offset:400
	s_waitcnt vmcnt(0) lgkmcnt(0)
	v_fma_f32 v106, v106, v109, 0
	s_delay_alu instid0(VALU_DEP_1) | instskip(NEXT) | instid1(VALU_DEP_1)
	v_fmac_f32_e32 v106, v107, v110
	v_fmac_f32_e32 v106, v108, v111
	s_delay_alu instid0(VALU_DEP_1)
	v_sub_f32_e32 v105, v105, v106
	scratch_store_b32 off, v105, off offset:188
	v_cmpx_lt_u32_e32 46, v0
	s_cbranch_execz .LBB50_221
; %bb.220:
	scratch_load_b32 v105, off, off offset:184
	scratch_store_b32 off, v2, off offset:184
	s_waitcnt vmcnt(0)
	ds_store_b32 v1, v105
.LBB50_221:
	s_or_b32 exec_lo, exec_lo, s0
	s_waitcnt lgkmcnt(0)
	s_waitcnt_vscnt null, 0x0
	s_barrier
	buffer_gl0_inv
	s_clause 0x1
	scratch_load_b128 v[105:108], off, off offset:184
	scratch_load_b32 v113, off, off offset:200
	ds_load_2addr_b32 v[109:110], v2 offset0:99 offset1:100
	ds_load_2addr_b32 v[111:112], v2 offset0:101 offset1:102
	s_mov_b32 s0, exec_lo
	s_waitcnt vmcnt(1) lgkmcnt(1)
	v_fma_f32 v2, v106, v109, 0
	s_delay_alu instid0(VALU_DEP_1) | instskip(SKIP_1) | instid1(VALU_DEP_1)
	v_fmac_f32_e32 v2, v107, v110
	s_waitcnt lgkmcnt(0)
	v_fmac_f32_e32 v2, v108, v111
	s_waitcnt vmcnt(0)
	s_delay_alu instid0(VALU_DEP_1) | instskip(NEXT) | instid1(VALU_DEP_1)
	v_fmac_f32_e32 v2, v113, v112
	v_sub_f32_e32 v2, v105, v2
	scratch_store_b32 off, v2, off offset:184
	v_cmpx_lt_u32_e32 45, v0
	s_cbranch_execz .LBB50_223
; %bb.222:
	scratch_load_b32 v2, off, off offset:180
	v_mov_b32_e32 v105, 0
	scratch_store_b32 off, v105, off offset:180
	s_waitcnt vmcnt(0)
	ds_store_b32 v1, v2
.LBB50_223:
	s_or_b32 exec_lo, exec_lo, s0
	s_waitcnt lgkmcnt(0)
	s_waitcnt_vscnt null, 0x0
	s_barrier
	buffer_gl0_inv
	s_clause 0x1
	scratch_load_b128 v[105:108], off, off offset:180
	scratch_load_b64 v[113:114], off, off offset:196
	v_mov_b32_e32 v2, 0
	ds_load_2addr_b64 v[109:112], v2 offset0:49 offset1:50
	ds_load_b32 v115, v2 offset:408
	s_mov_b32 s0, exec_lo
	s_waitcnt vmcnt(1) lgkmcnt(1)
	v_fma_f32 v106, v106, v109, 0
	s_delay_alu instid0(VALU_DEP_1) | instskip(NEXT) | instid1(VALU_DEP_1)
	v_fmac_f32_e32 v106, v107, v110
	v_fmac_f32_e32 v106, v108, v111
	s_waitcnt vmcnt(0)
	s_delay_alu instid0(VALU_DEP_1) | instskip(SKIP_1) | instid1(VALU_DEP_1)
	v_fmac_f32_e32 v106, v113, v112
	s_waitcnt lgkmcnt(0)
	v_fmac_f32_e32 v106, v114, v115
	s_delay_alu instid0(VALU_DEP_1)
	v_sub_f32_e32 v105, v105, v106
	scratch_store_b32 off, v105, off offset:180
	v_cmpx_lt_u32_e32 44, v0
	s_cbranch_execz .LBB50_225
; %bb.224:
	scratch_load_b32 v105, off, off offset:176
	scratch_store_b32 off, v2, off offset:176
	s_waitcnt vmcnt(0)
	ds_store_b32 v1, v105
.LBB50_225:
	s_or_b32 exec_lo, exec_lo, s0
	s_waitcnt lgkmcnt(0)
	s_waitcnt_vscnt null, 0x0
	s_barrier
	buffer_gl0_inv
	s_clause 0x1
	scratch_load_b128 v[105:108], off, off offset:176
	scratch_load_b96 v[109:111], off, off offset:192
	ds_load_2addr_b32 v[112:113], v2 offset0:97 offset1:98
	ds_load_2addr_b32 v[114:115], v2 offset0:99 offset1:100
	;; [unrolled: 1-line block ×3, first 2 shown]
	s_mov_b32 s0, exec_lo
	s_waitcnt vmcnt(1) lgkmcnt(2)
	v_fma_f32 v2, v106, v112, 0
	s_delay_alu instid0(VALU_DEP_1) | instskip(SKIP_1) | instid1(VALU_DEP_1)
	v_fmac_f32_e32 v2, v107, v113
	s_waitcnt lgkmcnt(1)
	v_fmac_f32_e32 v2, v108, v114
	s_waitcnt vmcnt(0)
	s_delay_alu instid0(VALU_DEP_1) | instskip(SKIP_1) | instid1(VALU_DEP_1)
	v_fmac_f32_e32 v2, v109, v115
	s_waitcnt lgkmcnt(0)
	v_fmac_f32_e32 v2, v110, v116
	s_delay_alu instid0(VALU_DEP_1) | instskip(NEXT) | instid1(VALU_DEP_1)
	v_fmac_f32_e32 v2, v111, v117
	v_sub_f32_e32 v2, v105, v2
	scratch_store_b32 off, v2, off offset:176
	v_cmpx_lt_u32_e32 43, v0
	s_cbranch_execz .LBB50_227
; %bb.226:
	scratch_load_b32 v2, off, off offset:172
	v_mov_b32_e32 v105, 0
	scratch_store_b32 off, v105, off offset:172
	s_waitcnt vmcnt(0)
	ds_store_b32 v1, v2
.LBB50_227:
	s_or_b32 exec_lo, exec_lo, s0
	s_waitcnt lgkmcnt(0)
	s_waitcnt_vscnt null, 0x0
	s_barrier
	buffer_gl0_inv
	s_clause 0x1
	scratch_load_b128 v[105:108], off, off offset:172
	scratch_load_b128 v[109:112], off, off offset:188
	v_mov_b32_e32 v2, 0
	ds_load_b128 v[113:116], v2 offset:384
	ds_load_b96 v[117:119], v2 offset:400
	s_mov_b32 s0, exec_lo
	s_waitcnt vmcnt(1) lgkmcnt(1)
	v_fma_f32 v106, v106, v113, 0
	s_delay_alu instid0(VALU_DEP_1) | instskip(NEXT) | instid1(VALU_DEP_1)
	v_fmac_f32_e32 v106, v107, v114
	v_fmac_f32_e32 v106, v108, v115
	s_waitcnt vmcnt(0)
	s_delay_alu instid0(VALU_DEP_1) | instskip(SKIP_1) | instid1(VALU_DEP_1)
	v_fmac_f32_e32 v106, v109, v116
	s_waitcnt lgkmcnt(0)
	v_fmac_f32_e32 v106, v110, v117
	s_delay_alu instid0(VALU_DEP_1) | instskip(NEXT) | instid1(VALU_DEP_1)
	v_fmac_f32_e32 v106, v111, v118
	v_fmac_f32_e32 v106, v112, v119
	s_delay_alu instid0(VALU_DEP_1)
	v_sub_f32_e32 v105, v105, v106
	scratch_store_b32 off, v105, off offset:172
	v_cmpx_lt_u32_e32 42, v0
	s_cbranch_execz .LBB50_229
; %bb.228:
	scratch_load_b32 v105, off, off offset:168
	scratch_store_b32 off, v2, off offset:168
	s_waitcnt vmcnt(0)
	ds_store_b32 v1, v105
.LBB50_229:
	s_or_b32 exec_lo, exec_lo, s0
	s_waitcnt lgkmcnt(0)
	s_waitcnt_vscnt null, 0x0
	s_barrier
	buffer_gl0_inv
	s_clause 0x2
	scratch_load_b128 v[105:108], off, off offset:168
	scratch_load_b128 v[109:112], off, off offset:184
	scratch_load_b32 v121, off, off offset:200
	ds_load_2addr_b32 v[113:114], v2 offset0:95 offset1:96
	ds_load_2addr_b32 v[115:116], v2 offset0:97 offset1:98
	;; [unrolled: 1-line block ×4, first 2 shown]
	s_mov_b32 s0, exec_lo
	s_waitcnt vmcnt(2) lgkmcnt(3)
	v_fma_f32 v2, v106, v113, 0
	s_delay_alu instid0(VALU_DEP_1) | instskip(SKIP_1) | instid1(VALU_DEP_1)
	v_fmac_f32_e32 v2, v107, v114
	s_waitcnt lgkmcnt(2)
	v_fmac_f32_e32 v2, v108, v115
	s_waitcnt vmcnt(1)
	s_delay_alu instid0(VALU_DEP_1) | instskip(SKIP_1) | instid1(VALU_DEP_1)
	v_fmac_f32_e32 v2, v109, v116
	s_waitcnt lgkmcnt(1)
	v_fmac_f32_e32 v2, v110, v117
	s_delay_alu instid0(VALU_DEP_1) | instskip(SKIP_1) | instid1(VALU_DEP_1)
	v_fmac_f32_e32 v2, v111, v118
	s_waitcnt lgkmcnt(0)
	v_fmac_f32_e32 v2, v112, v119
	s_waitcnt vmcnt(0)
	s_delay_alu instid0(VALU_DEP_1) | instskip(NEXT) | instid1(VALU_DEP_1)
	v_fmac_f32_e32 v2, v121, v120
	v_sub_f32_e32 v2, v105, v2
	scratch_store_b32 off, v2, off offset:168
	v_cmpx_lt_u32_e32 41, v0
	s_cbranch_execz .LBB50_231
; %bb.230:
	scratch_load_b32 v2, off, off offset:164
	v_mov_b32_e32 v105, 0
	scratch_store_b32 off, v105, off offset:164
	s_waitcnt vmcnt(0)
	ds_store_b32 v1, v2
.LBB50_231:
	s_or_b32 exec_lo, exec_lo, s0
	s_waitcnt lgkmcnt(0)
	s_waitcnt_vscnt null, 0x0
	s_barrier
	buffer_gl0_inv
	s_clause 0x2
	scratch_load_b128 v[105:108], off, off offset:164
	scratch_load_b128 v[109:112], off, off offset:180
	scratch_load_b64 v[121:122], off, off offset:196
	v_mov_b32_e32 v2, 0
	ds_load_2addr_b64 v[113:116], v2 offset0:47 offset1:48
	ds_load_2addr_b64 v[117:120], v2 offset0:49 offset1:50
	s_mov_b32 s0, exec_lo
	s_waitcnt vmcnt(2) lgkmcnt(1)
	v_fma_f32 v106, v106, v113, 0
	s_delay_alu instid0(VALU_DEP_1) | instskip(SKIP_3) | instid1(VALU_DEP_1)
	v_fmac_f32_e32 v106, v107, v114
	ds_load_b32 v107, v2 offset:408
	v_fmac_f32_e32 v106, v108, v115
	s_waitcnt vmcnt(1)
	v_fmac_f32_e32 v106, v109, v116
	s_waitcnt lgkmcnt(1)
	s_delay_alu instid0(VALU_DEP_1) | instskip(NEXT) | instid1(VALU_DEP_1)
	v_fmac_f32_e32 v106, v110, v117
	v_fmac_f32_e32 v106, v111, v118
	s_delay_alu instid0(VALU_DEP_1) | instskip(SKIP_1) | instid1(VALU_DEP_1)
	v_fmac_f32_e32 v106, v112, v119
	s_waitcnt vmcnt(0)
	v_fmac_f32_e32 v106, v121, v120
	s_waitcnt lgkmcnt(0)
	s_delay_alu instid0(VALU_DEP_1) | instskip(NEXT) | instid1(VALU_DEP_1)
	v_fmac_f32_e32 v106, v122, v107
	v_sub_f32_e32 v105, v105, v106
	scratch_store_b32 off, v105, off offset:164
	v_cmpx_lt_u32_e32 40, v0
	s_cbranch_execz .LBB50_233
; %bb.232:
	scratch_load_b32 v105, off, off offset:160
	scratch_store_b32 off, v2, off offset:160
	s_waitcnt vmcnt(0)
	ds_store_b32 v1, v105
.LBB50_233:
	s_or_b32 exec_lo, exec_lo, s0
	s_waitcnt lgkmcnt(0)
	s_waitcnt_vscnt null, 0x0
	s_barrier
	buffer_gl0_inv
	s_clause 0x2
	scratch_load_b128 v[105:108], off, off offset:160
	scratch_load_b128 v[109:112], off, off offset:176
	scratch_load_b96 v[113:115], off, off offset:192
	ds_load_2addr_b32 v[116:117], v2 offset0:93 offset1:94
	ds_load_2addr_b32 v[118:119], v2 offset0:95 offset1:96
	;; [unrolled: 1-line block ×4, first 2 shown]
	s_mov_b32 s0, exec_lo
	s_waitcnt vmcnt(2) lgkmcnt(3)
	v_fma_f32 v116, v106, v116, 0
	s_delay_alu instid0(VALU_DEP_1) | instskip(SKIP_4) | instid1(VALU_DEP_1)
	v_fmac_f32_e32 v116, v107, v117
	ds_load_2addr_b32 v[106:107], v2 offset0:101 offset1:102
	s_waitcnt lgkmcnt(3)
	v_fmac_f32_e32 v116, v108, v118
	s_waitcnt vmcnt(1)
	v_fmac_f32_e32 v116, v109, v119
	s_waitcnt lgkmcnt(2)
	s_delay_alu instid0(VALU_DEP_1) | instskip(NEXT) | instid1(VALU_DEP_1)
	v_fmac_f32_e32 v116, v110, v120
	v_fmac_f32_e32 v116, v111, v121
	s_waitcnt lgkmcnt(1)
	s_delay_alu instid0(VALU_DEP_1) | instskip(SKIP_1) | instid1(VALU_DEP_1)
	v_fmac_f32_e32 v116, v112, v122
	s_waitcnt vmcnt(0)
	v_fmac_f32_e32 v116, v113, v123
	s_waitcnt lgkmcnt(0)
	s_delay_alu instid0(VALU_DEP_1) | instskip(NEXT) | instid1(VALU_DEP_1)
	v_fmac_f32_e32 v116, v114, v106
	v_fmac_f32_e32 v116, v115, v107
	s_delay_alu instid0(VALU_DEP_1)
	v_sub_f32_e32 v2, v105, v116
	scratch_store_b32 off, v2, off offset:160
	v_cmpx_lt_u32_e32 39, v0
	s_cbranch_execz .LBB50_235
; %bb.234:
	scratch_load_b32 v2, off, off offset:156
	v_mov_b32_e32 v105, 0
	scratch_store_b32 off, v105, off offset:156
	s_waitcnt vmcnt(0)
	ds_store_b32 v1, v2
.LBB50_235:
	s_or_b32 exec_lo, exec_lo, s0
	s_waitcnt lgkmcnt(0)
	s_waitcnt_vscnt null, 0x0
	s_barrier
	buffer_gl0_inv
	s_clause 0x2
	scratch_load_b128 v[105:108], off, off offset:156
	scratch_load_b128 v[109:112], off, off offset:172
	;; [unrolled: 1-line block ×3, first 2 shown]
	v_mov_b32_e32 v2, 0
	ds_load_b128 v[117:120], v2 offset:368
	ds_load_b128 v[121:124], v2 offset:384
	s_mov_b32 s0, exec_lo
	s_waitcnt vmcnt(2) lgkmcnt(1)
	v_fma_f32 v117, v106, v117, 0
	s_delay_alu instid0(VALU_DEP_1) | instskip(NEXT) | instid1(VALU_DEP_1)
	v_fmac_f32_e32 v117, v107, v118
	v_fmac_f32_e32 v117, v108, v119
	ds_load_b96 v[106:108], v2 offset:400
	s_waitcnt vmcnt(1)
	v_fmac_f32_e32 v117, v109, v120
	s_waitcnt lgkmcnt(1)
	s_delay_alu instid0(VALU_DEP_1) | instskip(NEXT) | instid1(VALU_DEP_1)
	v_fmac_f32_e32 v117, v110, v121
	v_fmac_f32_e32 v117, v111, v122
	s_delay_alu instid0(VALU_DEP_1) | instskip(SKIP_1) | instid1(VALU_DEP_1)
	v_fmac_f32_e32 v117, v112, v123
	s_waitcnt vmcnt(0)
	v_fmac_f32_e32 v117, v113, v124
	s_waitcnt lgkmcnt(0)
	s_delay_alu instid0(VALU_DEP_1) | instskip(NEXT) | instid1(VALU_DEP_1)
	v_fmac_f32_e32 v117, v114, v106
	v_fmac_f32_e32 v117, v115, v107
	s_delay_alu instid0(VALU_DEP_1) | instskip(NEXT) | instid1(VALU_DEP_1)
	v_fmac_f32_e32 v117, v116, v108
	v_sub_f32_e32 v105, v105, v117
	scratch_store_b32 off, v105, off offset:156
	v_cmpx_lt_u32_e32 38, v0
	s_cbranch_execz .LBB50_237
; %bb.236:
	scratch_load_b32 v105, off, off offset:152
	scratch_store_b32 off, v2, off offset:152
	s_waitcnt vmcnt(0)
	ds_store_b32 v1, v105
.LBB50_237:
	s_or_b32 exec_lo, exec_lo, s0
	s_waitcnt lgkmcnt(0)
	s_waitcnt_vscnt null, 0x0
	s_barrier
	buffer_gl0_inv
	s_clause 0x3
	scratch_load_b128 v[105:108], off, off offset:152
	scratch_load_b128 v[109:112], off, off offset:168
	;; [unrolled: 1-line block ×3, first 2 shown]
	scratch_load_b32 v125, off, off offset:200
	ds_load_2addr_b32 v[117:118], v2 offset0:91 offset1:92
	ds_load_2addr_b32 v[119:120], v2 offset0:93 offset1:94
	;; [unrolled: 1-line block ×4, first 2 shown]
	s_mov_b32 s0, exec_lo
	s_waitcnt vmcnt(3) lgkmcnt(3)
	v_fma_f32 v117, v106, v117, 0
	s_delay_alu instid0(VALU_DEP_1) | instskip(SKIP_4) | instid1(VALU_DEP_1)
	v_fmac_f32_e32 v117, v107, v118
	ds_load_2addr_b32 v[106:107], v2 offset0:99 offset1:100
	s_waitcnt lgkmcnt(3)
	v_fmac_f32_e32 v117, v108, v119
	s_waitcnt vmcnt(2)
	v_fmac_f32_e32 v117, v109, v120
	ds_load_2addr_b32 v[108:109], v2 offset0:101 offset1:102
	s_waitcnt lgkmcnt(3)
	v_fmac_f32_e32 v117, v110, v121
	s_delay_alu instid0(VALU_DEP_1) | instskip(SKIP_1) | instid1(VALU_DEP_1)
	v_fmac_f32_e32 v117, v111, v122
	s_waitcnt lgkmcnt(2)
	v_fmac_f32_e32 v117, v112, v123
	s_waitcnt vmcnt(1)
	s_delay_alu instid0(VALU_DEP_1) | instskip(SKIP_1) | instid1(VALU_DEP_1)
	v_fmac_f32_e32 v117, v113, v124
	s_waitcnt lgkmcnt(1)
	v_fmac_f32_e32 v117, v114, v106
	s_delay_alu instid0(VALU_DEP_1) | instskip(SKIP_1) | instid1(VALU_DEP_1)
	v_fmac_f32_e32 v117, v115, v107
	s_waitcnt lgkmcnt(0)
	v_fmac_f32_e32 v117, v116, v108
	s_waitcnt vmcnt(0)
	s_delay_alu instid0(VALU_DEP_1) | instskip(NEXT) | instid1(VALU_DEP_1)
	v_fmac_f32_e32 v117, v125, v109
	v_sub_f32_e32 v2, v105, v117
	scratch_store_b32 off, v2, off offset:152
	v_cmpx_lt_u32_e32 37, v0
	s_cbranch_execz .LBB50_239
; %bb.238:
	scratch_load_b32 v2, off, off offset:148
	v_mov_b32_e32 v105, 0
	scratch_store_b32 off, v105, off offset:148
	s_waitcnt vmcnt(0)
	ds_store_b32 v1, v2
.LBB50_239:
	s_or_b32 exec_lo, exec_lo, s0
	s_waitcnt lgkmcnt(0)
	s_waitcnt_vscnt null, 0x0
	s_barrier
	buffer_gl0_inv
	s_clause 0x3
	scratch_load_b128 v[105:108], off, off offset:148
	scratch_load_b128 v[109:112], off, off offset:164
	;; [unrolled: 1-line block ×3, first 2 shown]
	scratch_load_b64 v[125:126], off, off offset:196
	v_mov_b32_e32 v2, 0
	ds_load_2addr_b64 v[117:120], v2 offset0:45 offset1:46
	ds_load_2addr_b64 v[121:124], v2 offset0:47 offset1:48
	s_mov_b32 s0, exec_lo
	s_waitcnt vmcnt(3) lgkmcnt(1)
	v_fma_f32 v117, v106, v117, 0
	s_delay_alu instid0(VALU_DEP_1) | instskip(NEXT) | instid1(VALU_DEP_1)
	v_fmac_f32_e32 v117, v107, v118
	v_fmac_f32_e32 v117, v108, v119
	s_waitcnt vmcnt(2)
	s_delay_alu instid0(VALU_DEP_1)
	v_fmac_f32_e32 v117, v109, v120
	ds_load_2addr_b64 v[106:109], v2 offset0:49 offset1:50
	s_waitcnt lgkmcnt(1)
	v_fmac_f32_e32 v117, v110, v121
	ds_load_b32 v110, v2 offset:408
	v_fmac_f32_e32 v117, v111, v122
	s_delay_alu instid0(VALU_DEP_1) | instskip(SKIP_1) | instid1(VALU_DEP_1)
	v_fmac_f32_e32 v117, v112, v123
	s_waitcnt vmcnt(1)
	v_fmac_f32_e32 v117, v113, v124
	s_waitcnt lgkmcnt(1)
	s_delay_alu instid0(VALU_DEP_1) | instskip(NEXT) | instid1(VALU_DEP_1)
	v_fmac_f32_e32 v117, v114, v106
	v_fmac_f32_e32 v117, v115, v107
	s_delay_alu instid0(VALU_DEP_1) | instskip(SKIP_1) | instid1(VALU_DEP_1)
	v_fmac_f32_e32 v117, v116, v108
	s_waitcnt vmcnt(0)
	v_fmac_f32_e32 v117, v125, v109
	s_waitcnt lgkmcnt(0)
	s_delay_alu instid0(VALU_DEP_1) | instskip(NEXT) | instid1(VALU_DEP_1)
	v_fmac_f32_e32 v117, v126, v110
	v_sub_f32_e32 v105, v105, v117
	scratch_store_b32 off, v105, off offset:148
	v_cmpx_lt_u32_e32 36, v0
	s_cbranch_execz .LBB50_241
; %bb.240:
	scratch_load_b32 v105, off, off offset:144
	scratch_store_b32 off, v2, off offset:144
	s_waitcnt vmcnt(0)
	ds_store_b32 v1, v105
.LBB50_241:
	s_or_b32 exec_lo, exec_lo, s0
	s_waitcnt lgkmcnt(0)
	s_waitcnt_vscnt null, 0x0
	s_barrier
	buffer_gl0_inv
	s_clause 0x3
	scratch_load_b128 v[105:108], off, off offset:144
	scratch_load_b128 v[109:112], off, off offset:160
	;; [unrolled: 1-line block ×3, first 2 shown]
	scratch_load_b96 v[117:119], off, off offset:192
	ds_load_2addr_b32 v[120:121], v2 offset0:89 offset1:90
	ds_load_2addr_b32 v[122:123], v2 offset0:91 offset1:92
	;; [unrolled: 1-line block ×4, first 2 shown]
	s_mov_b32 s0, exec_lo
	s_waitcnt vmcnt(3) lgkmcnt(3)
	v_fma_f32 v120, v106, v120, 0
	s_delay_alu instid0(VALU_DEP_1) | instskip(SKIP_4) | instid1(VALU_DEP_1)
	v_fmac_f32_e32 v120, v107, v121
	ds_load_2addr_b32 v[106:107], v2 offset0:97 offset1:98
	s_waitcnt lgkmcnt(3)
	v_fmac_f32_e32 v120, v108, v122
	s_waitcnt vmcnt(2)
	v_fmac_f32_e32 v120, v109, v123
	ds_load_2addr_b32 v[108:109], v2 offset0:99 offset1:100
	s_waitcnt lgkmcnt(3)
	v_fmac_f32_e32 v120, v110, v124
	s_delay_alu instid0(VALU_DEP_1) | instskip(SKIP_4) | instid1(VALU_DEP_1)
	v_fmac_f32_e32 v120, v111, v125
	ds_load_2addr_b32 v[110:111], v2 offset0:101 offset1:102
	s_waitcnt lgkmcnt(3)
	v_fmac_f32_e32 v120, v112, v126
	s_waitcnt vmcnt(1)
	v_fmac_f32_e32 v120, v113, v127
	s_waitcnt lgkmcnt(2)
	s_delay_alu instid0(VALU_DEP_1) | instskip(NEXT) | instid1(VALU_DEP_1)
	v_fmac_f32_e32 v120, v114, v106
	v_fmac_f32_e32 v120, v115, v107
	s_waitcnt lgkmcnt(1)
	s_delay_alu instid0(VALU_DEP_1) | instskip(SKIP_1) | instid1(VALU_DEP_1)
	v_fmac_f32_e32 v120, v116, v108
	s_waitcnt vmcnt(0)
	v_fmac_f32_e32 v120, v117, v109
	s_waitcnt lgkmcnt(0)
	s_delay_alu instid0(VALU_DEP_1) | instskip(NEXT) | instid1(VALU_DEP_1)
	v_fmac_f32_e32 v120, v118, v110
	v_fmac_f32_e32 v120, v119, v111
	s_delay_alu instid0(VALU_DEP_1)
	v_sub_f32_e32 v2, v105, v120
	scratch_store_b32 off, v2, off offset:144
	v_cmpx_lt_u32_e32 35, v0
	s_cbranch_execz .LBB50_243
; %bb.242:
	scratch_load_b32 v2, off, off offset:140
	v_mov_b32_e32 v105, 0
	scratch_store_b32 off, v105, off offset:140
	s_waitcnt vmcnt(0)
	ds_store_b32 v1, v2
.LBB50_243:
	s_or_b32 exec_lo, exec_lo, s0
	s_waitcnt lgkmcnt(0)
	s_waitcnt_vscnt null, 0x0
	s_barrier
	buffer_gl0_inv
	s_clause 0x3
	scratch_load_b128 v[105:108], off, off offset:140
	scratch_load_b128 v[109:112], off, off offset:156
	;; [unrolled: 1-line block ×4, first 2 shown]
	v_mov_b32_e32 v2, 0
	ds_load_b128 v[121:124], v2 offset:352
	ds_load_b128 v[125:128], v2 offset:368
	s_mov_b32 s0, exec_lo
	s_waitcnt vmcnt(3) lgkmcnt(1)
	v_fma_f32 v121, v106, v121, 0
	s_delay_alu instid0(VALU_DEP_1) | instskip(NEXT) | instid1(VALU_DEP_1)
	v_fmac_f32_e32 v121, v107, v122
	v_fmac_f32_e32 v121, v108, v123
	s_waitcnt vmcnt(2)
	s_delay_alu instid0(VALU_DEP_1) | instskip(SKIP_3) | instid1(VALU_DEP_1)
	v_fmac_f32_e32 v121, v109, v124
	ds_load_b128 v[106:109], v2 offset:384
	s_waitcnt lgkmcnt(1)
	v_fmac_f32_e32 v121, v110, v125
	v_fmac_f32_e32 v121, v111, v126
	s_delay_alu instid0(VALU_DEP_1) | instskip(SKIP_4) | instid1(VALU_DEP_1)
	v_fmac_f32_e32 v121, v112, v127
	ds_load_b96 v[110:112], v2 offset:400
	s_waitcnt vmcnt(1)
	v_fmac_f32_e32 v121, v113, v128
	s_waitcnt lgkmcnt(1)
	v_fmac_f32_e32 v121, v114, v106
	s_delay_alu instid0(VALU_DEP_1) | instskip(NEXT) | instid1(VALU_DEP_1)
	v_fmac_f32_e32 v121, v115, v107
	v_fmac_f32_e32 v121, v116, v108
	s_waitcnt vmcnt(0)
	s_delay_alu instid0(VALU_DEP_1) | instskip(SKIP_1) | instid1(VALU_DEP_1)
	v_fmac_f32_e32 v121, v117, v109
	s_waitcnt lgkmcnt(0)
	v_fmac_f32_e32 v121, v118, v110
	s_delay_alu instid0(VALU_DEP_1) | instskip(NEXT) | instid1(VALU_DEP_1)
	v_fmac_f32_e32 v121, v119, v111
	v_fmac_f32_e32 v121, v120, v112
	s_delay_alu instid0(VALU_DEP_1)
	v_sub_f32_e32 v105, v105, v121
	scratch_store_b32 off, v105, off offset:140
	v_cmpx_lt_u32_e32 34, v0
	s_cbranch_execz .LBB50_245
; %bb.244:
	scratch_load_b32 v105, off, off offset:136
	scratch_store_b32 off, v2, off offset:136
	s_waitcnt vmcnt(0)
	ds_store_b32 v1, v105
.LBB50_245:
	s_or_b32 exec_lo, exec_lo, s0
	s_waitcnt lgkmcnt(0)
	s_waitcnt_vscnt null, 0x0
	s_barrier
	buffer_gl0_inv
	s_clause 0x4
	scratch_load_b128 v[105:108], off, off offset:136
	scratch_load_b128 v[109:112], off, off offset:152
	;; [unrolled: 1-line block ×4, first 2 shown]
	scratch_load_b32 v129, off, off offset:200
	ds_load_2addr_b32 v[121:122], v2 offset0:87 offset1:88
	ds_load_2addr_b32 v[123:124], v2 offset0:89 offset1:90
	;; [unrolled: 1-line block ×4, first 2 shown]
	s_mov_b32 s0, exec_lo
	s_waitcnt vmcnt(4) lgkmcnt(3)
	v_fma_f32 v121, v106, v121, 0
	s_delay_alu instid0(VALU_DEP_1) | instskip(SKIP_4) | instid1(VALU_DEP_1)
	v_fmac_f32_e32 v121, v107, v122
	ds_load_2addr_b32 v[106:107], v2 offset0:95 offset1:96
	s_waitcnt lgkmcnt(3)
	v_fmac_f32_e32 v121, v108, v123
	s_waitcnt vmcnt(3)
	v_fmac_f32_e32 v121, v109, v124
	ds_load_2addr_b32 v[108:109], v2 offset0:97 offset1:98
	s_waitcnt lgkmcnt(3)
	v_fmac_f32_e32 v121, v110, v125
	s_delay_alu instid0(VALU_DEP_1) | instskip(SKIP_1) | instid1(VALU_DEP_1)
	v_fmac_f32_e32 v121, v111, v126
	s_waitcnt lgkmcnt(2)
	v_fmac_f32_e32 v121, v112, v127
	s_waitcnt vmcnt(2)
	s_delay_alu instid0(VALU_DEP_1) | instskip(SKIP_4) | instid1(VALU_DEP_1)
	v_fmac_f32_e32 v121, v113, v128
	ds_load_2addr_b32 v[110:111], v2 offset0:99 offset1:100
	ds_load_2addr_b32 v[112:113], v2 offset0:101 offset1:102
	s_waitcnt lgkmcnt(3)
	v_fmac_f32_e32 v121, v114, v106
	v_fmac_f32_e32 v121, v115, v107
	s_waitcnt lgkmcnt(2)
	s_delay_alu instid0(VALU_DEP_1) | instskip(SKIP_1) | instid1(VALU_DEP_1)
	v_fmac_f32_e32 v121, v116, v108
	s_waitcnt vmcnt(1)
	v_fmac_f32_e32 v121, v117, v109
	s_waitcnt lgkmcnt(1)
	s_delay_alu instid0(VALU_DEP_1) | instskip(NEXT) | instid1(VALU_DEP_1)
	v_fmac_f32_e32 v121, v118, v110
	v_fmac_f32_e32 v121, v119, v111
	s_waitcnt lgkmcnt(0)
	s_delay_alu instid0(VALU_DEP_1) | instskip(SKIP_1) | instid1(VALU_DEP_1)
	v_fmac_f32_e32 v121, v120, v112
	s_waitcnt vmcnt(0)
	v_fmac_f32_e32 v121, v129, v113
	s_delay_alu instid0(VALU_DEP_1)
	v_sub_f32_e32 v2, v105, v121
	scratch_store_b32 off, v2, off offset:136
	v_cmpx_lt_u32_e32 33, v0
	s_cbranch_execz .LBB50_247
; %bb.246:
	scratch_load_b32 v2, off, off offset:132
	v_mov_b32_e32 v105, 0
	scratch_store_b32 off, v105, off offset:132
	s_waitcnt vmcnt(0)
	ds_store_b32 v1, v2
.LBB50_247:
	s_or_b32 exec_lo, exec_lo, s0
	s_waitcnt lgkmcnt(0)
	s_waitcnt_vscnt null, 0x0
	s_barrier
	buffer_gl0_inv
	s_clause 0x4
	scratch_load_b128 v[105:108], off, off offset:132
	scratch_load_b128 v[109:112], off, off offset:148
	;; [unrolled: 1-line block ×4, first 2 shown]
	scratch_load_b64 v[129:130], off, off offset:196
	v_mov_b32_e32 v2, 0
	ds_load_2addr_b64 v[121:124], v2 offset0:43 offset1:44
	ds_load_2addr_b64 v[125:128], v2 offset0:45 offset1:46
	s_mov_b32 s0, exec_lo
	s_waitcnt vmcnt(4) lgkmcnt(1)
	v_fma_f32 v121, v106, v121, 0
	s_delay_alu instid0(VALU_DEP_1) | instskip(NEXT) | instid1(VALU_DEP_1)
	v_fmac_f32_e32 v121, v107, v122
	v_fmac_f32_e32 v121, v108, v123
	s_waitcnt vmcnt(3)
	s_delay_alu instid0(VALU_DEP_1) | instskip(SKIP_3) | instid1(VALU_DEP_1)
	v_fmac_f32_e32 v121, v109, v124
	ds_load_2addr_b64 v[106:109], v2 offset0:47 offset1:48
	s_waitcnt lgkmcnt(1)
	v_fmac_f32_e32 v121, v110, v125
	v_fmac_f32_e32 v121, v111, v126
	s_delay_alu instid0(VALU_DEP_1) | instskip(SKIP_1) | instid1(VALU_DEP_1)
	v_fmac_f32_e32 v121, v112, v127
	s_waitcnt vmcnt(2)
	v_fmac_f32_e32 v121, v113, v128
	ds_load_2addr_b64 v[110:113], v2 offset0:49 offset1:50
	s_waitcnt lgkmcnt(1)
	v_fmac_f32_e32 v121, v114, v106
	ds_load_b32 v106, v2 offset:408
	v_fmac_f32_e32 v121, v115, v107
	s_delay_alu instid0(VALU_DEP_1) | instskip(SKIP_1) | instid1(VALU_DEP_1)
	v_fmac_f32_e32 v121, v116, v108
	s_waitcnt vmcnt(1)
	v_fmac_f32_e32 v121, v117, v109
	s_waitcnt lgkmcnt(1)
	s_delay_alu instid0(VALU_DEP_1) | instskip(NEXT) | instid1(VALU_DEP_1)
	v_fmac_f32_e32 v121, v118, v110
	v_fmac_f32_e32 v121, v119, v111
	s_delay_alu instid0(VALU_DEP_1) | instskip(SKIP_1) | instid1(VALU_DEP_1)
	v_fmac_f32_e32 v121, v120, v112
	s_waitcnt vmcnt(0)
	v_fmac_f32_e32 v121, v129, v113
	s_waitcnt lgkmcnt(0)
	s_delay_alu instid0(VALU_DEP_1) | instskip(NEXT) | instid1(VALU_DEP_1)
	v_fmac_f32_e32 v121, v130, v106
	v_sub_f32_e32 v105, v105, v121
	scratch_store_b32 off, v105, off offset:132
	v_cmpx_lt_u32_e32 32, v0
	s_cbranch_execz .LBB50_249
; %bb.248:
	scratch_load_b32 v105, off, off offset:128
	scratch_store_b32 off, v2, off offset:128
	s_waitcnt vmcnt(0)
	ds_store_b32 v1, v105
.LBB50_249:
	s_or_b32 exec_lo, exec_lo, s0
	s_waitcnt lgkmcnt(0)
	s_waitcnt_vscnt null, 0x0
	s_barrier
	buffer_gl0_inv
	s_clause 0x4
	scratch_load_b128 v[105:108], off, off offset:128
	scratch_load_b128 v[109:112], off, off offset:144
	;; [unrolled: 1-line block ×4, first 2 shown]
	scratch_load_b96 v[121:123], off, off offset:192
	ds_load_2addr_b32 v[124:125], v2 offset0:85 offset1:86
	ds_load_2addr_b32 v[126:127], v2 offset0:87 offset1:88
	;; [unrolled: 1-line block ×4, first 2 shown]
	s_mov_b32 s0, exec_lo
	s_waitcnt vmcnt(4) lgkmcnt(3)
	v_fma_f32 v124, v106, v124, 0
	s_delay_alu instid0(VALU_DEP_1) | instskip(SKIP_4) | instid1(VALU_DEP_1)
	v_fmac_f32_e32 v124, v107, v125
	ds_load_2addr_b32 v[106:107], v2 offset0:93 offset1:94
	s_waitcnt lgkmcnt(3)
	v_fmac_f32_e32 v124, v108, v126
	s_waitcnt vmcnt(3)
	v_fmac_f32_e32 v124, v109, v127
	ds_load_2addr_b32 v[108:109], v2 offset0:95 offset1:96
	s_waitcnt lgkmcnt(3)
	v_fmac_f32_e32 v124, v110, v128
	s_delay_alu instid0(VALU_DEP_1) | instskip(SKIP_1) | instid1(VALU_DEP_1)
	v_fmac_f32_e32 v124, v111, v129
	s_waitcnt lgkmcnt(2)
	v_fmac_f32_e32 v124, v112, v130
	s_waitcnt vmcnt(2)
	s_delay_alu instid0(VALU_DEP_1) | instskip(SKIP_4) | instid1(VALU_DEP_1)
	v_fmac_f32_e32 v124, v113, v131
	ds_load_2addr_b32 v[110:111], v2 offset0:97 offset1:98
	ds_load_2addr_b32 v[112:113], v2 offset0:99 offset1:100
	s_waitcnt lgkmcnt(3)
	v_fmac_f32_e32 v124, v114, v106
	v_fmac_f32_e32 v124, v115, v107
	ds_load_2addr_b32 v[106:107], v2 offset0:101 offset1:102
	s_waitcnt lgkmcnt(3)
	v_fmac_f32_e32 v124, v116, v108
	s_waitcnt vmcnt(1)
	s_delay_alu instid0(VALU_DEP_1) | instskip(SKIP_1) | instid1(VALU_DEP_1)
	v_fmac_f32_e32 v124, v117, v109
	s_waitcnt lgkmcnt(2)
	v_fmac_f32_e32 v124, v118, v110
	s_delay_alu instid0(VALU_DEP_1) | instskip(SKIP_1) | instid1(VALU_DEP_1)
	v_fmac_f32_e32 v124, v119, v111
	s_waitcnt lgkmcnt(1)
	v_fmac_f32_e32 v124, v120, v112
	s_waitcnt vmcnt(0)
	s_delay_alu instid0(VALU_DEP_1) | instskip(SKIP_1) | instid1(VALU_DEP_1)
	v_fmac_f32_e32 v124, v121, v113
	s_waitcnt lgkmcnt(0)
	v_fmac_f32_e32 v124, v122, v106
	s_delay_alu instid0(VALU_DEP_1) | instskip(NEXT) | instid1(VALU_DEP_1)
	v_fmac_f32_e32 v124, v123, v107
	v_sub_f32_e32 v2, v105, v124
	scratch_store_b32 off, v2, off offset:128
	v_cmpx_lt_u32_e32 31, v0
	s_cbranch_execz .LBB50_251
; %bb.250:
	scratch_load_b32 v2, off, off offset:124
	v_mov_b32_e32 v105, 0
	scratch_store_b32 off, v105, off offset:124
	s_waitcnt vmcnt(0)
	ds_store_b32 v1, v2
.LBB50_251:
	s_or_b32 exec_lo, exec_lo, s0
	s_waitcnt lgkmcnt(0)
	s_waitcnt_vscnt null, 0x0
	s_barrier
	buffer_gl0_inv
	s_clause 0x4
	scratch_load_b128 v[105:108], off, off offset:124
	scratch_load_b128 v[109:112], off, off offset:140
	;; [unrolled: 1-line block ×5, first 2 shown]
	v_mov_b32_e32 v2, 0
	ds_load_b128 v[125:128], v2 offset:336
	ds_load_b128 v[129:132], v2 offset:352
	s_mov_b32 s0, exec_lo
	s_waitcnt vmcnt(4) lgkmcnt(1)
	v_fma_f32 v125, v106, v125, 0
	s_delay_alu instid0(VALU_DEP_1) | instskip(NEXT) | instid1(VALU_DEP_1)
	v_fmac_f32_e32 v125, v107, v126
	v_fmac_f32_e32 v125, v108, v127
	s_waitcnt vmcnt(3)
	s_delay_alu instid0(VALU_DEP_1) | instskip(SKIP_3) | instid1(VALU_DEP_1)
	v_fmac_f32_e32 v125, v109, v128
	ds_load_b128 v[106:109], v2 offset:368
	s_waitcnt lgkmcnt(1)
	v_fmac_f32_e32 v125, v110, v129
	v_fmac_f32_e32 v125, v111, v130
	s_delay_alu instid0(VALU_DEP_1) | instskip(SKIP_1) | instid1(VALU_DEP_1)
	v_fmac_f32_e32 v125, v112, v131
	s_waitcnt vmcnt(2)
	v_fmac_f32_e32 v125, v113, v132
	ds_load_b128 v[110:113], v2 offset:384
	s_waitcnt lgkmcnt(1)
	v_fmac_f32_e32 v125, v114, v106
	s_delay_alu instid0(VALU_DEP_1) | instskip(NEXT) | instid1(VALU_DEP_1)
	v_fmac_f32_e32 v125, v115, v107
	v_fmac_f32_e32 v125, v116, v108
	ds_load_b96 v[106:108], v2 offset:400
	s_waitcnt vmcnt(1)
	v_fmac_f32_e32 v125, v117, v109
	s_waitcnt lgkmcnt(1)
	s_delay_alu instid0(VALU_DEP_1) | instskip(NEXT) | instid1(VALU_DEP_1)
	v_fmac_f32_e32 v125, v118, v110
	v_fmac_f32_e32 v125, v119, v111
	s_delay_alu instid0(VALU_DEP_1) | instskip(SKIP_1) | instid1(VALU_DEP_1)
	v_fmac_f32_e32 v125, v120, v112
	s_waitcnt vmcnt(0)
	v_fmac_f32_e32 v125, v121, v113
	s_waitcnt lgkmcnt(0)
	s_delay_alu instid0(VALU_DEP_1) | instskip(NEXT) | instid1(VALU_DEP_1)
	v_fmac_f32_e32 v125, v122, v106
	v_fmac_f32_e32 v125, v123, v107
	s_delay_alu instid0(VALU_DEP_1) | instskip(NEXT) | instid1(VALU_DEP_1)
	v_fmac_f32_e32 v125, v124, v108
	v_sub_f32_e32 v105, v105, v125
	scratch_store_b32 off, v105, off offset:124
	v_cmpx_lt_u32_e32 30, v0
	s_cbranch_execz .LBB50_253
; %bb.252:
	scratch_load_b32 v105, off, off offset:120
	scratch_store_b32 off, v2, off offset:120
	s_waitcnt vmcnt(0)
	ds_store_b32 v1, v105
.LBB50_253:
	s_or_b32 exec_lo, exec_lo, s0
	s_waitcnt lgkmcnt(0)
	s_waitcnt_vscnt null, 0x0
	s_barrier
	buffer_gl0_inv
	s_clause 0x5
	scratch_load_b128 v[105:108], off, off offset:120
	scratch_load_b128 v[109:112], off, off offset:136
	;; [unrolled: 1-line block ×5, first 2 shown]
	scratch_load_b32 v133, off, off offset:200
	ds_load_2addr_b32 v[125:126], v2 offset0:83 offset1:84
	ds_load_2addr_b32 v[127:128], v2 offset0:85 offset1:86
	;; [unrolled: 1-line block ×4, first 2 shown]
	s_mov_b32 s0, exec_lo
	s_waitcnt vmcnt(5) lgkmcnt(3)
	v_fma_f32 v125, v106, v125, 0
	s_delay_alu instid0(VALU_DEP_1) | instskip(SKIP_4) | instid1(VALU_DEP_1)
	v_fmac_f32_e32 v125, v107, v126
	ds_load_2addr_b32 v[106:107], v2 offset0:91 offset1:92
	s_waitcnt lgkmcnt(3)
	v_fmac_f32_e32 v125, v108, v127
	s_waitcnt vmcnt(4)
	v_fmac_f32_e32 v125, v109, v128
	ds_load_2addr_b32 v[108:109], v2 offset0:93 offset1:94
	s_waitcnt lgkmcnt(3)
	v_fmac_f32_e32 v125, v110, v129
	s_delay_alu instid0(VALU_DEP_1) | instskip(SKIP_1) | instid1(VALU_DEP_1)
	v_fmac_f32_e32 v125, v111, v130
	s_waitcnt lgkmcnt(2)
	v_fmac_f32_e32 v125, v112, v131
	s_waitcnt vmcnt(3)
	s_delay_alu instid0(VALU_DEP_1) | instskip(SKIP_4) | instid1(VALU_DEP_1)
	v_fmac_f32_e32 v125, v113, v132
	ds_load_2addr_b32 v[110:111], v2 offset0:95 offset1:96
	ds_load_2addr_b32 v[112:113], v2 offset0:97 offset1:98
	s_waitcnt lgkmcnt(3)
	v_fmac_f32_e32 v125, v114, v106
	v_fmac_f32_e32 v125, v115, v107
	ds_load_2addr_b32 v[106:107], v2 offset0:99 offset1:100
	s_waitcnt lgkmcnt(3)
	v_fmac_f32_e32 v125, v116, v108
	s_waitcnt vmcnt(2)
	s_delay_alu instid0(VALU_DEP_1) | instskip(SKIP_3) | instid1(VALU_DEP_1)
	v_fmac_f32_e32 v125, v117, v109
	ds_load_2addr_b32 v[108:109], v2 offset0:101 offset1:102
	s_waitcnt lgkmcnt(3)
	v_fmac_f32_e32 v125, v118, v110
	v_fmac_f32_e32 v125, v119, v111
	s_waitcnt lgkmcnt(2)
	s_delay_alu instid0(VALU_DEP_1) | instskip(SKIP_1) | instid1(VALU_DEP_1)
	v_fmac_f32_e32 v125, v120, v112
	s_waitcnt vmcnt(1)
	v_fmac_f32_e32 v125, v121, v113
	s_waitcnt lgkmcnt(1)
	s_delay_alu instid0(VALU_DEP_1) | instskip(NEXT) | instid1(VALU_DEP_1)
	v_fmac_f32_e32 v125, v122, v106
	v_fmac_f32_e32 v125, v123, v107
	s_waitcnt lgkmcnt(0)
	s_delay_alu instid0(VALU_DEP_1) | instskip(SKIP_1) | instid1(VALU_DEP_1)
	v_fmac_f32_e32 v125, v124, v108
	s_waitcnt vmcnt(0)
	v_fmac_f32_e32 v125, v133, v109
	s_delay_alu instid0(VALU_DEP_1)
	v_sub_f32_e32 v2, v105, v125
	scratch_store_b32 off, v2, off offset:120
	v_cmpx_lt_u32_e32 29, v0
	s_cbranch_execz .LBB50_255
; %bb.254:
	scratch_load_b32 v2, off, off offset:116
	v_mov_b32_e32 v105, 0
	scratch_store_b32 off, v105, off offset:116
	s_waitcnt vmcnt(0)
	ds_store_b32 v1, v2
.LBB50_255:
	s_or_b32 exec_lo, exec_lo, s0
	s_waitcnt lgkmcnt(0)
	s_waitcnt_vscnt null, 0x0
	s_barrier
	buffer_gl0_inv
	s_clause 0x5
	scratch_load_b128 v[105:108], off, off offset:116
	scratch_load_b128 v[109:112], off, off offset:132
	;; [unrolled: 1-line block ×5, first 2 shown]
	scratch_load_b64 v[133:134], off, off offset:196
	v_mov_b32_e32 v2, 0
	ds_load_2addr_b64 v[125:128], v2 offset0:41 offset1:42
	ds_load_2addr_b64 v[129:132], v2 offset0:43 offset1:44
	s_mov_b32 s0, exec_lo
	s_waitcnt vmcnt(5) lgkmcnt(1)
	v_fma_f32 v125, v106, v125, 0
	s_delay_alu instid0(VALU_DEP_1) | instskip(NEXT) | instid1(VALU_DEP_1)
	v_fmac_f32_e32 v125, v107, v126
	v_fmac_f32_e32 v125, v108, v127
	s_waitcnt vmcnt(4)
	s_delay_alu instid0(VALU_DEP_1) | instskip(SKIP_3) | instid1(VALU_DEP_1)
	v_fmac_f32_e32 v125, v109, v128
	ds_load_2addr_b64 v[106:109], v2 offset0:45 offset1:46
	s_waitcnt lgkmcnt(1)
	v_fmac_f32_e32 v125, v110, v129
	v_fmac_f32_e32 v125, v111, v130
	s_delay_alu instid0(VALU_DEP_1) | instskip(SKIP_1) | instid1(VALU_DEP_1)
	v_fmac_f32_e32 v125, v112, v131
	s_waitcnt vmcnt(3)
	v_fmac_f32_e32 v125, v113, v132
	ds_load_2addr_b64 v[110:113], v2 offset0:47 offset1:48
	s_waitcnt lgkmcnt(1)
	v_fmac_f32_e32 v125, v114, v106
	s_delay_alu instid0(VALU_DEP_1) | instskip(NEXT) | instid1(VALU_DEP_1)
	v_fmac_f32_e32 v125, v115, v107
	v_fmac_f32_e32 v125, v116, v108
	s_waitcnt vmcnt(2)
	s_delay_alu instid0(VALU_DEP_1)
	v_fmac_f32_e32 v125, v117, v109
	ds_load_2addr_b64 v[106:109], v2 offset0:49 offset1:50
	s_waitcnt lgkmcnt(1)
	v_fmac_f32_e32 v125, v118, v110
	ds_load_b32 v110, v2 offset:408
	v_fmac_f32_e32 v125, v119, v111
	s_delay_alu instid0(VALU_DEP_1) | instskip(SKIP_1) | instid1(VALU_DEP_1)
	v_fmac_f32_e32 v125, v120, v112
	s_waitcnt vmcnt(1)
	v_fmac_f32_e32 v125, v121, v113
	s_waitcnt lgkmcnt(1)
	s_delay_alu instid0(VALU_DEP_1) | instskip(NEXT) | instid1(VALU_DEP_1)
	v_fmac_f32_e32 v125, v122, v106
	v_fmac_f32_e32 v125, v123, v107
	s_delay_alu instid0(VALU_DEP_1) | instskip(SKIP_1) | instid1(VALU_DEP_1)
	v_fmac_f32_e32 v125, v124, v108
	s_waitcnt vmcnt(0)
	v_fmac_f32_e32 v125, v133, v109
	s_waitcnt lgkmcnt(0)
	s_delay_alu instid0(VALU_DEP_1) | instskip(NEXT) | instid1(VALU_DEP_1)
	v_fmac_f32_e32 v125, v134, v110
	v_sub_f32_e32 v105, v105, v125
	scratch_store_b32 off, v105, off offset:116
	v_cmpx_lt_u32_e32 28, v0
	s_cbranch_execz .LBB50_257
; %bb.256:
	scratch_load_b32 v105, off, off offset:112
	scratch_store_b32 off, v2, off offset:112
	s_waitcnt vmcnt(0)
	ds_store_b32 v1, v105
.LBB50_257:
	s_or_b32 exec_lo, exec_lo, s0
	s_waitcnt lgkmcnt(0)
	s_waitcnt_vscnt null, 0x0
	s_barrier
	buffer_gl0_inv
	s_clause 0x5
	scratch_load_b128 v[105:108], off, off offset:112
	scratch_load_b128 v[109:112], off, off offset:128
	;; [unrolled: 1-line block ×5, first 2 shown]
	scratch_load_b96 v[125:127], off, off offset:192
	ds_load_2addr_b32 v[128:129], v2 offset0:81 offset1:82
	ds_load_2addr_b32 v[130:131], v2 offset0:83 offset1:84
	;; [unrolled: 1-line block ×4, first 2 shown]
	s_mov_b32 s0, exec_lo
	s_waitcnt vmcnt(5) lgkmcnt(3)
	v_fma_f32 v128, v106, v128, 0
	s_delay_alu instid0(VALU_DEP_1) | instskip(SKIP_4) | instid1(VALU_DEP_1)
	v_fmac_f32_e32 v128, v107, v129
	ds_load_2addr_b32 v[106:107], v2 offset0:89 offset1:90
	s_waitcnt lgkmcnt(3)
	v_fmac_f32_e32 v128, v108, v130
	s_waitcnt vmcnt(4)
	v_fmac_f32_e32 v128, v109, v131
	ds_load_2addr_b32 v[108:109], v2 offset0:91 offset1:92
	s_waitcnt lgkmcnt(3)
	v_fmac_f32_e32 v128, v110, v132
	s_delay_alu instid0(VALU_DEP_1) | instskip(SKIP_1) | instid1(VALU_DEP_1)
	v_fmac_f32_e32 v128, v111, v133
	s_waitcnt lgkmcnt(2)
	v_fmac_f32_e32 v128, v112, v134
	s_waitcnt vmcnt(3)
	s_delay_alu instid0(VALU_DEP_1) | instskip(SKIP_4) | instid1(VALU_DEP_1)
	v_fmac_f32_e32 v128, v113, v135
	ds_load_2addr_b32 v[110:111], v2 offset0:93 offset1:94
	ds_load_2addr_b32 v[112:113], v2 offset0:95 offset1:96
	s_waitcnt lgkmcnt(3)
	v_fmac_f32_e32 v128, v114, v106
	v_fmac_f32_e32 v128, v115, v107
	ds_load_2addr_b32 v[106:107], v2 offset0:97 offset1:98
	s_waitcnt lgkmcnt(3)
	v_fmac_f32_e32 v128, v116, v108
	s_waitcnt vmcnt(2)
	s_delay_alu instid0(VALU_DEP_1) | instskip(SKIP_3) | instid1(VALU_DEP_1)
	v_fmac_f32_e32 v128, v117, v109
	ds_load_2addr_b32 v[108:109], v2 offset0:99 offset1:100
	s_waitcnt lgkmcnt(3)
	v_fmac_f32_e32 v128, v118, v110
	v_fmac_f32_e32 v128, v119, v111
	ds_load_2addr_b32 v[110:111], v2 offset0:101 offset1:102
	s_waitcnt lgkmcnt(3)
	v_fmac_f32_e32 v128, v120, v112
	s_waitcnt vmcnt(1)
	s_delay_alu instid0(VALU_DEP_1) | instskip(SKIP_1) | instid1(VALU_DEP_1)
	v_fmac_f32_e32 v128, v121, v113
	s_waitcnt lgkmcnt(2)
	v_fmac_f32_e32 v128, v122, v106
	s_delay_alu instid0(VALU_DEP_1) | instskip(SKIP_1) | instid1(VALU_DEP_1)
	v_fmac_f32_e32 v128, v123, v107
	s_waitcnt lgkmcnt(1)
	v_fmac_f32_e32 v128, v124, v108
	s_waitcnt vmcnt(0)
	s_delay_alu instid0(VALU_DEP_1) | instskip(SKIP_1) | instid1(VALU_DEP_1)
	v_fmac_f32_e32 v128, v125, v109
	s_waitcnt lgkmcnt(0)
	v_fmac_f32_e32 v128, v126, v110
	s_delay_alu instid0(VALU_DEP_1) | instskip(NEXT) | instid1(VALU_DEP_1)
	v_fmac_f32_e32 v128, v127, v111
	v_sub_f32_e32 v2, v105, v128
	scratch_store_b32 off, v2, off offset:112
	v_cmpx_lt_u32_e32 27, v0
	s_cbranch_execz .LBB50_259
; %bb.258:
	scratch_load_b32 v2, off, off offset:108
	v_mov_b32_e32 v105, 0
	scratch_store_b32 off, v105, off offset:108
	s_waitcnt vmcnt(0)
	ds_store_b32 v1, v2
.LBB50_259:
	s_or_b32 exec_lo, exec_lo, s0
	s_waitcnt lgkmcnt(0)
	s_waitcnt_vscnt null, 0x0
	s_barrier
	buffer_gl0_inv
	s_clause 0x5
	scratch_load_b128 v[105:108], off, off offset:108
	scratch_load_b128 v[109:112], off, off offset:124
	;; [unrolled: 1-line block ×6, first 2 shown]
	v_mov_b32_e32 v2, 0
	ds_load_b128 v[129:132], v2 offset:320
	ds_load_b128 v[133:136], v2 offset:336
	s_mov_b32 s0, exec_lo
	s_waitcnt vmcnt(5) lgkmcnt(1)
	v_fma_f32 v129, v106, v129, 0
	s_delay_alu instid0(VALU_DEP_1) | instskip(NEXT) | instid1(VALU_DEP_1)
	v_fmac_f32_e32 v129, v107, v130
	v_fmac_f32_e32 v129, v108, v131
	s_waitcnt vmcnt(4)
	s_delay_alu instid0(VALU_DEP_1) | instskip(SKIP_3) | instid1(VALU_DEP_1)
	v_fmac_f32_e32 v129, v109, v132
	ds_load_b128 v[106:109], v2 offset:352
	s_waitcnt lgkmcnt(1)
	v_fmac_f32_e32 v129, v110, v133
	v_fmac_f32_e32 v129, v111, v134
	s_delay_alu instid0(VALU_DEP_1) | instskip(SKIP_1) | instid1(VALU_DEP_1)
	v_fmac_f32_e32 v129, v112, v135
	s_waitcnt vmcnt(3)
	v_fmac_f32_e32 v129, v113, v136
	ds_load_b128 v[110:113], v2 offset:368
	s_waitcnt lgkmcnt(1)
	v_fmac_f32_e32 v129, v114, v106
	s_delay_alu instid0(VALU_DEP_1) | instskip(NEXT) | instid1(VALU_DEP_1)
	v_fmac_f32_e32 v129, v115, v107
	v_fmac_f32_e32 v129, v116, v108
	s_waitcnt vmcnt(2)
	s_delay_alu instid0(VALU_DEP_1) | instskip(SKIP_3) | instid1(VALU_DEP_1)
	v_fmac_f32_e32 v129, v117, v109
	ds_load_b128 v[106:109], v2 offset:384
	s_waitcnt lgkmcnt(1)
	v_fmac_f32_e32 v129, v118, v110
	v_fmac_f32_e32 v129, v119, v111
	s_delay_alu instid0(VALU_DEP_1) | instskip(SKIP_4) | instid1(VALU_DEP_1)
	v_fmac_f32_e32 v129, v120, v112
	ds_load_b96 v[110:112], v2 offset:400
	s_waitcnt vmcnt(1)
	v_fmac_f32_e32 v129, v121, v113
	s_waitcnt lgkmcnt(1)
	v_fmac_f32_e32 v129, v122, v106
	s_delay_alu instid0(VALU_DEP_1) | instskip(NEXT) | instid1(VALU_DEP_1)
	v_fmac_f32_e32 v129, v123, v107
	v_fmac_f32_e32 v129, v124, v108
	s_waitcnt vmcnt(0)
	s_delay_alu instid0(VALU_DEP_1) | instskip(SKIP_1) | instid1(VALU_DEP_1)
	v_fmac_f32_e32 v129, v125, v109
	s_waitcnt lgkmcnt(0)
	v_fmac_f32_e32 v129, v126, v110
	s_delay_alu instid0(VALU_DEP_1) | instskip(NEXT) | instid1(VALU_DEP_1)
	v_fmac_f32_e32 v129, v127, v111
	v_fmac_f32_e32 v129, v128, v112
	s_delay_alu instid0(VALU_DEP_1)
	v_sub_f32_e32 v105, v105, v129
	scratch_store_b32 off, v105, off offset:108
	v_cmpx_lt_u32_e32 26, v0
	s_cbranch_execz .LBB50_261
; %bb.260:
	scratch_load_b32 v105, off, off offset:104
	scratch_store_b32 off, v2, off offset:104
	s_waitcnt vmcnt(0)
	ds_store_b32 v1, v105
.LBB50_261:
	s_or_b32 exec_lo, exec_lo, s0
	s_waitcnt lgkmcnt(0)
	s_waitcnt_vscnt null, 0x0
	s_barrier
	buffer_gl0_inv
	s_clause 0x6
	scratch_load_b128 v[105:108], off, off offset:104
	scratch_load_b128 v[109:112], off, off offset:120
	;; [unrolled: 1-line block ×6, first 2 shown]
	scratch_load_b32 v137, off, off offset:200
	ds_load_2addr_b32 v[129:130], v2 offset0:79 offset1:80
	ds_load_2addr_b32 v[131:132], v2 offset0:81 offset1:82
	;; [unrolled: 1-line block ×4, first 2 shown]
	s_mov_b32 s0, exec_lo
	s_waitcnt vmcnt(6) lgkmcnt(3)
	v_fma_f32 v129, v106, v129, 0
	s_delay_alu instid0(VALU_DEP_1) | instskip(SKIP_4) | instid1(VALU_DEP_1)
	v_fmac_f32_e32 v129, v107, v130
	ds_load_2addr_b32 v[106:107], v2 offset0:87 offset1:88
	s_waitcnt lgkmcnt(3)
	v_fmac_f32_e32 v129, v108, v131
	s_waitcnt vmcnt(5)
	v_fmac_f32_e32 v129, v109, v132
	ds_load_2addr_b32 v[108:109], v2 offset0:89 offset1:90
	s_waitcnt lgkmcnt(3)
	v_fmac_f32_e32 v129, v110, v133
	s_delay_alu instid0(VALU_DEP_1) | instskip(SKIP_1) | instid1(VALU_DEP_1)
	v_fmac_f32_e32 v129, v111, v134
	s_waitcnt lgkmcnt(2)
	v_fmac_f32_e32 v129, v112, v135
	s_waitcnt vmcnt(4)
	s_delay_alu instid0(VALU_DEP_1) | instskip(SKIP_4) | instid1(VALU_DEP_1)
	v_fmac_f32_e32 v129, v113, v136
	ds_load_2addr_b32 v[110:111], v2 offset0:91 offset1:92
	ds_load_2addr_b32 v[112:113], v2 offset0:93 offset1:94
	s_waitcnt lgkmcnt(3)
	v_fmac_f32_e32 v129, v114, v106
	v_fmac_f32_e32 v129, v115, v107
	ds_load_2addr_b32 v[106:107], v2 offset0:95 offset1:96
	s_waitcnt lgkmcnt(3)
	v_fmac_f32_e32 v129, v116, v108
	s_waitcnt vmcnt(3)
	s_delay_alu instid0(VALU_DEP_1) | instskip(SKIP_3) | instid1(VALU_DEP_1)
	v_fmac_f32_e32 v129, v117, v109
	ds_load_2addr_b32 v[108:109], v2 offset0:97 offset1:98
	s_waitcnt lgkmcnt(3)
	v_fmac_f32_e32 v129, v118, v110
	v_fmac_f32_e32 v129, v119, v111
	s_waitcnt lgkmcnt(2)
	s_delay_alu instid0(VALU_DEP_1) | instskip(SKIP_1) | instid1(VALU_DEP_1)
	v_fmac_f32_e32 v129, v120, v112
	s_waitcnt vmcnt(2)
	v_fmac_f32_e32 v129, v121, v113
	ds_load_2addr_b32 v[110:111], v2 offset0:99 offset1:100
	ds_load_2addr_b32 v[112:113], v2 offset0:101 offset1:102
	s_waitcnt lgkmcnt(3)
	v_fmac_f32_e32 v129, v122, v106
	s_delay_alu instid0(VALU_DEP_1) | instskip(SKIP_1) | instid1(VALU_DEP_1)
	v_fmac_f32_e32 v129, v123, v107
	s_waitcnt lgkmcnt(2)
	v_fmac_f32_e32 v129, v124, v108
	s_waitcnt vmcnt(1)
	s_delay_alu instid0(VALU_DEP_1) | instskip(SKIP_1) | instid1(VALU_DEP_1)
	v_fmac_f32_e32 v129, v125, v109
	s_waitcnt lgkmcnt(1)
	v_fmac_f32_e32 v129, v126, v110
	s_delay_alu instid0(VALU_DEP_1) | instskip(SKIP_1) | instid1(VALU_DEP_1)
	v_fmac_f32_e32 v129, v127, v111
	s_waitcnt lgkmcnt(0)
	v_fmac_f32_e32 v129, v128, v112
	s_waitcnt vmcnt(0)
	s_delay_alu instid0(VALU_DEP_1) | instskip(NEXT) | instid1(VALU_DEP_1)
	v_fmac_f32_e32 v129, v137, v113
	v_sub_f32_e32 v2, v105, v129
	scratch_store_b32 off, v2, off offset:104
	v_cmpx_lt_u32_e32 25, v0
	s_cbranch_execz .LBB50_263
; %bb.262:
	scratch_load_b32 v2, off, off offset:100
	v_mov_b32_e32 v105, 0
	scratch_store_b32 off, v105, off offset:100
	s_waitcnt vmcnt(0)
	ds_store_b32 v1, v2
.LBB50_263:
	s_or_b32 exec_lo, exec_lo, s0
	s_waitcnt lgkmcnt(0)
	s_waitcnt_vscnt null, 0x0
	s_barrier
	buffer_gl0_inv
	s_clause 0x6
	scratch_load_b128 v[105:108], off, off offset:100
	scratch_load_b128 v[109:112], off, off offset:116
	;; [unrolled: 1-line block ×6, first 2 shown]
	scratch_load_b64 v[137:138], off, off offset:196
	v_mov_b32_e32 v2, 0
	ds_load_2addr_b64 v[129:132], v2 offset0:39 offset1:40
	ds_load_2addr_b64 v[133:136], v2 offset0:41 offset1:42
	s_mov_b32 s0, exec_lo
	s_waitcnt vmcnt(6) lgkmcnt(1)
	v_fma_f32 v129, v106, v129, 0
	s_delay_alu instid0(VALU_DEP_1) | instskip(NEXT) | instid1(VALU_DEP_1)
	v_fmac_f32_e32 v129, v107, v130
	v_fmac_f32_e32 v129, v108, v131
	s_waitcnt vmcnt(5)
	s_delay_alu instid0(VALU_DEP_1) | instskip(SKIP_3) | instid1(VALU_DEP_1)
	v_fmac_f32_e32 v129, v109, v132
	ds_load_2addr_b64 v[106:109], v2 offset0:43 offset1:44
	s_waitcnt lgkmcnt(1)
	v_fmac_f32_e32 v129, v110, v133
	v_fmac_f32_e32 v129, v111, v134
	s_delay_alu instid0(VALU_DEP_1) | instskip(SKIP_1) | instid1(VALU_DEP_1)
	v_fmac_f32_e32 v129, v112, v135
	s_waitcnt vmcnt(4)
	v_fmac_f32_e32 v129, v113, v136
	ds_load_2addr_b64 v[110:113], v2 offset0:45 offset1:46
	s_waitcnt lgkmcnt(1)
	v_fmac_f32_e32 v129, v114, v106
	s_delay_alu instid0(VALU_DEP_1) | instskip(NEXT) | instid1(VALU_DEP_1)
	v_fmac_f32_e32 v129, v115, v107
	v_fmac_f32_e32 v129, v116, v108
	s_waitcnt vmcnt(3)
	s_delay_alu instid0(VALU_DEP_1) | instskip(SKIP_3) | instid1(VALU_DEP_1)
	v_fmac_f32_e32 v129, v117, v109
	ds_load_2addr_b64 v[106:109], v2 offset0:47 offset1:48
	s_waitcnt lgkmcnt(1)
	v_fmac_f32_e32 v129, v118, v110
	v_fmac_f32_e32 v129, v119, v111
	s_delay_alu instid0(VALU_DEP_1) | instskip(SKIP_1) | instid1(VALU_DEP_1)
	v_fmac_f32_e32 v129, v120, v112
	s_waitcnt vmcnt(2)
	v_fmac_f32_e32 v129, v121, v113
	ds_load_2addr_b64 v[110:113], v2 offset0:49 offset1:50
	s_waitcnt lgkmcnt(1)
	v_fmac_f32_e32 v129, v122, v106
	ds_load_b32 v106, v2 offset:408
	v_fmac_f32_e32 v129, v123, v107
	s_delay_alu instid0(VALU_DEP_1) | instskip(SKIP_1) | instid1(VALU_DEP_1)
	v_fmac_f32_e32 v129, v124, v108
	s_waitcnt vmcnt(1)
	v_fmac_f32_e32 v129, v125, v109
	s_waitcnt lgkmcnt(1)
	s_delay_alu instid0(VALU_DEP_1) | instskip(NEXT) | instid1(VALU_DEP_1)
	v_fmac_f32_e32 v129, v126, v110
	v_fmac_f32_e32 v129, v127, v111
	s_delay_alu instid0(VALU_DEP_1) | instskip(SKIP_1) | instid1(VALU_DEP_1)
	v_fmac_f32_e32 v129, v128, v112
	s_waitcnt vmcnt(0)
	v_fmac_f32_e32 v129, v137, v113
	s_waitcnt lgkmcnt(0)
	s_delay_alu instid0(VALU_DEP_1) | instskip(NEXT) | instid1(VALU_DEP_1)
	v_fmac_f32_e32 v129, v138, v106
	v_sub_f32_e32 v105, v105, v129
	scratch_store_b32 off, v105, off offset:100
	v_cmpx_lt_u32_e32 24, v0
	s_cbranch_execz .LBB50_265
; %bb.264:
	scratch_load_b32 v105, off, off offset:96
	scratch_store_b32 off, v2, off offset:96
	s_waitcnt vmcnt(0)
	ds_store_b32 v1, v105
.LBB50_265:
	s_or_b32 exec_lo, exec_lo, s0
	s_waitcnt lgkmcnt(0)
	s_waitcnt_vscnt null, 0x0
	s_barrier
	buffer_gl0_inv
	s_clause 0x6
	scratch_load_b128 v[105:108], off, off offset:96
	scratch_load_b128 v[109:112], off, off offset:112
	;; [unrolled: 1-line block ×6, first 2 shown]
	scratch_load_b96 v[129:131], off, off offset:192
	ds_load_2addr_b32 v[132:133], v2 offset0:77 offset1:78
	ds_load_2addr_b32 v[134:135], v2 offset0:79 offset1:80
	;; [unrolled: 1-line block ×4, first 2 shown]
	s_mov_b32 s0, exec_lo
	s_waitcnt vmcnt(6) lgkmcnt(3)
	v_fma_f32 v132, v106, v132, 0
	s_delay_alu instid0(VALU_DEP_1) | instskip(SKIP_4) | instid1(VALU_DEP_1)
	v_fmac_f32_e32 v132, v107, v133
	ds_load_2addr_b32 v[106:107], v2 offset0:85 offset1:86
	s_waitcnt lgkmcnt(3)
	v_fmac_f32_e32 v132, v108, v134
	s_waitcnt vmcnt(5)
	v_fmac_f32_e32 v132, v109, v135
	ds_load_2addr_b32 v[108:109], v2 offset0:87 offset1:88
	s_waitcnt lgkmcnt(3)
	v_fmac_f32_e32 v132, v110, v136
	s_delay_alu instid0(VALU_DEP_1) | instskip(SKIP_1) | instid1(VALU_DEP_1)
	v_fmac_f32_e32 v132, v111, v137
	s_waitcnt lgkmcnt(2)
	v_fmac_f32_e32 v132, v112, v138
	s_waitcnt vmcnt(4)
	s_delay_alu instid0(VALU_DEP_1) | instskip(SKIP_4) | instid1(VALU_DEP_1)
	v_fmac_f32_e32 v132, v113, v139
	ds_load_2addr_b32 v[110:111], v2 offset0:89 offset1:90
	ds_load_2addr_b32 v[112:113], v2 offset0:91 offset1:92
	s_waitcnt lgkmcnt(3)
	v_fmac_f32_e32 v132, v114, v106
	v_fmac_f32_e32 v132, v115, v107
	ds_load_2addr_b32 v[106:107], v2 offset0:93 offset1:94
	s_waitcnt lgkmcnt(3)
	v_fmac_f32_e32 v132, v116, v108
	s_waitcnt vmcnt(3)
	s_delay_alu instid0(VALU_DEP_1) | instskip(SKIP_3) | instid1(VALU_DEP_1)
	v_fmac_f32_e32 v132, v117, v109
	ds_load_2addr_b32 v[108:109], v2 offset0:95 offset1:96
	s_waitcnt lgkmcnt(3)
	v_fmac_f32_e32 v132, v118, v110
	v_fmac_f32_e32 v132, v119, v111
	s_waitcnt lgkmcnt(2)
	s_delay_alu instid0(VALU_DEP_1) | instskip(SKIP_1) | instid1(VALU_DEP_1)
	v_fmac_f32_e32 v132, v120, v112
	s_waitcnt vmcnt(2)
	v_fmac_f32_e32 v132, v121, v113
	ds_load_2addr_b32 v[110:111], v2 offset0:97 offset1:98
	ds_load_2addr_b32 v[112:113], v2 offset0:99 offset1:100
	s_waitcnt lgkmcnt(3)
	v_fmac_f32_e32 v132, v122, v106
	s_delay_alu instid0(VALU_DEP_1) | instskip(SKIP_4) | instid1(VALU_DEP_1)
	v_fmac_f32_e32 v132, v123, v107
	ds_load_2addr_b32 v[106:107], v2 offset0:101 offset1:102
	s_waitcnt lgkmcnt(3)
	v_fmac_f32_e32 v132, v124, v108
	s_waitcnt vmcnt(1)
	v_fmac_f32_e32 v132, v125, v109
	s_waitcnt lgkmcnt(2)
	s_delay_alu instid0(VALU_DEP_1) | instskip(NEXT) | instid1(VALU_DEP_1)
	v_fmac_f32_e32 v132, v126, v110
	v_fmac_f32_e32 v132, v127, v111
	s_waitcnt lgkmcnt(1)
	s_delay_alu instid0(VALU_DEP_1) | instskip(SKIP_1) | instid1(VALU_DEP_1)
	v_fmac_f32_e32 v132, v128, v112
	s_waitcnt vmcnt(0)
	v_fmac_f32_e32 v132, v129, v113
	s_waitcnt lgkmcnt(0)
	s_delay_alu instid0(VALU_DEP_1) | instskip(NEXT) | instid1(VALU_DEP_1)
	v_fmac_f32_e32 v132, v130, v106
	v_fmac_f32_e32 v132, v131, v107
	s_delay_alu instid0(VALU_DEP_1)
	v_sub_f32_e32 v2, v105, v132
	scratch_store_b32 off, v2, off offset:96
	v_cmpx_lt_u32_e32 23, v0
	s_cbranch_execz .LBB50_267
; %bb.266:
	scratch_load_b32 v2, off, off offset:92
	v_mov_b32_e32 v105, 0
	scratch_store_b32 off, v105, off offset:92
	s_waitcnt vmcnt(0)
	ds_store_b32 v1, v2
.LBB50_267:
	s_or_b32 exec_lo, exec_lo, s0
	s_waitcnt lgkmcnt(0)
	s_waitcnt_vscnt null, 0x0
	s_barrier
	buffer_gl0_inv
	s_clause 0x6
	scratch_load_b128 v[105:108], off, off offset:92
	scratch_load_b128 v[109:112], off, off offset:108
	;; [unrolled: 1-line block ×7, first 2 shown]
	v_mov_b32_e32 v2, 0
	ds_load_b128 v[133:136], v2 offset:304
	ds_load_b128 v[137:140], v2 offset:320
	s_mov_b32 s0, exec_lo
	s_waitcnt vmcnt(6) lgkmcnt(1)
	v_fma_f32 v133, v106, v133, 0
	s_delay_alu instid0(VALU_DEP_1) | instskip(NEXT) | instid1(VALU_DEP_1)
	v_fmac_f32_e32 v133, v107, v134
	v_fmac_f32_e32 v133, v108, v135
	s_waitcnt vmcnt(5)
	s_delay_alu instid0(VALU_DEP_1) | instskip(SKIP_3) | instid1(VALU_DEP_1)
	v_fmac_f32_e32 v133, v109, v136
	ds_load_b128 v[106:109], v2 offset:336
	s_waitcnt lgkmcnt(1)
	v_fmac_f32_e32 v133, v110, v137
	v_fmac_f32_e32 v133, v111, v138
	s_delay_alu instid0(VALU_DEP_1) | instskip(SKIP_1) | instid1(VALU_DEP_1)
	v_fmac_f32_e32 v133, v112, v139
	s_waitcnt vmcnt(4)
	v_fmac_f32_e32 v133, v113, v140
	ds_load_b128 v[110:113], v2 offset:352
	s_waitcnt lgkmcnt(1)
	v_fmac_f32_e32 v133, v114, v106
	s_delay_alu instid0(VALU_DEP_1) | instskip(NEXT) | instid1(VALU_DEP_1)
	v_fmac_f32_e32 v133, v115, v107
	v_fmac_f32_e32 v133, v116, v108
	s_waitcnt vmcnt(3)
	s_delay_alu instid0(VALU_DEP_1) | instskip(SKIP_3) | instid1(VALU_DEP_1)
	v_fmac_f32_e32 v133, v117, v109
	ds_load_b128 v[106:109], v2 offset:368
	s_waitcnt lgkmcnt(1)
	v_fmac_f32_e32 v133, v118, v110
	v_fmac_f32_e32 v133, v119, v111
	s_delay_alu instid0(VALU_DEP_1) | instskip(SKIP_1) | instid1(VALU_DEP_1)
	v_fmac_f32_e32 v133, v120, v112
	s_waitcnt vmcnt(2)
	v_fmac_f32_e32 v133, v121, v113
	ds_load_b128 v[110:113], v2 offset:384
	s_waitcnt lgkmcnt(1)
	v_fmac_f32_e32 v133, v122, v106
	s_delay_alu instid0(VALU_DEP_1) | instskip(NEXT) | instid1(VALU_DEP_1)
	v_fmac_f32_e32 v133, v123, v107
	v_fmac_f32_e32 v133, v124, v108
	ds_load_b96 v[106:108], v2 offset:400
	s_waitcnt vmcnt(1)
	v_fmac_f32_e32 v133, v125, v109
	s_waitcnt lgkmcnt(1)
	s_delay_alu instid0(VALU_DEP_1) | instskip(NEXT) | instid1(VALU_DEP_1)
	v_fmac_f32_e32 v133, v126, v110
	v_fmac_f32_e32 v133, v127, v111
	s_delay_alu instid0(VALU_DEP_1) | instskip(SKIP_1) | instid1(VALU_DEP_1)
	v_fmac_f32_e32 v133, v128, v112
	s_waitcnt vmcnt(0)
	v_fmac_f32_e32 v133, v129, v113
	s_waitcnt lgkmcnt(0)
	s_delay_alu instid0(VALU_DEP_1) | instskip(NEXT) | instid1(VALU_DEP_1)
	v_fmac_f32_e32 v133, v130, v106
	v_fmac_f32_e32 v133, v131, v107
	s_delay_alu instid0(VALU_DEP_1) | instskip(NEXT) | instid1(VALU_DEP_1)
	v_fmac_f32_e32 v133, v132, v108
	v_sub_f32_e32 v105, v105, v133
	scratch_store_b32 off, v105, off offset:92
	v_cmpx_lt_u32_e32 22, v0
	s_cbranch_execz .LBB50_269
; %bb.268:
	scratch_load_b32 v105, off, off offset:88
	scratch_store_b32 off, v2, off offset:88
	s_waitcnt vmcnt(0)
	ds_store_b32 v1, v105
.LBB50_269:
	s_or_b32 exec_lo, exec_lo, s0
	s_waitcnt lgkmcnt(0)
	s_waitcnt_vscnt null, 0x0
	s_barrier
	buffer_gl0_inv
	s_clause 0x7
	scratch_load_b128 v[105:108], off, off offset:88
	scratch_load_b128 v[109:112], off, off offset:104
	;; [unrolled: 1-line block ×7, first 2 shown]
	scratch_load_b32 v141, off, off offset:200
	ds_load_2addr_b32 v[133:134], v2 offset0:75 offset1:76
	ds_load_2addr_b32 v[135:136], v2 offset0:77 offset1:78
	;; [unrolled: 1-line block ×4, first 2 shown]
	s_mov_b32 s0, exec_lo
	s_waitcnt vmcnt(7) lgkmcnt(3)
	v_fma_f32 v133, v106, v133, 0
	s_delay_alu instid0(VALU_DEP_1) | instskip(SKIP_4) | instid1(VALU_DEP_1)
	v_fmac_f32_e32 v133, v107, v134
	ds_load_2addr_b32 v[106:107], v2 offset0:83 offset1:84
	s_waitcnt lgkmcnt(3)
	v_fmac_f32_e32 v133, v108, v135
	s_waitcnt vmcnt(6)
	v_fmac_f32_e32 v133, v109, v136
	ds_load_2addr_b32 v[108:109], v2 offset0:85 offset1:86
	s_waitcnt lgkmcnt(3)
	v_fmac_f32_e32 v133, v110, v137
	s_delay_alu instid0(VALU_DEP_1) | instskip(SKIP_1) | instid1(VALU_DEP_1)
	v_fmac_f32_e32 v133, v111, v138
	s_waitcnt lgkmcnt(2)
	v_fmac_f32_e32 v133, v112, v139
	s_waitcnt vmcnt(5)
	s_delay_alu instid0(VALU_DEP_1) | instskip(SKIP_4) | instid1(VALU_DEP_1)
	v_fmac_f32_e32 v133, v113, v140
	ds_load_2addr_b32 v[110:111], v2 offset0:87 offset1:88
	ds_load_2addr_b32 v[112:113], v2 offset0:89 offset1:90
	s_waitcnt lgkmcnt(3)
	v_fmac_f32_e32 v133, v114, v106
	v_fmac_f32_e32 v133, v115, v107
	ds_load_2addr_b32 v[106:107], v2 offset0:91 offset1:92
	s_waitcnt lgkmcnt(3)
	v_fmac_f32_e32 v133, v116, v108
	s_waitcnt vmcnt(4)
	s_delay_alu instid0(VALU_DEP_1) | instskip(SKIP_3) | instid1(VALU_DEP_1)
	v_fmac_f32_e32 v133, v117, v109
	ds_load_2addr_b32 v[108:109], v2 offset0:93 offset1:94
	s_waitcnt lgkmcnt(3)
	v_fmac_f32_e32 v133, v118, v110
	v_fmac_f32_e32 v133, v119, v111
	s_waitcnt lgkmcnt(2)
	s_delay_alu instid0(VALU_DEP_1) | instskip(SKIP_1) | instid1(VALU_DEP_1)
	v_fmac_f32_e32 v133, v120, v112
	s_waitcnt vmcnt(3)
	v_fmac_f32_e32 v133, v121, v113
	ds_load_2addr_b32 v[110:111], v2 offset0:95 offset1:96
	ds_load_2addr_b32 v[112:113], v2 offset0:97 offset1:98
	s_waitcnt lgkmcnt(3)
	v_fmac_f32_e32 v133, v122, v106
	s_delay_alu instid0(VALU_DEP_1) | instskip(SKIP_4) | instid1(VALU_DEP_1)
	v_fmac_f32_e32 v133, v123, v107
	ds_load_2addr_b32 v[106:107], v2 offset0:99 offset1:100
	s_waitcnt lgkmcnt(3)
	v_fmac_f32_e32 v133, v124, v108
	s_waitcnt vmcnt(2)
	v_fmac_f32_e32 v133, v125, v109
	ds_load_2addr_b32 v[108:109], v2 offset0:101 offset1:102
	s_waitcnt lgkmcnt(3)
	v_fmac_f32_e32 v133, v126, v110
	s_delay_alu instid0(VALU_DEP_1) | instskip(SKIP_1) | instid1(VALU_DEP_1)
	v_fmac_f32_e32 v133, v127, v111
	s_waitcnt lgkmcnt(2)
	v_fmac_f32_e32 v133, v128, v112
	s_waitcnt vmcnt(1)
	s_delay_alu instid0(VALU_DEP_1) | instskip(SKIP_1) | instid1(VALU_DEP_1)
	v_fmac_f32_e32 v133, v129, v113
	s_waitcnt lgkmcnt(1)
	v_fmac_f32_e32 v133, v130, v106
	s_delay_alu instid0(VALU_DEP_1) | instskip(SKIP_1) | instid1(VALU_DEP_1)
	v_fmac_f32_e32 v133, v131, v107
	s_waitcnt lgkmcnt(0)
	v_fmac_f32_e32 v133, v132, v108
	s_waitcnt vmcnt(0)
	s_delay_alu instid0(VALU_DEP_1) | instskip(NEXT) | instid1(VALU_DEP_1)
	v_fmac_f32_e32 v133, v141, v109
	v_sub_f32_e32 v2, v105, v133
	scratch_store_b32 off, v2, off offset:88
	v_cmpx_lt_u32_e32 21, v0
	s_cbranch_execz .LBB50_271
; %bb.270:
	scratch_load_b32 v2, off, off offset:84
	v_mov_b32_e32 v105, 0
	scratch_store_b32 off, v105, off offset:84
	s_waitcnt vmcnt(0)
	ds_store_b32 v1, v2
.LBB50_271:
	s_or_b32 exec_lo, exec_lo, s0
	s_waitcnt lgkmcnt(0)
	s_waitcnt_vscnt null, 0x0
	s_barrier
	buffer_gl0_inv
	s_clause 0x7
	scratch_load_b128 v[105:108], off, off offset:84
	scratch_load_b128 v[109:112], off, off offset:100
	;; [unrolled: 1-line block ×7, first 2 shown]
	scratch_load_b64 v[141:142], off, off offset:196
	v_mov_b32_e32 v2, 0
	ds_load_2addr_b64 v[133:136], v2 offset0:37 offset1:38
	ds_load_2addr_b64 v[137:140], v2 offset0:39 offset1:40
	s_mov_b32 s0, exec_lo
	s_waitcnt vmcnt(7) lgkmcnt(1)
	v_fma_f32 v133, v106, v133, 0
	s_delay_alu instid0(VALU_DEP_1) | instskip(NEXT) | instid1(VALU_DEP_1)
	v_fmac_f32_e32 v133, v107, v134
	v_fmac_f32_e32 v133, v108, v135
	s_waitcnt vmcnt(6)
	s_delay_alu instid0(VALU_DEP_1) | instskip(SKIP_3) | instid1(VALU_DEP_1)
	v_fmac_f32_e32 v133, v109, v136
	ds_load_2addr_b64 v[106:109], v2 offset0:41 offset1:42
	s_waitcnt lgkmcnt(1)
	v_fmac_f32_e32 v133, v110, v137
	v_fmac_f32_e32 v133, v111, v138
	s_delay_alu instid0(VALU_DEP_1) | instskip(SKIP_1) | instid1(VALU_DEP_1)
	v_fmac_f32_e32 v133, v112, v139
	s_waitcnt vmcnt(5)
	v_fmac_f32_e32 v133, v113, v140
	ds_load_2addr_b64 v[110:113], v2 offset0:43 offset1:44
	s_waitcnt lgkmcnt(1)
	v_fmac_f32_e32 v133, v114, v106
	s_delay_alu instid0(VALU_DEP_1) | instskip(NEXT) | instid1(VALU_DEP_1)
	v_fmac_f32_e32 v133, v115, v107
	v_fmac_f32_e32 v133, v116, v108
	s_waitcnt vmcnt(4)
	s_delay_alu instid0(VALU_DEP_1) | instskip(SKIP_3) | instid1(VALU_DEP_1)
	v_fmac_f32_e32 v133, v117, v109
	ds_load_2addr_b64 v[106:109], v2 offset0:45 offset1:46
	s_waitcnt lgkmcnt(1)
	v_fmac_f32_e32 v133, v118, v110
	v_fmac_f32_e32 v133, v119, v111
	s_delay_alu instid0(VALU_DEP_1) | instskip(SKIP_1) | instid1(VALU_DEP_1)
	v_fmac_f32_e32 v133, v120, v112
	s_waitcnt vmcnt(3)
	v_fmac_f32_e32 v133, v121, v113
	ds_load_2addr_b64 v[110:113], v2 offset0:47 offset1:48
	s_waitcnt lgkmcnt(1)
	v_fmac_f32_e32 v133, v122, v106
	s_delay_alu instid0(VALU_DEP_1) | instskip(NEXT) | instid1(VALU_DEP_1)
	v_fmac_f32_e32 v133, v123, v107
	v_fmac_f32_e32 v133, v124, v108
	s_waitcnt vmcnt(2)
	s_delay_alu instid0(VALU_DEP_1)
	v_fmac_f32_e32 v133, v125, v109
	ds_load_2addr_b64 v[106:109], v2 offset0:49 offset1:50
	s_waitcnt lgkmcnt(1)
	v_fmac_f32_e32 v133, v126, v110
	ds_load_b32 v110, v2 offset:408
	v_fmac_f32_e32 v133, v127, v111
	s_delay_alu instid0(VALU_DEP_1) | instskip(SKIP_1) | instid1(VALU_DEP_1)
	v_fmac_f32_e32 v133, v128, v112
	s_waitcnt vmcnt(1)
	v_fmac_f32_e32 v133, v129, v113
	s_waitcnt lgkmcnt(1)
	s_delay_alu instid0(VALU_DEP_1) | instskip(NEXT) | instid1(VALU_DEP_1)
	v_fmac_f32_e32 v133, v130, v106
	v_fmac_f32_e32 v133, v131, v107
	s_delay_alu instid0(VALU_DEP_1) | instskip(SKIP_1) | instid1(VALU_DEP_1)
	v_fmac_f32_e32 v133, v132, v108
	s_waitcnt vmcnt(0)
	v_fmac_f32_e32 v133, v141, v109
	s_waitcnt lgkmcnt(0)
	s_delay_alu instid0(VALU_DEP_1) | instskip(NEXT) | instid1(VALU_DEP_1)
	v_fmac_f32_e32 v133, v142, v110
	v_sub_f32_e32 v105, v105, v133
	scratch_store_b32 off, v105, off offset:84
	v_cmpx_lt_u32_e32 20, v0
	s_cbranch_execz .LBB50_273
; %bb.272:
	scratch_load_b32 v105, off, off offset:80
	scratch_store_b32 off, v2, off offset:80
	s_waitcnt vmcnt(0)
	ds_store_b32 v1, v105
.LBB50_273:
	s_or_b32 exec_lo, exec_lo, s0
	s_waitcnt lgkmcnt(0)
	s_waitcnt_vscnt null, 0x0
	s_barrier
	buffer_gl0_inv
	s_clause 0x7
	scratch_load_b128 v[105:108], off, off offset:80
	scratch_load_b128 v[109:112], off, off offset:96
	;; [unrolled: 1-line block ×7, first 2 shown]
	scratch_load_b96 v[133:135], off, off offset:192
	ds_load_2addr_b32 v[136:137], v2 offset0:73 offset1:74
	ds_load_2addr_b32 v[138:139], v2 offset0:75 offset1:76
	;; [unrolled: 1-line block ×3, first 2 shown]
	s_mov_b32 s0, exec_lo
	s_waitcnt vmcnt(7) lgkmcnt(2)
	v_fma_f32 v136, v106, v136, 0
	s_delay_alu instid0(VALU_DEP_1) | instskip(SKIP_4) | instid1(VALU_DEP_1)
	v_fmac_f32_e32 v136, v107, v137
	ds_load_2addr_b32 v[106:107], v2 offset0:79 offset1:80
	s_waitcnt lgkmcnt(2)
	v_fmac_f32_e32 v136, v108, v138
	s_waitcnt vmcnt(6)
	v_fmac_f32_e32 v136, v109, v139
	ds_load_2addr_b32 v[108:109], v2 offset0:81 offset1:82
	s_waitcnt lgkmcnt(2)
	v_fmac_f32_e32 v136, v110, v140
	s_delay_alu instid0(VALU_DEP_1) | instskip(SKIP_4) | instid1(VALU_DEP_1)
	v_fmac_f32_e32 v136, v111, v141
	ds_load_2addr_b32 v[110:111], v2 offset0:83 offset1:84
	s_waitcnt lgkmcnt(2)
	v_fmac_f32_e32 v136, v112, v106
	s_waitcnt vmcnt(5)
	v_fmac_f32_e32 v136, v113, v107
	ds_load_2addr_b32 v[106:107], v2 offset0:85 offset1:86
	s_waitcnt lgkmcnt(2)
	v_fmac_f32_e32 v136, v114, v108
	;; [unrolled: 10-line block ×6, first 2 shown]
	s_delay_alu instid0(VALU_DEP_1) | instskip(SKIP_1) | instid1(VALU_DEP_1)
	v_fmac_f32_e32 v136, v131, v107
	s_waitcnt lgkmcnt(1)
	v_fmac_f32_e32 v136, v132, v108
	s_waitcnt vmcnt(0)
	s_delay_alu instid0(VALU_DEP_1) | instskip(SKIP_1) | instid1(VALU_DEP_1)
	v_fmac_f32_e32 v136, v133, v109
	s_waitcnt lgkmcnt(0)
	v_fmac_f32_e32 v136, v134, v110
	s_delay_alu instid0(VALU_DEP_1) | instskip(NEXT) | instid1(VALU_DEP_1)
	v_fmac_f32_e32 v136, v135, v111
	v_sub_f32_e32 v2, v105, v136
	scratch_store_b32 off, v2, off offset:80
	v_cmpx_lt_u32_e32 19, v0
	s_cbranch_execz .LBB50_275
; %bb.274:
	scratch_load_b32 v2, off, off offset:76
	v_mov_b32_e32 v105, 0
	scratch_store_b32 off, v105, off offset:76
	s_waitcnt vmcnt(0)
	ds_store_b32 v1, v2
.LBB50_275:
	s_or_b32 exec_lo, exec_lo, s0
	s_waitcnt lgkmcnt(0)
	s_waitcnt_vscnt null, 0x0
	s_barrier
	buffer_gl0_inv
	s_clause 0x7
	scratch_load_b128 v[105:108], off, off offset:76
	scratch_load_b128 v[109:112], off, off offset:92
	scratch_load_b128 v[113:116], off, off offset:108
	scratch_load_b128 v[117:120], off, off offset:124
	scratch_load_b128 v[121:124], off, off offset:140
	scratch_load_b128 v[125:128], off, off offset:156
	scratch_load_b128 v[129:132], off, off offset:172
	scratch_load_b128 v[133:136], off, off offset:188
	v_mov_b32_e32 v2, 0
	ds_load_b128 v[137:140], v2 offset:288
	ds_load_b128 v[141:144], v2 offset:304
	s_mov_b32 s0, exec_lo
	s_waitcnt vmcnt(7) lgkmcnt(1)
	v_fma_f32 v137, v106, v137, 0
	s_delay_alu instid0(VALU_DEP_1) | instskip(NEXT) | instid1(VALU_DEP_1)
	v_fmac_f32_e32 v137, v107, v138
	v_fmac_f32_e32 v137, v108, v139
	s_waitcnt vmcnt(6)
	s_delay_alu instid0(VALU_DEP_1) | instskip(SKIP_3) | instid1(VALU_DEP_1)
	v_fmac_f32_e32 v137, v109, v140
	ds_load_b128 v[106:109], v2 offset:320
	s_waitcnt lgkmcnt(1)
	v_fmac_f32_e32 v137, v110, v141
	v_fmac_f32_e32 v137, v111, v142
	s_delay_alu instid0(VALU_DEP_1) | instskip(SKIP_1) | instid1(VALU_DEP_1)
	v_fmac_f32_e32 v137, v112, v143
	s_waitcnt vmcnt(5)
	v_fmac_f32_e32 v137, v113, v144
	ds_load_b128 v[110:113], v2 offset:336
	s_waitcnt lgkmcnt(1)
	v_fmac_f32_e32 v137, v114, v106
	s_delay_alu instid0(VALU_DEP_1) | instskip(NEXT) | instid1(VALU_DEP_1)
	v_fmac_f32_e32 v137, v115, v107
	v_fmac_f32_e32 v137, v116, v108
	s_waitcnt vmcnt(4)
	s_delay_alu instid0(VALU_DEP_1) | instskip(SKIP_3) | instid1(VALU_DEP_1)
	v_fmac_f32_e32 v137, v117, v109
	ds_load_b128 v[106:109], v2 offset:352
	s_waitcnt lgkmcnt(1)
	v_fmac_f32_e32 v137, v118, v110
	v_fmac_f32_e32 v137, v119, v111
	s_delay_alu instid0(VALU_DEP_1) | instskip(SKIP_1) | instid1(VALU_DEP_1)
	v_fmac_f32_e32 v137, v120, v112
	s_waitcnt vmcnt(3)
	v_fmac_f32_e32 v137, v121, v113
	ds_load_b128 v[110:113], v2 offset:368
	s_waitcnt lgkmcnt(1)
	v_fmac_f32_e32 v137, v122, v106
	s_delay_alu instid0(VALU_DEP_1) | instskip(NEXT) | instid1(VALU_DEP_1)
	v_fmac_f32_e32 v137, v123, v107
	v_fmac_f32_e32 v137, v124, v108
	s_waitcnt vmcnt(2)
	s_delay_alu instid0(VALU_DEP_1) | instskip(SKIP_3) | instid1(VALU_DEP_1)
	v_fmac_f32_e32 v137, v125, v109
	ds_load_b128 v[106:109], v2 offset:384
	s_waitcnt lgkmcnt(1)
	v_fmac_f32_e32 v137, v126, v110
	v_fmac_f32_e32 v137, v127, v111
	s_delay_alu instid0(VALU_DEP_1) | instskip(SKIP_4) | instid1(VALU_DEP_1)
	v_fmac_f32_e32 v137, v128, v112
	ds_load_b96 v[110:112], v2 offset:400
	s_waitcnt vmcnt(1)
	v_fmac_f32_e32 v137, v129, v113
	s_waitcnt lgkmcnt(1)
	v_fmac_f32_e32 v137, v130, v106
	s_delay_alu instid0(VALU_DEP_1) | instskip(NEXT) | instid1(VALU_DEP_1)
	v_fmac_f32_e32 v137, v131, v107
	v_fmac_f32_e32 v137, v132, v108
	s_waitcnt vmcnt(0)
	s_delay_alu instid0(VALU_DEP_1) | instskip(SKIP_1) | instid1(VALU_DEP_1)
	v_fmac_f32_e32 v137, v133, v109
	s_waitcnt lgkmcnt(0)
	v_fmac_f32_e32 v137, v134, v110
	s_delay_alu instid0(VALU_DEP_1) | instskip(NEXT) | instid1(VALU_DEP_1)
	v_fmac_f32_e32 v137, v135, v111
	v_fmac_f32_e32 v137, v136, v112
	s_delay_alu instid0(VALU_DEP_1)
	v_sub_f32_e32 v105, v105, v137
	scratch_store_b32 off, v105, off offset:76
	v_cmpx_lt_u32_e32 18, v0
	s_cbranch_execz .LBB50_277
; %bb.276:
	scratch_load_b32 v105, off, off offset:72
	scratch_store_b32 off, v2, off offset:72
	s_waitcnt vmcnt(0)
	ds_store_b32 v1, v105
.LBB50_277:
	s_or_b32 exec_lo, exec_lo, s0
	s_waitcnt lgkmcnt(0)
	s_waitcnt_vscnt null, 0x0
	s_barrier
	buffer_gl0_inv
	s_clause 0x8
	scratch_load_b128 v[105:108], off, off offset:72
	scratch_load_b128 v[109:112], off, off offset:88
	;; [unrolled: 1-line block ×8, first 2 shown]
	scratch_load_b32 v145, off, off offset:200
	ds_load_2addr_b32 v[137:138], v2 offset0:71 offset1:72
	ds_load_2addr_b32 v[139:140], v2 offset0:73 offset1:74
	;; [unrolled: 1-line block ×4, first 2 shown]
	s_mov_b32 s0, exec_lo
	s_waitcnt vmcnt(8) lgkmcnt(3)
	v_fma_f32 v137, v106, v137, 0
	s_delay_alu instid0(VALU_DEP_1) | instskip(SKIP_4) | instid1(VALU_DEP_1)
	v_fmac_f32_e32 v137, v107, v138
	ds_load_2addr_b32 v[106:107], v2 offset0:79 offset1:80
	s_waitcnt lgkmcnt(3)
	v_fmac_f32_e32 v137, v108, v139
	s_waitcnt vmcnt(7)
	v_fmac_f32_e32 v137, v109, v140
	ds_load_2addr_b32 v[108:109], v2 offset0:81 offset1:82
	s_waitcnt lgkmcnt(3)
	v_fmac_f32_e32 v137, v110, v141
	s_delay_alu instid0(VALU_DEP_1) | instskip(SKIP_1) | instid1(VALU_DEP_1)
	v_fmac_f32_e32 v137, v111, v142
	s_waitcnt lgkmcnt(2)
	v_fmac_f32_e32 v137, v112, v143
	s_waitcnt vmcnt(6)
	s_delay_alu instid0(VALU_DEP_1) | instskip(SKIP_4) | instid1(VALU_DEP_1)
	v_fmac_f32_e32 v137, v113, v144
	ds_load_2addr_b32 v[110:111], v2 offset0:83 offset1:84
	ds_load_2addr_b32 v[112:113], v2 offset0:85 offset1:86
	s_waitcnt lgkmcnt(3)
	v_fmac_f32_e32 v137, v114, v106
	v_fmac_f32_e32 v137, v115, v107
	ds_load_2addr_b32 v[106:107], v2 offset0:87 offset1:88
	s_waitcnt lgkmcnt(3)
	v_fmac_f32_e32 v137, v116, v108
	s_waitcnt vmcnt(5)
	s_delay_alu instid0(VALU_DEP_1) | instskip(SKIP_3) | instid1(VALU_DEP_1)
	v_fmac_f32_e32 v137, v117, v109
	ds_load_2addr_b32 v[108:109], v2 offset0:89 offset1:90
	s_waitcnt lgkmcnt(3)
	v_fmac_f32_e32 v137, v118, v110
	v_fmac_f32_e32 v137, v119, v111
	s_waitcnt lgkmcnt(2)
	s_delay_alu instid0(VALU_DEP_1) | instskip(SKIP_1) | instid1(VALU_DEP_1)
	v_fmac_f32_e32 v137, v120, v112
	s_waitcnt vmcnt(4)
	v_fmac_f32_e32 v137, v121, v113
	ds_load_2addr_b32 v[110:111], v2 offset0:91 offset1:92
	ds_load_2addr_b32 v[112:113], v2 offset0:93 offset1:94
	s_waitcnt lgkmcnt(3)
	v_fmac_f32_e32 v137, v122, v106
	s_delay_alu instid0(VALU_DEP_1) | instskip(SKIP_4) | instid1(VALU_DEP_1)
	v_fmac_f32_e32 v137, v123, v107
	ds_load_2addr_b32 v[106:107], v2 offset0:95 offset1:96
	s_waitcnt lgkmcnt(3)
	v_fmac_f32_e32 v137, v124, v108
	s_waitcnt vmcnt(3)
	v_fmac_f32_e32 v137, v125, v109
	ds_load_2addr_b32 v[108:109], v2 offset0:97 offset1:98
	s_waitcnt lgkmcnt(3)
	v_fmac_f32_e32 v137, v126, v110
	s_delay_alu instid0(VALU_DEP_1) | instskip(SKIP_1) | instid1(VALU_DEP_1)
	v_fmac_f32_e32 v137, v127, v111
	s_waitcnt lgkmcnt(2)
	v_fmac_f32_e32 v137, v128, v112
	s_waitcnt vmcnt(2)
	s_delay_alu instid0(VALU_DEP_1) | instskip(SKIP_4) | instid1(VALU_DEP_1)
	v_fmac_f32_e32 v137, v129, v113
	ds_load_2addr_b32 v[110:111], v2 offset0:99 offset1:100
	ds_load_2addr_b32 v[112:113], v2 offset0:101 offset1:102
	s_waitcnt lgkmcnt(3)
	v_fmac_f32_e32 v137, v130, v106
	v_fmac_f32_e32 v137, v131, v107
	s_waitcnt lgkmcnt(2)
	s_delay_alu instid0(VALU_DEP_1) | instskip(SKIP_1) | instid1(VALU_DEP_1)
	v_fmac_f32_e32 v137, v132, v108
	s_waitcnt vmcnt(1)
	v_fmac_f32_e32 v137, v133, v109
	s_waitcnt lgkmcnt(1)
	s_delay_alu instid0(VALU_DEP_1) | instskip(NEXT) | instid1(VALU_DEP_1)
	v_fmac_f32_e32 v137, v134, v110
	v_fmac_f32_e32 v137, v135, v111
	s_waitcnt lgkmcnt(0)
	s_delay_alu instid0(VALU_DEP_1) | instskip(SKIP_1) | instid1(VALU_DEP_1)
	v_fmac_f32_e32 v137, v136, v112
	s_waitcnt vmcnt(0)
	v_fmac_f32_e32 v137, v145, v113
	s_delay_alu instid0(VALU_DEP_1)
	v_sub_f32_e32 v2, v105, v137
	scratch_store_b32 off, v2, off offset:72
	v_cmpx_lt_u32_e32 17, v0
	s_cbranch_execz .LBB50_279
; %bb.278:
	scratch_load_b32 v2, off, off offset:68
	v_mov_b32_e32 v105, 0
	scratch_store_b32 off, v105, off offset:68
	s_waitcnt vmcnt(0)
	ds_store_b32 v1, v2
.LBB50_279:
	s_or_b32 exec_lo, exec_lo, s0
	s_waitcnt lgkmcnt(0)
	s_waitcnt_vscnt null, 0x0
	s_barrier
	buffer_gl0_inv
	s_clause 0x8
	scratch_load_b128 v[105:108], off, off offset:68
	scratch_load_b128 v[109:112], off, off offset:84
	scratch_load_b128 v[113:116], off, off offset:100
	scratch_load_b128 v[117:120], off, off offset:116
	scratch_load_b128 v[121:124], off, off offset:132
	scratch_load_b128 v[125:128], off, off offset:148
	scratch_load_b128 v[129:132], off, off offset:164
	scratch_load_b128 v[133:136], off, off offset:180
	scratch_load_b64 v[145:146], off, off offset:196
	v_mov_b32_e32 v2, 0
	ds_load_2addr_b64 v[137:140], v2 offset0:35 offset1:36
	ds_load_2addr_b64 v[141:144], v2 offset0:37 offset1:38
	s_mov_b32 s0, exec_lo
	s_waitcnt vmcnt(8) lgkmcnt(1)
	v_fma_f32 v137, v106, v137, 0
	s_delay_alu instid0(VALU_DEP_1) | instskip(NEXT) | instid1(VALU_DEP_1)
	v_fmac_f32_e32 v137, v107, v138
	v_fmac_f32_e32 v137, v108, v139
	s_waitcnt vmcnt(7)
	s_delay_alu instid0(VALU_DEP_1) | instskip(SKIP_3) | instid1(VALU_DEP_1)
	v_fmac_f32_e32 v137, v109, v140
	ds_load_2addr_b64 v[106:109], v2 offset0:39 offset1:40
	s_waitcnt lgkmcnt(1)
	v_fmac_f32_e32 v137, v110, v141
	v_fmac_f32_e32 v137, v111, v142
	s_delay_alu instid0(VALU_DEP_1) | instskip(SKIP_1) | instid1(VALU_DEP_1)
	v_fmac_f32_e32 v137, v112, v143
	s_waitcnt vmcnt(6)
	v_fmac_f32_e32 v137, v113, v144
	ds_load_2addr_b64 v[110:113], v2 offset0:41 offset1:42
	s_waitcnt lgkmcnt(1)
	v_fmac_f32_e32 v137, v114, v106
	s_delay_alu instid0(VALU_DEP_1) | instskip(NEXT) | instid1(VALU_DEP_1)
	v_fmac_f32_e32 v137, v115, v107
	v_fmac_f32_e32 v137, v116, v108
	s_waitcnt vmcnt(5)
	s_delay_alu instid0(VALU_DEP_1) | instskip(SKIP_3) | instid1(VALU_DEP_1)
	v_fmac_f32_e32 v137, v117, v109
	ds_load_2addr_b64 v[106:109], v2 offset0:43 offset1:44
	s_waitcnt lgkmcnt(1)
	v_fmac_f32_e32 v137, v118, v110
	v_fmac_f32_e32 v137, v119, v111
	s_delay_alu instid0(VALU_DEP_1) | instskip(SKIP_1) | instid1(VALU_DEP_1)
	v_fmac_f32_e32 v137, v120, v112
	s_waitcnt vmcnt(4)
	v_fmac_f32_e32 v137, v121, v113
	ds_load_2addr_b64 v[110:113], v2 offset0:45 offset1:46
	s_waitcnt lgkmcnt(1)
	v_fmac_f32_e32 v137, v122, v106
	;; [unrolled: 17-line block ×3, first 2 shown]
	ds_load_b32 v106, v2 offset:408
	v_fmac_f32_e32 v137, v131, v107
	s_delay_alu instid0(VALU_DEP_1) | instskip(SKIP_1) | instid1(VALU_DEP_1)
	v_fmac_f32_e32 v137, v132, v108
	s_waitcnt vmcnt(1)
	v_fmac_f32_e32 v137, v133, v109
	s_waitcnt lgkmcnt(1)
	s_delay_alu instid0(VALU_DEP_1) | instskip(NEXT) | instid1(VALU_DEP_1)
	v_fmac_f32_e32 v137, v134, v110
	v_fmac_f32_e32 v137, v135, v111
	s_delay_alu instid0(VALU_DEP_1) | instskip(SKIP_1) | instid1(VALU_DEP_1)
	v_fmac_f32_e32 v137, v136, v112
	s_waitcnt vmcnt(0)
	v_fmac_f32_e32 v137, v145, v113
	s_waitcnt lgkmcnt(0)
	s_delay_alu instid0(VALU_DEP_1) | instskip(NEXT) | instid1(VALU_DEP_1)
	v_fmac_f32_e32 v137, v146, v106
	v_sub_f32_e32 v105, v105, v137
	scratch_store_b32 off, v105, off offset:68
	v_cmpx_lt_u32_e32 16, v0
	s_cbranch_execz .LBB50_281
; %bb.280:
	scratch_load_b32 v105, off, off offset:64
	scratch_store_b32 off, v2, off offset:64
	s_waitcnt vmcnt(0)
	ds_store_b32 v1, v105
.LBB50_281:
	s_or_b32 exec_lo, exec_lo, s0
	s_waitcnt lgkmcnt(0)
	s_waitcnt_vscnt null, 0x0
	s_barrier
	buffer_gl0_inv
	s_clause 0x8
	scratch_load_b128 v[105:108], off, off offset:64
	scratch_load_b128 v[109:112], off, off offset:80
	;; [unrolled: 1-line block ×8, first 2 shown]
	scratch_load_b96 v[137:139], off, off offset:192
	ds_load_2addr_b32 v[140:141], v2 offset0:69 offset1:70
	ds_load_2addr_b32 v[142:143], v2 offset0:71 offset1:72
	ds_load_2addr_b32 v[144:145], v2 offset0:73 offset1:74
	ds_load_2addr_b32 v[146:147], v2 offset0:75 offset1:76
	s_mov_b32 s0, exec_lo
	s_waitcnt vmcnt(8) lgkmcnt(3)
	v_fma_f32 v140, v106, v140, 0
	s_delay_alu instid0(VALU_DEP_1) | instskip(SKIP_4) | instid1(VALU_DEP_1)
	v_fmac_f32_e32 v140, v107, v141
	ds_load_2addr_b32 v[106:107], v2 offset0:77 offset1:78
	s_waitcnt lgkmcnt(3)
	v_fmac_f32_e32 v140, v108, v142
	s_waitcnt vmcnt(7)
	v_fmac_f32_e32 v140, v109, v143
	ds_load_2addr_b32 v[108:109], v2 offset0:79 offset1:80
	s_waitcnt lgkmcnt(3)
	v_fmac_f32_e32 v140, v110, v144
	s_delay_alu instid0(VALU_DEP_1) | instskip(SKIP_1) | instid1(VALU_DEP_1)
	v_fmac_f32_e32 v140, v111, v145
	s_waitcnt lgkmcnt(2)
	v_fmac_f32_e32 v140, v112, v146
	s_waitcnt vmcnt(6)
	s_delay_alu instid0(VALU_DEP_1) | instskip(SKIP_4) | instid1(VALU_DEP_1)
	v_fmac_f32_e32 v140, v113, v147
	ds_load_2addr_b32 v[110:111], v2 offset0:81 offset1:82
	ds_load_2addr_b32 v[112:113], v2 offset0:83 offset1:84
	s_waitcnt lgkmcnt(3)
	v_fmac_f32_e32 v140, v114, v106
	v_fmac_f32_e32 v140, v115, v107
	ds_load_2addr_b32 v[106:107], v2 offset0:85 offset1:86
	s_waitcnt lgkmcnt(3)
	v_fmac_f32_e32 v140, v116, v108
	s_waitcnt vmcnt(5)
	s_delay_alu instid0(VALU_DEP_1) | instskip(SKIP_3) | instid1(VALU_DEP_1)
	v_fmac_f32_e32 v140, v117, v109
	ds_load_2addr_b32 v[108:109], v2 offset0:87 offset1:88
	s_waitcnt lgkmcnt(3)
	v_fmac_f32_e32 v140, v118, v110
	v_fmac_f32_e32 v140, v119, v111
	s_waitcnt lgkmcnt(2)
	s_delay_alu instid0(VALU_DEP_1) | instskip(SKIP_1) | instid1(VALU_DEP_1)
	v_fmac_f32_e32 v140, v120, v112
	s_waitcnt vmcnt(4)
	v_fmac_f32_e32 v140, v121, v113
	ds_load_2addr_b32 v[110:111], v2 offset0:89 offset1:90
	ds_load_2addr_b32 v[112:113], v2 offset0:91 offset1:92
	s_waitcnt lgkmcnt(3)
	v_fmac_f32_e32 v140, v122, v106
	s_delay_alu instid0(VALU_DEP_1) | instskip(SKIP_4) | instid1(VALU_DEP_1)
	v_fmac_f32_e32 v140, v123, v107
	ds_load_2addr_b32 v[106:107], v2 offset0:93 offset1:94
	s_waitcnt lgkmcnt(3)
	v_fmac_f32_e32 v140, v124, v108
	s_waitcnt vmcnt(3)
	v_fmac_f32_e32 v140, v125, v109
	ds_load_2addr_b32 v[108:109], v2 offset0:95 offset1:96
	s_waitcnt lgkmcnt(3)
	v_fmac_f32_e32 v140, v126, v110
	s_delay_alu instid0(VALU_DEP_1) | instskip(SKIP_1) | instid1(VALU_DEP_1)
	v_fmac_f32_e32 v140, v127, v111
	s_waitcnt lgkmcnt(2)
	v_fmac_f32_e32 v140, v128, v112
	s_waitcnt vmcnt(2)
	s_delay_alu instid0(VALU_DEP_1) | instskip(SKIP_4) | instid1(VALU_DEP_1)
	v_fmac_f32_e32 v140, v129, v113
	ds_load_2addr_b32 v[110:111], v2 offset0:97 offset1:98
	ds_load_2addr_b32 v[112:113], v2 offset0:99 offset1:100
	s_waitcnt lgkmcnt(3)
	v_fmac_f32_e32 v140, v130, v106
	v_fmac_f32_e32 v140, v131, v107
	ds_load_2addr_b32 v[106:107], v2 offset0:101 offset1:102
	s_waitcnt lgkmcnt(3)
	v_fmac_f32_e32 v140, v132, v108
	s_waitcnt vmcnt(1)
	s_delay_alu instid0(VALU_DEP_1) | instskip(SKIP_1) | instid1(VALU_DEP_1)
	v_fmac_f32_e32 v140, v133, v109
	s_waitcnt lgkmcnt(2)
	v_fmac_f32_e32 v140, v134, v110
	s_delay_alu instid0(VALU_DEP_1) | instskip(SKIP_1) | instid1(VALU_DEP_1)
	v_fmac_f32_e32 v140, v135, v111
	s_waitcnt lgkmcnt(1)
	v_fmac_f32_e32 v140, v136, v112
	s_waitcnt vmcnt(0)
	s_delay_alu instid0(VALU_DEP_1) | instskip(SKIP_1) | instid1(VALU_DEP_1)
	v_fmac_f32_e32 v140, v137, v113
	s_waitcnt lgkmcnt(0)
	v_fmac_f32_e32 v140, v138, v106
	s_delay_alu instid0(VALU_DEP_1) | instskip(NEXT) | instid1(VALU_DEP_1)
	v_fmac_f32_e32 v140, v139, v107
	v_sub_f32_e32 v2, v105, v140
	scratch_store_b32 off, v2, off offset:64
	v_cmpx_lt_u32_e32 15, v0
	s_cbranch_execz .LBB50_283
; %bb.282:
	scratch_load_b32 v2, off, off offset:60
	v_mov_b32_e32 v105, 0
	scratch_store_b32 off, v105, off offset:60
	s_waitcnt vmcnt(0)
	ds_store_b32 v1, v2
.LBB50_283:
	s_or_b32 exec_lo, exec_lo, s0
	s_waitcnt lgkmcnt(0)
	s_waitcnt_vscnt null, 0x0
	s_barrier
	buffer_gl0_inv
	s_clause 0x8
	scratch_load_b128 v[105:108], off, off offset:60
	scratch_load_b128 v[109:112], off, off offset:76
	;; [unrolled: 1-line block ×9, first 2 shown]
	v_mov_b32_e32 v2, 0
	ds_load_b128 v[141:144], v2 offset:272
	ds_load_b128 v[145:148], v2 offset:288
	s_mov_b32 s0, exec_lo
	s_waitcnt vmcnt(8) lgkmcnt(1)
	v_fma_f32 v141, v106, v141, 0
	s_delay_alu instid0(VALU_DEP_1) | instskip(NEXT) | instid1(VALU_DEP_1)
	v_fmac_f32_e32 v141, v107, v142
	v_fmac_f32_e32 v141, v108, v143
	s_waitcnt vmcnt(7)
	s_delay_alu instid0(VALU_DEP_1) | instskip(SKIP_3) | instid1(VALU_DEP_1)
	v_fmac_f32_e32 v141, v109, v144
	ds_load_b128 v[106:109], v2 offset:304
	s_waitcnt lgkmcnt(1)
	v_fmac_f32_e32 v141, v110, v145
	v_fmac_f32_e32 v141, v111, v146
	s_delay_alu instid0(VALU_DEP_1) | instskip(SKIP_1) | instid1(VALU_DEP_1)
	v_fmac_f32_e32 v141, v112, v147
	s_waitcnt vmcnt(6)
	v_fmac_f32_e32 v141, v113, v148
	ds_load_b128 v[110:113], v2 offset:320
	s_waitcnt lgkmcnt(1)
	v_fmac_f32_e32 v141, v114, v106
	s_delay_alu instid0(VALU_DEP_1) | instskip(NEXT) | instid1(VALU_DEP_1)
	v_fmac_f32_e32 v141, v115, v107
	v_fmac_f32_e32 v141, v116, v108
	s_waitcnt vmcnt(5)
	s_delay_alu instid0(VALU_DEP_1) | instskip(SKIP_3) | instid1(VALU_DEP_1)
	v_fmac_f32_e32 v141, v117, v109
	ds_load_b128 v[106:109], v2 offset:336
	s_waitcnt lgkmcnt(1)
	v_fmac_f32_e32 v141, v118, v110
	v_fmac_f32_e32 v141, v119, v111
	s_delay_alu instid0(VALU_DEP_1) | instskip(SKIP_1) | instid1(VALU_DEP_1)
	v_fmac_f32_e32 v141, v120, v112
	s_waitcnt vmcnt(4)
	v_fmac_f32_e32 v141, v121, v113
	ds_load_b128 v[110:113], v2 offset:352
	s_waitcnt lgkmcnt(1)
	v_fmac_f32_e32 v141, v122, v106
	;; [unrolled: 17-line block ×3, first 2 shown]
	s_delay_alu instid0(VALU_DEP_1) | instskip(NEXT) | instid1(VALU_DEP_1)
	v_fmac_f32_e32 v141, v131, v107
	v_fmac_f32_e32 v141, v132, v108
	ds_load_b96 v[106:108], v2 offset:400
	s_waitcnt vmcnt(1)
	v_fmac_f32_e32 v141, v133, v109
	s_waitcnt lgkmcnt(1)
	s_delay_alu instid0(VALU_DEP_1) | instskip(NEXT) | instid1(VALU_DEP_1)
	v_fmac_f32_e32 v141, v134, v110
	v_fmac_f32_e32 v141, v135, v111
	s_delay_alu instid0(VALU_DEP_1) | instskip(SKIP_1) | instid1(VALU_DEP_1)
	v_fmac_f32_e32 v141, v136, v112
	s_waitcnt vmcnt(0)
	v_fmac_f32_e32 v141, v137, v113
	s_waitcnt lgkmcnt(0)
	s_delay_alu instid0(VALU_DEP_1) | instskip(NEXT) | instid1(VALU_DEP_1)
	v_fmac_f32_e32 v141, v138, v106
	v_fmac_f32_e32 v141, v139, v107
	s_delay_alu instid0(VALU_DEP_1) | instskip(NEXT) | instid1(VALU_DEP_1)
	v_fmac_f32_e32 v141, v140, v108
	v_sub_f32_e32 v105, v105, v141
	scratch_store_b32 off, v105, off offset:60
	v_cmpx_lt_u32_e32 14, v0
	s_cbranch_execz .LBB50_285
; %bb.284:
	scratch_load_b32 v105, off, off offset:56
	scratch_store_b32 off, v2, off offset:56
	s_waitcnt vmcnt(0)
	ds_store_b32 v1, v105
.LBB50_285:
	s_or_b32 exec_lo, exec_lo, s0
	s_waitcnt lgkmcnt(0)
	s_waitcnt_vscnt null, 0x0
	s_barrier
	buffer_gl0_inv
	s_clause 0x9
	scratch_load_b128 v[105:108], off, off offset:56
	scratch_load_b128 v[109:112], off, off offset:72
	scratch_load_b128 v[113:116], off, off offset:88
	scratch_load_b128 v[117:120], off, off offset:104
	scratch_load_b128 v[121:124], off, off offset:120
	scratch_load_b128 v[125:128], off, off offset:136
	scratch_load_b128 v[129:132], off, off offset:152
	scratch_load_b128 v[133:136], off, off offset:168
	scratch_load_b128 v[137:140], off, off offset:184
	scratch_load_b32 v149, off, off offset:200
	ds_load_2addr_b32 v[141:142], v2 offset0:67 offset1:68
	ds_load_2addr_b32 v[143:144], v2 offset0:69 offset1:70
	;; [unrolled: 1-line block ×4, first 2 shown]
	s_mov_b32 s0, exec_lo
	s_waitcnt vmcnt(9) lgkmcnt(3)
	v_fma_f32 v141, v106, v141, 0
	s_delay_alu instid0(VALU_DEP_1) | instskip(SKIP_4) | instid1(VALU_DEP_1)
	v_fmac_f32_e32 v141, v107, v142
	ds_load_2addr_b32 v[106:107], v2 offset0:75 offset1:76
	s_waitcnt lgkmcnt(3)
	v_fmac_f32_e32 v141, v108, v143
	s_waitcnt vmcnt(8)
	v_fmac_f32_e32 v141, v109, v144
	ds_load_2addr_b32 v[108:109], v2 offset0:77 offset1:78
	s_waitcnt lgkmcnt(3)
	v_fmac_f32_e32 v141, v110, v145
	s_delay_alu instid0(VALU_DEP_1) | instskip(SKIP_1) | instid1(VALU_DEP_1)
	v_fmac_f32_e32 v141, v111, v146
	s_waitcnt lgkmcnt(2)
	v_fmac_f32_e32 v141, v112, v147
	s_waitcnt vmcnt(7)
	s_delay_alu instid0(VALU_DEP_1) | instskip(SKIP_4) | instid1(VALU_DEP_1)
	v_fmac_f32_e32 v141, v113, v148
	ds_load_2addr_b32 v[110:111], v2 offset0:79 offset1:80
	ds_load_2addr_b32 v[112:113], v2 offset0:81 offset1:82
	s_waitcnt lgkmcnt(3)
	v_fmac_f32_e32 v141, v114, v106
	v_fmac_f32_e32 v141, v115, v107
	ds_load_2addr_b32 v[106:107], v2 offset0:83 offset1:84
	s_waitcnt lgkmcnt(3)
	v_fmac_f32_e32 v141, v116, v108
	s_waitcnt vmcnt(6)
	s_delay_alu instid0(VALU_DEP_1) | instskip(SKIP_3) | instid1(VALU_DEP_1)
	v_fmac_f32_e32 v141, v117, v109
	ds_load_2addr_b32 v[108:109], v2 offset0:85 offset1:86
	s_waitcnt lgkmcnt(3)
	v_fmac_f32_e32 v141, v118, v110
	v_fmac_f32_e32 v141, v119, v111
	s_waitcnt lgkmcnt(2)
	s_delay_alu instid0(VALU_DEP_1) | instskip(SKIP_1) | instid1(VALU_DEP_1)
	v_fmac_f32_e32 v141, v120, v112
	s_waitcnt vmcnt(5)
	v_fmac_f32_e32 v141, v121, v113
	ds_load_2addr_b32 v[110:111], v2 offset0:87 offset1:88
	ds_load_2addr_b32 v[112:113], v2 offset0:89 offset1:90
	s_waitcnt lgkmcnt(3)
	v_fmac_f32_e32 v141, v122, v106
	s_delay_alu instid0(VALU_DEP_1) | instskip(SKIP_4) | instid1(VALU_DEP_1)
	v_fmac_f32_e32 v141, v123, v107
	ds_load_2addr_b32 v[106:107], v2 offset0:91 offset1:92
	s_waitcnt lgkmcnt(3)
	v_fmac_f32_e32 v141, v124, v108
	s_waitcnt vmcnt(4)
	v_fmac_f32_e32 v141, v125, v109
	ds_load_2addr_b32 v[108:109], v2 offset0:93 offset1:94
	s_waitcnt lgkmcnt(3)
	v_fmac_f32_e32 v141, v126, v110
	s_delay_alu instid0(VALU_DEP_1) | instskip(SKIP_1) | instid1(VALU_DEP_1)
	v_fmac_f32_e32 v141, v127, v111
	s_waitcnt lgkmcnt(2)
	v_fmac_f32_e32 v141, v128, v112
	s_waitcnt vmcnt(3)
	s_delay_alu instid0(VALU_DEP_1) | instskip(SKIP_4) | instid1(VALU_DEP_1)
	v_fmac_f32_e32 v141, v129, v113
	ds_load_2addr_b32 v[110:111], v2 offset0:95 offset1:96
	ds_load_2addr_b32 v[112:113], v2 offset0:97 offset1:98
	s_waitcnt lgkmcnt(3)
	v_fmac_f32_e32 v141, v130, v106
	v_fmac_f32_e32 v141, v131, v107
	ds_load_2addr_b32 v[106:107], v2 offset0:99 offset1:100
	s_waitcnt lgkmcnt(3)
	v_fmac_f32_e32 v141, v132, v108
	s_waitcnt vmcnt(2)
	s_delay_alu instid0(VALU_DEP_1) | instskip(SKIP_3) | instid1(VALU_DEP_1)
	v_fmac_f32_e32 v141, v133, v109
	ds_load_2addr_b32 v[108:109], v2 offset0:101 offset1:102
	s_waitcnt lgkmcnt(3)
	v_fmac_f32_e32 v141, v134, v110
	v_fmac_f32_e32 v141, v135, v111
	s_waitcnt lgkmcnt(2)
	s_delay_alu instid0(VALU_DEP_1) | instskip(SKIP_1) | instid1(VALU_DEP_1)
	v_fmac_f32_e32 v141, v136, v112
	s_waitcnt vmcnt(1)
	v_fmac_f32_e32 v141, v137, v113
	s_waitcnt lgkmcnt(1)
	s_delay_alu instid0(VALU_DEP_1) | instskip(NEXT) | instid1(VALU_DEP_1)
	v_fmac_f32_e32 v141, v138, v106
	v_fmac_f32_e32 v141, v139, v107
	s_waitcnt lgkmcnt(0)
	s_delay_alu instid0(VALU_DEP_1) | instskip(SKIP_1) | instid1(VALU_DEP_1)
	v_fmac_f32_e32 v141, v140, v108
	s_waitcnt vmcnt(0)
	v_fmac_f32_e32 v141, v149, v109
	s_delay_alu instid0(VALU_DEP_1)
	v_sub_f32_e32 v2, v105, v141
	scratch_store_b32 off, v2, off offset:56
	v_cmpx_lt_u32_e32 13, v0
	s_cbranch_execz .LBB50_287
; %bb.286:
	scratch_load_b32 v2, off, off offset:52
	v_mov_b32_e32 v105, 0
	scratch_store_b32 off, v105, off offset:52
	s_waitcnt vmcnt(0)
	ds_store_b32 v1, v2
.LBB50_287:
	s_or_b32 exec_lo, exec_lo, s0
	s_waitcnt lgkmcnt(0)
	s_waitcnt_vscnt null, 0x0
	s_barrier
	buffer_gl0_inv
	s_clause 0x9
	scratch_load_b128 v[105:108], off, off offset:52
	scratch_load_b128 v[109:112], off, off offset:68
	;; [unrolled: 1-line block ×9, first 2 shown]
	scratch_load_b64 v[149:150], off, off offset:196
	v_mov_b32_e32 v2, 0
	ds_load_2addr_b64 v[141:144], v2 offset0:33 offset1:34
	ds_load_2addr_b64 v[145:148], v2 offset0:35 offset1:36
	s_mov_b32 s0, exec_lo
	s_waitcnt vmcnt(9) lgkmcnt(1)
	v_fma_f32 v141, v106, v141, 0
	s_delay_alu instid0(VALU_DEP_1) | instskip(NEXT) | instid1(VALU_DEP_1)
	v_fmac_f32_e32 v141, v107, v142
	v_fmac_f32_e32 v141, v108, v143
	s_waitcnt vmcnt(8)
	s_delay_alu instid0(VALU_DEP_1) | instskip(SKIP_3) | instid1(VALU_DEP_1)
	v_fmac_f32_e32 v141, v109, v144
	ds_load_2addr_b64 v[106:109], v2 offset0:37 offset1:38
	s_waitcnt lgkmcnt(1)
	v_fmac_f32_e32 v141, v110, v145
	v_fmac_f32_e32 v141, v111, v146
	s_delay_alu instid0(VALU_DEP_1) | instskip(SKIP_1) | instid1(VALU_DEP_1)
	v_fmac_f32_e32 v141, v112, v147
	s_waitcnt vmcnt(7)
	v_fmac_f32_e32 v141, v113, v148
	ds_load_2addr_b64 v[110:113], v2 offset0:39 offset1:40
	s_waitcnt lgkmcnt(1)
	v_fmac_f32_e32 v141, v114, v106
	s_delay_alu instid0(VALU_DEP_1) | instskip(NEXT) | instid1(VALU_DEP_1)
	v_fmac_f32_e32 v141, v115, v107
	v_fmac_f32_e32 v141, v116, v108
	s_waitcnt vmcnt(6)
	s_delay_alu instid0(VALU_DEP_1) | instskip(SKIP_3) | instid1(VALU_DEP_1)
	v_fmac_f32_e32 v141, v117, v109
	ds_load_2addr_b64 v[106:109], v2 offset0:41 offset1:42
	s_waitcnt lgkmcnt(1)
	v_fmac_f32_e32 v141, v118, v110
	v_fmac_f32_e32 v141, v119, v111
	s_delay_alu instid0(VALU_DEP_1) | instskip(SKIP_1) | instid1(VALU_DEP_1)
	v_fmac_f32_e32 v141, v120, v112
	s_waitcnt vmcnt(5)
	v_fmac_f32_e32 v141, v121, v113
	ds_load_2addr_b64 v[110:113], v2 offset0:43 offset1:44
	s_waitcnt lgkmcnt(1)
	v_fmac_f32_e32 v141, v122, v106
	;; [unrolled: 17-line block ×3, first 2 shown]
	s_delay_alu instid0(VALU_DEP_1) | instskip(NEXT) | instid1(VALU_DEP_1)
	v_fmac_f32_e32 v141, v131, v107
	v_fmac_f32_e32 v141, v132, v108
	s_waitcnt vmcnt(2)
	s_delay_alu instid0(VALU_DEP_1)
	v_fmac_f32_e32 v141, v133, v109
	ds_load_2addr_b64 v[106:109], v2 offset0:49 offset1:50
	s_waitcnt lgkmcnt(1)
	v_fmac_f32_e32 v141, v134, v110
	ds_load_b32 v110, v2 offset:408
	v_fmac_f32_e32 v141, v135, v111
	s_delay_alu instid0(VALU_DEP_1) | instskip(SKIP_1) | instid1(VALU_DEP_1)
	v_fmac_f32_e32 v141, v136, v112
	s_waitcnt vmcnt(1)
	v_fmac_f32_e32 v141, v137, v113
	s_waitcnt lgkmcnt(1)
	s_delay_alu instid0(VALU_DEP_1) | instskip(NEXT) | instid1(VALU_DEP_1)
	v_fmac_f32_e32 v141, v138, v106
	v_fmac_f32_e32 v141, v139, v107
	s_delay_alu instid0(VALU_DEP_1) | instskip(SKIP_1) | instid1(VALU_DEP_1)
	v_fmac_f32_e32 v141, v140, v108
	s_waitcnt vmcnt(0)
	v_fmac_f32_e32 v141, v149, v109
	s_waitcnt lgkmcnt(0)
	s_delay_alu instid0(VALU_DEP_1) | instskip(NEXT) | instid1(VALU_DEP_1)
	v_fmac_f32_e32 v141, v150, v110
	v_sub_f32_e32 v105, v105, v141
	scratch_store_b32 off, v105, off offset:52
	v_cmpx_lt_u32_e32 12, v0
	s_cbranch_execz .LBB50_289
; %bb.288:
	scratch_load_b32 v105, off, off offset:48
	scratch_store_b32 off, v2, off offset:48
	s_waitcnt vmcnt(0)
	ds_store_b32 v1, v105
.LBB50_289:
	s_or_b32 exec_lo, exec_lo, s0
	s_waitcnt lgkmcnt(0)
	s_waitcnt_vscnt null, 0x0
	s_barrier
	buffer_gl0_inv
	s_clause 0x9
	scratch_load_b128 v[105:108], off, off offset:48
	scratch_load_b128 v[109:112], off, off offset:64
	;; [unrolled: 1-line block ×9, first 2 shown]
	scratch_load_b96 v[141:143], off, off offset:192
	ds_load_2addr_b32 v[144:145], v2 offset0:65 offset1:66
	ds_load_2addr_b32 v[146:147], v2 offset0:67 offset1:68
	;; [unrolled: 1-line block ×4, first 2 shown]
	s_mov_b32 s0, exec_lo
	s_waitcnt vmcnt(9) lgkmcnt(3)
	v_fma_f32 v144, v106, v144, 0
	s_delay_alu instid0(VALU_DEP_1) | instskip(SKIP_4) | instid1(VALU_DEP_1)
	v_fmac_f32_e32 v144, v107, v145
	ds_load_2addr_b32 v[106:107], v2 offset0:73 offset1:74
	s_waitcnt lgkmcnt(3)
	v_fmac_f32_e32 v144, v108, v146
	s_waitcnt vmcnt(8)
	v_fmac_f32_e32 v144, v109, v147
	ds_load_2addr_b32 v[108:109], v2 offset0:75 offset1:76
	s_waitcnt lgkmcnt(3)
	v_fmac_f32_e32 v144, v110, v148
	s_delay_alu instid0(VALU_DEP_1) | instskip(SKIP_1) | instid1(VALU_DEP_1)
	v_fmac_f32_e32 v144, v111, v149
	s_waitcnt lgkmcnt(2)
	v_fmac_f32_e32 v144, v112, v150
	s_waitcnt vmcnt(7)
	s_delay_alu instid0(VALU_DEP_1) | instskip(SKIP_4) | instid1(VALU_DEP_1)
	v_fmac_f32_e32 v144, v113, v151
	ds_load_2addr_b32 v[110:111], v2 offset0:77 offset1:78
	ds_load_2addr_b32 v[112:113], v2 offset0:79 offset1:80
	s_waitcnt lgkmcnt(3)
	v_fmac_f32_e32 v144, v114, v106
	v_fmac_f32_e32 v144, v115, v107
	ds_load_2addr_b32 v[106:107], v2 offset0:81 offset1:82
	s_waitcnt lgkmcnt(3)
	v_fmac_f32_e32 v144, v116, v108
	s_waitcnt vmcnt(6)
	s_delay_alu instid0(VALU_DEP_1) | instskip(SKIP_3) | instid1(VALU_DEP_1)
	v_fmac_f32_e32 v144, v117, v109
	ds_load_2addr_b32 v[108:109], v2 offset0:83 offset1:84
	s_waitcnt lgkmcnt(3)
	v_fmac_f32_e32 v144, v118, v110
	v_fmac_f32_e32 v144, v119, v111
	s_waitcnt lgkmcnt(2)
	s_delay_alu instid0(VALU_DEP_1) | instskip(SKIP_1) | instid1(VALU_DEP_1)
	v_fmac_f32_e32 v144, v120, v112
	s_waitcnt vmcnt(5)
	v_fmac_f32_e32 v144, v121, v113
	ds_load_2addr_b32 v[110:111], v2 offset0:85 offset1:86
	ds_load_2addr_b32 v[112:113], v2 offset0:87 offset1:88
	s_waitcnt lgkmcnt(3)
	v_fmac_f32_e32 v144, v122, v106
	s_delay_alu instid0(VALU_DEP_1) | instskip(SKIP_4) | instid1(VALU_DEP_1)
	v_fmac_f32_e32 v144, v123, v107
	ds_load_2addr_b32 v[106:107], v2 offset0:89 offset1:90
	s_waitcnt lgkmcnt(3)
	v_fmac_f32_e32 v144, v124, v108
	s_waitcnt vmcnt(4)
	v_fmac_f32_e32 v144, v125, v109
	ds_load_2addr_b32 v[108:109], v2 offset0:91 offset1:92
	s_waitcnt lgkmcnt(3)
	v_fmac_f32_e32 v144, v126, v110
	s_delay_alu instid0(VALU_DEP_1) | instskip(SKIP_1) | instid1(VALU_DEP_1)
	v_fmac_f32_e32 v144, v127, v111
	s_waitcnt lgkmcnt(2)
	v_fmac_f32_e32 v144, v128, v112
	s_waitcnt vmcnt(3)
	s_delay_alu instid0(VALU_DEP_1) | instskip(SKIP_4) | instid1(VALU_DEP_1)
	v_fmac_f32_e32 v144, v129, v113
	ds_load_2addr_b32 v[110:111], v2 offset0:93 offset1:94
	ds_load_2addr_b32 v[112:113], v2 offset0:95 offset1:96
	s_waitcnt lgkmcnt(3)
	v_fmac_f32_e32 v144, v130, v106
	v_fmac_f32_e32 v144, v131, v107
	ds_load_2addr_b32 v[106:107], v2 offset0:97 offset1:98
	s_waitcnt lgkmcnt(3)
	v_fmac_f32_e32 v144, v132, v108
	s_waitcnt vmcnt(2)
	s_delay_alu instid0(VALU_DEP_1) | instskip(SKIP_3) | instid1(VALU_DEP_1)
	v_fmac_f32_e32 v144, v133, v109
	ds_load_2addr_b32 v[108:109], v2 offset0:99 offset1:100
	s_waitcnt lgkmcnt(3)
	v_fmac_f32_e32 v144, v134, v110
	v_fmac_f32_e32 v144, v135, v111
	ds_load_2addr_b32 v[110:111], v2 offset0:101 offset1:102
	s_waitcnt lgkmcnt(3)
	v_fmac_f32_e32 v144, v136, v112
	s_waitcnt vmcnt(1)
	s_delay_alu instid0(VALU_DEP_1) | instskip(SKIP_1) | instid1(VALU_DEP_1)
	v_fmac_f32_e32 v144, v137, v113
	s_waitcnt lgkmcnt(2)
	v_fmac_f32_e32 v144, v138, v106
	s_delay_alu instid0(VALU_DEP_1) | instskip(SKIP_1) | instid1(VALU_DEP_1)
	v_fmac_f32_e32 v144, v139, v107
	s_waitcnt lgkmcnt(1)
	v_fmac_f32_e32 v144, v140, v108
	s_waitcnt vmcnt(0)
	s_delay_alu instid0(VALU_DEP_1) | instskip(SKIP_1) | instid1(VALU_DEP_1)
	v_fmac_f32_e32 v144, v141, v109
	s_waitcnt lgkmcnt(0)
	v_fmac_f32_e32 v144, v142, v110
	s_delay_alu instid0(VALU_DEP_1) | instskip(NEXT) | instid1(VALU_DEP_1)
	v_fmac_f32_e32 v144, v143, v111
	v_sub_f32_e32 v2, v105, v144
	scratch_store_b32 off, v2, off offset:48
	v_cmpx_lt_u32_e32 11, v0
	s_cbranch_execz .LBB50_291
; %bb.290:
	scratch_load_b32 v2, off, off offset:44
	v_mov_b32_e32 v105, 0
	scratch_store_b32 off, v105, off offset:44
	s_waitcnt vmcnt(0)
	ds_store_b32 v1, v2
.LBB50_291:
	s_or_b32 exec_lo, exec_lo, s0
	s_waitcnt lgkmcnt(0)
	s_waitcnt_vscnt null, 0x0
	s_barrier
	buffer_gl0_inv
	s_clause 0x9
	scratch_load_b128 v[105:108], off, off offset:44
	scratch_load_b128 v[109:112], off, off offset:60
	;; [unrolled: 1-line block ×10, first 2 shown]
	v_mov_b32_e32 v2, 0
	ds_load_b128 v[145:148], v2 offset:256
	ds_load_b128 v[149:152], v2 offset:272
	s_mov_b32 s0, exec_lo
	s_waitcnt vmcnt(9) lgkmcnt(1)
	v_fma_f32 v145, v106, v145, 0
	s_delay_alu instid0(VALU_DEP_1) | instskip(NEXT) | instid1(VALU_DEP_1)
	v_fmac_f32_e32 v145, v107, v146
	v_fmac_f32_e32 v145, v108, v147
	s_waitcnt vmcnt(8)
	s_delay_alu instid0(VALU_DEP_1) | instskip(SKIP_3) | instid1(VALU_DEP_1)
	v_fmac_f32_e32 v145, v109, v148
	ds_load_b128 v[106:109], v2 offset:288
	s_waitcnt lgkmcnt(1)
	v_fmac_f32_e32 v145, v110, v149
	v_fmac_f32_e32 v145, v111, v150
	s_delay_alu instid0(VALU_DEP_1) | instskip(SKIP_1) | instid1(VALU_DEP_1)
	v_fmac_f32_e32 v145, v112, v151
	s_waitcnt vmcnt(7)
	v_fmac_f32_e32 v145, v113, v152
	ds_load_b128 v[110:113], v2 offset:304
	s_waitcnt lgkmcnt(1)
	v_fmac_f32_e32 v145, v114, v106
	s_delay_alu instid0(VALU_DEP_1) | instskip(NEXT) | instid1(VALU_DEP_1)
	v_fmac_f32_e32 v145, v115, v107
	v_fmac_f32_e32 v145, v116, v108
	s_waitcnt vmcnt(6)
	s_delay_alu instid0(VALU_DEP_1) | instskip(SKIP_3) | instid1(VALU_DEP_1)
	v_fmac_f32_e32 v145, v117, v109
	ds_load_b128 v[106:109], v2 offset:320
	s_waitcnt lgkmcnt(1)
	v_fmac_f32_e32 v145, v118, v110
	v_fmac_f32_e32 v145, v119, v111
	s_delay_alu instid0(VALU_DEP_1) | instskip(SKIP_1) | instid1(VALU_DEP_1)
	v_fmac_f32_e32 v145, v120, v112
	s_waitcnt vmcnt(5)
	v_fmac_f32_e32 v145, v121, v113
	ds_load_b128 v[110:113], v2 offset:336
	s_waitcnt lgkmcnt(1)
	v_fmac_f32_e32 v145, v122, v106
	;; [unrolled: 17-line block ×3, first 2 shown]
	s_delay_alu instid0(VALU_DEP_1) | instskip(NEXT) | instid1(VALU_DEP_1)
	v_fmac_f32_e32 v145, v131, v107
	v_fmac_f32_e32 v145, v132, v108
	s_waitcnt vmcnt(2)
	s_delay_alu instid0(VALU_DEP_1) | instskip(SKIP_3) | instid1(VALU_DEP_1)
	v_fmac_f32_e32 v145, v133, v109
	ds_load_b128 v[106:109], v2 offset:384
	s_waitcnt lgkmcnt(1)
	v_fmac_f32_e32 v145, v134, v110
	v_fmac_f32_e32 v145, v135, v111
	s_delay_alu instid0(VALU_DEP_1) | instskip(SKIP_4) | instid1(VALU_DEP_1)
	v_fmac_f32_e32 v145, v136, v112
	ds_load_b96 v[110:112], v2 offset:400
	s_waitcnt vmcnt(1)
	v_fmac_f32_e32 v145, v137, v113
	s_waitcnt lgkmcnt(1)
	v_fmac_f32_e32 v145, v138, v106
	s_delay_alu instid0(VALU_DEP_1) | instskip(NEXT) | instid1(VALU_DEP_1)
	v_fmac_f32_e32 v145, v139, v107
	v_fmac_f32_e32 v145, v140, v108
	s_waitcnt vmcnt(0)
	s_delay_alu instid0(VALU_DEP_1) | instskip(SKIP_1) | instid1(VALU_DEP_1)
	v_fmac_f32_e32 v145, v141, v109
	s_waitcnt lgkmcnt(0)
	v_fmac_f32_e32 v145, v142, v110
	s_delay_alu instid0(VALU_DEP_1) | instskip(NEXT) | instid1(VALU_DEP_1)
	v_fmac_f32_e32 v145, v143, v111
	v_fmac_f32_e32 v145, v144, v112
	s_delay_alu instid0(VALU_DEP_1)
	v_sub_f32_e32 v105, v105, v145
	scratch_store_b32 off, v105, off offset:44
	v_cmpx_lt_u32_e32 10, v0
	s_cbranch_execz .LBB50_293
; %bb.292:
	scratch_load_b32 v105, off, off offset:40
	scratch_store_b32 off, v2, off offset:40
	s_waitcnt vmcnt(0)
	ds_store_b32 v1, v105
.LBB50_293:
	s_or_b32 exec_lo, exec_lo, s0
	s_waitcnt lgkmcnt(0)
	s_waitcnt_vscnt null, 0x0
	s_barrier
	buffer_gl0_inv
	s_clause 0xa
	scratch_load_b128 v[105:108], off, off offset:40
	scratch_load_b128 v[109:112], off, off offset:56
	;; [unrolled: 1-line block ×10, first 2 shown]
	scratch_load_b32 v153, off, off offset:200
	ds_load_2addr_b32 v[145:146], v2 offset0:63 offset1:64
	ds_load_2addr_b32 v[147:148], v2 offset0:65 offset1:66
	;; [unrolled: 1-line block ×4, first 2 shown]
	s_mov_b32 s0, exec_lo
	s_waitcnt vmcnt(10) lgkmcnt(3)
	v_fma_f32 v145, v106, v145, 0
	s_delay_alu instid0(VALU_DEP_1) | instskip(SKIP_4) | instid1(VALU_DEP_1)
	v_fmac_f32_e32 v145, v107, v146
	ds_load_2addr_b32 v[106:107], v2 offset0:71 offset1:72
	s_waitcnt lgkmcnt(3)
	v_fmac_f32_e32 v145, v108, v147
	s_waitcnt vmcnt(9)
	v_fmac_f32_e32 v145, v109, v148
	ds_load_2addr_b32 v[108:109], v2 offset0:73 offset1:74
	s_waitcnt lgkmcnt(3)
	v_fmac_f32_e32 v145, v110, v149
	s_delay_alu instid0(VALU_DEP_1) | instskip(SKIP_1) | instid1(VALU_DEP_1)
	v_fmac_f32_e32 v145, v111, v150
	s_waitcnt lgkmcnt(2)
	v_fmac_f32_e32 v145, v112, v151
	s_waitcnt vmcnt(8)
	s_delay_alu instid0(VALU_DEP_1) | instskip(SKIP_4) | instid1(VALU_DEP_1)
	v_fmac_f32_e32 v145, v113, v152
	ds_load_2addr_b32 v[110:111], v2 offset0:75 offset1:76
	ds_load_2addr_b32 v[112:113], v2 offset0:77 offset1:78
	s_waitcnt lgkmcnt(3)
	v_fmac_f32_e32 v145, v114, v106
	v_fmac_f32_e32 v145, v115, v107
	ds_load_2addr_b32 v[106:107], v2 offset0:79 offset1:80
	s_waitcnt lgkmcnt(3)
	v_fmac_f32_e32 v145, v116, v108
	s_waitcnt vmcnt(7)
	s_delay_alu instid0(VALU_DEP_1) | instskip(SKIP_3) | instid1(VALU_DEP_1)
	v_fmac_f32_e32 v145, v117, v109
	ds_load_2addr_b32 v[108:109], v2 offset0:81 offset1:82
	s_waitcnt lgkmcnt(3)
	v_fmac_f32_e32 v145, v118, v110
	v_fmac_f32_e32 v145, v119, v111
	s_waitcnt lgkmcnt(2)
	s_delay_alu instid0(VALU_DEP_1) | instskip(SKIP_1) | instid1(VALU_DEP_1)
	v_fmac_f32_e32 v145, v120, v112
	s_waitcnt vmcnt(6)
	v_fmac_f32_e32 v145, v121, v113
	ds_load_2addr_b32 v[110:111], v2 offset0:83 offset1:84
	ds_load_2addr_b32 v[112:113], v2 offset0:85 offset1:86
	s_waitcnt lgkmcnt(3)
	v_fmac_f32_e32 v145, v122, v106
	s_delay_alu instid0(VALU_DEP_1) | instskip(SKIP_4) | instid1(VALU_DEP_1)
	v_fmac_f32_e32 v145, v123, v107
	ds_load_2addr_b32 v[106:107], v2 offset0:87 offset1:88
	s_waitcnt lgkmcnt(3)
	v_fmac_f32_e32 v145, v124, v108
	s_waitcnt vmcnt(5)
	v_fmac_f32_e32 v145, v125, v109
	ds_load_2addr_b32 v[108:109], v2 offset0:89 offset1:90
	s_waitcnt lgkmcnt(3)
	v_fmac_f32_e32 v145, v126, v110
	s_delay_alu instid0(VALU_DEP_1) | instskip(SKIP_1) | instid1(VALU_DEP_1)
	v_fmac_f32_e32 v145, v127, v111
	s_waitcnt lgkmcnt(2)
	v_fmac_f32_e32 v145, v128, v112
	s_waitcnt vmcnt(4)
	s_delay_alu instid0(VALU_DEP_1) | instskip(SKIP_4) | instid1(VALU_DEP_1)
	v_fmac_f32_e32 v145, v129, v113
	ds_load_2addr_b32 v[110:111], v2 offset0:91 offset1:92
	ds_load_2addr_b32 v[112:113], v2 offset0:93 offset1:94
	s_waitcnt lgkmcnt(3)
	v_fmac_f32_e32 v145, v130, v106
	v_fmac_f32_e32 v145, v131, v107
	ds_load_2addr_b32 v[106:107], v2 offset0:95 offset1:96
	s_waitcnt lgkmcnt(3)
	v_fmac_f32_e32 v145, v132, v108
	s_waitcnt vmcnt(3)
	s_delay_alu instid0(VALU_DEP_1) | instskip(SKIP_3) | instid1(VALU_DEP_1)
	v_fmac_f32_e32 v145, v133, v109
	ds_load_2addr_b32 v[108:109], v2 offset0:97 offset1:98
	s_waitcnt lgkmcnt(3)
	v_fmac_f32_e32 v145, v134, v110
	v_fmac_f32_e32 v145, v135, v111
	s_waitcnt lgkmcnt(2)
	s_delay_alu instid0(VALU_DEP_1) | instskip(SKIP_1) | instid1(VALU_DEP_1)
	v_fmac_f32_e32 v145, v136, v112
	s_waitcnt vmcnt(2)
	v_fmac_f32_e32 v145, v137, v113
	ds_load_2addr_b32 v[110:111], v2 offset0:99 offset1:100
	ds_load_2addr_b32 v[112:113], v2 offset0:101 offset1:102
	s_waitcnt lgkmcnt(3)
	v_fmac_f32_e32 v145, v138, v106
	s_delay_alu instid0(VALU_DEP_1) | instskip(SKIP_1) | instid1(VALU_DEP_1)
	v_fmac_f32_e32 v145, v139, v107
	s_waitcnt lgkmcnt(2)
	v_fmac_f32_e32 v145, v140, v108
	s_waitcnt vmcnt(1)
	s_delay_alu instid0(VALU_DEP_1) | instskip(SKIP_1) | instid1(VALU_DEP_1)
	v_fmac_f32_e32 v145, v141, v109
	s_waitcnt lgkmcnt(1)
	v_fmac_f32_e32 v145, v142, v110
	s_delay_alu instid0(VALU_DEP_1) | instskip(SKIP_1) | instid1(VALU_DEP_1)
	v_fmac_f32_e32 v145, v143, v111
	s_waitcnt lgkmcnt(0)
	v_fmac_f32_e32 v145, v144, v112
	s_waitcnt vmcnt(0)
	s_delay_alu instid0(VALU_DEP_1) | instskip(NEXT) | instid1(VALU_DEP_1)
	v_fmac_f32_e32 v145, v153, v113
	v_sub_f32_e32 v2, v105, v145
	scratch_store_b32 off, v2, off offset:40
	v_cmpx_lt_u32_e32 9, v0
	s_cbranch_execz .LBB50_295
; %bb.294:
	scratch_load_b32 v2, off, off offset:36
	v_mov_b32_e32 v105, 0
	scratch_store_b32 off, v105, off offset:36
	s_waitcnt vmcnt(0)
	ds_store_b32 v1, v2
.LBB50_295:
	s_or_b32 exec_lo, exec_lo, s0
	s_waitcnt lgkmcnt(0)
	s_waitcnt_vscnt null, 0x0
	s_barrier
	buffer_gl0_inv
	s_clause 0xa
	scratch_load_b128 v[105:108], off, off offset:36
	scratch_load_b128 v[109:112], off, off offset:52
	;; [unrolled: 1-line block ×10, first 2 shown]
	scratch_load_b64 v[153:154], off, off offset:196
	v_mov_b32_e32 v2, 0
	ds_load_2addr_b64 v[145:148], v2 offset0:31 offset1:32
	ds_load_2addr_b64 v[149:152], v2 offset0:33 offset1:34
	s_mov_b32 s0, exec_lo
	s_waitcnt vmcnt(10) lgkmcnt(1)
	v_fma_f32 v145, v106, v145, 0
	s_delay_alu instid0(VALU_DEP_1) | instskip(NEXT) | instid1(VALU_DEP_1)
	v_fmac_f32_e32 v145, v107, v146
	v_fmac_f32_e32 v145, v108, v147
	s_waitcnt vmcnt(9)
	s_delay_alu instid0(VALU_DEP_1) | instskip(SKIP_3) | instid1(VALU_DEP_1)
	v_fmac_f32_e32 v145, v109, v148
	ds_load_2addr_b64 v[106:109], v2 offset0:35 offset1:36
	s_waitcnt lgkmcnt(1)
	v_fmac_f32_e32 v145, v110, v149
	v_fmac_f32_e32 v145, v111, v150
	s_delay_alu instid0(VALU_DEP_1) | instskip(SKIP_1) | instid1(VALU_DEP_1)
	v_fmac_f32_e32 v145, v112, v151
	s_waitcnt vmcnt(8)
	v_fmac_f32_e32 v145, v113, v152
	ds_load_2addr_b64 v[110:113], v2 offset0:37 offset1:38
	s_waitcnt lgkmcnt(1)
	v_fmac_f32_e32 v145, v114, v106
	s_delay_alu instid0(VALU_DEP_1) | instskip(NEXT) | instid1(VALU_DEP_1)
	v_fmac_f32_e32 v145, v115, v107
	v_fmac_f32_e32 v145, v116, v108
	s_waitcnt vmcnt(7)
	s_delay_alu instid0(VALU_DEP_1) | instskip(SKIP_3) | instid1(VALU_DEP_1)
	v_fmac_f32_e32 v145, v117, v109
	ds_load_2addr_b64 v[106:109], v2 offset0:39 offset1:40
	s_waitcnt lgkmcnt(1)
	v_fmac_f32_e32 v145, v118, v110
	v_fmac_f32_e32 v145, v119, v111
	s_delay_alu instid0(VALU_DEP_1) | instskip(SKIP_1) | instid1(VALU_DEP_1)
	v_fmac_f32_e32 v145, v120, v112
	s_waitcnt vmcnt(6)
	v_fmac_f32_e32 v145, v121, v113
	ds_load_2addr_b64 v[110:113], v2 offset0:41 offset1:42
	s_waitcnt lgkmcnt(1)
	v_fmac_f32_e32 v145, v122, v106
	s_delay_alu instid0(VALU_DEP_1) | instskip(NEXT) | instid1(VALU_DEP_1)
	v_fmac_f32_e32 v145, v123, v107
	v_fmac_f32_e32 v145, v124, v108
	s_waitcnt vmcnt(5)
	s_delay_alu instid0(VALU_DEP_1) | instskip(SKIP_3) | instid1(VALU_DEP_1)
	v_fmac_f32_e32 v145, v125, v109
	ds_load_2addr_b64 v[106:109], v2 offset0:43 offset1:44
	s_waitcnt lgkmcnt(1)
	v_fmac_f32_e32 v145, v126, v110
	v_fmac_f32_e32 v145, v127, v111
	s_delay_alu instid0(VALU_DEP_1) | instskip(SKIP_1) | instid1(VALU_DEP_1)
	v_fmac_f32_e32 v145, v128, v112
	s_waitcnt vmcnt(4)
	v_fmac_f32_e32 v145, v129, v113
	ds_load_2addr_b64 v[110:113], v2 offset0:45 offset1:46
	s_waitcnt lgkmcnt(1)
	v_fmac_f32_e32 v145, v130, v106
	s_delay_alu instid0(VALU_DEP_1) | instskip(NEXT) | instid1(VALU_DEP_1)
	v_fmac_f32_e32 v145, v131, v107
	v_fmac_f32_e32 v145, v132, v108
	s_waitcnt vmcnt(3)
	s_delay_alu instid0(VALU_DEP_1) | instskip(SKIP_3) | instid1(VALU_DEP_1)
	v_fmac_f32_e32 v145, v133, v109
	ds_load_2addr_b64 v[106:109], v2 offset0:47 offset1:48
	s_waitcnt lgkmcnt(1)
	v_fmac_f32_e32 v145, v134, v110
	v_fmac_f32_e32 v145, v135, v111
	s_delay_alu instid0(VALU_DEP_1) | instskip(SKIP_1) | instid1(VALU_DEP_1)
	v_fmac_f32_e32 v145, v136, v112
	s_waitcnt vmcnt(2)
	v_fmac_f32_e32 v145, v137, v113
	ds_load_2addr_b64 v[110:113], v2 offset0:49 offset1:50
	s_waitcnt lgkmcnt(1)
	v_fmac_f32_e32 v145, v138, v106
	ds_load_b32 v106, v2 offset:408
	v_fmac_f32_e32 v145, v139, v107
	s_delay_alu instid0(VALU_DEP_1) | instskip(SKIP_1) | instid1(VALU_DEP_1)
	v_fmac_f32_e32 v145, v140, v108
	s_waitcnt vmcnt(1)
	v_fmac_f32_e32 v145, v141, v109
	s_waitcnt lgkmcnt(1)
	s_delay_alu instid0(VALU_DEP_1) | instskip(NEXT) | instid1(VALU_DEP_1)
	v_fmac_f32_e32 v145, v142, v110
	v_fmac_f32_e32 v145, v143, v111
	s_delay_alu instid0(VALU_DEP_1) | instskip(SKIP_1) | instid1(VALU_DEP_1)
	v_fmac_f32_e32 v145, v144, v112
	s_waitcnt vmcnt(0)
	v_fmac_f32_e32 v145, v153, v113
	s_waitcnt lgkmcnt(0)
	s_delay_alu instid0(VALU_DEP_1) | instskip(NEXT) | instid1(VALU_DEP_1)
	v_fmac_f32_e32 v145, v154, v106
	v_sub_f32_e32 v105, v105, v145
	scratch_store_b32 off, v105, off offset:36
	v_cmpx_lt_u32_e32 8, v0
	s_cbranch_execz .LBB50_297
; %bb.296:
	scratch_load_b32 v105, off, off offset:32
	scratch_store_b32 off, v2, off offset:32
	s_waitcnt vmcnt(0)
	ds_store_b32 v1, v105
.LBB50_297:
	s_or_b32 exec_lo, exec_lo, s0
	s_waitcnt lgkmcnt(0)
	s_waitcnt_vscnt null, 0x0
	s_barrier
	buffer_gl0_inv
	s_clause 0xa
	scratch_load_b128 v[105:108], off, off offset:32
	scratch_load_b128 v[109:112], off, off offset:48
	;; [unrolled: 1-line block ×10, first 2 shown]
	scratch_load_b96 v[145:147], off, off offset:192
	ds_load_2addr_b32 v[148:149], v2 offset0:61 offset1:62
	ds_load_2addr_b32 v[150:151], v2 offset0:63 offset1:64
	ds_load_2addr_b32 v[152:153], v2 offset0:65 offset1:66
	ds_load_2addr_b32 v[154:155], v2 offset0:67 offset1:68
	s_mov_b32 s0, exec_lo
	s_waitcnt vmcnt(10) lgkmcnt(3)
	v_fma_f32 v148, v106, v148, 0
	s_delay_alu instid0(VALU_DEP_1) | instskip(SKIP_4) | instid1(VALU_DEP_1)
	v_fmac_f32_e32 v148, v107, v149
	ds_load_2addr_b32 v[106:107], v2 offset0:69 offset1:70
	s_waitcnt lgkmcnt(3)
	v_fmac_f32_e32 v148, v108, v150
	s_waitcnt vmcnt(9)
	v_fmac_f32_e32 v148, v109, v151
	ds_load_2addr_b32 v[108:109], v2 offset0:71 offset1:72
	s_waitcnt lgkmcnt(3)
	v_fmac_f32_e32 v148, v110, v152
	s_delay_alu instid0(VALU_DEP_1) | instskip(SKIP_1) | instid1(VALU_DEP_1)
	v_fmac_f32_e32 v148, v111, v153
	s_waitcnt lgkmcnt(2)
	v_fmac_f32_e32 v148, v112, v154
	s_waitcnt vmcnt(8)
	s_delay_alu instid0(VALU_DEP_1) | instskip(SKIP_4) | instid1(VALU_DEP_1)
	v_fmac_f32_e32 v148, v113, v155
	ds_load_2addr_b32 v[110:111], v2 offset0:73 offset1:74
	ds_load_2addr_b32 v[112:113], v2 offset0:75 offset1:76
	s_waitcnt lgkmcnt(3)
	v_fmac_f32_e32 v148, v114, v106
	v_fmac_f32_e32 v148, v115, v107
	ds_load_2addr_b32 v[106:107], v2 offset0:77 offset1:78
	s_waitcnt lgkmcnt(3)
	v_fmac_f32_e32 v148, v116, v108
	s_waitcnt vmcnt(7)
	s_delay_alu instid0(VALU_DEP_1) | instskip(SKIP_3) | instid1(VALU_DEP_1)
	v_fmac_f32_e32 v148, v117, v109
	ds_load_2addr_b32 v[108:109], v2 offset0:79 offset1:80
	s_waitcnt lgkmcnt(3)
	v_fmac_f32_e32 v148, v118, v110
	v_fmac_f32_e32 v148, v119, v111
	s_waitcnt lgkmcnt(2)
	s_delay_alu instid0(VALU_DEP_1) | instskip(SKIP_1) | instid1(VALU_DEP_1)
	v_fmac_f32_e32 v148, v120, v112
	s_waitcnt vmcnt(6)
	v_fmac_f32_e32 v148, v121, v113
	ds_load_2addr_b32 v[110:111], v2 offset0:81 offset1:82
	ds_load_2addr_b32 v[112:113], v2 offset0:83 offset1:84
	s_waitcnt lgkmcnt(3)
	v_fmac_f32_e32 v148, v122, v106
	s_delay_alu instid0(VALU_DEP_1) | instskip(SKIP_4) | instid1(VALU_DEP_1)
	v_fmac_f32_e32 v148, v123, v107
	ds_load_2addr_b32 v[106:107], v2 offset0:85 offset1:86
	s_waitcnt lgkmcnt(3)
	v_fmac_f32_e32 v148, v124, v108
	s_waitcnt vmcnt(5)
	v_fmac_f32_e32 v148, v125, v109
	ds_load_2addr_b32 v[108:109], v2 offset0:87 offset1:88
	s_waitcnt lgkmcnt(3)
	v_fmac_f32_e32 v148, v126, v110
	s_delay_alu instid0(VALU_DEP_1) | instskip(SKIP_1) | instid1(VALU_DEP_1)
	v_fmac_f32_e32 v148, v127, v111
	s_waitcnt lgkmcnt(2)
	v_fmac_f32_e32 v148, v128, v112
	s_waitcnt vmcnt(4)
	s_delay_alu instid0(VALU_DEP_1) | instskip(SKIP_4) | instid1(VALU_DEP_1)
	v_fmac_f32_e32 v148, v129, v113
	ds_load_2addr_b32 v[110:111], v2 offset0:89 offset1:90
	ds_load_2addr_b32 v[112:113], v2 offset0:91 offset1:92
	s_waitcnt lgkmcnt(3)
	v_fmac_f32_e32 v148, v130, v106
	v_fmac_f32_e32 v148, v131, v107
	ds_load_2addr_b32 v[106:107], v2 offset0:93 offset1:94
	s_waitcnt lgkmcnt(3)
	v_fmac_f32_e32 v148, v132, v108
	s_waitcnt vmcnt(3)
	s_delay_alu instid0(VALU_DEP_1) | instskip(SKIP_3) | instid1(VALU_DEP_1)
	v_fmac_f32_e32 v148, v133, v109
	ds_load_2addr_b32 v[108:109], v2 offset0:95 offset1:96
	s_waitcnt lgkmcnt(3)
	v_fmac_f32_e32 v148, v134, v110
	v_fmac_f32_e32 v148, v135, v111
	s_waitcnt lgkmcnt(2)
	s_delay_alu instid0(VALU_DEP_1) | instskip(SKIP_1) | instid1(VALU_DEP_1)
	v_fmac_f32_e32 v148, v136, v112
	s_waitcnt vmcnt(2)
	v_fmac_f32_e32 v148, v137, v113
	ds_load_2addr_b32 v[110:111], v2 offset0:97 offset1:98
	ds_load_2addr_b32 v[112:113], v2 offset0:99 offset1:100
	s_waitcnt lgkmcnt(3)
	v_fmac_f32_e32 v148, v138, v106
	s_delay_alu instid0(VALU_DEP_1) | instskip(SKIP_4) | instid1(VALU_DEP_1)
	v_fmac_f32_e32 v148, v139, v107
	ds_load_2addr_b32 v[106:107], v2 offset0:101 offset1:102
	s_waitcnt lgkmcnt(3)
	v_fmac_f32_e32 v148, v140, v108
	s_waitcnt vmcnt(1)
	v_fmac_f32_e32 v148, v141, v109
	s_waitcnt lgkmcnt(2)
	s_delay_alu instid0(VALU_DEP_1) | instskip(NEXT) | instid1(VALU_DEP_1)
	v_fmac_f32_e32 v148, v142, v110
	v_fmac_f32_e32 v148, v143, v111
	s_waitcnt lgkmcnt(1)
	s_delay_alu instid0(VALU_DEP_1) | instskip(SKIP_1) | instid1(VALU_DEP_1)
	v_fmac_f32_e32 v148, v144, v112
	s_waitcnt vmcnt(0)
	v_fmac_f32_e32 v148, v145, v113
	s_waitcnt lgkmcnt(0)
	s_delay_alu instid0(VALU_DEP_1) | instskip(NEXT) | instid1(VALU_DEP_1)
	v_fmac_f32_e32 v148, v146, v106
	v_fmac_f32_e32 v148, v147, v107
	s_delay_alu instid0(VALU_DEP_1)
	v_sub_f32_e32 v2, v105, v148
	scratch_store_b32 off, v2, off offset:32
	v_cmpx_lt_u32_e32 7, v0
	s_cbranch_execz .LBB50_299
; %bb.298:
	scratch_load_b32 v2, off, off offset:28
	v_mov_b32_e32 v105, 0
	scratch_store_b32 off, v105, off offset:28
	s_waitcnt vmcnt(0)
	ds_store_b32 v1, v2
.LBB50_299:
	s_or_b32 exec_lo, exec_lo, s0
	s_waitcnt lgkmcnt(0)
	s_waitcnt_vscnt null, 0x0
	s_barrier
	buffer_gl0_inv
	s_clause 0xa
	scratch_load_b128 v[105:108], off, off offset:28
	scratch_load_b128 v[109:112], off, off offset:44
	;; [unrolled: 1-line block ×11, first 2 shown]
	v_mov_b32_e32 v2, 0
	ds_load_b128 v[149:152], v2 offset:240
	ds_load_b128 v[153:156], v2 offset:256
	s_mov_b32 s0, exec_lo
	s_waitcnt vmcnt(10) lgkmcnt(1)
	v_fma_f32 v149, v106, v149, 0
	s_delay_alu instid0(VALU_DEP_1) | instskip(NEXT) | instid1(VALU_DEP_1)
	v_fmac_f32_e32 v149, v107, v150
	v_fmac_f32_e32 v149, v108, v151
	s_waitcnt vmcnt(9)
	s_delay_alu instid0(VALU_DEP_1) | instskip(SKIP_3) | instid1(VALU_DEP_1)
	v_fmac_f32_e32 v149, v109, v152
	ds_load_b128 v[106:109], v2 offset:272
	s_waitcnt lgkmcnt(1)
	v_fmac_f32_e32 v149, v110, v153
	v_fmac_f32_e32 v149, v111, v154
	s_delay_alu instid0(VALU_DEP_1) | instskip(SKIP_1) | instid1(VALU_DEP_1)
	v_fmac_f32_e32 v149, v112, v155
	s_waitcnt vmcnt(8)
	v_fmac_f32_e32 v149, v113, v156
	ds_load_b128 v[110:113], v2 offset:288
	s_waitcnt lgkmcnt(1)
	v_fmac_f32_e32 v149, v114, v106
	s_delay_alu instid0(VALU_DEP_1) | instskip(NEXT) | instid1(VALU_DEP_1)
	v_fmac_f32_e32 v149, v115, v107
	v_fmac_f32_e32 v149, v116, v108
	s_waitcnt vmcnt(7)
	s_delay_alu instid0(VALU_DEP_1) | instskip(SKIP_3) | instid1(VALU_DEP_1)
	v_fmac_f32_e32 v149, v117, v109
	ds_load_b128 v[106:109], v2 offset:304
	s_waitcnt lgkmcnt(1)
	v_fmac_f32_e32 v149, v118, v110
	v_fmac_f32_e32 v149, v119, v111
	s_delay_alu instid0(VALU_DEP_1) | instskip(SKIP_1) | instid1(VALU_DEP_1)
	v_fmac_f32_e32 v149, v120, v112
	s_waitcnt vmcnt(6)
	v_fmac_f32_e32 v149, v121, v113
	ds_load_b128 v[110:113], v2 offset:320
	s_waitcnt lgkmcnt(1)
	v_fmac_f32_e32 v149, v122, v106
	;; [unrolled: 17-line block ×4, first 2 shown]
	s_delay_alu instid0(VALU_DEP_1) | instskip(NEXT) | instid1(VALU_DEP_1)
	v_fmac_f32_e32 v149, v139, v107
	v_fmac_f32_e32 v149, v140, v108
	ds_load_b96 v[106:108], v2 offset:400
	s_waitcnt vmcnt(1)
	v_fmac_f32_e32 v149, v141, v109
	s_waitcnt lgkmcnt(1)
	s_delay_alu instid0(VALU_DEP_1) | instskip(NEXT) | instid1(VALU_DEP_1)
	v_fmac_f32_e32 v149, v142, v110
	v_fmac_f32_e32 v149, v143, v111
	s_delay_alu instid0(VALU_DEP_1) | instskip(SKIP_1) | instid1(VALU_DEP_1)
	v_fmac_f32_e32 v149, v144, v112
	s_waitcnt vmcnt(0)
	v_fmac_f32_e32 v149, v145, v113
	s_waitcnt lgkmcnt(0)
	s_delay_alu instid0(VALU_DEP_1) | instskip(NEXT) | instid1(VALU_DEP_1)
	v_fmac_f32_e32 v149, v146, v106
	v_fmac_f32_e32 v149, v147, v107
	s_delay_alu instid0(VALU_DEP_1) | instskip(NEXT) | instid1(VALU_DEP_1)
	v_fmac_f32_e32 v149, v148, v108
	v_sub_f32_e32 v105, v105, v149
	scratch_store_b32 off, v105, off offset:28
	v_cmpx_lt_u32_e32 6, v0
	s_cbranch_execz .LBB50_301
; %bb.300:
	scratch_load_b32 v105, off, off offset:24
	scratch_store_b32 off, v2, off offset:24
	s_waitcnt vmcnt(0)
	ds_store_b32 v1, v105
.LBB50_301:
	s_or_b32 exec_lo, exec_lo, s0
	s_waitcnt lgkmcnt(0)
	s_waitcnt_vscnt null, 0x0
	s_barrier
	buffer_gl0_inv
	s_clause 0xb
	scratch_load_b128 v[105:108], off, off offset:24
	scratch_load_b128 v[109:112], off, off offset:40
	scratch_load_b128 v[113:116], off, off offset:56
	scratch_load_b128 v[117:120], off, off offset:72
	scratch_load_b128 v[121:124], off, off offset:88
	scratch_load_b128 v[125:128], off, off offset:104
	scratch_load_b128 v[129:132], off, off offset:120
	scratch_load_b128 v[133:136], off, off offset:136
	scratch_load_b128 v[137:140], off, off offset:152
	scratch_load_b128 v[141:144], off, off offset:168
	scratch_load_b128 v[145:148], off, off offset:184
	scratch_load_b32 v157, off, off offset:200
	ds_load_2addr_b32 v[149:150], v2 offset0:59 offset1:60
	ds_load_2addr_b32 v[151:152], v2 offset0:61 offset1:62
	;; [unrolled: 1-line block ×4, first 2 shown]
	s_mov_b32 s0, exec_lo
	s_waitcnt vmcnt(11) lgkmcnt(3)
	v_fma_f32 v149, v106, v149, 0
	s_delay_alu instid0(VALU_DEP_1) | instskip(SKIP_4) | instid1(VALU_DEP_1)
	v_fmac_f32_e32 v149, v107, v150
	ds_load_2addr_b32 v[106:107], v2 offset0:67 offset1:68
	s_waitcnt lgkmcnt(3)
	v_fmac_f32_e32 v149, v108, v151
	s_waitcnt vmcnt(10)
	v_fmac_f32_e32 v149, v109, v152
	ds_load_2addr_b32 v[108:109], v2 offset0:69 offset1:70
	s_waitcnt lgkmcnt(3)
	v_fmac_f32_e32 v149, v110, v153
	s_delay_alu instid0(VALU_DEP_1) | instskip(SKIP_1) | instid1(VALU_DEP_1)
	v_fmac_f32_e32 v149, v111, v154
	s_waitcnt lgkmcnt(2)
	v_fmac_f32_e32 v149, v112, v155
	s_waitcnt vmcnt(9)
	s_delay_alu instid0(VALU_DEP_1) | instskip(SKIP_4) | instid1(VALU_DEP_1)
	v_fmac_f32_e32 v149, v113, v156
	ds_load_2addr_b32 v[110:111], v2 offset0:71 offset1:72
	ds_load_2addr_b32 v[112:113], v2 offset0:73 offset1:74
	s_waitcnt lgkmcnt(3)
	v_fmac_f32_e32 v149, v114, v106
	v_fmac_f32_e32 v149, v115, v107
	ds_load_2addr_b32 v[106:107], v2 offset0:75 offset1:76
	s_waitcnt lgkmcnt(3)
	v_fmac_f32_e32 v149, v116, v108
	s_waitcnt vmcnt(8)
	s_delay_alu instid0(VALU_DEP_1) | instskip(SKIP_3) | instid1(VALU_DEP_1)
	v_fmac_f32_e32 v149, v117, v109
	ds_load_2addr_b32 v[108:109], v2 offset0:77 offset1:78
	s_waitcnt lgkmcnt(3)
	v_fmac_f32_e32 v149, v118, v110
	v_fmac_f32_e32 v149, v119, v111
	s_waitcnt lgkmcnt(2)
	s_delay_alu instid0(VALU_DEP_1) | instskip(SKIP_1) | instid1(VALU_DEP_1)
	v_fmac_f32_e32 v149, v120, v112
	s_waitcnt vmcnt(7)
	v_fmac_f32_e32 v149, v121, v113
	ds_load_2addr_b32 v[110:111], v2 offset0:79 offset1:80
	ds_load_2addr_b32 v[112:113], v2 offset0:81 offset1:82
	s_waitcnt lgkmcnt(3)
	v_fmac_f32_e32 v149, v122, v106
	s_delay_alu instid0(VALU_DEP_1) | instskip(SKIP_4) | instid1(VALU_DEP_1)
	v_fmac_f32_e32 v149, v123, v107
	ds_load_2addr_b32 v[106:107], v2 offset0:83 offset1:84
	s_waitcnt lgkmcnt(3)
	v_fmac_f32_e32 v149, v124, v108
	s_waitcnt vmcnt(6)
	v_fmac_f32_e32 v149, v125, v109
	ds_load_2addr_b32 v[108:109], v2 offset0:85 offset1:86
	s_waitcnt lgkmcnt(3)
	v_fmac_f32_e32 v149, v126, v110
	s_delay_alu instid0(VALU_DEP_1) | instskip(SKIP_1) | instid1(VALU_DEP_1)
	v_fmac_f32_e32 v149, v127, v111
	s_waitcnt lgkmcnt(2)
	v_fmac_f32_e32 v149, v128, v112
	s_waitcnt vmcnt(5)
	s_delay_alu instid0(VALU_DEP_1) | instskip(SKIP_4) | instid1(VALU_DEP_1)
	v_fmac_f32_e32 v149, v129, v113
	ds_load_2addr_b32 v[110:111], v2 offset0:87 offset1:88
	ds_load_2addr_b32 v[112:113], v2 offset0:89 offset1:90
	s_waitcnt lgkmcnt(3)
	v_fmac_f32_e32 v149, v130, v106
	v_fmac_f32_e32 v149, v131, v107
	ds_load_2addr_b32 v[106:107], v2 offset0:91 offset1:92
	s_waitcnt lgkmcnt(3)
	v_fmac_f32_e32 v149, v132, v108
	s_waitcnt vmcnt(4)
	s_delay_alu instid0(VALU_DEP_1) | instskip(SKIP_3) | instid1(VALU_DEP_1)
	v_fmac_f32_e32 v149, v133, v109
	ds_load_2addr_b32 v[108:109], v2 offset0:93 offset1:94
	s_waitcnt lgkmcnt(3)
	v_fmac_f32_e32 v149, v134, v110
	v_fmac_f32_e32 v149, v135, v111
	s_waitcnt lgkmcnt(2)
	s_delay_alu instid0(VALU_DEP_1) | instskip(SKIP_1) | instid1(VALU_DEP_1)
	v_fmac_f32_e32 v149, v136, v112
	s_waitcnt vmcnt(3)
	v_fmac_f32_e32 v149, v137, v113
	ds_load_2addr_b32 v[110:111], v2 offset0:95 offset1:96
	ds_load_2addr_b32 v[112:113], v2 offset0:97 offset1:98
	s_waitcnt lgkmcnt(3)
	v_fmac_f32_e32 v149, v138, v106
	s_delay_alu instid0(VALU_DEP_1) | instskip(SKIP_4) | instid1(VALU_DEP_1)
	v_fmac_f32_e32 v149, v139, v107
	ds_load_2addr_b32 v[106:107], v2 offset0:99 offset1:100
	s_waitcnt lgkmcnt(3)
	v_fmac_f32_e32 v149, v140, v108
	s_waitcnt vmcnt(2)
	v_fmac_f32_e32 v149, v141, v109
	ds_load_2addr_b32 v[108:109], v2 offset0:101 offset1:102
	s_waitcnt lgkmcnt(3)
	v_fmac_f32_e32 v149, v142, v110
	s_delay_alu instid0(VALU_DEP_1) | instskip(SKIP_1) | instid1(VALU_DEP_1)
	v_fmac_f32_e32 v149, v143, v111
	s_waitcnt lgkmcnt(2)
	v_fmac_f32_e32 v149, v144, v112
	s_waitcnt vmcnt(1)
	s_delay_alu instid0(VALU_DEP_1) | instskip(SKIP_1) | instid1(VALU_DEP_1)
	v_fmac_f32_e32 v149, v145, v113
	s_waitcnt lgkmcnt(1)
	v_fmac_f32_e32 v149, v146, v106
	s_delay_alu instid0(VALU_DEP_1) | instskip(SKIP_1) | instid1(VALU_DEP_1)
	v_fmac_f32_e32 v149, v147, v107
	s_waitcnt lgkmcnt(0)
	v_fmac_f32_e32 v149, v148, v108
	s_waitcnt vmcnt(0)
	s_delay_alu instid0(VALU_DEP_1) | instskip(NEXT) | instid1(VALU_DEP_1)
	v_fmac_f32_e32 v149, v157, v109
	v_sub_f32_e32 v2, v105, v149
	scratch_store_b32 off, v2, off offset:24
	v_cmpx_lt_u32_e32 5, v0
	s_cbranch_execz .LBB50_303
; %bb.302:
	scratch_load_b32 v2, off, off offset:20
	v_mov_b32_e32 v105, 0
	scratch_store_b32 off, v105, off offset:20
	s_waitcnt vmcnt(0)
	ds_store_b32 v1, v2
.LBB50_303:
	s_or_b32 exec_lo, exec_lo, s0
	s_waitcnt lgkmcnt(0)
	s_waitcnt_vscnt null, 0x0
	s_barrier
	buffer_gl0_inv
	s_clause 0xb
	scratch_load_b128 v[105:108], off, off offset:20
	scratch_load_b128 v[109:112], off, off offset:36
	;; [unrolled: 1-line block ×11, first 2 shown]
	scratch_load_b64 v[157:158], off, off offset:196
	v_mov_b32_e32 v2, 0
	ds_load_2addr_b64 v[149:152], v2 offset0:29 offset1:30
	ds_load_2addr_b64 v[153:156], v2 offset0:31 offset1:32
	s_mov_b32 s0, exec_lo
	s_waitcnt vmcnt(11) lgkmcnt(1)
	v_fma_f32 v149, v106, v149, 0
	s_delay_alu instid0(VALU_DEP_1) | instskip(NEXT) | instid1(VALU_DEP_1)
	v_fmac_f32_e32 v149, v107, v150
	v_fmac_f32_e32 v149, v108, v151
	s_waitcnt vmcnt(10)
	s_delay_alu instid0(VALU_DEP_1) | instskip(SKIP_3) | instid1(VALU_DEP_1)
	v_fmac_f32_e32 v149, v109, v152
	ds_load_2addr_b64 v[106:109], v2 offset0:33 offset1:34
	s_waitcnt lgkmcnt(1)
	v_fmac_f32_e32 v149, v110, v153
	v_fmac_f32_e32 v149, v111, v154
	s_delay_alu instid0(VALU_DEP_1) | instskip(SKIP_1) | instid1(VALU_DEP_1)
	v_fmac_f32_e32 v149, v112, v155
	s_waitcnt vmcnt(9)
	v_fmac_f32_e32 v149, v113, v156
	ds_load_2addr_b64 v[110:113], v2 offset0:35 offset1:36
	s_waitcnt lgkmcnt(1)
	v_fmac_f32_e32 v149, v114, v106
	s_delay_alu instid0(VALU_DEP_1) | instskip(NEXT) | instid1(VALU_DEP_1)
	v_fmac_f32_e32 v149, v115, v107
	v_fmac_f32_e32 v149, v116, v108
	s_waitcnt vmcnt(8)
	s_delay_alu instid0(VALU_DEP_1) | instskip(SKIP_3) | instid1(VALU_DEP_1)
	v_fmac_f32_e32 v149, v117, v109
	ds_load_2addr_b64 v[106:109], v2 offset0:37 offset1:38
	s_waitcnt lgkmcnt(1)
	v_fmac_f32_e32 v149, v118, v110
	v_fmac_f32_e32 v149, v119, v111
	s_delay_alu instid0(VALU_DEP_1) | instskip(SKIP_1) | instid1(VALU_DEP_1)
	v_fmac_f32_e32 v149, v120, v112
	s_waitcnt vmcnt(7)
	v_fmac_f32_e32 v149, v121, v113
	ds_load_2addr_b64 v[110:113], v2 offset0:39 offset1:40
	s_waitcnt lgkmcnt(1)
	v_fmac_f32_e32 v149, v122, v106
	s_delay_alu instid0(VALU_DEP_1) | instskip(NEXT) | instid1(VALU_DEP_1)
	v_fmac_f32_e32 v149, v123, v107
	v_fmac_f32_e32 v149, v124, v108
	s_waitcnt vmcnt(6)
	s_delay_alu instid0(VALU_DEP_1) | instskip(SKIP_3) | instid1(VALU_DEP_1)
	v_fmac_f32_e32 v149, v125, v109
	ds_load_2addr_b64 v[106:109], v2 offset0:41 offset1:42
	s_waitcnt lgkmcnt(1)
	v_fmac_f32_e32 v149, v126, v110
	v_fmac_f32_e32 v149, v127, v111
	s_delay_alu instid0(VALU_DEP_1) | instskip(SKIP_1) | instid1(VALU_DEP_1)
	v_fmac_f32_e32 v149, v128, v112
	s_waitcnt vmcnt(5)
	v_fmac_f32_e32 v149, v129, v113
	ds_load_2addr_b64 v[110:113], v2 offset0:43 offset1:44
	s_waitcnt lgkmcnt(1)
	v_fmac_f32_e32 v149, v130, v106
	s_delay_alu instid0(VALU_DEP_1) | instskip(NEXT) | instid1(VALU_DEP_1)
	v_fmac_f32_e32 v149, v131, v107
	v_fmac_f32_e32 v149, v132, v108
	s_waitcnt vmcnt(4)
	s_delay_alu instid0(VALU_DEP_1) | instskip(SKIP_3) | instid1(VALU_DEP_1)
	v_fmac_f32_e32 v149, v133, v109
	ds_load_2addr_b64 v[106:109], v2 offset0:45 offset1:46
	s_waitcnt lgkmcnt(1)
	v_fmac_f32_e32 v149, v134, v110
	v_fmac_f32_e32 v149, v135, v111
	s_delay_alu instid0(VALU_DEP_1) | instskip(SKIP_1) | instid1(VALU_DEP_1)
	v_fmac_f32_e32 v149, v136, v112
	s_waitcnt vmcnt(3)
	v_fmac_f32_e32 v149, v137, v113
	ds_load_2addr_b64 v[110:113], v2 offset0:47 offset1:48
	s_waitcnt lgkmcnt(1)
	v_fmac_f32_e32 v149, v138, v106
	s_delay_alu instid0(VALU_DEP_1) | instskip(NEXT) | instid1(VALU_DEP_1)
	v_fmac_f32_e32 v149, v139, v107
	v_fmac_f32_e32 v149, v140, v108
	s_waitcnt vmcnt(2)
	s_delay_alu instid0(VALU_DEP_1)
	v_fmac_f32_e32 v149, v141, v109
	ds_load_2addr_b64 v[106:109], v2 offset0:49 offset1:50
	s_waitcnt lgkmcnt(1)
	v_fmac_f32_e32 v149, v142, v110
	ds_load_b32 v110, v2 offset:408
	v_fmac_f32_e32 v149, v143, v111
	s_delay_alu instid0(VALU_DEP_1) | instskip(SKIP_1) | instid1(VALU_DEP_1)
	v_fmac_f32_e32 v149, v144, v112
	s_waitcnt vmcnt(1)
	v_fmac_f32_e32 v149, v145, v113
	s_waitcnt lgkmcnt(1)
	s_delay_alu instid0(VALU_DEP_1) | instskip(NEXT) | instid1(VALU_DEP_1)
	v_fmac_f32_e32 v149, v146, v106
	v_fmac_f32_e32 v149, v147, v107
	s_delay_alu instid0(VALU_DEP_1) | instskip(SKIP_1) | instid1(VALU_DEP_1)
	v_fmac_f32_e32 v149, v148, v108
	s_waitcnt vmcnt(0)
	v_fmac_f32_e32 v149, v157, v109
	s_waitcnt lgkmcnt(0)
	s_delay_alu instid0(VALU_DEP_1) | instskip(NEXT) | instid1(VALU_DEP_1)
	v_fmac_f32_e32 v149, v158, v110
	v_sub_f32_e32 v105, v105, v149
	scratch_store_b32 off, v105, off offset:20
	v_cmpx_lt_u32_e32 4, v0
	s_cbranch_execz .LBB50_305
; %bb.304:
	scratch_load_b32 v105, off, off offset:16
	scratch_store_b32 off, v2, off offset:16
	s_waitcnt vmcnt(0)
	ds_store_b32 v1, v105
.LBB50_305:
	s_or_b32 exec_lo, exec_lo, s0
	s_waitcnt lgkmcnt(0)
	s_waitcnt_vscnt null, 0x0
	s_barrier
	buffer_gl0_inv
	s_clause 0xb
	scratch_load_b128 v[105:108], off, off offset:16
	scratch_load_b128 v[109:112], off, off offset:32
	;; [unrolled: 1-line block ×11, first 2 shown]
	scratch_load_b96 v[149:151], off, off offset:192
	ds_load_2addr_b32 v[152:153], v2 offset0:57 offset1:58
	ds_load_2addr_b32 v[154:155], v2 offset0:59 offset1:60
	;; [unrolled: 1-line block ×4, first 2 shown]
	s_mov_b32 s0, exec_lo
	s_waitcnt vmcnt(11) lgkmcnt(3)
	v_fma_f32 v152, v106, v152, 0
	s_delay_alu instid0(VALU_DEP_1) | instskip(SKIP_4) | instid1(VALU_DEP_1)
	v_fmac_f32_e32 v152, v107, v153
	ds_load_2addr_b32 v[106:107], v2 offset0:65 offset1:66
	s_waitcnt lgkmcnt(3)
	v_fmac_f32_e32 v152, v108, v154
	s_waitcnt vmcnt(10)
	v_fmac_f32_e32 v152, v109, v155
	ds_load_2addr_b32 v[108:109], v2 offset0:67 offset1:68
	s_waitcnt lgkmcnt(3)
	v_fmac_f32_e32 v152, v110, v156
	s_delay_alu instid0(VALU_DEP_1) | instskip(SKIP_1) | instid1(VALU_DEP_1)
	v_fmac_f32_e32 v152, v111, v157
	s_waitcnt lgkmcnt(2)
	v_fmac_f32_e32 v152, v112, v158
	s_waitcnt vmcnt(9)
	s_delay_alu instid0(VALU_DEP_1) | instskip(SKIP_4) | instid1(VALU_DEP_1)
	v_fmac_f32_e32 v152, v113, v159
	ds_load_2addr_b32 v[110:111], v2 offset0:69 offset1:70
	ds_load_2addr_b32 v[112:113], v2 offset0:71 offset1:72
	s_waitcnt lgkmcnt(3)
	v_fmac_f32_e32 v152, v114, v106
	v_fmac_f32_e32 v152, v115, v107
	ds_load_2addr_b32 v[106:107], v2 offset0:73 offset1:74
	s_waitcnt lgkmcnt(3)
	v_fmac_f32_e32 v152, v116, v108
	s_waitcnt vmcnt(8)
	s_delay_alu instid0(VALU_DEP_1) | instskip(SKIP_3) | instid1(VALU_DEP_1)
	v_fmac_f32_e32 v152, v117, v109
	ds_load_2addr_b32 v[108:109], v2 offset0:75 offset1:76
	s_waitcnt lgkmcnt(3)
	v_fmac_f32_e32 v152, v118, v110
	v_fmac_f32_e32 v152, v119, v111
	s_waitcnt lgkmcnt(2)
	s_delay_alu instid0(VALU_DEP_1) | instskip(SKIP_1) | instid1(VALU_DEP_1)
	v_fmac_f32_e32 v152, v120, v112
	s_waitcnt vmcnt(7)
	v_fmac_f32_e32 v152, v121, v113
	ds_load_2addr_b32 v[110:111], v2 offset0:77 offset1:78
	ds_load_2addr_b32 v[112:113], v2 offset0:79 offset1:80
	s_waitcnt lgkmcnt(3)
	v_fmac_f32_e32 v152, v122, v106
	s_delay_alu instid0(VALU_DEP_1) | instskip(SKIP_4) | instid1(VALU_DEP_1)
	v_fmac_f32_e32 v152, v123, v107
	ds_load_2addr_b32 v[106:107], v2 offset0:81 offset1:82
	s_waitcnt lgkmcnt(3)
	v_fmac_f32_e32 v152, v124, v108
	s_waitcnt vmcnt(6)
	v_fmac_f32_e32 v152, v125, v109
	ds_load_2addr_b32 v[108:109], v2 offset0:83 offset1:84
	s_waitcnt lgkmcnt(3)
	v_fmac_f32_e32 v152, v126, v110
	s_delay_alu instid0(VALU_DEP_1) | instskip(SKIP_1) | instid1(VALU_DEP_1)
	v_fmac_f32_e32 v152, v127, v111
	s_waitcnt lgkmcnt(2)
	v_fmac_f32_e32 v152, v128, v112
	s_waitcnt vmcnt(5)
	s_delay_alu instid0(VALU_DEP_1) | instskip(SKIP_4) | instid1(VALU_DEP_1)
	v_fmac_f32_e32 v152, v129, v113
	ds_load_2addr_b32 v[110:111], v2 offset0:85 offset1:86
	ds_load_2addr_b32 v[112:113], v2 offset0:87 offset1:88
	s_waitcnt lgkmcnt(3)
	v_fmac_f32_e32 v152, v130, v106
	v_fmac_f32_e32 v152, v131, v107
	ds_load_2addr_b32 v[106:107], v2 offset0:89 offset1:90
	s_waitcnt lgkmcnt(3)
	v_fmac_f32_e32 v152, v132, v108
	s_waitcnt vmcnt(4)
	s_delay_alu instid0(VALU_DEP_1) | instskip(SKIP_3) | instid1(VALU_DEP_1)
	v_fmac_f32_e32 v152, v133, v109
	ds_load_2addr_b32 v[108:109], v2 offset0:91 offset1:92
	s_waitcnt lgkmcnt(3)
	v_fmac_f32_e32 v152, v134, v110
	v_fmac_f32_e32 v152, v135, v111
	s_waitcnt lgkmcnt(2)
	s_delay_alu instid0(VALU_DEP_1) | instskip(SKIP_1) | instid1(VALU_DEP_1)
	v_fmac_f32_e32 v152, v136, v112
	s_waitcnt vmcnt(3)
	v_fmac_f32_e32 v152, v137, v113
	ds_load_2addr_b32 v[110:111], v2 offset0:93 offset1:94
	ds_load_2addr_b32 v[112:113], v2 offset0:95 offset1:96
	s_waitcnt lgkmcnt(3)
	v_fmac_f32_e32 v152, v138, v106
	s_delay_alu instid0(VALU_DEP_1) | instskip(SKIP_4) | instid1(VALU_DEP_1)
	v_fmac_f32_e32 v152, v139, v107
	ds_load_2addr_b32 v[106:107], v2 offset0:97 offset1:98
	s_waitcnt lgkmcnt(3)
	v_fmac_f32_e32 v152, v140, v108
	s_waitcnt vmcnt(2)
	v_fmac_f32_e32 v152, v141, v109
	ds_load_2addr_b32 v[108:109], v2 offset0:99 offset1:100
	s_waitcnt lgkmcnt(3)
	v_fmac_f32_e32 v152, v142, v110
	s_delay_alu instid0(VALU_DEP_1) | instskip(SKIP_4) | instid1(VALU_DEP_1)
	v_fmac_f32_e32 v152, v143, v111
	ds_load_2addr_b32 v[110:111], v2 offset0:101 offset1:102
	s_waitcnt lgkmcnt(3)
	v_fmac_f32_e32 v152, v144, v112
	s_waitcnt vmcnt(1)
	v_fmac_f32_e32 v152, v145, v113
	s_waitcnt lgkmcnt(2)
	s_delay_alu instid0(VALU_DEP_1) | instskip(NEXT) | instid1(VALU_DEP_1)
	v_fmac_f32_e32 v152, v146, v106
	v_fmac_f32_e32 v152, v147, v107
	s_waitcnt lgkmcnt(1)
	s_delay_alu instid0(VALU_DEP_1) | instskip(SKIP_1) | instid1(VALU_DEP_1)
	v_fmac_f32_e32 v152, v148, v108
	s_waitcnt vmcnt(0)
	v_fmac_f32_e32 v152, v149, v109
	s_waitcnt lgkmcnt(0)
	s_delay_alu instid0(VALU_DEP_1) | instskip(NEXT) | instid1(VALU_DEP_1)
	v_fmac_f32_e32 v152, v150, v110
	v_fmac_f32_e32 v152, v151, v111
	s_delay_alu instid0(VALU_DEP_1)
	v_sub_f32_e32 v2, v105, v152
	scratch_store_b32 off, v2, off offset:16
	v_cmpx_lt_u32_e32 3, v0
	s_cbranch_execz .LBB50_307
; %bb.306:
	scratch_load_b32 v2, off, off offset:12
	v_mov_b32_e32 v105, 0
	scratch_store_b32 off, v105, off offset:12
	s_waitcnt vmcnt(0)
	ds_store_b32 v1, v2
.LBB50_307:
	s_or_b32 exec_lo, exec_lo, s0
	s_waitcnt lgkmcnt(0)
	s_waitcnt_vscnt null, 0x0
	s_barrier
	buffer_gl0_inv
	s_clause 0xb
	scratch_load_b128 v[105:108], off, off offset:12
	scratch_load_b128 v[109:112], off, off offset:28
	;; [unrolled: 1-line block ×12, first 2 shown]
	v_mov_b32_e32 v2, 0
	ds_load_b128 v[153:156], v2 offset:224
	ds_load_b128 v[157:160], v2 offset:240
	s_mov_b32 s0, exec_lo
	s_waitcnt vmcnt(11) lgkmcnt(1)
	v_fma_f32 v153, v106, v153, 0
	s_delay_alu instid0(VALU_DEP_1) | instskip(NEXT) | instid1(VALU_DEP_1)
	v_fmac_f32_e32 v153, v107, v154
	v_fmac_f32_e32 v153, v108, v155
	s_waitcnt vmcnt(10)
	s_delay_alu instid0(VALU_DEP_1) | instskip(SKIP_3) | instid1(VALU_DEP_1)
	v_fmac_f32_e32 v153, v109, v156
	ds_load_b128 v[106:109], v2 offset:256
	s_waitcnt lgkmcnt(1)
	v_fmac_f32_e32 v153, v110, v157
	v_fmac_f32_e32 v153, v111, v158
	s_delay_alu instid0(VALU_DEP_1) | instskip(SKIP_1) | instid1(VALU_DEP_1)
	v_fmac_f32_e32 v153, v112, v159
	s_waitcnt vmcnt(9)
	v_fmac_f32_e32 v153, v113, v160
	ds_load_b128 v[110:113], v2 offset:272
	s_waitcnt lgkmcnt(1)
	v_fmac_f32_e32 v153, v114, v106
	s_delay_alu instid0(VALU_DEP_1) | instskip(NEXT) | instid1(VALU_DEP_1)
	v_fmac_f32_e32 v153, v115, v107
	v_fmac_f32_e32 v153, v116, v108
	s_waitcnt vmcnt(8)
	s_delay_alu instid0(VALU_DEP_1) | instskip(SKIP_3) | instid1(VALU_DEP_1)
	v_fmac_f32_e32 v153, v117, v109
	ds_load_b128 v[106:109], v2 offset:288
	s_waitcnt lgkmcnt(1)
	v_fmac_f32_e32 v153, v118, v110
	v_fmac_f32_e32 v153, v119, v111
	s_delay_alu instid0(VALU_DEP_1) | instskip(SKIP_1) | instid1(VALU_DEP_1)
	v_fmac_f32_e32 v153, v120, v112
	s_waitcnt vmcnt(7)
	v_fmac_f32_e32 v153, v121, v113
	ds_load_b128 v[110:113], v2 offset:304
	s_waitcnt lgkmcnt(1)
	v_fmac_f32_e32 v153, v122, v106
	;; [unrolled: 17-line block ×4, first 2 shown]
	s_delay_alu instid0(VALU_DEP_1) | instskip(NEXT) | instid1(VALU_DEP_1)
	v_fmac_f32_e32 v153, v139, v107
	v_fmac_f32_e32 v153, v140, v108
	s_waitcnt vmcnt(2)
	s_delay_alu instid0(VALU_DEP_1) | instskip(SKIP_3) | instid1(VALU_DEP_1)
	v_fmac_f32_e32 v153, v141, v109
	ds_load_b128 v[106:109], v2 offset:384
	s_waitcnt lgkmcnt(1)
	v_fmac_f32_e32 v153, v142, v110
	v_fmac_f32_e32 v153, v143, v111
	s_delay_alu instid0(VALU_DEP_1) | instskip(SKIP_4) | instid1(VALU_DEP_1)
	v_fmac_f32_e32 v153, v144, v112
	ds_load_b96 v[110:112], v2 offset:400
	s_waitcnt vmcnt(1)
	v_fmac_f32_e32 v153, v145, v113
	s_waitcnt lgkmcnt(1)
	v_fmac_f32_e32 v153, v146, v106
	s_delay_alu instid0(VALU_DEP_1) | instskip(NEXT) | instid1(VALU_DEP_1)
	v_fmac_f32_e32 v153, v147, v107
	v_fmac_f32_e32 v153, v148, v108
	s_waitcnt vmcnt(0)
	s_delay_alu instid0(VALU_DEP_1) | instskip(SKIP_1) | instid1(VALU_DEP_1)
	v_fmac_f32_e32 v153, v149, v109
	s_waitcnt lgkmcnt(0)
	v_fmac_f32_e32 v153, v150, v110
	s_delay_alu instid0(VALU_DEP_1) | instskip(NEXT) | instid1(VALU_DEP_1)
	v_fmac_f32_e32 v153, v151, v111
	v_fmac_f32_e32 v153, v152, v112
	s_delay_alu instid0(VALU_DEP_1)
	v_sub_f32_e32 v105, v105, v153
	scratch_store_b32 off, v105, off offset:12
	v_cmpx_lt_u32_e32 2, v0
	s_cbranch_execz .LBB50_309
; %bb.308:
	scratch_load_b32 v105, off, off offset:8
	scratch_store_b32 off, v2, off offset:8
	s_waitcnt vmcnt(0)
	ds_store_b32 v1, v105
.LBB50_309:
	s_or_b32 exec_lo, exec_lo, s0
	s_waitcnt lgkmcnt(0)
	s_waitcnt_vscnt null, 0x0
	s_barrier
	buffer_gl0_inv
	s_clause 0xc
	scratch_load_b128 v[105:108], off, off offset:8
	scratch_load_b128 v[109:112], off, off offset:24
	;; [unrolled: 1-line block ×12, first 2 shown]
	scratch_load_b32 v161, off, off offset:200
	ds_load_2addr_b32 v[153:154], v2 offset0:55 offset1:56
	ds_load_2addr_b32 v[155:156], v2 offset0:57 offset1:58
	;; [unrolled: 1-line block ×4, first 2 shown]
	s_mov_b32 s0, exec_lo
	s_waitcnt vmcnt(12) lgkmcnt(3)
	v_fma_f32 v153, v106, v153, 0
	s_delay_alu instid0(VALU_DEP_1) | instskip(SKIP_4) | instid1(VALU_DEP_1)
	v_fmac_f32_e32 v153, v107, v154
	ds_load_2addr_b32 v[106:107], v2 offset0:63 offset1:64
	s_waitcnt lgkmcnt(3)
	v_fmac_f32_e32 v153, v108, v155
	s_waitcnt vmcnt(11)
	v_fmac_f32_e32 v153, v109, v156
	ds_load_2addr_b32 v[108:109], v2 offset0:65 offset1:66
	s_waitcnt lgkmcnt(3)
	v_fmac_f32_e32 v153, v110, v157
	s_delay_alu instid0(VALU_DEP_1) | instskip(SKIP_1) | instid1(VALU_DEP_1)
	v_fmac_f32_e32 v153, v111, v158
	s_waitcnt lgkmcnt(2)
	v_fmac_f32_e32 v153, v112, v159
	s_waitcnt vmcnt(10)
	s_delay_alu instid0(VALU_DEP_1) | instskip(SKIP_4) | instid1(VALU_DEP_1)
	v_fmac_f32_e32 v153, v113, v160
	ds_load_2addr_b32 v[110:111], v2 offset0:67 offset1:68
	ds_load_2addr_b32 v[112:113], v2 offset0:69 offset1:70
	s_waitcnt lgkmcnt(3)
	v_fmac_f32_e32 v153, v114, v106
	v_fmac_f32_e32 v153, v115, v107
	ds_load_2addr_b32 v[106:107], v2 offset0:71 offset1:72
	s_waitcnt lgkmcnt(3)
	v_fmac_f32_e32 v153, v116, v108
	s_waitcnt vmcnt(9)
	s_delay_alu instid0(VALU_DEP_1) | instskip(SKIP_3) | instid1(VALU_DEP_1)
	v_fmac_f32_e32 v153, v117, v109
	ds_load_2addr_b32 v[108:109], v2 offset0:73 offset1:74
	s_waitcnt lgkmcnt(3)
	v_fmac_f32_e32 v153, v118, v110
	v_fmac_f32_e32 v153, v119, v111
	s_waitcnt lgkmcnt(2)
	s_delay_alu instid0(VALU_DEP_1) | instskip(SKIP_1) | instid1(VALU_DEP_1)
	v_fmac_f32_e32 v153, v120, v112
	s_waitcnt vmcnt(8)
	v_fmac_f32_e32 v153, v121, v113
	ds_load_2addr_b32 v[110:111], v2 offset0:75 offset1:76
	ds_load_2addr_b32 v[112:113], v2 offset0:77 offset1:78
	s_waitcnt lgkmcnt(3)
	v_fmac_f32_e32 v153, v122, v106
	s_delay_alu instid0(VALU_DEP_1) | instskip(SKIP_4) | instid1(VALU_DEP_1)
	v_fmac_f32_e32 v153, v123, v107
	ds_load_2addr_b32 v[106:107], v2 offset0:79 offset1:80
	s_waitcnt lgkmcnt(3)
	v_fmac_f32_e32 v153, v124, v108
	s_waitcnt vmcnt(7)
	v_fmac_f32_e32 v153, v125, v109
	ds_load_2addr_b32 v[108:109], v2 offset0:81 offset1:82
	s_waitcnt lgkmcnt(3)
	v_fmac_f32_e32 v153, v126, v110
	s_delay_alu instid0(VALU_DEP_1) | instskip(SKIP_1) | instid1(VALU_DEP_1)
	v_fmac_f32_e32 v153, v127, v111
	s_waitcnt lgkmcnt(2)
	v_fmac_f32_e32 v153, v128, v112
	s_waitcnt vmcnt(6)
	s_delay_alu instid0(VALU_DEP_1) | instskip(SKIP_4) | instid1(VALU_DEP_1)
	v_fmac_f32_e32 v153, v129, v113
	ds_load_2addr_b32 v[110:111], v2 offset0:83 offset1:84
	ds_load_2addr_b32 v[112:113], v2 offset0:85 offset1:86
	s_waitcnt lgkmcnt(3)
	v_fmac_f32_e32 v153, v130, v106
	v_fmac_f32_e32 v153, v131, v107
	ds_load_2addr_b32 v[106:107], v2 offset0:87 offset1:88
	s_waitcnt lgkmcnt(3)
	v_fmac_f32_e32 v153, v132, v108
	s_waitcnt vmcnt(5)
	s_delay_alu instid0(VALU_DEP_1) | instskip(SKIP_3) | instid1(VALU_DEP_1)
	v_fmac_f32_e32 v153, v133, v109
	ds_load_2addr_b32 v[108:109], v2 offset0:89 offset1:90
	s_waitcnt lgkmcnt(3)
	v_fmac_f32_e32 v153, v134, v110
	v_fmac_f32_e32 v153, v135, v111
	s_waitcnt lgkmcnt(2)
	s_delay_alu instid0(VALU_DEP_1) | instskip(SKIP_1) | instid1(VALU_DEP_1)
	v_fmac_f32_e32 v153, v136, v112
	s_waitcnt vmcnt(4)
	v_fmac_f32_e32 v153, v137, v113
	ds_load_2addr_b32 v[110:111], v2 offset0:91 offset1:92
	ds_load_2addr_b32 v[112:113], v2 offset0:93 offset1:94
	s_waitcnt lgkmcnt(3)
	v_fmac_f32_e32 v153, v138, v106
	s_delay_alu instid0(VALU_DEP_1) | instskip(SKIP_4) | instid1(VALU_DEP_1)
	v_fmac_f32_e32 v153, v139, v107
	ds_load_2addr_b32 v[106:107], v2 offset0:95 offset1:96
	s_waitcnt lgkmcnt(3)
	v_fmac_f32_e32 v153, v140, v108
	s_waitcnt vmcnt(3)
	v_fmac_f32_e32 v153, v141, v109
	ds_load_2addr_b32 v[108:109], v2 offset0:97 offset1:98
	s_waitcnt lgkmcnt(3)
	v_fmac_f32_e32 v153, v142, v110
	s_delay_alu instid0(VALU_DEP_1) | instskip(SKIP_1) | instid1(VALU_DEP_1)
	v_fmac_f32_e32 v153, v143, v111
	s_waitcnt lgkmcnt(2)
	v_fmac_f32_e32 v153, v144, v112
	s_waitcnt vmcnt(2)
	s_delay_alu instid0(VALU_DEP_1) | instskip(SKIP_4) | instid1(VALU_DEP_1)
	v_fmac_f32_e32 v153, v145, v113
	ds_load_2addr_b32 v[110:111], v2 offset0:99 offset1:100
	ds_load_2addr_b32 v[112:113], v2 offset0:101 offset1:102
	s_waitcnt lgkmcnt(3)
	v_fmac_f32_e32 v153, v146, v106
	v_fmac_f32_e32 v153, v147, v107
	s_waitcnt lgkmcnt(2)
	s_delay_alu instid0(VALU_DEP_1) | instskip(SKIP_1) | instid1(VALU_DEP_1)
	v_fmac_f32_e32 v153, v148, v108
	s_waitcnt vmcnt(1)
	v_fmac_f32_e32 v153, v149, v109
	s_waitcnt lgkmcnt(1)
	s_delay_alu instid0(VALU_DEP_1) | instskip(NEXT) | instid1(VALU_DEP_1)
	v_fmac_f32_e32 v153, v150, v110
	v_fmac_f32_e32 v153, v151, v111
	s_waitcnt lgkmcnt(0)
	s_delay_alu instid0(VALU_DEP_1) | instskip(SKIP_1) | instid1(VALU_DEP_1)
	v_fmac_f32_e32 v153, v152, v112
	s_waitcnt vmcnt(0)
	v_fmac_f32_e32 v153, v161, v113
	s_delay_alu instid0(VALU_DEP_1)
	v_sub_f32_e32 v2, v105, v153
	scratch_store_b32 off, v2, off offset:8
	v_cmpx_lt_u32_e32 1, v0
	s_cbranch_execz .LBB50_311
; %bb.310:
	scratch_load_b32 v2, off, off offset:4
	v_mov_b32_e32 v105, 0
	scratch_store_b32 off, v105, off offset:4
	s_waitcnt vmcnt(0)
	ds_store_b32 v1, v2
.LBB50_311:
	s_or_b32 exec_lo, exec_lo, s0
	s_waitcnt lgkmcnt(0)
	s_waitcnt_vscnt null, 0x0
	s_barrier
	buffer_gl0_inv
	s_clause 0xc
	scratch_load_b128 v[106:109], off, off offset:4
	scratch_load_b128 v[110:113], off, off offset:20
	;; [unrolled: 1-line block ×12, first 2 shown]
	scratch_load_b64 v[162:163], off, off offset:196
	v_mov_b32_e32 v105, 0
	ds_load_2addr_b64 v[154:157], v105 offset0:27 offset1:28
	ds_load_2addr_b64 v[158:161], v105 offset0:29 offset1:30
	s_mov_b32 s0, exec_lo
	s_waitcnt vmcnt(12) lgkmcnt(1)
	v_fma_f32 v2, v107, v154, 0
	s_delay_alu instid0(VALU_DEP_1) | instskip(NEXT) | instid1(VALU_DEP_1)
	v_fmac_f32_e32 v2, v108, v155
	v_fmac_f32_e32 v2, v109, v156
	s_waitcnt vmcnt(11)
	s_delay_alu instid0(VALU_DEP_1) | instskip(SKIP_3) | instid1(VALU_DEP_1)
	v_fmac_f32_e32 v2, v110, v157
	ds_load_2addr_b64 v[107:110], v105 offset0:31 offset1:32
	s_waitcnt lgkmcnt(1)
	v_fmac_f32_e32 v2, v111, v158
	v_fmac_f32_e32 v2, v112, v159
	s_delay_alu instid0(VALU_DEP_1) | instskip(SKIP_1) | instid1(VALU_DEP_1)
	v_fmac_f32_e32 v2, v113, v160
	s_waitcnt vmcnt(10)
	v_fmac_f32_e32 v2, v114, v161
	ds_load_2addr_b64 v[111:114], v105 offset0:33 offset1:34
	s_waitcnt lgkmcnt(1)
	v_fmac_f32_e32 v2, v115, v107
	s_delay_alu instid0(VALU_DEP_1) | instskip(NEXT) | instid1(VALU_DEP_1)
	v_fmac_f32_e32 v2, v116, v108
	v_fmac_f32_e32 v2, v117, v109
	s_waitcnt vmcnt(9)
	s_delay_alu instid0(VALU_DEP_1) | instskip(SKIP_3) | instid1(VALU_DEP_1)
	v_fmac_f32_e32 v2, v118, v110
	ds_load_2addr_b64 v[107:110], v105 offset0:35 offset1:36
	s_waitcnt lgkmcnt(1)
	v_fmac_f32_e32 v2, v119, v111
	v_fmac_f32_e32 v2, v120, v112
	s_delay_alu instid0(VALU_DEP_1) | instskip(SKIP_1) | instid1(VALU_DEP_1)
	v_fmac_f32_e32 v2, v121, v113
	s_waitcnt vmcnt(8)
	v_fmac_f32_e32 v2, v122, v114
	ds_load_2addr_b64 v[111:114], v105 offset0:37 offset1:38
	s_waitcnt lgkmcnt(1)
	v_fmac_f32_e32 v2, v123, v107
	;; [unrolled: 17-line block ×5, first 2 shown]
	ds_load_b32 v107, v105 offset:408
	v_fmac_f32_e32 v2, v148, v108
	s_delay_alu instid0(VALU_DEP_1) | instskip(SKIP_1) | instid1(VALU_DEP_1)
	v_fmac_f32_e32 v2, v149, v109
	s_waitcnt vmcnt(1)
	v_fmac_f32_e32 v2, v150, v110
	s_waitcnt lgkmcnt(1)
	s_delay_alu instid0(VALU_DEP_1) | instskip(NEXT) | instid1(VALU_DEP_1)
	v_fmac_f32_e32 v2, v151, v111
	v_fmac_f32_e32 v2, v152, v112
	s_delay_alu instid0(VALU_DEP_1) | instskip(SKIP_1) | instid1(VALU_DEP_1)
	v_fmac_f32_e32 v2, v153, v113
	s_waitcnt vmcnt(0)
	v_fmac_f32_e32 v2, v162, v114
	s_waitcnt lgkmcnt(0)
	s_delay_alu instid0(VALU_DEP_1) | instskip(NEXT) | instid1(VALU_DEP_1)
	v_fmac_f32_e32 v2, v163, v107
	v_sub_f32_e32 v2, v106, v2
	scratch_store_b32 off, v2, off offset:4
	v_cmpx_ne_u32_e32 0, v0
	s_cbranch_execz .LBB50_313
; %bb.312:
	scratch_load_b32 v0, off, off
	scratch_store_b32 off, v105, off
	s_waitcnt vmcnt(0)
	ds_store_b32 v1, v0
.LBB50_313:
	s_or_b32 exec_lo, exec_lo, s0
	s_waitcnt lgkmcnt(0)
	s_waitcnt_vscnt null, 0x0
	s_barrier
	buffer_gl0_inv
	s_clause 0xc
	scratch_load_b128 v[106:109], off, off
	scratch_load_b128 v[110:113], off, off offset:16
	scratch_load_b128 v[114:117], off, off offset:32
	;; [unrolled: 1-line block ×11, first 2 shown]
	scratch_load_b96 v[0:2], off, off offset:192
	ds_load_2addr_b32 v[154:155], v105 offset0:53 offset1:54
	ds_load_2addr_b32 v[156:157], v105 offset0:55 offset1:56
	;; [unrolled: 1-line block ×4, first 2 shown]
	s_and_b32 vcc_lo, exec_lo, s16
	s_waitcnt vmcnt(12) lgkmcnt(3)
	v_fma_f32 v154, v107, v154, 0
	s_delay_alu instid0(VALU_DEP_1) | instskip(SKIP_4) | instid1(VALU_DEP_1)
	v_fmac_f32_e32 v154, v108, v155
	ds_load_2addr_b32 v[107:108], v105 offset0:61 offset1:62
	s_waitcnt lgkmcnt(3)
	v_fmac_f32_e32 v154, v109, v156
	s_waitcnt vmcnt(11)
	v_fmac_f32_e32 v154, v110, v157
	ds_load_2addr_b32 v[109:110], v105 offset0:63 offset1:64
	s_waitcnt lgkmcnt(3)
	v_fmac_f32_e32 v154, v111, v158
	s_delay_alu instid0(VALU_DEP_1) | instskip(SKIP_1) | instid1(VALU_DEP_1)
	v_fmac_f32_e32 v154, v112, v159
	s_waitcnt lgkmcnt(2)
	v_fmac_f32_e32 v154, v113, v160
	s_waitcnt vmcnt(10)
	s_delay_alu instid0(VALU_DEP_1) | instskip(SKIP_4) | instid1(VALU_DEP_1)
	v_fmac_f32_e32 v154, v114, v161
	ds_load_2addr_b32 v[111:112], v105 offset0:65 offset1:66
	ds_load_2addr_b32 v[113:114], v105 offset0:67 offset1:68
	s_waitcnt lgkmcnt(3)
	v_fmac_f32_e32 v154, v115, v107
	v_fmac_f32_e32 v154, v116, v108
	ds_load_2addr_b32 v[107:108], v105 offset0:69 offset1:70
	s_waitcnt lgkmcnt(3)
	v_fmac_f32_e32 v154, v117, v109
	s_waitcnt vmcnt(9)
	s_delay_alu instid0(VALU_DEP_1) | instskip(SKIP_3) | instid1(VALU_DEP_1)
	v_fmac_f32_e32 v154, v118, v110
	ds_load_2addr_b32 v[109:110], v105 offset0:71 offset1:72
	s_waitcnt lgkmcnt(3)
	v_fmac_f32_e32 v154, v119, v111
	v_fmac_f32_e32 v154, v120, v112
	s_waitcnt lgkmcnt(2)
	s_delay_alu instid0(VALU_DEP_1) | instskip(SKIP_1) | instid1(VALU_DEP_1)
	v_fmac_f32_e32 v154, v121, v113
	s_waitcnt vmcnt(8)
	v_fmac_f32_e32 v154, v122, v114
	ds_load_2addr_b32 v[111:112], v105 offset0:73 offset1:74
	ds_load_2addr_b32 v[113:114], v105 offset0:75 offset1:76
	s_waitcnt lgkmcnt(3)
	v_fmac_f32_e32 v154, v123, v107
	s_delay_alu instid0(VALU_DEP_1) | instskip(SKIP_4) | instid1(VALU_DEP_1)
	v_fmac_f32_e32 v154, v124, v108
	ds_load_2addr_b32 v[107:108], v105 offset0:77 offset1:78
	s_waitcnt lgkmcnt(3)
	v_fmac_f32_e32 v154, v125, v109
	s_waitcnt vmcnt(7)
	v_fmac_f32_e32 v154, v126, v110
	ds_load_2addr_b32 v[109:110], v105 offset0:79 offset1:80
	s_waitcnt lgkmcnt(3)
	v_fmac_f32_e32 v154, v127, v111
	s_delay_alu instid0(VALU_DEP_1) | instskip(SKIP_1) | instid1(VALU_DEP_1)
	v_fmac_f32_e32 v154, v128, v112
	s_waitcnt lgkmcnt(2)
	v_fmac_f32_e32 v154, v129, v113
	s_waitcnt vmcnt(6)
	s_delay_alu instid0(VALU_DEP_1) | instskip(SKIP_4) | instid1(VALU_DEP_1)
	v_fmac_f32_e32 v154, v130, v114
	ds_load_2addr_b32 v[111:112], v105 offset0:81 offset1:82
	ds_load_2addr_b32 v[113:114], v105 offset0:83 offset1:84
	s_waitcnt lgkmcnt(3)
	v_fmac_f32_e32 v154, v131, v107
	v_fmac_f32_e32 v154, v132, v108
	ds_load_2addr_b32 v[107:108], v105 offset0:85 offset1:86
	s_waitcnt lgkmcnt(3)
	v_fmac_f32_e32 v154, v133, v109
	s_waitcnt vmcnt(5)
	s_delay_alu instid0(VALU_DEP_1) | instskip(SKIP_3) | instid1(VALU_DEP_1)
	v_fmac_f32_e32 v154, v134, v110
	ds_load_2addr_b32 v[109:110], v105 offset0:87 offset1:88
	s_waitcnt lgkmcnt(3)
	v_fmac_f32_e32 v154, v135, v111
	v_fmac_f32_e32 v154, v136, v112
	s_waitcnt lgkmcnt(2)
	s_delay_alu instid0(VALU_DEP_1) | instskip(SKIP_1) | instid1(VALU_DEP_1)
	v_fmac_f32_e32 v154, v137, v113
	s_waitcnt vmcnt(4)
	v_fmac_f32_e32 v154, v138, v114
	ds_load_2addr_b32 v[111:112], v105 offset0:89 offset1:90
	ds_load_2addr_b32 v[113:114], v105 offset0:91 offset1:92
	s_waitcnt lgkmcnt(3)
	v_fmac_f32_e32 v154, v139, v107
	s_delay_alu instid0(VALU_DEP_1) | instskip(SKIP_4) | instid1(VALU_DEP_1)
	v_fmac_f32_e32 v154, v140, v108
	ds_load_2addr_b32 v[107:108], v105 offset0:93 offset1:94
	s_waitcnt lgkmcnt(3)
	v_fmac_f32_e32 v154, v141, v109
	s_waitcnt vmcnt(3)
	v_fmac_f32_e32 v154, v142, v110
	ds_load_2addr_b32 v[109:110], v105 offset0:95 offset1:96
	s_waitcnt lgkmcnt(3)
	v_fmac_f32_e32 v154, v143, v111
	s_delay_alu instid0(VALU_DEP_1) | instskip(SKIP_1) | instid1(VALU_DEP_1)
	v_fmac_f32_e32 v154, v144, v112
	s_waitcnt lgkmcnt(2)
	v_fmac_f32_e32 v154, v145, v113
	s_waitcnt vmcnt(2)
	s_delay_alu instid0(VALU_DEP_1) | instskip(SKIP_4) | instid1(VALU_DEP_1)
	v_fmac_f32_e32 v154, v146, v114
	ds_load_2addr_b32 v[111:112], v105 offset0:97 offset1:98
	ds_load_2addr_b32 v[113:114], v105 offset0:99 offset1:100
	s_waitcnt lgkmcnt(3)
	v_fmac_f32_e32 v154, v147, v107
	v_fmac_f32_e32 v154, v148, v108
	ds_load_2addr_b32 v[107:108], v105 offset0:101 offset1:102
	s_waitcnt lgkmcnt(3)
	v_fmac_f32_e32 v154, v149, v109
	s_waitcnt vmcnt(1)
	s_delay_alu instid0(VALU_DEP_1) | instskip(SKIP_1) | instid1(VALU_DEP_1)
	v_fmac_f32_e32 v154, v150, v110
	s_waitcnt lgkmcnt(2)
	v_fmac_f32_e32 v154, v151, v111
	s_delay_alu instid0(VALU_DEP_1) | instskip(SKIP_1) | instid1(VALU_DEP_1)
	v_fmac_f32_e32 v154, v152, v112
	s_waitcnt lgkmcnt(1)
	v_fmac_f32_e32 v154, v153, v113
	s_waitcnt vmcnt(0)
	s_delay_alu instid0(VALU_DEP_1) | instskip(SKIP_1) | instid1(VALU_DEP_1)
	v_fmac_f32_e32 v154, v0, v114
	s_waitcnt lgkmcnt(0)
	v_fmac_f32_e32 v154, v1, v107
	s_delay_alu instid0(VALU_DEP_1) | instskip(NEXT) | instid1(VALU_DEP_1)
	v_fmac_f32_e32 v154, v2, v108
	v_sub_f32_e32 v0, v106, v154
	scratch_store_b32 off, v0, off
	s_cbranch_vccz .LBB50_415
; %bb.314:
	v_dual_mov_b32 v106, s13 :: v_dual_mov_b32 v105, s12
	s_mov_b32 s0, exec_lo
	flat_load_b32 v0, v[105:106] offset:196
	s_waitcnt vmcnt(0) lgkmcnt(0)
	v_cmpx_ne_u32_e32 50, v0
	s_cbranch_execz .LBB50_316
; %bb.315:
	v_lshl_add_u32 v0, v0, 2, 0
	scratch_load_b32 v2, v0, off offset:-4
	s_waitcnt vmcnt(0)
	scratch_store_b32 off, v2, off offset:196
	scratch_store_b32 v0, v1, off offset:-4
.LBB50_316:
	s_or_b32 exec_lo, exec_lo, s0
	v_dual_mov_b32 v0, s12 :: v_dual_mov_b32 v1, s13
	s_mov_b32 s0, exec_lo
	flat_load_b32 v0, v[0:1] offset:192
	s_waitcnt vmcnt(0) lgkmcnt(0)
	v_cmpx_ne_u32_e32 49, v0
	s_cbranch_execz .LBB50_318
; %bb.317:
	v_lshl_add_u32 v0, v0, 2, 0
	scratch_load_b32 v1, v0, off offset:-4
	scratch_load_b32 v2, off, off offset:192
	s_waitcnt vmcnt(1)
	scratch_store_b32 off, v1, off offset:192
	s_waitcnt vmcnt(0)
	scratch_store_b32 v0, v2, off offset:-4
.LBB50_318:
	s_or_b32 exec_lo, exec_lo, s0
	v_dual_mov_b32 v0, s12 :: v_dual_mov_b32 v1, s13
	s_mov_b32 s0, exec_lo
	flat_load_b32 v0, v[0:1] offset:188
	s_waitcnt vmcnt(0) lgkmcnt(0)
	v_cmpx_ne_u32_e32 48, v0
	s_cbranch_execz .LBB50_320
; %bb.319:
	v_lshl_add_u32 v0, v0, 2, 0
	scratch_load_b32 v1, v0, off offset:-4
	scratch_load_b32 v2, off, off offset:188
	s_waitcnt vmcnt(1)
	scratch_store_b32 off, v1, off offset:188
	s_waitcnt vmcnt(0)
	scratch_store_b32 v0, v2, off offset:-4
.LBB50_320:
	;; [unrolled: 16-line block ×48, first 2 shown]
	s_or_b32 exec_lo, exec_lo, s0
	v_dual_mov_b32 v0, s12 :: v_dual_mov_b32 v1, s13
	s_mov_b32 s0, exec_lo
	flat_load_b32 v1, v[0:1]
	scratch_load_b32 v0, off, off
	s_waitcnt vmcnt(1) lgkmcnt(0)
	v_cmpx_ne_u32_e32 1, v1
	s_cbranch_execz .LBB50_414
; %bb.413:
	v_lshl_add_u32 v1, v1, 2, 0
	scratch_load_b32 v2, v1, off offset:-4
	s_waitcnt vmcnt(0)
	scratch_store_b32 off, v2, off
	scratch_store_b32 v1, v0, off offset:-4
	scratch_load_b32 v0, off, off
.LBB50_414:
	s_or_b32 exec_lo, exec_lo, s0
.LBB50_415:
	s_clause 0xc
	scratch_load_b128 v[105:108], off, off offset:4
	scratch_load_b128 v[109:112], off, off offset:20
	;; [unrolled: 1-line block ×12, first 2 shown]
	scratch_load_b64 v[1:2], off, off offset:196
	s_waitcnt vmcnt(13)
	global_store_b32 v[3:4], v0, off
	s_waitcnt vmcnt(12)
	s_clause 0x3
	global_store_b32 v[5:6], v105, off
	global_store_b32 v[7:8], v106, off
	global_store_b32 v[9:10], v107, off
	global_store_b32 v[11:12], v108, off
	s_waitcnt vmcnt(11)
	s_clause 0x3
	global_store_b32 v[13:14], v109, off
	global_store_b32 v[15:16], v110, off
	global_store_b32 v[17:18], v111, off
	;; [unrolled: 6-line block ×12, first 2 shown]
	global_store_b32 v[101:102], v152, off
	s_waitcnt vmcnt(0)
	s_clause 0x1
	global_store_b32 v[103:104], v1, off
	global_store_b32 v[55:56], v2, off
	s_endpgm
	.section	.rodata,"a",@progbits
	.p2align	6, 0x0
	.amdhsa_kernel _ZN9rocsolver6v33100L18getri_kernel_smallILi51EfPfEEvT1_iilPiilS4_bb
		.amdhsa_group_segment_fixed_size 412
		.amdhsa_private_segment_fixed_size 208
		.amdhsa_kernarg_size 60
		.amdhsa_user_sgpr_count 15
		.amdhsa_user_sgpr_dispatch_ptr 0
		.amdhsa_user_sgpr_queue_ptr 0
		.amdhsa_user_sgpr_kernarg_segment_ptr 1
		.amdhsa_user_sgpr_dispatch_id 0
		.amdhsa_user_sgpr_private_segment_size 0
		.amdhsa_wavefront_size32 1
		.amdhsa_uses_dynamic_stack 0
		.amdhsa_enable_private_segment 1
		.amdhsa_system_sgpr_workgroup_id_x 1
		.amdhsa_system_sgpr_workgroup_id_y 0
		.amdhsa_system_sgpr_workgroup_id_z 0
		.amdhsa_system_sgpr_workgroup_info 0
		.amdhsa_system_vgpr_workitem_id 0
		.amdhsa_next_free_vgpr 164
		.amdhsa_next_free_sgpr 18
		.amdhsa_reserve_vcc 1
		.amdhsa_float_round_mode_32 0
		.amdhsa_float_round_mode_16_64 0
		.amdhsa_float_denorm_mode_32 3
		.amdhsa_float_denorm_mode_16_64 3
		.amdhsa_dx10_clamp 1
		.amdhsa_ieee_mode 1
		.amdhsa_fp16_overflow 0
		.amdhsa_workgroup_processor_mode 1
		.amdhsa_memory_ordered 1
		.amdhsa_forward_progress 0
		.amdhsa_shared_vgpr_count 0
		.amdhsa_exception_fp_ieee_invalid_op 0
		.amdhsa_exception_fp_denorm_src 0
		.amdhsa_exception_fp_ieee_div_zero 0
		.amdhsa_exception_fp_ieee_overflow 0
		.amdhsa_exception_fp_ieee_underflow 0
		.amdhsa_exception_fp_ieee_inexact 0
		.amdhsa_exception_int_div_zero 0
	.end_amdhsa_kernel
	.section	.text._ZN9rocsolver6v33100L18getri_kernel_smallILi51EfPfEEvT1_iilPiilS4_bb,"axG",@progbits,_ZN9rocsolver6v33100L18getri_kernel_smallILi51EfPfEEvT1_iilPiilS4_bb,comdat
.Lfunc_end50:
	.size	_ZN9rocsolver6v33100L18getri_kernel_smallILi51EfPfEEvT1_iilPiilS4_bb, .Lfunc_end50-_ZN9rocsolver6v33100L18getri_kernel_smallILi51EfPfEEvT1_iilPiilS4_bb
                                        ; -- End function
	.section	.AMDGPU.csdata,"",@progbits
; Kernel info:
; codeLenInByte = 37964
; NumSgprs: 20
; NumVgprs: 164
; ScratchSize: 208
; MemoryBound: 0
; FloatMode: 240
; IeeeMode: 1
; LDSByteSize: 412 bytes/workgroup (compile time only)
; SGPRBlocks: 2
; VGPRBlocks: 20
; NumSGPRsForWavesPerEU: 20
; NumVGPRsForWavesPerEU: 164
; Occupancy: 9
; WaveLimiterHint : 1
; COMPUTE_PGM_RSRC2:SCRATCH_EN: 1
; COMPUTE_PGM_RSRC2:USER_SGPR: 15
; COMPUTE_PGM_RSRC2:TRAP_HANDLER: 0
; COMPUTE_PGM_RSRC2:TGID_X_EN: 1
; COMPUTE_PGM_RSRC2:TGID_Y_EN: 0
; COMPUTE_PGM_RSRC2:TGID_Z_EN: 0
; COMPUTE_PGM_RSRC2:TIDIG_COMP_CNT: 0
	.section	.text._ZN9rocsolver6v33100L18getri_kernel_smallILi52EfPfEEvT1_iilPiilS4_bb,"axG",@progbits,_ZN9rocsolver6v33100L18getri_kernel_smallILi52EfPfEEvT1_iilPiilS4_bb,comdat
	.globl	_ZN9rocsolver6v33100L18getri_kernel_smallILi52EfPfEEvT1_iilPiilS4_bb ; -- Begin function _ZN9rocsolver6v33100L18getri_kernel_smallILi52EfPfEEvT1_iilPiilS4_bb
	.p2align	8
	.type	_ZN9rocsolver6v33100L18getri_kernel_smallILi52EfPfEEvT1_iilPiilS4_bb,@function
_ZN9rocsolver6v33100L18getri_kernel_smallILi52EfPfEEvT1_iilPiilS4_bb: ; @_ZN9rocsolver6v33100L18getri_kernel_smallILi52EfPfEEvT1_iilPiilS4_bb
; %bb.0:
	s_mov_b32 s2, exec_lo
	v_cmpx_gt_u32_e32 52, v0
	s_cbranch_execz .LBB51_216
; %bb.1:
	s_clause 0x2
	s_load_b32 s17, s[0:1], 0x38
	s_load_b128 s[8:11], s[0:1], 0x10
	s_load_b128 s[4:7], s[0:1], 0x28
	s_mov_b32 s14, s15
                                        ; implicit-def: $sgpr12_sgpr13
	s_waitcnt lgkmcnt(0)
	s_bitcmp1_b32 s17, 8
	s_cselect_b32 s16, -1, 0
	s_bfe_u32 s2, s17, 0x10008
	s_ashr_i32 s15, s15, 31
	s_cmp_eq_u32 s2, 0
	s_cbranch_scc1 .LBB51_3
; %bb.2:
	s_load_b32 s2, s[0:1], 0x20
	s_mul_i32 s3, s14, s5
	s_mul_hi_u32 s5, s14, s4
	s_mul_i32 s12, s15, s4
	s_add_i32 s3, s5, s3
	s_mul_i32 s4, s14, s4
	s_add_i32 s5, s3, s12
	s_delay_alu instid0(SALU_CYCLE_1)
	s_lshl_b64 s[4:5], s[4:5], 2
	s_waitcnt lgkmcnt(0)
	s_ashr_i32 s3, s2, 31
	s_add_u32 s4, s10, s4
	s_addc_u32 s5, s11, s5
	s_lshl_b64 s[2:3], s[2:3], 2
	s_delay_alu instid0(SALU_CYCLE_1)
	s_add_u32 s12, s4, s2
	s_addc_u32 s13, s5, s3
.LBB51_3:
	s_load_b128 s[0:3], s[0:1], 0x0
	s_mul_i32 s4, s14, s9
	s_mul_hi_u32 s5, s14, s8
	s_mul_i32 s9, s15, s8
	s_add_i32 s5, s5, s4
	s_mul_i32 s4, s14, s8
	s_add_i32 s5, s5, s9
	v_lshlrev_b32_e32 v3, 2, v0
	s_lshl_b64 s[4:5], s[4:5], 2
	s_waitcnt lgkmcnt(0)
	v_add3_u32 v1, s3, s3, v0
	s_ashr_i32 s9, s2, 31
	s_mov_b32 s8, s2
	s_add_u32 s2, s0, s4
	s_addc_u32 s4, s1, s5
	v_add_nc_u32_e32 v8, s3, v1
	s_lshl_b64 s[0:1], s[8:9], 2
	v_ashrrev_i32_e32 v2, 31, v1
	s_add_u32 s0, s2, s0
	s_addc_u32 s1, s4, s1
	v_add_nc_u32_e32 v10, s3, v8
	v_add_co_u32 v4, s2, s0, v3
	s_mov_b32 s10, s3
	s_ashr_i32 s11, s3, 31
	s_delay_alu instid0(VALU_DEP_2) | instskip(SKIP_3) | instid1(VALU_DEP_4)
	v_add_nc_u32_e32 v12, s3, v10
	v_add_co_ci_u32_e64 v5, null, s1, 0, s2
	v_ashrrev_i32_e32 v9, 31, v8
	v_lshlrev_b64 v[1:2], 2, v[1:2]
	v_add_nc_u32_e32 v14, s3, v12
	s_lshl_b64 s[4:5], s[10:11], 2
	v_ashrrev_i32_e32 v11, 31, v10
	v_add_co_u32 v6, vcc_lo, v4, s4
	s_delay_alu instid0(VALU_DEP_3) | instskip(SKIP_3) | instid1(VALU_DEP_4)
	v_add_nc_u32_e32 v16, s3, v14
	v_add_co_ci_u32_e32 v7, vcc_lo, s5, v5, vcc_lo
	v_lshlrev_b64 v[47:48], 2, v[8:9]
	v_add_co_u32 v8, vcc_lo, s0, v1
	v_add_nc_u32_e32 v18, s3, v16
	v_add_co_ci_u32_e32 v9, vcc_lo, s1, v2, vcc_lo
	v_lshlrev_b64 v[1:2], 2, v[10:11]
	v_ashrrev_i32_e32 v13, 31, v12
	s_delay_alu instid0(VALU_DEP_4) | instskip(SKIP_3) | instid1(VALU_DEP_4)
	v_add_nc_u32_e32 v20, s3, v18
	v_add_co_u32 v10, vcc_lo, s0, v47
	v_ashrrev_i32_e32 v15, 31, v14
	v_add_co_ci_u32_e32 v11, vcc_lo, s1, v48, vcc_lo
	v_add_nc_u32_e32 v22, s3, v20
	v_lshlrev_b64 v[47:48], 2, v[12:13]
	v_add_co_u32 v12, vcc_lo, s0, v1
	v_add_co_ci_u32_e32 v13, vcc_lo, s1, v2, vcc_lo
	s_delay_alu instid0(VALU_DEP_4) | instskip(SKIP_3) | instid1(VALU_DEP_4)
	v_add_nc_u32_e32 v24, s3, v22
	v_lshlrev_b64 v[1:2], 2, v[14:15]
	v_ashrrev_i32_e32 v17, 31, v16
	v_add_co_u32 v14, vcc_lo, s0, v47
	v_add_nc_u32_e32 v26, s3, v24
	v_ashrrev_i32_e32 v19, 31, v18
	v_add_co_ci_u32_e32 v15, vcc_lo, s1, v48, vcc_lo
	v_lshlrev_b64 v[47:48], 2, v[16:17]
	s_delay_alu instid0(VALU_DEP_4) | instskip(SKIP_2) | instid1(VALU_DEP_3)
	v_add_nc_u32_e32 v28, s3, v26
	v_add_co_u32 v16, vcc_lo, s0, v1
	v_add_co_ci_u32_e32 v17, vcc_lo, s1, v2, vcc_lo
	v_add_nc_u32_e32 v30, s3, v28
	v_lshlrev_b64 v[1:2], 2, v[18:19]
	v_ashrrev_i32_e32 v21, 31, v20
	v_add_co_u32 v18, vcc_lo, s0, v47
	s_delay_alu instid0(VALU_DEP_4) | instskip(SKIP_3) | instid1(VALU_DEP_4)
	v_add_nc_u32_e32 v32, s3, v30
	v_ashrrev_i32_e32 v23, 31, v22
	v_add_co_ci_u32_e32 v19, vcc_lo, s1, v48, vcc_lo
	v_lshlrev_b64 v[47:48], 2, v[20:21]
	v_add_nc_u32_e32 v34, s3, v32
	v_add_co_u32 v20, vcc_lo, s0, v1
	v_add_co_ci_u32_e32 v21, vcc_lo, s1, v2, vcc_lo
	s_delay_alu instid0(VALU_DEP_3) | instskip(SKIP_3) | instid1(VALU_DEP_4)
	v_add_nc_u32_e32 v36, s3, v34
	v_lshlrev_b64 v[1:2], 2, v[22:23]
	v_ashrrev_i32_e32 v25, 31, v24
	v_add_co_u32 v22, vcc_lo, s0, v47
	v_add_nc_u32_e32 v38, s3, v36
	v_ashrrev_i32_e32 v27, 31, v26
	v_add_co_ci_u32_e32 v23, vcc_lo, s1, v48, vcc_lo
	v_lshlrev_b64 v[47:48], 2, v[24:25]
	s_delay_alu instid0(VALU_DEP_4) | instskip(SKIP_2) | instid1(VALU_DEP_3)
	v_add_nc_u32_e32 v40, s3, v38
	v_add_co_u32 v24, vcc_lo, s0, v1
	v_add_co_ci_u32_e32 v25, vcc_lo, s1, v2, vcc_lo
	v_add_nc_u32_e32 v42, s3, v40
	v_lshlrev_b64 v[1:2], 2, v[26:27]
	v_ashrrev_i32_e32 v29, 31, v28
	v_add_co_u32 v26, vcc_lo, s0, v47
	s_delay_alu instid0(VALU_DEP_4) | instskip(SKIP_3) | instid1(VALU_DEP_4)
	v_add_nc_u32_e32 v44, s3, v42
	v_ashrrev_i32_e32 v31, 31, v30
	v_add_co_ci_u32_e32 v27, vcc_lo, s1, v48, vcc_lo
	v_lshlrev_b64 v[47:48], 2, v[28:29]
	v_add_nc_u32_e32 v46, s3, v44
	v_add_co_u32 v28, vcc_lo, s0, v1
	v_add_co_ci_u32_e32 v29, vcc_lo, s1, v2, vcc_lo
	s_delay_alu instid0(VALU_DEP_3) | instskip(SKIP_3) | instid1(VALU_DEP_4)
	;; [unrolled: 25-line block ×4, first 2 shown]
	v_add_nc_u32_e32 v76, s3, v74
	v_lshlrev_b64 v[1:2], 2, v[46:47]
	v_ashrrev_i32_e32 v50, 31, v49
	v_add_co_u32 v46, vcc_lo, s0, v60
	v_add_nc_u32_e32 v78, s3, v76
	v_ashrrev_i32_e32 v52, 31, v51
	v_add_co_ci_u32_e32 v47, vcc_lo, s1, v61, vcc_lo
	v_lshlrev_b64 v[60:61], 2, v[49:50]
	s_delay_alu instid0(VALU_DEP_4) | instskip(SKIP_2) | instid1(VALU_DEP_3)
	v_add_nc_u32_e32 v80, s3, v78
	v_add_co_u32 v48, vcc_lo, s0, v1
	v_add_co_ci_u32_e32 v49, vcc_lo, s1, v2, vcc_lo
	v_add_nc_u32_e32 v82, s3, v80
	v_lshlrev_b64 v[1:2], 2, v[51:52]
	v_ashrrev_i32_e32 v54, 31, v53
	v_add_co_u32 v50, vcc_lo, s0, v60
	s_delay_alu instid0(VALU_DEP_4) | instskip(SKIP_3) | instid1(VALU_DEP_4)
	v_add_nc_u32_e32 v84, s3, v82
	v_ashrrev_i32_e32 v56, 31, v55
	v_add_co_ci_u32_e32 v51, vcc_lo, s1, v61, vcc_lo
	v_lshlrev_b64 v[60:61], 2, v[53:54]
	v_add_nc_u32_e32 v86, s3, v84
	v_add_co_u32 v52, vcc_lo, s0, v1
	v_ashrrev_i32_e32 v58, 31, v57
	v_add_co_ci_u32_e32 v53, vcc_lo, s1, v2, vcc_lo
	s_delay_alu instid0(VALU_DEP_4) | instskip(SKIP_3) | instid1(VALU_DEP_4)
	v_add_nc_u32_e32 v88, s3, v86
	v_lshlrev_b64 v[1:2], 2, v[55:56]
	v_add_co_u32 v54, vcc_lo, s0, v60
	v_lshlrev_b64 v[69:70], 2, v[57:58]
	v_add_nc_u32_e32 v90, s3, v88
	v_ashrrev_i32_e32 v60, 31, v59
	v_add_co_ci_u32_e32 v55, vcc_lo, s1, v61, vcc_lo
	v_add_co_u32 v56, vcc_lo, s0, v1
	s_delay_alu instid0(VALU_DEP_4) | instskip(SKIP_3) | instid1(VALU_DEP_4)
	v_add_nc_u32_e32 v92, s3, v90
	v_ashrrev_i32_e32 v63, 31, v62
	v_add_co_ci_u32_e32 v57, vcc_lo, s1, v2, vcc_lo
	v_lshlrev_b64 v[1:2], 2, v[59:60]
	v_add_nc_u32_e32 v94, s3, v92
	v_add_co_u32 v60, vcc_lo, s0, v69
	v_add_co_ci_u32_e32 v61, vcc_lo, s1, v70, vcc_lo
	s_delay_alu instid0(VALU_DEP_3) | instskip(SKIP_3) | instid1(VALU_DEP_4)
	v_add_nc_u32_e32 v96, s3, v94
	v_lshlrev_b64 v[69:70], 2, v[62:63]
	v_ashrrev_i32_e32 v65, 31, v64
	v_add_co_u32 v62, vcc_lo, s0, v1
	v_add_nc_u32_e32 v98, s3, v96
	v_add_co_ci_u32_e32 v63, vcc_lo, s1, v2, vcc_lo
	s_delay_alu instid0(VALU_DEP_4) | instskip(SKIP_1) | instid1(VALU_DEP_4)
	v_lshlrev_b64 v[1:2], 2, v[64:65]
	v_ashrrev_i32_e32 v67, 31, v66
	v_add_nc_u32_e32 v100, s3, v98
	v_add_co_u32 v64, vcc_lo, s0, v69
	v_add_co_ci_u32_e32 v65, vcc_lo, s1, v70, vcc_lo
	s_delay_alu instid0(VALU_DEP_3)
	v_add_nc_u32_e32 v102, s3, v100
	v_ashrrev_i32_e32 v69, 31, v68
	v_lshlrev_b64 v[70:71], 2, v[66:67]
	v_ashrrev_i32_e32 v73, 31, v72
	v_ashrrev_i32_e32 v75, 31, v74
	v_add_nc_u32_e32 v104, s3, v102
	v_ashrrev_i32_e32 v77, 31, v76
	v_ashrrev_i32_e32 v79, 31, v78
	;; [unrolled: 1-line block ×3, first 2 shown]
	v_lshlrev_b64 v[74:75], 2, v[74:75]
	v_add_nc_u32_e32 v106, s3, v104
	v_ashrrev_i32_e32 v83, 31, v82
	v_lshlrev_b64 v[78:79], 2, v[78:79]
	v_ashrrev_i32_e32 v85, 31, v84
	v_ashrrev_i32_e32 v87, 31, v86
	v_add_nc_u32_e32 v58, s3, v106
	v_lshlrev_b64 v[82:83], 2, v[82:83]
	v_ashrrev_i32_e32 v89, 31, v88
	v_ashrrev_i32_e32 v91, 31, v90
	v_lshlrev_b64 v[86:87], 2, v[86:87]
	v_ashrrev_i32_e32 v59, 31, v58
	v_ashrrev_i32_e32 v93, 31, v92
	;; [unrolled: 1-line block ×3, first 2 shown]
	v_lshlrev_b64 v[90:91], 2, v[90:91]
	v_ashrrev_i32_e32 v97, 31, v96
	v_lshlrev_b64 v[58:59], 2, v[58:59]
	v_ashrrev_i32_e32 v99, 31, v98
	;; [unrolled: 2-line block ×3, first 2 shown]
	v_ashrrev_i32_e32 v103, 31, v102
	v_ashrrev_i32_e32 v105, 31, v104
	v_add_co_u32 v58, vcc_lo, s0, v58
	v_add_co_ci_u32_e32 v59, vcc_lo, s1, v59, vcc_lo
	v_add_co_u32 v66, vcc_lo, s0, v1
	v_add_co_ci_u32_e32 v67, vcc_lo, s1, v2, vcc_lo
	v_lshlrev_b64 v[1:2], 2, v[68:69]
	v_add_co_u32 v68, vcc_lo, s0, v70
	v_add_co_ci_u32_e32 v69, vcc_lo, s1, v71, vcc_lo
	v_lshlrev_b64 v[98:99], 2, v[98:99]
	s_delay_alu instid0(VALU_DEP_4)
	v_add_co_u32 v70, vcc_lo, s0, v1
	v_add_co_ci_u32_e32 v71, vcc_lo, s1, v2, vcc_lo
	v_lshlrev_b64 v[1:2], 2, v[72:73]
	v_lshlrev_b64 v[102:103], 2, v[102:103]
	v_ashrrev_i32_e32 v107, 31, v106
	s_clause 0x10
	global_load_b32 v108, v3, s[0:1]
	global_load_b32 v109, v[6:7], off
	global_load_b32 v110, v[8:9], off
	;; [unrolled: 1-line block ×16, first 2 shown]
	v_add_co_u32 v72, vcc_lo, s0, v1
	v_add_co_ci_u32_e32 v73, vcc_lo, s1, v2, vcc_lo
	v_lshlrev_b64 v[1:2], 2, v[76:77]
	v_add_co_u32 v74, vcc_lo, s0, v74
	v_add_co_ci_u32_e32 v75, vcc_lo, s1, v75, vcc_lo
	v_lshlrev_b64 v[106:107], 2, v[106:107]
	s_delay_alu instid0(VALU_DEP_4)
	v_add_co_u32 v76, vcc_lo, s0, v1
	v_add_co_ci_u32_e32 v77, vcc_lo, s1, v2, vcc_lo
	v_lshlrev_b64 v[1:2], 2, v[80:81]
	v_add_co_u32 v78, vcc_lo, s0, v78
	v_add_co_ci_u32_e32 v79, vcc_lo, s1, v79, vcc_lo
	s_clause 0x7
	global_load_b32 v125, v[38:39], off
	global_load_b32 v126, v[40:41], off
	global_load_b32 v127, v[42:43], off
	global_load_b32 v128, v[44:45], off
	global_load_b32 v129, v[46:47], off
	global_load_b32 v130, v[48:49], off
	global_load_b32 v131, v[50:51], off
	global_load_b32 v132, v[52:53], off
	v_add_co_u32 v80, vcc_lo, s0, v1
	v_add_co_ci_u32_e32 v81, vcc_lo, s1, v2, vcc_lo
	v_lshlrev_b64 v[1:2], 2, v[84:85]
	v_add_co_u32 v82, vcc_lo, s0, v82
	v_add_co_ci_u32_e32 v83, vcc_lo, s1, v83, vcc_lo
	s_clause 0x7
	global_load_b32 v133, v[54:55], off
	global_load_b32 v134, v[56:57], off
	global_load_b32 v135, v[60:61], off
	global_load_b32 v136, v[62:63], off
	global_load_b32 v137, v[64:65], off
	global_load_b32 v138, v[66:67], off
	global_load_b32 v139, v[68:69], off
	global_load_b32 v140, v[70:71], off
	;; [unrolled: 14-line block ×3, first 2 shown]
	v_add_co_u32 v88, vcc_lo, s0, v1
	v_add_co_ci_u32_e32 v89, vcc_lo, s1, v2, vcc_lo
	v_lshlrev_b64 v[1:2], 2, v[92:93]
	v_add_co_u32 v90, vcc_lo, s0, v90
	v_add_co_ci_u32_e32 v91, vcc_lo, s1, v91, vcc_lo
	s_bitcmp0_b32 s17, 0
	s_delay_alu instid0(VALU_DEP_3) | instskip(NEXT) | instid1(VALU_DEP_4)
	v_add_co_u32 v92, vcc_lo, s0, v1
	v_add_co_ci_u32_e32 v93, vcc_lo, s1, v2, vcc_lo
	v_lshlrev_b64 v[1:2], 2, v[96:97]
	v_add_co_u32 v94, vcc_lo, s0, v94
	v_add_co_ci_u32_e32 v95, vcc_lo, s1, v95, vcc_lo
	s_delay_alu instid0(VALU_DEP_3) | instskip(NEXT) | instid1(VALU_DEP_4)
	v_add_co_u32 v96, vcc_lo, s0, v1
	v_add_co_ci_u32_e32 v97, vcc_lo, s1, v2, vcc_lo
	v_lshlrev_b64 v[1:2], 2, v[100:101]
	v_add_co_u32 v98, vcc_lo, s0, v98
	v_add_co_ci_u32_e32 v99, vcc_lo, s1, v99, vcc_lo
	;; [unrolled: 6-line block ×3, first 2 shown]
	s_delay_alu instid0(VALU_DEP_3) | instskip(NEXT) | instid1(VALU_DEP_4)
	v_add_co_u32 v104, vcc_lo, s0, v1
	v_add_co_ci_u32_e32 v105, vcc_lo, s1, v2, vcc_lo
	v_add_co_u32 v106, vcc_lo, s0, v106
	v_add_co_ci_u32_e32 v107, vcc_lo, s1, v107, vcc_lo
	s_clause 0xa
	global_load_b32 v149, v[88:89], off
	global_load_b32 v150, v[90:91], off
	;; [unrolled: 1-line block ×11, first 2 shown]
	s_mov_b32 s1, -1
	s_waitcnt vmcnt(48)
	scratch_store_b128 off, v[108:111], off
	s_waitcnt vmcnt(44)
	scratch_store_b128 off, v[112:115], off offset:16
	s_waitcnt vmcnt(40)
	scratch_store_b128 off, v[116:119], off offset:32
	;; [unrolled: 2-line block ×12, first 2 shown]
	s_cbranch_scc1 .LBB51_214
; %bb.4:
	v_cmp_eq_u32_e64 s0, 0, v0
	s_delay_alu instid0(VALU_DEP_1)
	s_and_saveexec_b32 s1, s0
	s_cbranch_execz .LBB51_6
; %bb.5:
	v_mov_b32_e32 v1, 0
	ds_store_b32 v1, v1 offset:416
.LBB51_6:
	s_or_b32 exec_lo, exec_lo, s1
	s_waitcnt lgkmcnt(0)
	s_waitcnt_vscnt null, 0x0
	s_barrier
	buffer_gl0_inv
	scratch_load_b32 v1, v3, off
	s_mov_b32 s2, exec_lo
	s_waitcnt vmcnt(0)
	v_cmpx_eq_f32_e32 0, v1
	s_cbranch_execz .LBB51_10
; %bb.7:
	v_mov_b32_e32 v1, 0
	s_mov_b32 s3, 0
	ds_load_b32 v2, v1 offset:416
	s_waitcnt lgkmcnt(0)
	v_readfirstlane_b32 s1, v2
	v_add_nc_u32_e32 v2, 1, v0
	s_delay_alu instid0(VALU_DEP_2) | instskip(NEXT) | instid1(VALU_DEP_1)
	s_cmp_eq_u32 s1, 0
	v_cmp_gt_i32_e32 vcc_lo, s1, v2
	s_cselect_b32 s4, -1, 0
	s_delay_alu instid0(SALU_CYCLE_1) | instskip(NEXT) | instid1(SALU_CYCLE_1)
	s_or_b32 s4, s4, vcc_lo
	s_and_b32 exec_lo, exec_lo, s4
	s_cbranch_execz .LBB51_10
; %bb.8:
	v_mov_b32_e32 v108, s1
.LBB51_9:                               ; =>This Inner Loop Header: Depth=1
	ds_cmpstore_rtn_b32 v108, v1, v2, v108 offset:416
	s_waitcnt lgkmcnt(0)
	v_cmp_ne_u32_e32 vcc_lo, 0, v108
	v_cmp_le_i32_e64 s1, v108, v2
	s_delay_alu instid0(VALU_DEP_1) | instskip(NEXT) | instid1(SALU_CYCLE_1)
	s_and_b32 s1, vcc_lo, s1
	s_and_b32 s1, exec_lo, s1
	s_delay_alu instid0(SALU_CYCLE_1) | instskip(NEXT) | instid1(SALU_CYCLE_1)
	s_or_b32 s3, s1, s3
	s_and_not1_b32 exec_lo, exec_lo, s3
	s_cbranch_execnz .LBB51_9
.LBB51_10:
	s_or_b32 exec_lo, exec_lo, s2
	v_mov_b32_e32 v1, 0
	s_barrier
	buffer_gl0_inv
	ds_load_b32 v2, v1 offset:416
	s_and_saveexec_b32 s1, s0
	s_cbranch_execz .LBB51_12
; %bb.11:
	s_lshl_b64 s[2:3], s[14:15], 2
	s_delay_alu instid0(SALU_CYCLE_1)
	s_add_u32 s2, s6, s2
	s_addc_u32 s3, s7, s3
	s_waitcnt lgkmcnt(0)
	global_store_b32 v1, v2, s[2:3]
.LBB51_12:
	s_or_b32 exec_lo, exec_lo, s1
	s_waitcnt lgkmcnt(0)
	v_cmp_ne_u32_e32 vcc_lo, 0, v2
	s_mov_b32 s1, 0
	s_cbranch_vccnz .LBB51_214
; %bb.13:
	v_add_nc_u32_e32 v1, 0, v3
	scratch_load_b32 v2, v1, off
	s_waitcnt vmcnt(0)
	v_div_scale_f32 v108, null, v2, v2, 1.0
	v_div_scale_f32 v111, vcc_lo, 1.0, v2, 1.0
	s_delay_alu instid0(VALU_DEP_2) | instskip(SKIP_2) | instid1(VALU_DEP_1)
	v_rcp_f32_e32 v109, v108
	s_waitcnt_depctr 0xfff
	v_fma_f32 v110, -v108, v109, 1.0
	v_fmac_f32_e32 v109, v110, v109
	s_delay_alu instid0(VALU_DEP_1) | instskip(NEXT) | instid1(VALU_DEP_1)
	v_mul_f32_e32 v110, v111, v109
	v_fma_f32 v112, -v108, v110, v111
	s_delay_alu instid0(VALU_DEP_1) | instskip(NEXT) | instid1(VALU_DEP_1)
	v_fmac_f32_e32 v110, v112, v109
	v_fma_f32 v108, -v108, v110, v111
	s_delay_alu instid0(VALU_DEP_1) | instskip(NEXT) | instid1(VALU_DEP_1)
	v_div_fmas_f32 v108, v108, v109, v110
	v_div_fixup_f32 v2, v108, v2, 1.0
	scratch_store_b32 v1, v2, off
	scratch_load_b32 v108, off, off offset:4
	v_xor_b32_e32 v109, 0x80000000, v2
	v_add_nc_u32_e32 v2, 0xd0, v3
	s_waitcnt vmcnt(0)
	ds_store_2addr_b32 v3, v109, v108 offset1:52
	s_waitcnt lgkmcnt(0)
	s_waitcnt_vscnt null, 0x0
	s_barrier
	buffer_gl0_inv
	s_and_saveexec_b32 s1, s0
	s_cbranch_execz .LBB51_15
; %bb.14:
	scratch_load_b32 v108, v1, off
	ds_load_b32 v109, v2
	v_mov_b32_e32 v110, 0
	ds_load_b32 v110, v110 offset:4
	s_waitcnt vmcnt(0) lgkmcnt(1)
	v_fma_f32 v108, v108, v109, 0
	s_waitcnt lgkmcnt(0)
	s_delay_alu instid0(VALU_DEP_1)
	v_mul_f32_e32 v108, v108, v110
	scratch_store_b32 off, v108, off offset:4
.LBB51_15:
	s_or_b32 exec_lo, exec_lo, s1
	s_waitcnt_vscnt null, 0x0
	s_barrier
	buffer_gl0_inv
	scratch_load_b32 v108, off, off offset:8
	s_mov_b32 s1, exec_lo
	s_waitcnt vmcnt(0)
	ds_store_b32 v2, v108
	s_waitcnt lgkmcnt(0)
	s_barrier
	buffer_gl0_inv
	v_cmpx_gt_u32_e32 2, v0
	s_cbranch_execz .LBB51_17
; %bb.16:
	scratch_load_b32 v110, v1, off
	scratch_load_b32 v111, off, off offset:4
	ds_load_b32 v112, v2
	v_mov_b32_e32 v108, 0
	ds_load_2addr_b32 v[108:109], v108 offset0:2 offset1:53
	s_waitcnt vmcnt(1) lgkmcnt(1)
	v_fma_f32 v110, v110, v112, 0
	s_waitcnt vmcnt(0) lgkmcnt(0)
	s_delay_alu instid0(VALU_DEP_1) | instskip(NEXT) | instid1(VALU_DEP_1)
	v_fma_f32 v109, v111, v109, v110
	v_cndmask_b32_e64 v109, v110, v109, s0
	s_delay_alu instid0(VALU_DEP_1)
	v_mul_f32_e32 v108, v109, v108
	scratch_store_b32 off, v108, off offset:8
.LBB51_17:
	s_or_b32 exec_lo, exec_lo, s1
	s_waitcnt_vscnt null, 0x0
	s_barrier
	buffer_gl0_inv
	scratch_load_b32 v109, off, off offset:12
	v_add_nc_u32_e32 v108, -1, v0
	s_mov_b32 s0, exec_lo
	s_waitcnt vmcnt(0)
	ds_store_b32 v2, v109
	s_waitcnt lgkmcnt(0)
	s_barrier
	buffer_gl0_inv
	v_cmpx_gt_u32_e32 3, v0
	s_cbranch_execz .LBB51_21
; %bb.18:
	v_dual_mov_b32 v109, 0 :: v_dual_add_nc_u32 v110, -1, v0
	v_add_nc_u32_e32 v111, 0xd0, v3
	v_add_nc_u32_e32 v112, 0, v3
	s_mov_b32 s1, 0
.LBB51_19:                              ; =>This Inner Loop Header: Depth=1
	scratch_load_b32 v113, v112, off
	ds_load_b32 v114, v111
	v_add_nc_u32_e32 v110, 1, v110
	v_add_nc_u32_e32 v111, 4, v111
	v_add_nc_u32_e32 v112, 4, v112
	s_delay_alu instid0(VALU_DEP_3)
	v_cmp_lt_u32_e32 vcc_lo, 1, v110
	s_or_b32 s1, vcc_lo, s1
	s_waitcnt vmcnt(0) lgkmcnt(0)
	v_fmac_f32_e32 v109, v113, v114
	s_and_not1_b32 exec_lo, exec_lo, s1
	s_cbranch_execnz .LBB51_19
; %bb.20:
	s_or_b32 exec_lo, exec_lo, s1
	v_mov_b32_e32 v110, 0
	ds_load_b32 v110, v110 offset:12
	s_waitcnt lgkmcnt(0)
	v_mul_f32_e32 v109, v109, v110
	scratch_store_b32 off, v109, off offset:12
.LBB51_21:
	s_or_b32 exec_lo, exec_lo, s0
	s_waitcnt_vscnt null, 0x0
	s_barrier
	buffer_gl0_inv
	scratch_load_b32 v109, off, off offset:16
	s_mov_b32 s0, exec_lo
	s_waitcnt vmcnt(0)
	ds_store_b32 v2, v109
	s_waitcnt lgkmcnt(0)
	s_barrier
	buffer_gl0_inv
	v_cmpx_gt_u32_e32 4, v0
	s_cbranch_execz .LBB51_25
; %bb.22:
	v_dual_mov_b32 v109, 0 :: v_dual_add_nc_u32 v110, -1, v0
	v_add_nc_u32_e32 v111, 0xd0, v3
	v_add_nc_u32_e32 v112, 0, v3
	s_mov_b32 s1, 0
.LBB51_23:                              ; =>This Inner Loop Header: Depth=1
	scratch_load_b32 v113, v112, off
	ds_load_b32 v114, v111
	v_add_nc_u32_e32 v110, 1, v110
	v_add_nc_u32_e32 v111, 4, v111
	v_add_nc_u32_e32 v112, 4, v112
	s_delay_alu instid0(VALU_DEP_3)
	v_cmp_lt_u32_e32 vcc_lo, 2, v110
	s_or_b32 s1, vcc_lo, s1
	s_waitcnt vmcnt(0) lgkmcnt(0)
	v_fmac_f32_e32 v109, v113, v114
	s_and_not1_b32 exec_lo, exec_lo, s1
	s_cbranch_execnz .LBB51_23
; %bb.24:
	s_or_b32 exec_lo, exec_lo, s1
	v_mov_b32_e32 v110, 0
	ds_load_b32 v110, v110 offset:16
	s_waitcnt lgkmcnt(0)
	v_mul_f32_e32 v109, v109, v110
	scratch_store_b32 off, v109, off offset:16
.LBB51_25:
	s_or_b32 exec_lo, exec_lo, s0
	s_waitcnt_vscnt null, 0x0
	s_barrier
	buffer_gl0_inv
	scratch_load_b32 v109, off, off offset:20
	;; [unrolled: 39-line block ×21, first 2 shown]
	s_mov_b32 s0, exec_lo
	s_waitcnt vmcnt(0)
	ds_store_b32 v2, v109
	s_waitcnt lgkmcnt(0)
	s_barrier
	buffer_gl0_inv
	v_cmpx_gt_u32_e32 24, v0
	s_cbranch_execz .LBB51_105
; %bb.102:
	v_dual_mov_b32 v109, 0 :: v_dual_add_nc_u32 v110, -1, v0
	v_add_nc_u32_e32 v111, 0xd0, v3
	v_add_nc_u32_e32 v112, 0, v3
	s_mov_b32 s1, 0
.LBB51_103:                             ; =>This Inner Loop Header: Depth=1
	scratch_load_b32 v113, v112, off
	ds_load_b32 v114, v111
	v_add_nc_u32_e32 v110, 1, v110
	v_add_nc_u32_e32 v111, 4, v111
	v_add_nc_u32_e32 v112, 4, v112
	s_delay_alu instid0(VALU_DEP_3)
	v_cmp_lt_u32_e32 vcc_lo, 22, v110
	s_or_b32 s1, vcc_lo, s1
	s_waitcnt vmcnt(0) lgkmcnt(0)
	v_fmac_f32_e32 v109, v113, v114
	s_and_not1_b32 exec_lo, exec_lo, s1
	s_cbranch_execnz .LBB51_103
; %bb.104:
	s_or_b32 exec_lo, exec_lo, s1
	v_mov_b32_e32 v110, 0
	ds_load_b32 v110, v110 offset:96
	s_waitcnt lgkmcnt(0)
	v_mul_f32_e32 v109, v109, v110
	scratch_store_b32 off, v109, off offset:96
.LBB51_105:
	s_or_b32 exec_lo, exec_lo, s0
	s_waitcnt_vscnt null, 0x0
	s_barrier
	buffer_gl0_inv
	scratch_load_b32 v109, off, off offset:100
	s_mov_b32 s0, exec_lo
	s_waitcnt vmcnt(0)
	ds_store_b32 v2, v109
	s_waitcnt lgkmcnt(0)
	s_barrier
	buffer_gl0_inv
	v_cmpx_gt_u32_e32 25, v0
	s_cbranch_execz .LBB51_109
; %bb.106:
	v_dual_mov_b32 v109, 0 :: v_dual_add_nc_u32 v110, -1, v0
	v_add_nc_u32_e32 v111, 0xd0, v3
	v_add_nc_u32_e32 v112, 0, v3
	s_mov_b32 s1, 0
.LBB51_107:                             ; =>This Inner Loop Header: Depth=1
	scratch_load_b32 v113, v112, off
	ds_load_b32 v114, v111
	v_add_nc_u32_e32 v110, 1, v110
	v_add_nc_u32_e32 v111, 4, v111
	v_add_nc_u32_e32 v112, 4, v112
	s_delay_alu instid0(VALU_DEP_3)
	v_cmp_lt_u32_e32 vcc_lo, 23, v110
	s_or_b32 s1, vcc_lo, s1
	s_waitcnt vmcnt(0) lgkmcnt(0)
	v_fmac_f32_e32 v109, v113, v114
	s_and_not1_b32 exec_lo, exec_lo, s1
	s_cbranch_execnz .LBB51_107
; %bb.108:
	s_or_b32 exec_lo, exec_lo, s1
	v_mov_b32_e32 v110, 0
	ds_load_b32 v110, v110 offset:100
	s_waitcnt lgkmcnt(0)
	v_mul_f32_e32 v109, v109, v110
	scratch_store_b32 off, v109, off offset:100
.LBB51_109:
	s_or_b32 exec_lo, exec_lo, s0
	s_waitcnt_vscnt null, 0x0
	s_barrier
	buffer_gl0_inv
	scratch_load_b32 v109, off, off offset:104
	;; [unrolled: 39-line block ×26, first 2 shown]
	s_mov_b32 s0, exec_lo
	s_waitcnt vmcnt(0)
	ds_store_b32 v2, v109
	s_waitcnt lgkmcnt(0)
	s_barrier
	buffer_gl0_inv
	v_cmpx_gt_u32_e32 50, v0
	s_cbranch_execz .LBB51_209
; %bb.206:
	v_add_nc_u32_e32 v109, -1, v0
	v_add_nc_u32_e32 v110, 0xd0, v3
	v_add_nc_u32_e32 v111, 0, v3
	v_mov_b32_e32 v3, 0
	s_mov_b32 s1, 0
.LBB51_207:                             ; =>This Inner Loop Header: Depth=1
	scratch_load_b32 v112, v111, off
	ds_load_b32 v113, v110
	v_add_nc_u32_e32 v109, 1, v109
	v_add_nc_u32_e32 v110, 4, v110
	;; [unrolled: 1-line block ×3, first 2 shown]
	s_delay_alu instid0(VALU_DEP_3)
	v_cmp_lt_u32_e32 vcc_lo, 48, v109
	s_or_b32 s1, vcc_lo, s1
	s_waitcnt vmcnt(0) lgkmcnt(0)
	v_fmac_f32_e32 v3, v112, v113
	s_and_not1_b32 exec_lo, exec_lo, s1
	s_cbranch_execnz .LBB51_207
; %bb.208:
	s_or_b32 exec_lo, exec_lo, s1
	v_mov_b32_e32 v109, 0
	ds_load_b32 v109, v109 offset:200
	s_waitcnt lgkmcnt(0)
	v_mul_f32_e32 v3, v3, v109
	scratch_store_b32 off, v3, off offset:200
.LBB51_209:
	s_or_b32 exec_lo, exec_lo, s0
	s_waitcnt_vscnt null, 0x0
	s_barrier
	buffer_gl0_inv
	scratch_load_b32 v3, off, off offset:204
	s_mov_b32 s0, exec_lo
	s_waitcnt vmcnt(0)
	ds_store_b32 v2, v3
	s_waitcnt lgkmcnt(0)
	s_barrier
	buffer_gl0_inv
	v_cmpx_ne_u32_e32 51, v0
	s_cbranch_execz .LBB51_213
; %bb.210:
	v_mov_b32_e32 v3, 0
	s_mov_b32 s1, 0
.LBB51_211:                             ; =>This Inner Loop Header: Depth=1
	scratch_load_b32 v109, v1, off
	ds_load_b32 v110, v2
	v_add_nc_u32_e32 v108, 1, v108
	v_add_nc_u32_e32 v2, 4, v2
	;; [unrolled: 1-line block ×3, first 2 shown]
	s_waitcnt vmcnt(0) lgkmcnt(0)
	v_fmac_f32_e32 v3, v109, v110
	v_cmp_lt_u32_e32 vcc_lo, 49, v108
	s_or_b32 s1, vcc_lo, s1
	s_delay_alu instid0(SALU_CYCLE_1)
	s_and_not1_b32 exec_lo, exec_lo, s1
	s_cbranch_execnz .LBB51_211
; %bb.212:
	s_or_b32 exec_lo, exec_lo, s1
	v_mov_b32_e32 v1, 0
	ds_load_b32 v1, v1 offset:204
	s_waitcnt lgkmcnt(0)
	v_mul_f32_e32 v1, v3, v1
	scratch_store_b32 off, v1, off offset:204
.LBB51_213:
	s_or_b32 exec_lo, exec_lo, s0
	s_mov_b32 s1, -1
	s_waitcnt_vscnt null, 0x0
	s_barrier
	buffer_gl0_inv
.LBB51_214:
	s_and_b32 vcc_lo, exec_lo, s1
	s_cbranch_vccz .LBB51_216
; %bb.215:
	s_lshl_b64 s[0:1], s[14:15], 2
	v_mov_b32_e32 v1, 0
	s_add_u32 s0, s6, s0
	s_addc_u32 s1, s7, s1
	global_load_b32 v1, v1, s[0:1]
	s_waitcnt vmcnt(0)
	v_cmp_ne_u32_e32 vcc_lo, 0, v1
	s_cbranch_vccz .LBB51_217
.LBB51_216:
	s_endpgm
.LBB51_217:
	v_lshl_add_u32 v1, v0, 2, 0xd0
	s_mov_b32 s0, exec_lo
	v_cmpx_eq_u32_e32 51, v0
	s_cbranch_execz .LBB51_219
; %bb.218:
	scratch_load_b32 v2, off, off offset:200
	v_mov_b32_e32 v3, 0
	scratch_store_b32 off, v3, off offset:200
	s_waitcnt vmcnt(0)
	ds_store_b32 v1, v2
.LBB51_219:
	s_or_b32 exec_lo, exec_lo, s0
	s_waitcnt lgkmcnt(0)
	s_waitcnt_vscnt null, 0x0
	s_barrier
	buffer_gl0_inv
	scratch_load_b64 v[108:109], off, off offset:200
	v_mov_b32_e32 v2, 0
	s_mov_b32 s0, exec_lo
	ds_load_b32 v3, v2 offset:412
	s_waitcnt vmcnt(0) lgkmcnt(0)
	v_fma_f32 v3, v109, v3, 0
	s_delay_alu instid0(VALU_DEP_1)
	v_sub_f32_e32 v3, v108, v3
	scratch_store_b32 off, v3, off offset:200
	v_cmpx_lt_u32_e32 49, v0
	s_cbranch_execz .LBB51_221
; %bb.220:
	scratch_load_b32 v3, off, off offset:196
	scratch_store_b32 off, v2, off offset:196
	s_waitcnt vmcnt(0)
	ds_store_b32 v1, v3
.LBB51_221:
	s_or_b32 exec_lo, exec_lo, s0
	s_waitcnt lgkmcnt(0)
	s_waitcnt_vscnt null, 0x0
	s_barrier
	buffer_gl0_inv
	scratch_load_b96 v[108:110], off, off offset:196
	ds_load_b64 v[2:3], v2 offset:408
	s_mov_b32 s0, exec_lo
	s_waitcnt vmcnt(0) lgkmcnt(0)
	v_fma_f32 v2, v109, v2, 0
	s_delay_alu instid0(VALU_DEP_1) | instskip(NEXT) | instid1(VALU_DEP_1)
	v_fmac_f32_e32 v2, v110, v3
	v_sub_f32_e32 v2, v108, v2
	scratch_store_b32 off, v2, off offset:196
	v_cmpx_lt_u32_e32 48, v0
	s_cbranch_execz .LBB51_223
; %bb.222:
	scratch_load_b32 v2, off, off offset:192
	v_mov_b32_e32 v3, 0
	scratch_store_b32 off, v3, off offset:192
	s_waitcnt vmcnt(0)
	ds_store_b32 v1, v2
.LBB51_223:
	s_or_b32 exec_lo, exec_lo, s0
	s_waitcnt lgkmcnt(0)
	s_waitcnt_vscnt null, 0x0
	s_barrier
	buffer_gl0_inv
	scratch_load_b128 v[108:111], off, off offset:192
	v_mov_b32_e32 v2, 0
	ds_load_2addr_b32 v[112:113], v2 offset0:101 offset1:102
	ds_load_b32 v3, v2 offset:412
	s_mov_b32 s0, exec_lo
	s_waitcnt vmcnt(0) lgkmcnt(1)
	v_fma_f32 v109, v109, v112, 0
	s_delay_alu instid0(VALU_DEP_1) | instskip(SKIP_1) | instid1(VALU_DEP_1)
	v_fmac_f32_e32 v109, v110, v113
	s_waitcnt lgkmcnt(0)
	v_fmac_f32_e32 v109, v111, v3
	s_delay_alu instid0(VALU_DEP_1)
	v_sub_f32_e32 v3, v108, v109
	scratch_store_b32 off, v3, off offset:192
	v_cmpx_lt_u32_e32 47, v0
	s_cbranch_execz .LBB51_225
; %bb.224:
	scratch_load_b32 v3, off, off offset:188
	scratch_store_b32 off, v2, off offset:188
	s_waitcnt vmcnt(0)
	ds_store_b32 v1, v3
.LBB51_225:
	s_or_b32 exec_lo, exec_lo, s0
	s_waitcnt lgkmcnt(0)
	s_waitcnt_vscnt null, 0x0
	s_barrier
	buffer_gl0_inv
	s_clause 0x1
	scratch_load_b128 v[108:111], off, off offset:188
	scratch_load_b32 v3, off, off offset:204
	ds_load_b128 v[112:115], v2 offset:400
	s_mov_b32 s0, exec_lo
	s_waitcnt vmcnt(1) lgkmcnt(0)
	v_fma_f32 v2, v109, v112, 0
	s_delay_alu instid0(VALU_DEP_1) | instskip(NEXT) | instid1(VALU_DEP_1)
	v_fmac_f32_e32 v2, v110, v113
	v_fmac_f32_e32 v2, v111, v114
	s_waitcnt vmcnt(0)
	s_delay_alu instid0(VALU_DEP_1) | instskip(NEXT) | instid1(VALU_DEP_1)
	v_fmac_f32_e32 v2, v3, v115
	v_sub_f32_e32 v2, v108, v2
	scratch_store_b32 off, v2, off offset:188
	v_cmpx_lt_u32_e32 46, v0
	s_cbranch_execz .LBB51_227
; %bb.226:
	scratch_load_b32 v2, off, off offset:184
	v_mov_b32_e32 v3, 0
	scratch_store_b32 off, v3, off offset:184
	s_waitcnt vmcnt(0)
	ds_store_b32 v1, v2
.LBB51_227:
	s_or_b32 exec_lo, exec_lo, s0
	s_waitcnt lgkmcnt(0)
	s_waitcnt_vscnt null, 0x0
	s_barrier
	buffer_gl0_inv
	s_clause 0x1
	scratch_load_b128 v[108:111], off, off offset:184
	scratch_load_b64 v[112:113], off, off offset:200
	v_mov_b32_e32 v2, 0
	ds_load_2addr_b32 v[114:115], v2 offset0:99 offset1:100
	ds_load_2addr_b32 v[116:117], v2 offset0:101 offset1:102
	ds_load_b32 v3, v2 offset:412
	s_mov_b32 s0, exec_lo
	s_waitcnt vmcnt(1) lgkmcnt(2)
	v_fma_f32 v109, v109, v114, 0
	s_delay_alu instid0(VALU_DEP_1) | instskip(SKIP_1) | instid1(VALU_DEP_1)
	v_fmac_f32_e32 v109, v110, v115
	s_waitcnt lgkmcnt(1)
	v_fmac_f32_e32 v109, v111, v116
	s_waitcnt vmcnt(0)
	s_delay_alu instid0(VALU_DEP_1) | instskip(SKIP_1) | instid1(VALU_DEP_1)
	v_fmac_f32_e32 v109, v112, v117
	s_waitcnt lgkmcnt(0)
	v_fmac_f32_e32 v109, v113, v3
	s_delay_alu instid0(VALU_DEP_1)
	v_sub_f32_e32 v3, v108, v109
	scratch_store_b32 off, v3, off offset:184
	v_cmpx_lt_u32_e32 45, v0
	s_cbranch_execz .LBB51_229
; %bb.228:
	scratch_load_b32 v3, off, off offset:180
	scratch_store_b32 off, v2, off offset:180
	s_waitcnt vmcnt(0)
	ds_store_b32 v1, v3
.LBB51_229:
	s_or_b32 exec_lo, exec_lo, s0
	s_waitcnt lgkmcnt(0)
	s_waitcnt_vscnt null, 0x0
	s_barrier
	buffer_gl0_inv
	s_clause 0x1
	scratch_load_b128 v[108:111], off, off offset:180
	scratch_load_b96 v[116:118], off, off offset:196
	ds_load_2addr_b64 v[112:115], v2 offset0:49 offset1:50
	ds_load_b64 v[2:3], v2 offset:408
	s_mov_b32 s0, exec_lo
	s_waitcnt vmcnt(1) lgkmcnt(1)
	v_fma_f32 v109, v109, v112, 0
	s_delay_alu instid0(VALU_DEP_1) | instskip(NEXT) | instid1(VALU_DEP_1)
	v_fmac_f32_e32 v109, v110, v113
	v_fmac_f32_e32 v109, v111, v114
	s_waitcnt vmcnt(0)
	s_delay_alu instid0(VALU_DEP_1) | instskip(SKIP_1) | instid1(VALU_DEP_1)
	v_fmac_f32_e32 v109, v116, v115
	s_waitcnt lgkmcnt(0)
	v_fmac_f32_e32 v109, v117, v2
	s_delay_alu instid0(VALU_DEP_1) | instskip(NEXT) | instid1(VALU_DEP_1)
	v_fmac_f32_e32 v109, v118, v3
	v_sub_f32_e32 v2, v108, v109
	scratch_store_b32 off, v2, off offset:180
	v_cmpx_lt_u32_e32 44, v0
	s_cbranch_execz .LBB51_231
; %bb.230:
	scratch_load_b32 v2, off, off offset:176
	v_mov_b32_e32 v3, 0
	scratch_store_b32 off, v3, off offset:176
	s_waitcnt vmcnt(0)
	ds_store_b32 v1, v2
.LBB51_231:
	s_or_b32 exec_lo, exec_lo, s0
	s_waitcnt lgkmcnt(0)
	s_waitcnt_vscnt null, 0x0
	s_barrier
	buffer_gl0_inv
	s_clause 0x1
	scratch_load_b128 v[108:111], off, off offset:176
	scratch_load_b128 v[112:115], off, off offset:192
	v_mov_b32_e32 v2, 0
	ds_load_2addr_b32 v[116:117], v2 offset0:97 offset1:98
	ds_load_2addr_b32 v[118:119], v2 offset0:99 offset1:100
	;; [unrolled: 1-line block ×3, first 2 shown]
	ds_load_b32 v3, v2 offset:412
	s_mov_b32 s0, exec_lo
	s_waitcnt vmcnt(1) lgkmcnt(3)
	v_fma_f32 v109, v109, v116, 0
	s_delay_alu instid0(VALU_DEP_1) | instskip(SKIP_1) | instid1(VALU_DEP_1)
	v_fmac_f32_e32 v109, v110, v117
	s_waitcnt lgkmcnt(2)
	v_fmac_f32_e32 v109, v111, v118
	s_waitcnt vmcnt(0)
	s_delay_alu instid0(VALU_DEP_1) | instskip(SKIP_1) | instid1(VALU_DEP_1)
	v_fmac_f32_e32 v109, v112, v119
	s_waitcnt lgkmcnt(1)
	v_fmac_f32_e32 v109, v113, v120
	s_delay_alu instid0(VALU_DEP_1) | instskip(SKIP_1) | instid1(VALU_DEP_1)
	v_fmac_f32_e32 v109, v114, v121
	s_waitcnt lgkmcnt(0)
	v_fmac_f32_e32 v109, v115, v3
	s_delay_alu instid0(VALU_DEP_1)
	v_sub_f32_e32 v3, v108, v109
	scratch_store_b32 off, v3, off offset:176
	v_cmpx_lt_u32_e32 43, v0
	s_cbranch_execz .LBB51_233
; %bb.232:
	scratch_load_b32 v3, off, off offset:172
	scratch_store_b32 off, v2, off offset:172
	s_waitcnt vmcnt(0)
	ds_store_b32 v1, v3
.LBB51_233:
	s_or_b32 exec_lo, exec_lo, s0
	s_waitcnt lgkmcnt(0)
	s_waitcnt_vscnt null, 0x0
	s_barrier
	buffer_gl0_inv
	s_clause 0x2
	scratch_load_b128 v[108:111], off, off offset:172
	scratch_load_b128 v[112:115], off, off offset:188
	scratch_load_b32 v3, off, off offset:204
	ds_load_b128 v[116:119], v2 offset:384
	ds_load_b128 v[120:123], v2 offset:400
	s_mov_b32 s0, exec_lo
	s_waitcnt vmcnt(2) lgkmcnt(1)
	v_fma_f32 v2, v109, v116, 0
	s_delay_alu instid0(VALU_DEP_1) | instskip(NEXT) | instid1(VALU_DEP_1)
	v_fmac_f32_e32 v2, v110, v117
	v_fmac_f32_e32 v2, v111, v118
	s_waitcnt vmcnt(1)
	s_delay_alu instid0(VALU_DEP_1) | instskip(SKIP_1) | instid1(VALU_DEP_1)
	v_fmac_f32_e32 v2, v112, v119
	s_waitcnt lgkmcnt(0)
	v_fmac_f32_e32 v2, v113, v120
	s_delay_alu instid0(VALU_DEP_1) | instskip(NEXT) | instid1(VALU_DEP_1)
	v_fmac_f32_e32 v2, v114, v121
	v_fmac_f32_e32 v2, v115, v122
	s_waitcnt vmcnt(0)
	s_delay_alu instid0(VALU_DEP_1) | instskip(NEXT) | instid1(VALU_DEP_1)
	v_fmac_f32_e32 v2, v3, v123
	v_sub_f32_e32 v2, v108, v2
	scratch_store_b32 off, v2, off offset:172
	v_cmpx_lt_u32_e32 42, v0
	s_cbranch_execz .LBB51_235
; %bb.234:
	scratch_load_b32 v2, off, off offset:168
	v_mov_b32_e32 v3, 0
	scratch_store_b32 off, v3, off offset:168
	s_waitcnt vmcnt(0)
	ds_store_b32 v1, v2
.LBB51_235:
	s_or_b32 exec_lo, exec_lo, s0
	s_waitcnt lgkmcnt(0)
	s_waitcnt_vscnt null, 0x0
	s_barrier
	buffer_gl0_inv
	s_clause 0x2
	scratch_load_b128 v[108:111], off, off offset:168
	scratch_load_b128 v[112:115], off, off offset:184
	scratch_load_b64 v[116:117], off, off offset:200
	v_mov_b32_e32 v2, 0
	ds_load_2addr_b32 v[118:119], v2 offset0:95 offset1:96
	ds_load_2addr_b32 v[120:121], v2 offset0:97 offset1:98
	;; [unrolled: 1-line block ×4, first 2 shown]
	s_mov_b32 s0, exec_lo
	s_waitcnt vmcnt(2) lgkmcnt(3)
	v_fma_f32 v3, v109, v118, 0
	s_delay_alu instid0(VALU_DEP_1) | instskip(SKIP_4) | instid1(VALU_DEP_1)
	v_fmac_f32_e32 v3, v110, v119
	ds_load_b32 v109, v2 offset:412
	s_waitcnt lgkmcnt(3)
	v_fmac_f32_e32 v3, v111, v120
	s_waitcnt vmcnt(1)
	v_fmac_f32_e32 v3, v112, v121
	s_waitcnt lgkmcnt(2)
	s_delay_alu instid0(VALU_DEP_1) | instskip(NEXT) | instid1(VALU_DEP_1)
	v_fmac_f32_e32 v3, v113, v122
	v_fmac_f32_e32 v3, v114, v123
	s_waitcnt lgkmcnt(1)
	s_delay_alu instid0(VALU_DEP_1) | instskip(SKIP_1) | instid1(VALU_DEP_1)
	v_fmac_f32_e32 v3, v115, v124
	s_waitcnt vmcnt(0)
	v_fmac_f32_e32 v3, v116, v125
	s_waitcnt lgkmcnt(0)
	s_delay_alu instid0(VALU_DEP_1) | instskip(NEXT) | instid1(VALU_DEP_1)
	v_fmac_f32_e32 v3, v117, v109
	v_sub_f32_e32 v3, v108, v3
	scratch_store_b32 off, v3, off offset:168
	v_cmpx_lt_u32_e32 41, v0
	s_cbranch_execz .LBB51_237
; %bb.236:
	scratch_load_b32 v3, off, off offset:164
	scratch_store_b32 off, v2, off offset:164
	s_waitcnt vmcnt(0)
	ds_store_b32 v1, v3
.LBB51_237:
	s_or_b32 exec_lo, exec_lo, s0
	s_waitcnt lgkmcnt(0)
	s_waitcnt_vscnt null, 0x0
	s_barrier
	buffer_gl0_inv
	s_clause 0x2
	scratch_load_b128 v[108:111], off, off offset:164
	scratch_load_b128 v[112:115], off, off offset:180
	scratch_load_b96 v[124:126], off, off offset:196
	ds_load_2addr_b64 v[116:119], v2 offset0:47 offset1:48
	ds_load_2addr_b64 v[120:123], v2 offset0:49 offset1:50
	ds_load_b64 v[2:3], v2 offset:408
	s_mov_b32 s0, exec_lo
	s_waitcnt vmcnt(2) lgkmcnt(2)
	v_fma_f32 v109, v109, v116, 0
	s_delay_alu instid0(VALU_DEP_1) | instskip(NEXT) | instid1(VALU_DEP_1)
	v_fmac_f32_e32 v109, v110, v117
	v_fmac_f32_e32 v109, v111, v118
	s_waitcnt vmcnt(1)
	s_delay_alu instid0(VALU_DEP_1) | instskip(SKIP_1) | instid1(VALU_DEP_1)
	v_fmac_f32_e32 v109, v112, v119
	s_waitcnt lgkmcnt(1)
	v_fmac_f32_e32 v109, v113, v120
	s_delay_alu instid0(VALU_DEP_1) | instskip(NEXT) | instid1(VALU_DEP_1)
	v_fmac_f32_e32 v109, v114, v121
	v_fmac_f32_e32 v109, v115, v122
	s_waitcnt vmcnt(0)
	s_delay_alu instid0(VALU_DEP_1) | instskip(SKIP_1) | instid1(VALU_DEP_1)
	v_fmac_f32_e32 v109, v124, v123
	s_waitcnt lgkmcnt(0)
	v_fmac_f32_e32 v109, v125, v2
	s_delay_alu instid0(VALU_DEP_1) | instskip(NEXT) | instid1(VALU_DEP_1)
	v_fmac_f32_e32 v109, v126, v3
	v_sub_f32_e32 v2, v108, v109
	scratch_store_b32 off, v2, off offset:164
	v_cmpx_lt_u32_e32 40, v0
	s_cbranch_execz .LBB51_239
; %bb.238:
	scratch_load_b32 v2, off, off offset:160
	v_mov_b32_e32 v3, 0
	scratch_store_b32 off, v3, off offset:160
	s_waitcnt vmcnt(0)
	ds_store_b32 v1, v2
.LBB51_239:
	s_or_b32 exec_lo, exec_lo, s0
	s_waitcnt lgkmcnt(0)
	s_waitcnt_vscnt null, 0x0
	s_barrier
	buffer_gl0_inv
	s_clause 0x2
	scratch_load_b128 v[108:111], off, off offset:160
	scratch_load_b128 v[112:115], off, off offset:176
	;; [unrolled: 1-line block ×3, first 2 shown]
	v_mov_b32_e32 v2, 0
	ds_load_2addr_b32 v[120:121], v2 offset0:93 offset1:94
	ds_load_2addr_b32 v[122:123], v2 offset0:95 offset1:96
	;; [unrolled: 1-line block ×4, first 2 shown]
	s_mov_b32 s0, exec_lo
	s_waitcnt vmcnt(2) lgkmcnt(3)
	v_fma_f32 v3, v109, v120, 0
	s_delay_alu instid0(VALU_DEP_1)
	v_fmac_f32_e32 v3, v110, v121
	ds_load_2addr_b32 v[109:110], v2 offset0:101 offset1:102
	s_waitcnt lgkmcnt(3)
	v_fmac_f32_e32 v3, v111, v122
	ds_load_b32 v111, v2 offset:412
	s_waitcnt vmcnt(1)
	v_fmac_f32_e32 v3, v112, v123
	s_waitcnt lgkmcnt(3)
	s_delay_alu instid0(VALU_DEP_1) | instskip(NEXT) | instid1(VALU_DEP_1)
	v_fmac_f32_e32 v3, v113, v124
	v_fmac_f32_e32 v3, v114, v125
	s_waitcnt lgkmcnt(2)
	s_delay_alu instid0(VALU_DEP_1) | instskip(SKIP_1) | instid1(VALU_DEP_1)
	v_fmac_f32_e32 v3, v115, v126
	s_waitcnt vmcnt(0)
	v_fmac_f32_e32 v3, v116, v127
	s_waitcnt lgkmcnt(1)
	s_delay_alu instid0(VALU_DEP_1) | instskip(NEXT) | instid1(VALU_DEP_1)
	v_fmac_f32_e32 v3, v117, v109
	v_fmac_f32_e32 v3, v118, v110
	s_waitcnt lgkmcnt(0)
	s_delay_alu instid0(VALU_DEP_1) | instskip(NEXT) | instid1(VALU_DEP_1)
	v_fmac_f32_e32 v3, v119, v111
	v_sub_f32_e32 v3, v108, v3
	scratch_store_b32 off, v3, off offset:160
	v_cmpx_lt_u32_e32 39, v0
	s_cbranch_execz .LBB51_241
; %bb.240:
	scratch_load_b32 v3, off, off offset:156
	scratch_store_b32 off, v2, off offset:156
	s_waitcnt vmcnt(0)
	ds_store_b32 v1, v3
.LBB51_241:
	s_or_b32 exec_lo, exec_lo, s0
	s_waitcnt lgkmcnt(0)
	s_waitcnt_vscnt null, 0x0
	s_barrier
	buffer_gl0_inv
	s_clause 0x3
	scratch_load_b128 v[108:111], off, off offset:156
	scratch_load_b128 v[112:115], off, off offset:172
	;; [unrolled: 1-line block ×3, first 2 shown]
	scratch_load_b32 v3, off, off offset:204
	ds_load_b128 v[120:123], v2 offset:368
	ds_load_b128 v[124:127], v2 offset:384
	s_mov_b32 s0, exec_lo
	s_waitcnt vmcnt(3) lgkmcnt(1)
	v_fma_f32 v120, v109, v120, 0
	s_delay_alu instid0(VALU_DEP_1) | instskip(NEXT) | instid1(VALU_DEP_1)
	v_fmac_f32_e32 v120, v110, v121
	v_fmac_f32_e32 v120, v111, v122
	s_waitcnt vmcnt(2)
	s_delay_alu instid0(VALU_DEP_1) | instskip(SKIP_3) | instid1(VALU_DEP_1)
	v_fmac_f32_e32 v120, v112, v123
	ds_load_b128 v[109:112], v2 offset:400
	s_waitcnt lgkmcnt(1)
	v_fmac_f32_e32 v120, v113, v124
	v_fmac_f32_e32 v120, v114, v125
	s_delay_alu instid0(VALU_DEP_1) | instskip(SKIP_1) | instid1(VALU_DEP_1)
	v_fmac_f32_e32 v120, v115, v126
	s_waitcnt vmcnt(1)
	v_fmac_f32_e32 v120, v116, v127
	s_waitcnt lgkmcnt(0)
	s_delay_alu instid0(VALU_DEP_1) | instskip(NEXT) | instid1(VALU_DEP_1)
	v_fmac_f32_e32 v120, v117, v109
	v_fmac_f32_e32 v120, v118, v110
	s_delay_alu instid0(VALU_DEP_1) | instskip(SKIP_1) | instid1(VALU_DEP_1)
	v_fmac_f32_e32 v120, v119, v111
	s_waitcnt vmcnt(0)
	v_fmac_f32_e32 v120, v3, v112
	s_delay_alu instid0(VALU_DEP_1)
	v_sub_f32_e32 v2, v108, v120
	scratch_store_b32 off, v2, off offset:156
	v_cmpx_lt_u32_e32 38, v0
	s_cbranch_execz .LBB51_243
; %bb.242:
	scratch_load_b32 v2, off, off offset:152
	v_mov_b32_e32 v3, 0
	scratch_store_b32 off, v3, off offset:152
	s_waitcnt vmcnt(0)
	ds_store_b32 v1, v2
.LBB51_243:
	s_or_b32 exec_lo, exec_lo, s0
	s_waitcnt lgkmcnt(0)
	s_waitcnt_vscnt null, 0x0
	s_barrier
	buffer_gl0_inv
	s_clause 0x3
	scratch_load_b128 v[108:111], off, off offset:152
	scratch_load_b128 v[112:115], off, off offset:168
	;; [unrolled: 1-line block ×3, first 2 shown]
	scratch_load_b64 v[120:121], off, off offset:200
	v_mov_b32_e32 v2, 0
	ds_load_2addr_b32 v[122:123], v2 offset0:91 offset1:92
	ds_load_2addr_b32 v[124:125], v2 offset0:93 offset1:94
	;; [unrolled: 1-line block ×4, first 2 shown]
	s_mov_b32 s0, exec_lo
	s_waitcnt vmcnt(3) lgkmcnt(3)
	v_fma_f32 v3, v109, v122, 0
	s_delay_alu instid0(VALU_DEP_1) | instskip(SKIP_4) | instid1(VALU_DEP_1)
	v_fmac_f32_e32 v3, v110, v123
	ds_load_2addr_b32 v[109:110], v2 offset0:99 offset1:100
	s_waitcnt lgkmcnt(3)
	v_fmac_f32_e32 v3, v111, v124
	s_waitcnt vmcnt(2)
	v_fmac_f32_e32 v3, v112, v125
	ds_load_2addr_b32 v[111:112], v2 offset0:101 offset1:102
	s_waitcnt lgkmcnt(3)
	v_fmac_f32_e32 v3, v113, v126
	ds_load_b32 v113, v2 offset:412
	v_fmac_f32_e32 v3, v114, v127
	s_waitcnt lgkmcnt(3)
	s_delay_alu instid0(VALU_DEP_1) | instskip(SKIP_1) | instid1(VALU_DEP_1)
	v_fmac_f32_e32 v3, v115, v128
	s_waitcnt vmcnt(1)
	v_fmac_f32_e32 v3, v116, v129
	s_waitcnt lgkmcnt(2)
	s_delay_alu instid0(VALU_DEP_1) | instskip(NEXT) | instid1(VALU_DEP_1)
	v_fmac_f32_e32 v3, v117, v109
	v_fmac_f32_e32 v3, v118, v110
	s_waitcnt lgkmcnt(1)
	s_delay_alu instid0(VALU_DEP_1) | instskip(SKIP_1) | instid1(VALU_DEP_1)
	v_fmac_f32_e32 v3, v119, v111
	s_waitcnt vmcnt(0)
	v_fmac_f32_e32 v3, v120, v112
	s_waitcnt lgkmcnt(0)
	s_delay_alu instid0(VALU_DEP_1) | instskip(NEXT) | instid1(VALU_DEP_1)
	v_fmac_f32_e32 v3, v121, v113
	v_sub_f32_e32 v3, v108, v3
	scratch_store_b32 off, v3, off offset:152
	v_cmpx_lt_u32_e32 37, v0
	s_cbranch_execz .LBB51_245
; %bb.244:
	scratch_load_b32 v3, off, off offset:148
	scratch_store_b32 off, v2, off offset:148
	s_waitcnt vmcnt(0)
	ds_store_b32 v1, v3
.LBB51_245:
	s_or_b32 exec_lo, exec_lo, s0
	s_waitcnt lgkmcnt(0)
	s_waitcnt_vscnt null, 0x0
	s_barrier
	buffer_gl0_inv
	s_clause 0x3
	scratch_load_b128 v[108:111], off, off offset:148
	scratch_load_b128 v[112:115], off, off offset:164
	;; [unrolled: 1-line block ×3, first 2 shown]
	scratch_load_b96 v[128:130], off, off offset:196
	ds_load_2addr_b64 v[120:123], v2 offset0:45 offset1:46
	ds_load_2addr_b64 v[124:127], v2 offset0:47 offset1:48
	s_mov_b32 s0, exec_lo
	s_waitcnt vmcnt(3) lgkmcnt(1)
	v_fma_f32 v120, v109, v120, 0
	s_delay_alu instid0(VALU_DEP_1) | instskip(NEXT) | instid1(VALU_DEP_1)
	v_fmac_f32_e32 v120, v110, v121
	v_fmac_f32_e32 v120, v111, v122
	s_waitcnt vmcnt(2)
	s_delay_alu instid0(VALU_DEP_1) | instskip(SKIP_4) | instid1(VALU_DEP_1)
	v_fmac_f32_e32 v120, v112, v123
	ds_load_2addr_b64 v[109:112], v2 offset0:49 offset1:50
	ds_load_b64 v[2:3], v2 offset:408
	s_waitcnt lgkmcnt(2)
	v_fmac_f32_e32 v120, v113, v124
	v_fmac_f32_e32 v120, v114, v125
	s_delay_alu instid0(VALU_DEP_1) | instskip(SKIP_1) | instid1(VALU_DEP_1)
	v_fmac_f32_e32 v120, v115, v126
	s_waitcnt vmcnt(1)
	v_fmac_f32_e32 v120, v116, v127
	s_waitcnt lgkmcnt(1)
	s_delay_alu instid0(VALU_DEP_1) | instskip(NEXT) | instid1(VALU_DEP_1)
	v_fmac_f32_e32 v120, v117, v109
	v_fmac_f32_e32 v120, v118, v110
	s_delay_alu instid0(VALU_DEP_1) | instskip(SKIP_1) | instid1(VALU_DEP_1)
	v_fmac_f32_e32 v120, v119, v111
	s_waitcnt vmcnt(0)
	v_fmac_f32_e32 v120, v128, v112
	s_waitcnt lgkmcnt(0)
	s_delay_alu instid0(VALU_DEP_1) | instskip(NEXT) | instid1(VALU_DEP_1)
	v_fmac_f32_e32 v120, v129, v2
	v_fmac_f32_e32 v120, v130, v3
	s_delay_alu instid0(VALU_DEP_1)
	v_sub_f32_e32 v2, v108, v120
	scratch_store_b32 off, v2, off offset:148
	v_cmpx_lt_u32_e32 36, v0
	s_cbranch_execz .LBB51_247
; %bb.246:
	scratch_load_b32 v2, off, off offset:144
	v_mov_b32_e32 v3, 0
	scratch_store_b32 off, v3, off offset:144
	s_waitcnt vmcnt(0)
	ds_store_b32 v1, v2
.LBB51_247:
	s_or_b32 exec_lo, exec_lo, s0
	s_waitcnt lgkmcnt(0)
	s_waitcnt_vscnt null, 0x0
	s_barrier
	buffer_gl0_inv
	s_clause 0x3
	scratch_load_b128 v[108:111], off, off offset:144
	scratch_load_b128 v[112:115], off, off offset:160
	;; [unrolled: 1-line block ×4, first 2 shown]
	v_mov_b32_e32 v2, 0
	ds_load_2addr_b32 v[124:125], v2 offset0:89 offset1:90
	ds_load_2addr_b32 v[126:127], v2 offset0:91 offset1:92
	;; [unrolled: 1-line block ×4, first 2 shown]
	s_mov_b32 s0, exec_lo
	s_waitcnt vmcnt(3) lgkmcnt(3)
	v_fma_f32 v3, v109, v124, 0
	s_delay_alu instid0(VALU_DEP_1) | instskip(SKIP_4) | instid1(VALU_DEP_1)
	v_fmac_f32_e32 v3, v110, v125
	ds_load_2addr_b32 v[109:110], v2 offset0:97 offset1:98
	s_waitcnt lgkmcnt(3)
	v_fmac_f32_e32 v3, v111, v126
	s_waitcnt vmcnt(2)
	v_fmac_f32_e32 v3, v112, v127
	ds_load_2addr_b32 v[111:112], v2 offset0:99 offset1:100
	s_waitcnt lgkmcnt(3)
	v_fmac_f32_e32 v3, v113, v128
	s_delay_alu instid0(VALU_DEP_1) | instskip(SKIP_1) | instid1(VALU_DEP_1)
	v_fmac_f32_e32 v3, v114, v129
	s_waitcnt lgkmcnt(2)
	v_fmac_f32_e32 v3, v115, v130
	ds_load_2addr_b32 v[113:114], v2 offset0:101 offset1:102
	ds_load_b32 v115, v2 offset:412
	s_waitcnt vmcnt(1)
	v_fmac_f32_e32 v3, v116, v131
	s_waitcnt lgkmcnt(3)
	s_delay_alu instid0(VALU_DEP_1) | instskip(NEXT) | instid1(VALU_DEP_1)
	v_fmac_f32_e32 v3, v117, v109
	v_fmac_f32_e32 v3, v118, v110
	s_waitcnt lgkmcnt(2)
	s_delay_alu instid0(VALU_DEP_1) | instskip(SKIP_1) | instid1(VALU_DEP_1)
	v_fmac_f32_e32 v3, v119, v111
	s_waitcnt vmcnt(0)
	v_fmac_f32_e32 v3, v120, v112
	s_waitcnt lgkmcnt(1)
	s_delay_alu instid0(VALU_DEP_1) | instskip(NEXT) | instid1(VALU_DEP_1)
	v_fmac_f32_e32 v3, v121, v113
	v_fmac_f32_e32 v3, v122, v114
	s_waitcnt lgkmcnt(0)
	s_delay_alu instid0(VALU_DEP_1) | instskip(NEXT) | instid1(VALU_DEP_1)
	v_fmac_f32_e32 v3, v123, v115
	v_sub_f32_e32 v3, v108, v3
	scratch_store_b32 off, v3, off offset:144
	v_cmpx_lt_u32_e32 35, v0
	s_cbranch_execz .LBB51_249
; %bb.248:
	scratch_load_b32 v3, off, off offset:140
	scratch_store_b32 off, v2, off offset:140
	s_waitcnt vmcnt(0)
	ds_store_b32 v1, v3
.LBB51_249:
	s_or_b32 exec_lo, exec_lo, s0
	s_waitcnt lgkmcnt(0)
	s_waitcnt_vscnt null, 0x0
	s_barrier
	buffer_gl0_inv
	s_clause 0x4
	scratch_load_b128 v[108:111], off, off offset:140
	scratch_load_b128 v[112:115], off, off offset:156
	;; [unrolled: 1-line block ×4, first 2 shown]
	scratch_load_b32 v3, off, off offset:204
	ds_load_b128 v[124:127], v2 offset:352
	ds_load_b128 v[128:131], v2 offset:368
	s_mov_b32 s0, exec_lo
	s_waitcnt vmcnt(4) lgkmcnt(1)
	v_fma_f32 v124, v109, v124, 0
	s_delay_alu instid0(VALU_DEP_1) | instskip(NEXT) | instid1(VALU_DEP_1)
	v_fmac_f32_e32 v124, v110, v125
	v_fmac_f32_e32 v124, v111, v126
	s_waitcnt vmcnt(3)
	s_delay_alu instid0(VALU_DEP_1) | instskip(SKIP_3) | instid1(VALU_DEP_1)
	v_fmac_f32_e32 v124, v112, v127
	ds_load_b128 v[109:112], v2 offset:384
	s_waitcnt lgkmcnt(1)
	v_fmac_f32_e32 v124, v113, v128
	v_fmac_f32_e32 v124, v114, v129
	s_delay_alu instid0(VALU_DEP_1) | instskip(SKIP_1) | instid1(VALU_DEP_1)
	v_fmac_f32_e32 v124, v115, v130
	s_waitcnt vmcnt(2)
	v_fmac_f32_e32 v124, v116, v131
	ds_load_b128 v[113:116], v2 offset:400
	s_waitcnt lgkmcnt(1)
	v_fmac_f32_e32 v124, v117, v109
	s_delay_alu instid0(VALU_DEP_1) | instskip(NEXT) | instid1(VALU_DEP_1)
	v_fmac_f32_e32 v124, v118, v110
	v_fmac_f32_e32 v124, v119, v111
	s_waitcnt vmcnt(1)
	s_delay_alu instid0(VALU_DEP_1) | instskip(SKIP_1) | instid1(VALU_DEP_1)
	v_fmac_f32_e32 v124, v120, v112
	s_waitcnt lgkmcnt(0)
	v_fmac_f32_e32 v124, v121, v113
	s_delay_alu instid0(VALU_DEP_1) | instskip(NEXT) | instid1(VALU_DEP_1)
	v_fmac_f32_e32 v124, v122, v114
	v_fmac_f32_e32 v124, v123, v115
	s_waitcnt vmcnt(0)
	s_delay_alu instid0(VALU_DEP_1) | instskip(NEXT) | instid1(VALU_DEP_1)
	v_fmac_f32_e32 v124, v3, v116
	v_sub_f32_e32 v2, v108, v124
	scratch_store_b32 off, v2, off offset:140
	v_cmpx_lt_u32_e32 34, v0
	s_cbranch_execz .LBB51_251
; %bb.250:
	scratch_load_b32 v2, off, off offset:136
	v_mov_b32_e32 v3, 0
	scratch_store_b32 off, v3, off offset:136
	s_waitcnt vmcnt(0)
	ds_store_b32 v1, v2
.LBB51_251:
	s_or_b32 exec_lo, exec_lo, s0
	s_waitcnt lgkmcnt(0)
	s_waitcnt_vscnt null, 0x0
	s_barrier
	buffer_gl0_inv
	s_clause 0x4
	scratch_load_b128 v[108:111], off, off offset:136
	scratch_load_b128 v[112:115], off, off offset:152
	scratch_load_b128 v[116:119], off, off offset:168
	scratch_load_b128 v[120:123], off, off offset:184
	scratch_load_b64 v[124:125], off, off offset:200
	v_mov_b32_e32 v2, 0
	ds_load_2addr_b32 v[126:127], v2 offset0:87 offset1:88
	ds_load_2addr_b32 v[128:129], v2 offset0:89 offset1:90
	;; [unrolled: 1-line block ×4, first 2 shown]
	s_mov_b32 s0, exec_lo
	s_waitcnt vmcnt(4) lgkmcnt(3)
	v_fma_f32 v3, v109, v126, 0
	s_delay_alu instid0(VALU_DEP_1) | instskip(SKIP_4) | instid1(VALU_DEP_1)
	v_fmac_f32_e32 v3, v110, v127
	ds_load_2addr_b32 v[109:110], v2 offset0:95 offset1:96
	s_waitcnt lgkmcnt(3)
	v_fmac_f32_e32 v3, v111, v128
	s_waitcnt vmcnt(3)
	v_fmac_f32_e32 v3, v112, v129
	ds_load_2addr_b32 v[111:112], v2 offset0:97 offset1:98
	s_waitcnt lgkmcnt(3)
	v_fmac_f32_e32 v3, v113, v130
	s_delay_alu instid0(VALU_DEP_1) | instskip(SKIP_1) | instid1(VALU_DEP_1)
	v_fmac_f32_e32 v3, v114, v131
	s_waitcnt lgkmcnt(2)
	v_fmac_f32_e32 v3, v115, v132
	s_waitcnt vmcnt(2)
	s_delay_alu instid0(VALU_DEP_1)
	v_fmac_f32_e32 v3, v116, v133
	ds_load_2addr_b32 v[113:114], v2 offset0:99 offset1:100
	ds_load_2addr_b32 v[115:116], v2 offset0:101 offset1:102
	s_waitcnt lgkmcnt(3)
	v_fmac_f32_e32 v3, v117, v109
	ds_load_b32 v109, v2 offset:412
	v_fmac_f32_e32 v3, v118, v110
	s_waitcnt lgkmcnt(3)
	s_delay_alu instid0(VALU_DEP_1) | instskip(SKIP_1) | instid1(VALU_DEP_1)
	v_fmac_f32_e32 v3, v119, v111
	s_waitcnt vmcnt(1)
	v_fmac_f32_e32 v3, v120, v112
	s_waitcnt lgkmcnt(2)
	s_delay_alu instid0(VALU_DEP_1) | instskip(NEXT) | instid1(VALU_DEP_1)
	v_fmac_f32_e32 v3, v121, v113
	v_fmac_f32_e32 v3, v122, v114
	s_waitcnt lgkmcnt(1)
	s_delay_alu instid0(VALU_DEP_1) | instskip(SKIP_1) | instid1(VALU_DEP_1)
	v_fmac_f32_e32 v3, v123, v115
	s_waitcnt vmcnt(0)
	v_fmac_f32_e32 v3, v124, v116
	s_waitcnt lgkmcnt(0)
	s_delay_alu instid0(VALU_DEP_1) | instskip(NEXT) | instid1(VALU_DEP_1)
	v_fmac_f32_e32 v3, v125, v109
	v_sub_f32_e32 v3, v108, v3
	scratch_store_b32 off, v3, off offset:136
	v_cmpx_lt_u32_e32 33, v0
	s_cbranch_execz .LBB51_253
; %bb.252:
	scratch_load_b32 v3, off, off offset:132
	scratch_store_b32 off, v2, off offset:132
	s_waitcnt vmcnt(0)
	ds_store_b32 v1, v3
.LBB51_253:
	s_or_b32 exec_lo, exec_lo, s0
	s_waitcnt lgkmcnt(0)
	s_waitcnt_vscnt null, 0x0
	s_barrier
	buffer_gl0_inv
	s_clause 0x4
	scratch_load_b128 v[108:111], off, off offset:132
	scratch_load_b128 v[112:115], off, off offset:148
	;; [unrolled: 1-line block ×4, first 2 shown]
	scratch_load_b96 v[132:134], off, off offset:196
	ds_load_2addr_b64 v[124:127], v2 offset0:43 offset1:44
	ds_load_2addr_b64 v[128:131], v2 offset0:45 offset1:46
	s_mov_b32 s0, exec_lo
	s_waitcnt vmcnt(4) lgkmcnt(1)
	v_fma_f32 v124, v109, v124, 0
	s_delay_alu instid0(VALU_DEP_1) | instskip(NEXT) | instid1(VALU_DEP_1)
	v_fmac_f32_e32 v124, v110, v125
	v_fmac_f32_e32 v124, v111, v126
	s_waitcnt vmcnt(3)
	s_delay_alu instid0(VALU_DEP_1) | instskip(SKIP_3) | instid1(VALU_DEP_1)
	v_fmac_f32_e32 v124, v112, v127
	ds_load_2addr_b64 v[109:112], v2 offset0:47 offset1:48
	s_waitcnt lgkmcnt(1)
	v_fmac_f32_e32 v124, v113, v128
	v_fmac_f32_e32 v124, v114, v129
	s_delay_alu instid0(VALU_DEP_1) | instskip(SKIP_1) | instid1(VALU_DEP_1)
	v_fmac_f32_e32 v124, v115, v130
	s_waitcnt vmcnt(2)
	v_fmac_f32_e32 v124, v116, v131
	ds_load_2addr_b64 v[113:116], v2 offset0:49 offset1:50
	ds_load_b64 v[2:3], v2 offset:408
	s_waitcnt lgkmcnt(2)
	v_fmac_f32_e32 v124, v117, v109
	s_delay_alu instid0(VALU_DEP_1) | instskip(NEXT) | instid1(VALU_DEP_1)
	v_fmac_f32_e32 v124, v118, v110
	v_fmac_f32_e32 v124, v119, v111
	s_waitcnt vmcnt(1)
	s_delay_alu instid0(VALU_DEP_1) | instskip(SKIP_1) | instid1(VALU_DEP_1)
	v_fmac_f32_e32 v124, v120, v112
	s_waitcnt lgkmcnt(1)
	v_fmac_f32_e32 v124, v121, v113
	s_delay_alu instid0(VALU_DEP_1) | instskip(NEXT) | instid1(VALU_DEP_1)
	v_fmac_f32_e32 v124, v122, v114
	v_fmac_f32_e32 v124, v123, v115
	s_waitcnt vmcnt(0)
	s_delay_alu instid0(VALU_DEP_1) | instskip(SKIP_1) | instid1(VALU_DEP_1)
	v_fmac_f32_e32 v124, v132, v116
	s_waitcnt lgkmcnt(0)
	v_fmac_f32_e32 v124, v133, v2
	s_delay_alu instid0(VALU_DEP_1) | instskip(NEXT) | instid1(VALU_DEP_1)
	v_fmac_f32_e32 v124, v134, v3
	v_sub_f32_e32 v2, v108, v124
	scratch_store_b32 off, v2, off offset:132
	v_cmpx_lt_u32_e32 32, v0
	s_cbranch_execz .LBB51_255
; %bb.254:
	scratch_load_b32 v2, off, off offset:128
	v_mov_b32_e32 v3, 0
	scratch_store_b32 off, v3, off offset:128
	s_waitcnt vmcnt(0)
	ds_store_b32 v1, v2
.LBB51_255:
	s_or_b32 exec_lo, exec_lo, s0
	s_waitcnt lgkmcnt(0)
	s_waitcnt_vscnt null, 0x0
	s_barrier
	buffer_gl0_inv
	s_clause 0x4
	scratch_load_b128 v[108:111], off, off offset:128
	scratch_load_b128 v[112:115], off, off offset:144
	;; [unrolled: 1-line block ×5, first 2 shown]
	v_mov_b32_e32 v2, 0
	ds_load_2addr_b32 v[128:129], v2 offset0:85 offset1:86
	ds_load_2addr_b32 v[130:131], v2 offset0:87 offset1:88
	;; [unrolled: 1-line block ×4, first 2 shown]
	s_mov_b32 s0, exec_lo
	s_waitcnt vmcnt(4) lgkmcnt(3)
	v_fma_f32 v3, v109, v128, 0
	s_delay_alu instid0(VALU_DEP_1) | instskip(SKIP_4) | instid1(VALU_DEP_1)
	v_fmac_f32_e32 v3, v110, v129
	ds_load_2addr_b32 v[109:110], v2 offset0:93 offset1:94
	s_waitcnt lgkmcnt(3)
	v_fmac_f32_e32 v3, v111, v130
	s_waitcnt vmcnt(3)
	v_fmac_f32_e32 v3, v112, v131
	ds_load_2addr_b32 v[111:112], v2 offset0:95 offset1:96
	s_waitcnt lgkmcnt(3)
	v_fmac_f32_e32 v3, v113, v132
	s_delay_alu instid0(VALU_DEP_1) | instskip(SKIP_1) | instid1(VALU_DEP_1)
	v_fmac_f32_e32 v3, v114, v133
	s_waitcnt lgkmcnt(2)
	v_fmac_f32_e32 v3, v115, v134
	s_waitcnt vmcnt(2)
	s_delay_alu instid0(VALU_DEP_1) | instskip(SKIP_4) | instid1(VALU_DEP_1)
	v_fmac_f32_e32 v3, v116, v135
	ds_load_2addr_b32 v[113:114], v2 offset0:97 offset1:98
	ds_load_2addr_b32 v[115:116], v2 offset0:99 offset1:100
	s_waitcnt lgkmcnt(3)
	v_fmac_f32_e32 v3, v117, v109
	v_fmac_f32_e32 v3, v118, v110
	ds_load_2addr_b32 v[109:110], v2 offset0:101 offset1:102
	s_waitcnt lgkmcnt(3)
	v_fmac_f32_e32 v3, v119, v111
	ds_load_b32 v111, v2 offset:412
	s_waitcnt vmcnt(1)
	v_fmac_f32_e32 v3, v120, v112
	s_waitcnt lgkmcnt(3)
	s_delay_alu instid0(VALU_DEP_1) | instskip(NEXT) | instid1(VALU_DEP_1)
	v_fmac_f32_e32 v3, v121, v113
	v_fmac_f32_e32 v3, v122, v114
	s_waitcnt lgkmcnt(2)
	s_delay_alu instid0(VALU_DEP_1) | instskip(SKIP_1) | instid1(VALU_DEP_1)
	v_fmac_f32_e32 v3, v123, v115
	s_waitcnt vmcnt(0)
	v_fmac_f32_e32 v3, v124, v116
	s_waitcnt lgkmcnt(1)
	s_delay_alu instid0(VALU_DEP_1) | instskip(NEXT) | instid1(VALU_DEP_1)
	v_fmac_f32_e32 v3, v125, v109
	v_fmac_f32_e32 v3, v126, v110
	s_waitcnt lgkmcnt(0)
	s_delay_alu instid0(VALU_DEP_1) | instskip(NEXT) | instid1(VALU_DEP_1)
	v_fmac_f32_e32 v3, v127, v111
	v_sub_f32_e32 v3, v108, v3
	scratch_store_b32 off, v3, off offset:128
	v_cmpx_lt_u32_e32 31, v0
	s_cbranch_execz .LBB51_257
; %bb.256:
	scratch_load_b32 v3, off, off offset:124
	scratch_store_b32 off, v2, off offset:124
	s_waitcnt vmcnt(0)
	ds_store_b32 v1, v3
.LBB51_257:
	s_or_b32 exec_lo, exec_lo, s0
	s_waitcnt lgkmcnt(0)
	s_waitcnt_vscnt null, 0x0
	s_barrier
	buffer_gl0_inv
	s_clause 0x5
	scratch_load_b128 v[108:111], off, off offset:124
	scratch_load_b128 v[112:115], off, off offset:140
	;; [unrolled: 1-line block ×5, first 2 shown]
	scratch_load_b32 v3, off, off offset:204
	ds_load_b128 v[128:131], v2 offset:336
	ds_load_b128 v[132:135], v2 offset:352
	s_mov_b32 s0, exec_lo
	s_waitcnt vmcnt(5) lgkmcnt(1)
	v_fma_f32 v128, v109, v128, 0
	s_delay_alu instid0(VALU_DEP_1) | instskip(NEXT) | instid1(VALU_DEP_1)
	v_fmac_f32_e32 v128, v110, v129
	v_fmac_f32_e32 v128, v111, v130
	s_waitcnt vmcnt(4)
	s_delay_alu instid0(VALU_DEP_1) | instskip(SKIP_3) | instid1(VALU_DEP_1)
	v_fmac_f32_e32 v128, v112, v131
	ds_load_b128 v[109:112], v2 offset:368
	s_waitcnt lgkmcnt(1)
	v_fmac_f32_e32 v128, v113, v132
	v_fmac_f32_e32 v128, v114, v133
	s_delay_alu instid0(VALU_DEP_1) | instskip(SKIP_1) | instid1(VALU_DEP_1)
	v_fmac_f32_e32 v128, v115, v134
	s_waitcnt vmcnt(3)
	v_fmac_f32_e32 v128, v116, v135
	ds_load_b128 v[113:116], v2 offset:384
	s_waitcnt lgkmcnt(1)
	v_fmac_f32_e32 v128, v117, v109
	s_delay_alu instid0(VALU_DEP_1) | instskip(NEXT) | instid1(VALU_DEP_1)
	v_fmac_f32_e32 v128, v118, v110
	v_fmac_f32_e32 v128, v119, v111
	s_waitcnt vmcnt(2)
	s_delay_alu instid0(VALU_DEP_1) | instskip(SKIP_3) | instid1(VALU_DEP_1)
	v_fmac_f32_e32 v128, v120, v112
	ds_load_b128 v[109:112], v2 offset:400
	s_waitcnt lgkmcnt(1)
	v_fmac_f32_e32 v128, v121, v113
	v_fmac_f32_e32 v128, v122, v114
	s_delay_alu instid0(VALU_DEP_1) | instskip(SKIP_1) | instid1(VALU_DEP_1)
	v_fmac_f32_e32 v128, v123, v115
	s_waitcnt vmcnt(1)
	v_fmac_f32_e32 v128, v124, v116
	s_waitcnt lgkmcnt(0)
	s_delay_alu instid0(VALU_DEP_1) | instskip(NEXT) | instid1(VALU_DEP_1)
	v_fmac_f32_e32 v128, v125, v109
	v_fmac_f32_e32 v128, v126, v110
	s_delay_alu instid0(VALU_DEP_1) | instskip(SKIP_1) | instid1(VALU_DEP_1)
	v_fmac_f32_e32 v128, v127, v111
	s_waitcnt vmcnt(0)
	v_fmac_f32_e32 v128, v3, v112
	s_delay_alu instid0(VALU_DEP_1)
	v_sub_f32_e32 v2, v108, v128
	scratch_store_b32 off, v2, off offset:124
	v_cmpx_lt_u32_e32 30, v0
	s_cbranch_execz .LBB51_259
; %bb.258:
	scratch_load_b32 v2, off, off offset:120
	v_mov_b32_e32 v3, 0
	scratch_store_b32 off, v3, off offset:120
	s_waitcnt vmcnt(0)
	ds_store_b32 v1, v2
.LBB51_259:
	s_or_b32 exec_lo, exec_lo, s0
	s_waitcnt lgkmcnt(0)
	s_waitcnt_vscnt null, 0x0
	s_barrier
	buffer_gl0_inv
	s_clause 0x5
	scratch_load_b128 v[108:111], off, off offset:120
	scratch_load_b128 v[112:115], off, off offset:136
	;; [unrolled: 1-line block ×5, first 2 shown]
	scratch_load_b64 v[128:129], off, off offset:200
	v_mov_b32_e32 v2, 0
	ds_load_2addr_b32 v[130:131], v2 offset0:83 offset1:84
	ds_load_2addr_b32 v[132:133], v2 offset0:85 offset1:86
	;; [unrolled: 1-line block ×4, first 2 shown]
	s_mov_b32 s0, exec_lo
	s_waitcnt vmcnt(5) lgkmcnt(3)
	v_fma_f32 v3, v109, v130, 0
	s_delay_alu instid0(VALU_DEP_1) | instskip(SKIP_4) | instid1(VALU_DEP_1)
	v_fmac_f32_e32 v3, v110, v131
	ds_load_2addr_b32 v[109:110], v2 offset0:91 offset1:92
	s_waitcnt lgkmcnt(3)
	v_fmac_f32_e32 v3, v111, v132
	s_waitcnt vmcnt(4)
	v_fmac_f32_e32 v3, v112, v133
	ds_load_2addr_b32 v[111:112], v2 offset0:93 offset1:94
	s_waitcnt lgkmcnt(3)
	v_fmac_f32_e32 v3, v113, v134
	s_delay_alu instid0(VALU_DEP_1) | instskip(SKIP_1) | instid1(VALU_DEP_1)
	v_fmac_f32_e32 v3, v114, v135
	s_waitcnt lgkmcnt(2)
	v_fmac_f32_e32 v3, v115, v136
	s_waitcnt vmcnt(3)
	s_delay_alu instid0(VALU_DEP_1) | instskip(SKIP_4) | instid1(VALU_DEP_1)
	v_fmac_f32_e32 v3, v116, v137
	ds_load_2addr_b32 v[113:114], v2 offset0:95 offset1:96
	ds_load_2addr_b32 v[115:116], v2 offset0:97 offset1:98
	s_waitcnt lgkmcnt(3)
	v_fmac_f32_e32 v3, v117, v109
	v_fmac_f32_e32 v3, v118, v110
	ds_load_2addr_b32 v[109:110], v2 offset0:99 offset1:100
	s_waitcnt lgkmcnt(3)
	v_fmac_f32_e32 v3, v119, v111
	s_waitcnt vmcnt(2)
	s_delay_alu instid0(VALU_DEP_1)
	v_fmac_f32_e32 v3, v120, v112
	ds_load_2addr_b32 v[111:112], v2 offset0:101 offset1:102
	s_waitcnt lgkmcnt(3)
	v_fmac_f32_e32 v3, v121, v113
	ds_load_b32 v113, v2 offset:412
	v_fmac_f32_e32 v3, v122, v114
	s_waitcnt lgkmcnt(3)
	s_delay_alu instid0(VALU_DEP_1) | instskip(SKIP_1) | instid1(VALU_DEP_1)
	v_fmac_f32_e32 v3, v123, v115
	s_waitcnt vmcnt(1)
	v_fmac_f32_e32 v3, v124, v116
	s_waitcnt lgkmcnt(2)
	s_delay_alu instid0(VALU_DEP_1) | instskip(NEXT) | instid1(VALU_DEP_1)
	v_fmac_f32_e32 v3, v125, v109
	v_fmac_f32_e32 v3, v126, v110
	s_waitcnt lgkmcnt(1)
	s_delay_alu instid0(VALU_DEP_1) | instskip(SKIP_1) | instid1(VALU_DEP_1)
	v_fmac_f32_e32 v3, v127, v111
	s_waitcnt vmcnt(0)
	v_fmac_f32_e32 v3, v128, v112
	s_waitcnt lgkmcnt(0)
	s_delay_alu instid0(VALU_DEP_1) | instskip(NEXT) | instid1(VALU_DEP_1)
	v_fmac_f32_e32 v3, v129, v113
	v_sub_f32_e32 v3, v108, v3
	scratch_store_b32 off, v3, off offset:120
	v_cmpx_lt_u32_e32 29, v0
	s_cbranch_execz .LBB51_261
; %bb.260:
	scratch_load_b32 v3, off, off offset:116
	scratch_store_b32 off, v2, off offset:116
	s_waitcnt vmcnt(0)
	ds_store_b32 v1, v3
.LBB51_261:
	s_or_b32 exec_lo, exec_lo, s0
	s_waitcnt lgkmcnt(0)
	s_waitcnt_vscnt null, 0x0
	s_barrier
	buffer_gl0_inv
	s_clause 0x5
	scratch_load_b128 v[108:111], off, off offset:116
	scratch_load_b128 v[112:115], off, off offset:132
	;; [unrolled: 1-line block ×5, first 2 shown]
	scratch_load_b96 v[136:138], off, off offset:196
	ds_load_2addr_b64 v[128:131], v2 offset0:41 offset1:42
	ds_load_2addr_b64 v[132:135], v2 offset0:43 offset1:44
	s_mov_b32 s0, exec_lo
	s_waitcnt vmcnt(5) lgkmcnt(1)
	v_fma_f32 v128, v109, v128, 0
	s_delay_alu instid0(VALU_DEP_1) | instskip(NEXT) | instid1(VALU_DEP_1)
	v_fmac_f32_e32 v128, v110, v129
	v_fmac_f32_e32 v128, v111, v130
	s_waitcnt vmcnt(4)
	s_delay_alu instid0(VALU_DEP_1) | instskip(SKIP_3) | instid1(VALU_DEP_1)
	v_fmac_f32_e32 v128, v112, v131
	ds_load_2addr_b64 v[109:112], v2 offset0:45 offset1:46
	s_waitcnt lgkmcnt(1)
	v_fmac_f32_e32 v128, v113, v132
	v_fmac_f32_e32 v128, v114, v133
	s_delay_alu instid0(VALU_DEP_1) | instskip(SKIP_1) | instid1(VALU_DEP_1)
	v_fmac_f32_e32 v128, v115, v134
	s_waitcnt vmcnt(3)
	v_fmac_f32_e32 v128, v116, v135
	ds_load_2addr_b64 v[113:116], v2 offset0:47 offset1:48
	s_waitcnt lgkmcnt(1)
	v_fmac_f32_e32 v128, v117, v109
	s_delay_alu instid0(VALU_DEP_1) | instskip(NEXT) | instid1(VALU_DEP_1)
	v_fmac_f32_e32 v128, v118, v110
	v_fmac_f32_e32 v128, v119, v111
	s_waitcnt vmcnt(2)
	s_delay_alu instid0(VALU_DEP_1) | instskip(SKIP_4) | instid1(VALU_DEP_1)
	v_fmac_f32_e32 v128, v120, v112
	ds_load_2addr_b64 v[109:112], v2 offset0:49 offset1:50
	ds_load_b64 v[2:3], v2 offset:408
	s_waitcnt lgkmcnt(2)
	v_fmac_f32_e32 v128, v121, v113
	v_fmac_f32_e32 v128, v122, v114
	s_delay_alu instid0(VALU_DEP_1) | instskip(SKIP_1) | instid1(VALU_DEP_1)
	v_fmac_f32_e32 v128, v123, v115
	s_waitcnt vmcnt(1)
	v_fmac_f32_e32 v128, v124, v116
	s_waitcnt lgkmcnt(1)
	s_delay_alu instid0(VALU_DEP_1) | instskip(NEXT) | instid1(VALU_DEP_1)
	v_fmac_f32_e32 v128, v125, v109
	v_fmac_f32_e32 v128, v126, v110
	s_delay_alu instid0(VALU_DEP_1) | instskip(SKIP_1) | instid1(VALU_DEP_1)
	v_fmac_f32_e32 v128, v127, v111
	s_waitcnt vmcnt(0)
	v_fmac_f32_e32 v128, v136, v112
	s_waitcnt lgkmcnt(0)
	s_delay_alu instid0(VALU_DEP_1) | instskip(NEXT) | instid1(VALU_DEP_1)
	v_fmac_f32_e32 v128, v137, v2
	v_fmac_f32_e32 v128, v138, v3
	s_delay_alu instid0(VALU_DEP_1)
	v_sub_f32_e32 v2, v108, v128
	scratch_store_b32 off, v2, off offset:116
	v_cmpx_lt_u32_e32 28, v0
	s_cbranch_execz .LBB51_263
; %bb.262:
	scratch_load_b32 v2, off, off offset:112
	v_mov_b32_e32 v3, 0
	scratch_store_b32 off, v3, off offset:112
	s_waitcnt vmcnt(0)
	ds_store_b32 v1, v2
.LBB51_263:
	s_or_b32 exec_lo, exec_lo, s0
	s_waitcnt lgkmcnt(0)
	s_waitcnt_vscnt null, 0x0
	s_barrier
	buffer_gl0_inv
	s_clause 0x5
	scratch_load_b128 v[108:111], off, off offset:112
	scratch_load_b128 v[112:115], off, off offset:128
	;; [unrolled: 1-line block ×6, first 2 shown]
	v_mov_b32_e32 v2, 0
	ds_load_2addr_b32 v[132:133], v2 offset0:81 offset1:82
	ds_load_2addr_b32 v[134:135], v2 offset0:83 offset1:84
	;; [unrolled: 1-line block ×4, first 2 shown]
	s_mov_b32 s0, exec_lo
	s_waitcnt vmcnt(5) lgkmcnt(3)
	v_fma_f32 v3, v109, v132, 0
	s_delay_alu instid0(VALU_DEP_1) | instskip(SKIP_4) | instid1(VALU_DEP_1)
	v_fmac_f32_e32 v3, v110, v133
	ds_load_2addr_b32 v[109:110], v2 offset0:89 offset1:90
	s_waitcnt lgkmcnt(3)
	v_fmac_f32_e32 v3, v111, v134
	s_waitcnt vmcnt(4)
	v_fmac_f32_e32 v3, v112, v135
	ds_load_2addr_b32 v[111:112], v2 offset0:91 offset1:92
	s_waitcnt lgkmcnt(3)
	v_fmac_f32_e32 v3, v113, v136
	s_delay_alu instid0(VALU_DEP_1) | instskip(SKIP_1) | instid1(VALU_DEP_1)
	v_fmac_f32_e32 v3, v114, v137
	s_waitcnt lgkmcnt(2)
	v_fmac_f32_e32 v3, v115, v138
	s_waitcnt vmcnt(3)
	s_delay_alu instid0(VALU_DEP_1) | instskip(SKIP_4) | instid1(VALU_DEP_1)
	v_fmac_f32_e32 v3, v116, v139
	ds_load_2addr_b32 v[113:114], v2 offset0:93 offset1:94
	ds_load_2addr_b32 v[115:116], v2 offset0:95 offset1:96
	s_waitcnt lgkmcnt(3)
	v_fmac_f32_e32 v3, v117, v109
	v_fmac_f32_e32 v3, v118, v110
	ds_load_2addr_b32 v[109:110], v2 offset0:97 offset1:98
	s_waitcnt lgkmcnt(3)
	v_fmac_f32_e32 v3, v119, v111
	s_waitcnt vmcnt(2)
	s_delay_alu instid0(VALU_DEP_1) | instskip(SKIP_3) | instid1(VALU_DEP_1)
	v_fmac_f32_e32 v3, v120, v112
	ds_load_2addr_b32 v[111:112], v2 offset0:99 offset1:100
	s_waitcnt lgkmcnt(3)
	v_fmac_f32_e32 v3, v121, v113
	v_fmac_f32_e32 v3, v122, v114
	s_waitcnt lgkmcnt(2)
	s_delay_alu instid0(VALU_DEP_1)
	v_fmac_f32_e32 v3, v123, v115
	ds_load_2addr_b32 v[113:114], v2 offset0:101 offset1:102
	ds_load_b32 v115, v2 offset:412
	s_waitcnt vmcnt(1)
	v_fmac_f32_e32 v3, v124, v116
	s_waitcnt lgkmcnt(3)
	s_delay_alu instid0(VALU_DEP_1) | instskip(NEXT) | instid1(VALU_DEP_1)
	v_fmac_f32_e32 v3, v125, v109
	v_fmac_f32_e32 v3, v126, v110
	s_waitcnt lgkmcnt(2)
	s_delay_alu instid0(VALU_DEP_1) | instskip(SKIP_1) | instid1(VALU_DEP_1)
	v_fmac_f32_e32 v3, v127, v111
	s_waitcnt vmcnt(0)
	v_fmac_f32_e32 v3, v128, v112
	s_waitcnt lgkmcnt(1)
	s_delay_alu instid0(VALU_DEP_1) | instskip(NEXT) | instid1(VALU_DEP_1)
	v_fmac_f32_e32 v3, v129, v113
	v_fmac_f32_e32 v3, v130, v114
	s_waitcnt lgkmcnt(0)
	s_delay_alu instid0(VALU_DEP_1) | instskip(NEXT) | instid1(VALU_DEP_1)
	v_fmac_f32_e32 v3, v131, v115
	v_sub_f32_e32 v3, v108, v3
	scratch_store_b32 off, v3, off offset:112
	v_cmpx_lt_u32_e32 27, v0
	s_cbranch_execz .LBB51_265
; %bb.264:
	scratch_load_b32 v3, off, off offset:108
	scratch_store_b32 off, v2, off offset:108
	s_waitcnt vmcnt(0)
	ds_store_b32 v1, v3
.LBB51_265:
	s_or_b32 exec_lo, exec_lo, s0
	s_waitcnt lgkmcnt(0)
	s_waitcnt_vscnt null, 0x0
	s_barrier
	buffer_gl0_inv
	s_clause 0x6
	scratch_load_b128 v[108:111], off, off offset:108
	scratch_load_b128 v[112:115], off, off offset:124
	;; [unrolled: 1-line block ×6, first 2 shown]
	scratch_load_b32 v3, off, off offset:204
	ds_load_b128 v[132:135], v2 offset:320
	ds_load_b128 v[136:139], v2 offset:336
	s_mov_b32 s0, exec_lo
	s_waitcnt vmcnt(6) lgkmcnt(1)
	v_fma_f32 v132, v109, v132, 0
	s_delay_alu instid0(VALU_DEP_1) | instskip(NEXT) | instid1(VALU_DEP_1)
	v_fmac_f32_e32 v132, v110, v133
	v_fmac_f32_e32 v132, v111, v134
	s_waitcnt vmcnt(5)
	s_delay_alu instid0(VALU_DEP_1) | instskip(SKIP_3) | instid1(VALU_DEP_1)
	v_fmac_f32_e32 v132, v112, v135
	ds_load_b128 v[109:112], v2 offset:352
	s_waitcnt lgkmcnt(1)
	v_fmac_f32_e32 v132, v113, v136
	v_fmac_f32_e32 v132, v114, v137
	s_delay_alu instid0(VALU_DEP_1) | instskip(SKIP_1) | instid1(VALU_DEP_1)
	v_fmac_f32_e32 v132, v115, v138
	s_waitcnt vmcnt(4)
	v_fmac_f32_e32 v132, v116, v139
	ds_load_b128 v[113:116], v2 offset:368
	s_waitcnt lgkmcnt(1)
	v_fmac_f32_e32 v132, v117, v109
	s_delay_alu instid0(VALU_DEP_1) | instskip(NEXT) | instid1(VALU_DEP_1)
	v_fmac_f32_e32 v132, v118, v110
	v_fmac_f32_e32 v132, v119, v111
	s_waitcnt vmcnt(3)
	s_delay_alu instid0(VALU_DEP_1) | instskip(SKIP_3) | instid1(VALU_DEP_1)
	v_fmac_f32_e32 v132, v120, v112
	ds_load_b128 v[109:112], v2 offset:384
	s_waitcnt lgkmcnt(1)
	v_fmac_f32_e32 v132, v121, v113
	v_fmac_f32_e32 v132, v122, v114
	s_delay_alu instid0(VALU_DEP_1) | instskip(SKIP_1) | instid1(VALU_DEP_1)
	v_fmac_f32_e32 v132, v123, v115
	s_waitcnt vmcnt(2)
	v_fmac_f32_e32 v132, v124, v116
	ds_load_b128 v[113:116], v2 offset:400
	s_waitcnt lgkmcnt(1)
	v_fmac_f32_e32 v132, v125, v109
	s_delay_alu instid0(VALU_DEP_1) | instskip(NEXT) | instid1(VALU_DEP_1)
	v_fmac_f32_e32 v132, v126, v110
	v_fmac_f32_e32 v132, v127, v111
	s_waitcnt vmcnt(1)
	s_delay_alu instid0(VALU_DEP_1) | instskip(SKIP_1) | instid1(VALU_DEP_1)
	v_fmac_f32_e32 v132, v128, v112
	s_waitcnt lgkmcnt(0)
	v_fmac_f32_e32 v132, v129, v113
	s_delay_alu instid0(VALU_DEP_1) | instskip(NEXT) | instid1(VALU_DEP_1)
	v_fmac_f32_e32 v132, v130, v114
	v_fmac_f32_e32 v132, v131, v115
	s_waitcnt vmcnt(0)
	s_delay_alu instid0(VALU_DEP_1) | instskip(NEXT) | instid1(VALU_DEP_1)
	v_fmac_f32_e32 v132, v3, v116
	v_sub_f32_e32 v2, v108, v132
	scratch_store_b32 off, v2, off offset:108
	v_cmpx_lt_u32_e32 26, v0
	s_cbranch_execz .LBB51_267
; %bb.266:
	scratch_load_b32 v2, off, off offset:104
	v_mov_b32_e32 v3, 0
	scratch_store_b32 off, v3, off offset:104
	s_waitcnt vmcnt(0)
	ds_store_b32 v1, v2
.LBB51_267:
	s_or_b32 exec_lo, exec_lo, s0
	s_waitcnt lgkmcnt(0)
	s_waitcnt_vscnt null, 0x0
	s_barrier
	buffer_gl0_inv
	s_clause 0x6
	scratch_load_b128 v[108:111], off, off offset:104
	scratch_load_b128 v[112:115], off, off offset:120
	;; [unrolled: 1-line block ×6, first 2 shown]
	scratch_load_b64 v[132:133], off, off offset:200
	v_mov_b32_e32 v2, 0
	ds_load_2addr_b32 v[134:135], v2 offset0:79 offset1:80
	ds_load_2addr_b32 v[136:137], v2 offset0:81 offset1:82
	;; [unrolled: 1-line block ×4, first 2 shown]
	s_mov_b32 s0, exec_lo
	s_waitcnt vmcnt(6) lgkmcnt(3)
	v_fma_f32 v3, v109, v134, 0
	s_delay_alu instid0(VALU_DEP_1) | instskip(SKIP_4) | instid1(VALU_DEP_1)
	v_fmac_f32_e32 v3, v110, v135
	ds_load_2addr_b32 v[109:110], v2 offset0:87 offset1:88
	s_waitcnt lgkmcnt(3)
	v_fmac_f32_e32 v3, v111, v136
	s_waitcnt vmcnt(5)
	v_fmac_f32_e32 v3, v112, v137
	ds_load_2addr_b32 v[111:112], v2 offset0:89 offset1:90
	s_waitcnt lgkmcnt(3)
	v_fmac_f32_e32 v3, v113, v138
	s_delay_alu instid0(VALU_DEP_1) | instskip(SKIP_1) | instid1(VALU_DEP_1)
	v_fmac_f32_e32 v3, v114, v139
	s_waitcnt lgkmcnt(2)
	v_fmac_f32_e32 v3, v115, v140
	s_waitcnt vmcnt(4)
	s_delay_alu instid0(VALU_DEP_1) | instskip(SKIP_4) | instid1(VALU_DEP_1)
	v_fmac_f32_e32 v3, v116, v141
	ds_load_2addr_b32 v[113:114], v2 offset0:91 offset1:92
	ds_load_2addr_b32 v[115:116], v2 offset0:93 offset1:94
	s_waitcnt lgkmcnt(3)
	v_fmac_f32_e32 v3, v117, v109
	v_fmac_f32_e32 v3, v118, v110
	ds_load_2addr_b32 v[109:110], v2 offset0:95 offset1:96
	s_waitcnt lgkmcnt(3)
	v_fmac_f32_e32 v3, v119, v111
	s_waitcnt vmcnt(3)
	s_delay_alu instid0(VALU_DEP_1) | instskip(SKIP_3) | instid1(VALU_DEP_1)
	v_fmac_f32_e32 v3, v120, v112
	ds_load_2addr_b32 v[111:112], v2 offset0:97 offset1:98
	s_waitcnt lgkmcnt(3)
	v_fmac_f32_e32 v3, v121, v113
	v_fmac_f32_e32 v3, v122, v114
	s_waitcnt lgkmcnt(2)
	s_delay_alu instid0(VALU_DEP_1) | instskip(SKIP_1) | instid1(VALU_DEP_1)
	v_fmac_f32_e32 v3, v123, v115
	s_waitcnt vmcnt(2)
	v_fmac_f32_e32 v3, v124, v116
	ds_load_2addr_b32 v[113:114], v2 offset0:99 offset1:100
	ds_load_2addr_b32 v[115:116], v2 offset0:101 offset1:102
	s_waitcnt lgkmcnt(3)
	v_fmac_f32_e32 v3, v125, v109
	ds_load_b32 v109, v2 offset:412
	v_fmac_f32_e32 v3, v126, v110
	s_waitcnt lgkmcnt(3)
	s_delay_alu instid0(VALU_DEP_1) | instskip(SKIP_1) | instid1(VALU_DEP_1)
	v_fmac_f32_e32 v3, v127, v111
	s_waitcnt vmcnt(1)
	v_fmac_f32_e32 v3, v128, v112
	s_waitcnt lgkmcnt(2)
	s_delay_alu instid0(VALU_DEP_1) | instskip(NEXT) | instid1(VALU_DEP_1)
	v_fmac_f32_e32 v3, v129, v113
	v_fmac_f32_e32 v3, v130, v114
	s_waitcnt lgkmcnt(1)
	s_delay_alu instid0(VALU_DEP_1) | instskip(SKIP_1) | instid1(VALU_DEP_1)
	v_fmac_f32_e32 v3, v131, v115
	s_waitcnt vmcnt(0)
	v_fmac_f32_e32 v3, v132, v116
	s_waitcnt lgkmcnt(0)
	s_delay_alu instid0(VALU_DEP_1) | instskip(NEXT) | instid1(VALU_DEP_1)
	v_fmac_f32_e32 v3, v133, v109
	v_sub_f32_e32 v3, v108, v3
	scratch_store_b32 off, v3, off offset:104
	v_cmpx_lt_u32_e32 25, v0
	s_cbranch_execz .LBB51_269
; %bb.268:
	scratch_load_b32 v3, off, off offset:100
	scratch_store_b32 off, v2, off offset:100
	s_waitcnt vmcnt(0)
	ds_store_b32 v1, v3
.LBB51_269:
	s_or_b32 exec_lo, exec_lo, s0
	s_waitcnt lgkmcnt(0)
	s_waitcnt_vscnt null, 0x0
	s_barrier
	buffer_gl0_inv
	s_clause 0x6
	scratch_load_b128 v[108:111], off, off offset:100
	scratch_load_b128 v[112:115], off, off offset:116
	;; [unrolled: 1-line block ×6, first 2 shown]
	scratch_load_b96 v[140:142], off, off offset:196
	ds_load_2addr_b64 v[132:135], v2 offset0:39 offset1:40
	ds_load_2addr_b64 v[136:139], v2 offset0:41 offset1:42
	s_mov_b32 s0, exec_lo
	s_waitcnt vmcnt(6) lgkmcnt(1)
	v_fma_f32 v132, v109, v132, 0
	s_delay_alu instid0(VALU_DEP_1) | instskip(NEXT) | instid1(VALU_DEP_1)
	v_fmac_f32_e32 v132, v110, v133
	v_fmac_f32_e32 v132, v111, v134
	s_waitcnt vmcnt(5)
	s_delay_alu instid0(VALU_DEP_1) | instskip(SKIP_3) | instid1(VALU_DEP_1)
	v_fmac_f32_e32 v132, v112, v135
	ds_load_2addr_b64 v[109:112], v2 offset0:43 offset1:44
	s_waitcnt lgkmcnt(1)
	v_fmac_f32_e32 v132, v113, v136
	v_fmac_f32_e32 v132, v114, v137
	s_delay_alu instid0(VALU_DEP_1) | instskip(SKIP_1) | instid1(VALU_DEP_1)
	v_fmac_f32_e32 v132, v115, v138
	s_waitcnt vmcnt(4)
	v_fmac_f32_e32 v132, v116, v139
	ds_load_2addr_b64 v[113:116], v2 offset0:45 offset1:46
	s_waitcnt lgkmcnt(1)
	v_fmac_f32_e32 v132, v117, v109
	s_delay_alu instid0(VALU_DEP_1) | instskip(NEXT) | instid1(VALU_DEP_1)
	v_fmac_f32_e32 v132, v118, v110
	v_fmac_f32_e32 v132, v119, v111
	s_waitcnt vmcnt(3)
	s_delay_alu instid0(VALU_DEP_1) | instskip(SKIP_3) | instid1(VALU_DEP_1)
	v_fmac_f32_e32 v132, v120, v112
	ds_load_2addr_b64 v[109:112], v2 offset0:47 offset1:48
	s_waitcnt lgkmcnt(1)
	v_fmac_f32_e32 v132, v121, v113
	v_fmac_f32_e32 v132, v122, v114
	s_delay_alu instid0(VALU_DEP_1) | instskip(SKIP_1) | instid1(VALU_DEP_1)
	v_fmac_f32_e32 v132, v123, v115
	s_waitcnt vmcnt(2)
	v_fmac_f32_e32 v132, v124, v116
	ds_load_2addr_b64 v[113:116], v2 offset0:49 offset1:50
	ds_load_b64 v[2:3], v2 offset:408
	s_waitcnt lgkmcnt(2)
	v_fmac_f32_e32 v132, v125, v109
	s_delay_alu instid0(VALU_DEP_1) | instskip(NEXT) | instid1(VALU_DEP_1)
	v_fmac_f32_e32 v132, v126, v110
	v_fmac_f32_e32 v132, v127, v111
	s_waitcnt vmcnt(1)
	s_delay_alu instid0(VALU_DEP_1) | instskip(SKIP_1) | instid1(VALU_DEP_1)
	v_fmac_f32_e32 v132, v128, v112
	s_waitcnt lgkmcnt(1)
	v_fmac_f32_e32 v132, v129, v113
	s_delay_alu instid0(VALU_DEP_1) | instskip(NEXT) | instid1(VALU_DEP_1)
	v_fmac_f32_e32 v132, v130, v114
	v_fmac_f32_e32 v132, v131, v115
	s_waitcnt vmcnt(0)
	s_delay_alu instid0(VALU_DEP_1) | instskip(SKIP_1) | instid1(VALU_DEP_1)
	v_fmac_f32_e32 v132, v140, v116
	s_waitcnt lgkmcnt(0)
	v_fmac_f32_e32 v132, v141, v2
	s_delay_alu instid0(VALU_DEP_1) | instskip(NEXT) | instid1(VALU_DEP_1)
	v_fmac_f32_e32 v132, v142, v3
	v_sub_f32_e32 v2, v108, v132
	scratch_store_b32 off, v2, off offset:100
	v_cmpx_lt_u32_e32 24, v0
	s_cbranch_execz .LBB51_271
; %bb.270:
	scratch_load_b32 v2, off, off offset:96
	v_mov_b32_e32 v3, 0
	scratch_store_b32 off, v3, off offset:96
	s_waitcnt vmcnt(0)
	ds_store_b32 v1, v2
.LBB51_271:
	s_or_b32 exec_lo, exec_lo, s0
	s_waitcnt lgkmcnt(0)
	s_waitcnt_vscnt null, 0x0
	s_barrier
	buffer_gl0_inv
	s_clause 0x6
	scratch_load_b128 v[108:111], off, off offset:96
	scratch_load_b128 v[112:115], off, off offset:112
	;; [unrolled: 1-line block ×7, first 2 shown]
	v_mov_b32_e32 v2, 0
	ds_load_2addr_b32 v[136:137], v2 offset0:77 offset1:78
	ds_load_2addr_b32 v[138:139], v2 offset0:79 offset1:80
	;; [unrolled: 1-line block ×4, first 2 shown]
	s_mov_b32 s0, exec_lo
	s_waitcnt vmcnt(6) lgkmcnt(3)
	v_fma_f32 v3, v109, v136, 0
	s_delay_alu instid0(VALU_DEP_1) | instskip(SKIP_4) | instid1(VALU_DEP_1)
	v_fmac_f32_e32 v3, v110, v137
	ds_load_2addr_b32 v[109:110], v2 offset0:85 offset1:86
	s_waitcnt lgkmcnt(3)
	v_fmac_f32_e32 v3, v111, v138
	s_waitcnt vmcnt(5)
	v_fmac_f32_e32 v3, v112, v139
	ds_load_2addr_b32 v[111:112], v2 offset0:87 offset1:88
	s_waitcnt lgkmcnt(3)
	v_fmac_f32_e32 v3, v113, v140
	s_delay_alu instid0(VALU_DEP_1) | instskip(SKIP_1) | instid1(VALU_DEP_1)
	v_fmac_f32_e32 v3, v114, v141
	s_waitcnt lgkmcnt(2)
	v_fmac_f32_e32 v3, v115, v142
	s_waitcnt vmcnt(4)
	s_delay_alu instid0(VALU_DEP_1) | instskip(SKIP_4) | instid1(VALU_DEP_1)
	v_fmac_f32_e32 v3, v116, v143
	ds_load_2addr_b32 v[113:114], v2 offset0:89 offset1:90
	ds_load_2addr_b32 v[115:116], v2 offset0:91 offset1:92
	s_waitcnt lgkmcnt(3)
	v_fmac_f32_e32 v3, v117, v109
	v_fmac_f32_e32 v3, v118, v110
	ds_load_2addr_b32 v[109:110], v2 offset0:93 offset1:94
	s_waitcnt lgkmcnt(3)
	v_fmac_f32_e32 v3, v119, v111
	s_waitcnt vmcnt(3)
	s_delay_alu instid0(VALU_DEP_1) | instskip(SKIP_3) | instid1(VALU_DEP_1)
	v_fmac_f32_e32 v3, v120, v112
	ds_load_2addr_b32 v[111:112], v2 offset0:95 offset1:96
	s_waitcnt lgkmcnt(3)
	v_fmac_f32_e32 v3, v121, v113
	v_fmac_f32_e32 v3, v122, v114
	s_waitcnt lgkmcnt(2)
	s_delay_alu instid0(VALU_DEP_1) | instskip(SKIP_1) | instid1(VALU_DEP_1)
	v_fmac_f32_e32 v3, v123, v115
	s_waitcnt vmcnt(2)
	v_fmac_f32_e32 v3, v124, v116
	ds_load_2addr_b32 v[113:114], v2 offset0:97 offset1:98
	ds_load_2addr_b32 v[115:116], v2 offset0:99 offset1:100
	s_waitcnt lgkmcnt(3)
	v_fmac_f32_e32 v3, v125, v109
	s_delay_alu instid0(VALU_DEP_1)
	v_fmac_f32_e32 v3, v126, v110
	ds_load_2addr_b32 v[109:110], v2 offset0:101 offset1:102
	s_waitcnt lgkmcnt(3)
	v_fmac_f32_e32 v3, v127, v111
	ds_load_b32 v111, v2 offset:412
	s_waitcnt vmcnt(1)
	v_fmac_f32_e32 v3, v128, v112
	s_waitcnt lgkmcnt(3)
	s_delay_alu instid0(VALU_DEP_1) | instskip(NEXT) | instid1(VALU_DEP_1)
	v_fmac_f32_e32 v3, v129, v113
	v_fmac_f32_e32 v3, v130, v114
	s_waitcnt lgkmcnt(2)
	s_delay_alu instid0(VALU_DEP_1) | instskip(SKIP_1) | instid1(VALU_DEP_1)
	v_fmac_f32_e32 v3, v131, v115
	s_waitcnt vmcnt(0)
	v_fmac_f32_e32 v3, v132, v116
	s_waitcnt lgkmcnt(1)
	s_delay_alu instid0(VALU_DEP_1) | instskip(NEXT) | instid1(VALU_DEP_1)
	v_fmac_f32_e32 v3, v133, v109
	v_fmac_f32_e32 v3, v134, v110
	s_waitcnt lgkmcnt(0)
	s_delay_alu instid0(VALU_DEP_1) | instskip(NEXT) | instid1(VALU_DEP_1)
	v_fmac_f32_e32 v3, v135, v111
	v_sub_f32_e32 v3, v108, v3
	scratch_store_b32 off, v3, off offset:96
	v_cmpx_lt_u32_e32 23, v0
	s_cbranch_execz .LBB51_273
; %bb.272:
	scratch_load_b32 v3, off, off offset:92
	scratch_store_b32 off, v2, off offset:92
	s_waitcnt vmcnt(0)
	ds_store_b32 v1, v3
.LBB51_273:
	s_or_b32 exec_lo, exec_lo, s0
	s_waitcnt lgkmcnt(0)
	s_waitcnt_vscnt null, 0x0
	s_barrier
	buffer_gl0_inv
	s_clause 0x7
	scratch_load_b128 v[108:111], off, off offset:92
	scratch_load_b128 v[112:115], off, off offset:108
	;; [unrolled: 1-line block ×7, first 2 shown]
	scratch_load_b32 v3, off, off offset:204
	ds_load_b128 v[136:139], v2 offset:304
	ds_load_b128 v[140:143], v2 offset:320
	s_mov_b32 s0, exec_lo
	s_waitcnt vmcnt(7) lgkmcnt(1)
	v_fma_f32 v136, v109, v136, 0
	s_delay_alu instid0(VALU_DEP_1) | instskip(NEXT) | instid1(VALU_DEP_1)
	v_fmac_f32_e32 v136, v110, v137
	v_fmac_f32_e32 v136, v111, v138
	s_waitcnt vmcnt(6)
	s_delay_alu instid0(VALU_DEP_1) | instskip(SKIP_3) | instid1(VALU_DEP_1)
	v_fmac_f32_e32 v136, v112, v139
	ds_load_b128 v[109:112], v2 offset:336
	s_waitcnt lgkmcnt(1)
	v_fmac_f32_e32 v136, v113, v140
	v_fmac_f32_e32 v136, v114, v141
	s_delay_alu instid0(VALU_DEP_1) | instskip(SKIP_1) | instid1(VALU_DEP_1)
	v_fmac_f32_e32 v136, v115, v142
	s_waitcnt vmcnt(5)
	v_fmac_f32_e32 v136, v116, v143
	ds_load_b128 v[113:116], v2 offset:352
	s_waitcnt lgkmcnt(1)
	v_fmac_f32_e32 v136, v117, v109
	s_delay_alu instid0(VALU_DEP_1) | instskip(NEXT) | instid1(VALU_DEP_1)
	v_fmac_f32_e32 v136, v118, v110
	v_fmac_f32_e32 v136, v119, v111
	s_waitcnt vmcnt(4)
	s_delay_alu instid0(VALU_DEP_1) | instskip(SKIP_3) | instid1(VALU_DEP_1)
	v_fmac_f32_e32 v136, v120, v112
	ds_load_b128 v[109:112], v2 offset:368
	s_waitcnt lgkmcnt(1)
	v_fmac_f32_e32 v136, v121, v113
	v_fmac_f32_e32 v136, v122, v114
	s_delay_alu instid0(VALU_DEP_1) | instskip(SKIP_1) | instid1(VALU_DEP_1)
	v_fmac_f32_e32 v136, v123, v115
	s_waitcnt vmcnt(3)
	v_fmac_f32_e32 v136, v124, v116
	ds_load_b128 v[113:116], v2 offset:384
	s_waitcnt lgkmcnt(1)
	v_fmac_f32_e32 v136, v125, v109
	s_delay_alu instid0(VALU_DEP_1) | instskip(NEXT) | instid1(VALU_DEP_1)
	v_fmac_f32_e32 v136, v126, v110
	v_fmac_f32_e32 v136, v127, v111
	s_waitcnt vmcnt(2)
	s_delay_alu instid0(VALU_DEP_1) | instskip(SKIP_3) | instid1(VALU_DEP_1)
	v_fmac_f32_e32 v136, v128, v112
	ds_load_b128 v[109:112], v2 offset:400
	s_waitcnt lgkmcnt(1)
	v_fmac_f32_e32 v136, v129, v113
	v_fmac_f32_e32 v136, v130, v114
	s_delay_alu instid0(VALU_DEP_1) | instskip(SKIP_1) | instid1(VALU_DEP_1)
	v_fmac_f32_e32 v136, v131, v115
	s_waitcnt vmcnt(1)
	v_fmac_f32_e32 v136, v132, v116
	s_waitcnt lgkmcnt(0)
	s_delay_alu instid0(VALU_DEP_1) | instskip(NEXT) | instid1(VALU_DEP_1)
	v_fmac_f32_e32 v136, v133, v109
	v_fmac_f32_e32 v136, v134, v110
	s_delay_alu instid0(VALU_DEP_1) | instskip(SKIP_1) | instid1(VALU_DEP_1)
	v_fmac_f32_e32 v136, v135, v111
	s_waitcnt vmcnt(0)
	v_fmac_f32_e32 v136, v3, v112
	s_delay_alu instid0(VALU_DEP_1)
	v_sub_f32_e32 v2, v108, v136
	scratch_store_b32 off, v2, off offset:92
	v_cmpx_lt_u32_e32 22, v0
	s_cbranch_execz .LBB51_275
; %bb.274:
	scratch_load_b32 v2, off, off offset:88
	v_mov_b32_e32 v3, 0
	scratch_store_b32 off, v3, off offset:88
	s_waitcnt vmcnt(0)
	ds_store_b32 v1, v2
.LBB51_275:
	s_or_b32 exec_lo, exec_lo, s0
	s_waitcnt lgkmcnt(0)
	s_waitcnt_vscnt null, 0x0
	s_barrier
	buffer_gl0_inv
	s_clause 0x7
	scratch_load_b128 v[108:111], off, off offset:88
	scratch_load_b128 v[112:115], off, off offset:104
	;; [unrolled: 1-line block ×7, first 2 shown]
	scratch_load_b64 v[136:137], off, off offset:200
	v_mov_b32_e32 v2, 0
	ds_load_2addr_b32 v[138:139], v2 offset0:75 offset1:76
	ds_load_2addr_b32 v[140:141], v2 offset0:77 offset1:78
	;; [unrolled: 1-line block ×4, first 2 shown]
	s_mov_b32 s0, exec_lo
	s_waitcnt vmcnt(7) lgkmcnt(3)
	v_fma_f32 v3, v109, v138, 0
	s_delay_alu instid0(VALU_DEP_1) | instskip(SKIP_4) | instid1(VALU_DEP_1)
	v_fmac_f32_e32 v3, v110, v139
	ds_load_2addr_b32 v[109:110], v2 offset0:83 offset1:84
	s_waitcnt lgkmcnt(3)
	v_fmac_f32_e32 v3, v111, v140
	s_waitcnt vmcnt(6)
	v_fmac_f32_e32 v3, v112, v141
	ds_load_2addr_b32 v[111:112], v2 offset0:85 offset1:86
	s_waitcnt lgkmcnt(3)
	v_fmac_f32_e32 v3, v113, v142
	s_delay_alu instid0(VALU_DEP_1) | instskip(SKIP_1) | instid1(VALU_DEP_1)
	v_fmac_f32_e32 v3, v114, v143
	s_waitcnt lgkmcnt(2)
	v_fmac_f32_e32 v3, v115, v144
	s_waitcnt vmcnt(5)
	s_delay_alu instid0(VALU_DEP_1) | instskip(SKIP_4) | instid1(VALU_DEP_1)
	v_fmac_f32_e32 v3, v116, v145
	ds_load_2addr_b32 v[113:114], v2 offset0:87 offset1:88
	ds_load_2addr_b32 v[115:116], v2 offset0:89 offset1:90
	s_waitcnt lgkmcnt(3)
	v_fmac_f32_e32 v3, v117, v109
	v_fmac_f32_e32 v3, v118, v110
	ds_load_2addr_b32 v[109:110], v2 offset0:91 offset1:92
	s_waitcnt lgkmcnt(3)
	v_fmac_f32_e32 v3, v119, v111
	s_waitcnt vmcnt(4)
	s_delay_alu instid0(VALU_DEP_1) | instskip(SKIP_3) | instid1(VALU_DEP_1)
	v_fmac_f32_e32 v3, v120, v112
	ds_load_2addr_b32 v[111:112], v2 offset0:93 offset1:94
	s_waitcnt lgkmcnt(3)
	v_fmac_f32_e32 v3, v121, v113
	v_fmac_f32_e32 v3, v122, v114
	s_waitcnt lgkmcnt(2)
	s_delay_alu instid0(VALU_DEP_1) | instskip(SKIP_1) | instid1(VALU_DEP_1)
	v_fmac_f32_e32 v3, v123, v115
	s_waitcnt vmcnt(3)
	v_fmac_f32_e32 v3, v124, v116
	ds_load_2addr_b32 v[113:114], v2 offset0:95 offset1:96
	ds_load_2addr_b32 v[115:116], v2 offset0:97 offset1:98
	s_waitcnt lgkmcnt(3)
	v_fmac_f32_e32 v3, v125, v109
	s_delay_alu instid0(VALU_DEP_1) | instskip(SKIP_4) | instid1(VALU_DEP_1)
	v_fmac_f32_e32 v3, v126, v110
	ds_load_2addr_b32 v[109:110], v2 offset0:99 offset1:100
	s_waitcnt lgkmcnt(3)
	v_fmac_f32_e32 v3, v127, v111
	s_waitcnt vmcnt(2)
	v_fmac_f32_e32 v3, v128, v112
	ds_load_2addr_b32 v[111:112], v2 offset0:101 offset1:102
	s_waitcnt lgkmcnt(3)
	v_fmac_f32_e32 v3, v129, v113
	ds_load_b32 v113, v2 offset:412
	v_fmac_f32_e32 v3, v130, v114
	s_waitcnt lgkmcnt(3)
	s_delay_alu instid0(VALU_DEP_1) | instskip(SKIP_1) | instid1(VALU_DEP_1)
	v_fmac_f32_e32 v3, v131, v115
	s_waitcnt vmcnt(1)
	v_fmac_f32_e32 v3, v132, v116
	s_waitcnt lgkmcnt(2)
	s_delay_alu instid0(VALU_DEP_1) | instskip(NEXT) | instid1(VALU_DEP_1)
	v_fmac_f32_e32 v3, v133, v109
	v_fmac_f32_e32 v3, v134, v110
	s_waitcnt lgkmcnt(1)
	s_delay_alu instid0(VALU_DEP_1) | instskip(SKIP_1) | instid1(VALU_DEP_1)
	v_fmac_f32_e32 v3, v135, v111
	s_waitcnt vmcnt(0)
	v_fmac_f32_e32 v3, v136, v112
	s_waitcnt lgkmcnt(0)
	s_delay_alu instid0(VALU_DEP_1) | instskip(NEXT) | instid1(VALU_DEP_1)
	v_fmac_f32_e32 v3, v137, v113
	v_sub_f32_e32 v3, v108, v3
	scratch_store_b32 off, v3, off offset:88
	v_cmpx_lt_u32_e32 21, v0
	s_cbranch_execz .LBB51_277
; %bb.276:
	scratch_load_b32 v3, off, off offset:84
	scratch_store_b32 off, v2, off offset:84
	s_waitcnt vmcnt(0)
	ds_store_b32 v1, v3
.LBB51_277:
	s_or_b32 exec_lo, exec_lo, s0
	s_waitcnt lgkmcnt(0)
	s_waitcnt_vscnt null, 0x0
	s_barrier
	buffer_gl0_inv
	s_clause 0x7
	scratch_load_b128 v[108:111], off, off offset:84
	scratch_load_b128 v[112:115], off, off offset:100
	;; [unrolled: 1-line block ×7, first 2 shown]
	scratch_load_b96 v[144:146], off, off offset:196
	ds_load_2addr_b64 v[136:139], v2 offset0:37 offset1:38
	ds_load_2addr_b64 v[140:143], v2 offset0:39 offset1:40
	s_mov_b32 s0, exec_lo
	s_waitcnt vmcnt(7) lgkmcnt(1)
	v_fma_f32 v136, v109, v136, 0
	s_delay_alu instid0(VALU_DEP_1) | instskip(NEXT) | instid1(VALU_DEP_1)
	v_fmac_f32_e32 v136, v110, v137
	v_fmac_f32_e32 v136, v111, v138
	s_waitcnt vmcnt(6)
	s_delay_alu instid0(VALU_DEP_1) | instskip(SKIP_3) | instid1(VALU_DEP_1)
	v_fmac_f32_e32 v136, v112, v139
	ds_load_2addr_b64 v[109:112], v2 offset0:41 offset1:42
	s_waitcnt lgkmcnt(1)
	v_fmac_f32_e32 v136, v113, v140
	v_fmac_f32_e32 v136, v114, v141
	s_delay_alu instid0(VALU_DEP_1) | instskip(SKIP_1) | instid1(VALU_DEP_1)
	v_fmac_f32_e32 v136, v115, v142
	s_waitcnt vmcnt(5)
	v_fmac_f32_e32 v136, v116, v143
	ds_load_2addr_b64 v[113:116], v2 offset0:43 offset1:44
	s_waitcnt lgkmcnt(1)
	v_fmac_f32_e32 v136, v117, v109
	s_delay_alu instid0(VALU_DEP_1) | instskip(NEXT) | instid1(VALU_DEP_1)
	v_fmac_f32_e32 v136, v118, v110
	v_fmac_f32_e32 v136, v119, v111
	s_waitcnt vmcnt(4)
	s_delay_alu instid0(VALU_DEP_1) | instskip(SKIP_3) | instid1(VALU_DEP_1)
	v_fmac_f32_e32 v136, v120, v112
	ds_load_2addr_b64 v[109:112], v2 offset0:45 offset1:46
	s_waitcnt lgkmcnt(1)
	v_fmac_f32_e32 v136, v121, v113
	v_fmac_f32_e32 v136, v122, v114
	s_delay_alu instid0(VALU_DEP_1) | instskip(SKIP_1) | instid1(VALU_DEP_1)
	v_fmac_f32_e32 v136, v123, v115
	s_waitcnt vmcnt(3)
	v_fmac_f32_e32 v136, v124, v116
	ds_load_2addr_b64 v[113:116], v2 offset0:47 offset1:48
	s_waitcnt lgkmcnt(1)
	v_fmac_f32_e32 v136, v125, v109
	s_delay_alu instid0(VALU_DEP_1) | instskip(NEXT) | instid1(VALU_DEP_1)
	v_fmac_f32_e32 v136, v126, v110
	v_fmac_f32_e32 v136, v127, v111
	s_waitcnt vmcnt(2)
	s_delay_alu instid0(VALU_DEP_1) | instskip(SKIP_4) | instid1(VALU_DEP_1)
	v_fmac_f32_e32 v136, v128, v112
	ds_load_2addr_b64 v[109:112], v2 offset0:49 offset1:50
	ds_load_b64 v[2:3], v2 offset:408
	s_waitcnt lgkmcnt(2)
	v_fmac_f32_e32 v136, v129, v113
	v_fmac_f32_e32 v136, v130, v114
	s_delay_alu instid0(VALU_DEP_1) | instskip(SKIP_1) | instid1(VALU_DEP_1)
	v_fmac_f32_e32 v136, v131, v115
	s_waitcnt vmcnt(1)
	v_fmac_f32_e32 v136, v132, v116
	s_waitcnt lgkmcnt(1)
	s_delay_alu instid0(VALU_DEP_1) | instskip(NEXT) | instid1(VALU_DEP_1)
	v_fmac_f32_e32 v136, v133, v109
	v_fmac_f32_e32 v136, v134, v110
	s_delay_alu instid0(VALU_DEP_1) | instskip(SKIP_1) | instid1(VALU_DEP_1)
	v_fmac_f32_e32 v136, v135, v111
	s_waitcnt vmcnt(0)
	v_fmac_f32_e32 v136, v144, v112
	s_waitcnt lgkmcnt(0)
	s_delay_alu instid0(VALU_DEP_1) | instskip(NEXT) | instid1(VALU_DEP_1)
	v_fmac_f32_e32 v136, v145, v2
	v_fmac_f32_e32 v136, v146, v3
	s_delay_alu instid0(VALU_DEP_1)
	v_sub_f32_e32 v2, v108, v136
	scratch_store_b32 off, v2, off offset:84
	v_cmpx_lt_u32_e32 20, v0
	s_cbranch_execz .LBB51_279
; %bb.278:
	scratch_load_b32 v2, off, off offset:80
	v_mov_b32_e32 v3, 0
	scratch_store_b32 off, v3, off offset:80
	s_waitcnt vmcnt(0)
	ds_store_b32 v1, v2
.LBB51_279:
	s_or_b32 exec_lo, exec_lo, s0
	s_waitcnt lgkmcnt(0)
	s_waitcnt_vscnt null, 0x0
	s_barrier
	buffer_gl0_inv
	s_clause 0x7
	scratch_load_b128 v[108:111], off, off offset:80
	scratch_load_b128 v[112:115], off, off offset:96
	;; [unrolled: 1-line block ×8, first 2 shown]
	v_mov_b32_e32 v2, 0
	ds_load_2addr_b32 v[140:141], v2 offset0:73 offset1:74
	ds_load_2addr_b32 v[142:143], v2 offset0:75 offset1:76
	;; [unrolled: 1-line block ×4, first 2 shown]
	s_mov_b32 s0, exec_lo
	s_waitcnt vmcnt(7) lgkmcnt(3)
	v_fma_f32 v3, v109, v140, 0
	s_delay_alu instid0(VALU_DEP_1) | instskip(SKIP_4) | instid1(VALU_DEP_1)
	v_fmac_f32_e32 v3, v110, v141
	ds_load_2addr_b32 v[109:110], v2 offset0:81 offset1:82
	s_waitcnt lgkmcnt(3)
	v_fmac_f32_e32 v3, v111, v142
	s_waitcnt vmcnt(6)
	v_fmac_f32_e32 v3, v112, v143
	ds_load_2addr_b32 v[111:112], v2 offset0:83 offset1:84
	s_waitcnt lgkmcnt(3)
	v_fmac_f32_e32 v3, v113, v144
	s_delay_alu instid0(VALU_DEP_1) | instskip(SKIP_1) | instid1(VALU_DEP_1)
	v_fmac_f32_e32 v3, v114, v145
	s_waitcnt lgkmcnt(2)
	v_fmac_f32_e32 v3, v115, v146
	s_waitcnt vmcnt(5)
	s_delay_alu instid0(VALU_DEP_1) | instskip(SKIP_4) | instid1(VALU_DEP_1)
	v_fmac_f32_e32 v3, v116, v147
	ds_load_2addr_b32 v[113:114], v2 offset0:85 offset1:86
	ds_load_2addr_b32 v[115:116], v2 offset0:87 offset1:88
	s_waitcnt lgkmcnt(3)
	v_fmac_f32_e32 v3, v117, v109
	v_fmac_f32_e32 v3, v118, v110
	ds_load_2addr_b32 v[109:110], v2 offset0:89 offset1:90
	s_waitcnt lgkmcnt(3)
	v_fmac_f32_e32 v3, v119, v111
	s_waitcnt vmcnt(4)
	s_delay_alu instid0(VALU_DEP_1) | instskip(SKIP_3) | instid1(VALU_DEP_1)
	v_fmac_f32_e32 v3, v120, v112
	ds_load_2addr_b32 v[111:112], v2 offset0:91 offset1:92
	s_waitcnt lgkmcnt(3)
	v_fmac_f32_e32 v3, v121, v113
	v_fmac_f32_e32 v3, v122, v114
	s_waitcnt lgkmcnt(2)
	s_delay_alu instid0(VALU_DEP_1) | instskip(SKIP_1) | instid1(VALU_DEP_1)
	v_fmac_f32_e32 v3, v123, v115
	s_waitcnt vmcnt(3)
	v_fmac_f32_e32 v3, v124, v116
	ds_load_2addr_b32 v[113:114], v2 offset0:93 offset1:94
	ds_load_2addr_b32 v[115:116], v2 offset0:95 offset1:96
	s_waitcnt lgkmcnt(3)
	v_fmac_f32_e32 v3, v125, v109
	s_delay_alu instid0(VALU_DEP_1) | instskip(SKIP_4) | instid1(VALU_DEP_1)
	v_fmac_f32_e32 v3, v126, v110
	ds_load_2addr_b32 v[109:110], v2 offset0:97 offset1:98
	s_waitcnt lgkmcnt(3)
	v_fmac_f32_e32 v3, v127, v111
	s_waitcnt vmcnt(2)
	v_fmac_f32_e32 v3, v128, v112
	ds_load_2addr_b32 v[111:112], v2 offset0:99 offset1:100
	s_waitcnt lgkmcnt(3)
	v_fmac_f32_e32 v3, v129, v113
	s_delay_alu instid0(VALU_DEP_1) | instskip(SKIP_1) | instid1(VALU_DEP_1)
	v_fmac_f32_e32 v3, v130, v114
	s_waitcnt lgkmcnt(2)
	v_fmac_f32_e32 v3, v131, v115
	ds_load_2addr_b32 v[113:114], v2 offset0:101 offset1:102
	ds_load_b32 v115, v2 offset:412
	s_waitcnt vmcnt(1)
	v_fmac_f32_e32 v3, v132, v116
	s_waitcnt lgkmcnt(3)
	s_delay_alu instid0(VALU_DEP_1) | instskip(NEXT) | instid1(VALU_DEP_1)
	v_fmac_f32_e32 v3, v133, v109
	v_fmac_f32_e32 v3, v134, v110
	s_waitcnt lgkmcnt(2)
	s_delay_alu instid0(VALU_DEP_1) | instskip(SKIP_1) | instid1(VALU_DEP_1)
	v_fmac_f32_e32 v3, v135, v111
	s_waitcnt vmcnt(0)
	v_fmac_f32_e32 v3, v136, v112
	s_waitcnt lgkmcnt(1)
	s_delay_alu instid0(VALU_DEP_1) | instskip(NEXT) | instid1(VALU_DEP_1)
	v_fmac_f32_e32 v3, v137, v113
	v_fmac_f32_e32 v3, v138, v114
	s_waitcnt lgkmcnt(0)
	s_delay_alu instid0(VALU_DEP_1) | instskip(NEXT) | instid1(VALU_DEP_1)
	v_fmac_f32_e32 v3, v139, v115
	v_sub_f32_e32 v3, v108, v3
	scratch_store_b32 off, v3, off offset:80
	v_cmpx_lt_u32_e32 19, v0
	s_cbranch_execz .LBB51_281
; %bb.280:
	scratch_load_b32 v3, off, off offset:76
	scratch_store_b32 off, v2, off offset:76
	s_waitcnt vmcnt(0)
	ds_store_b32 v1, v3
.LBB51_281:
	s_or_b32 exec_lo, exec_lo, s0
	s_waitcnt lgkmcnt(0)
	s_waitcnt_vscnt null, 0x0
	s_barrier
	buffer_gl0_inv
	s_clause 0x8
	scratch_load_b128 v[108:111], off, off offset:76
	scratch_load_b128 v[112:115], off, off offset:92
	scratch_load_b128 v[116:119], off, off offset:108
	scratch_load_b128 v[120:123], off, off offset:124
	scratch_load_b128 v[124:127], off, off offset:140
	scratch_load_b128 v[128:131], off, off offset:156
	scratch_load_b128 v[132:135], off, off offset:172
	scratch_load_b128 v[136:139], off, off offset:188
	scratch_load_b32 v3, off, off offset:204
	ds_load_b128 v[140:143], v2 offset:288
	ds_load_b128 v[144:147], v2 offset:304
	s_mov_b32 s0, exec_lo
	s_waitcnt vmcnt(8) lgkmcnt(1)
	v_fma_f32 v140, v109, v140, 0
	s_delay_alu instid0(VALU_DEP_1) | instskip(NEXT) | instid1(VALU_DEP_1)
	v_fmac_f32_e32 v140, v110, v141
	v_fmac_f32_e32 v140, v111, v142
	s_waitcnt vmcnt(7)
	s_delay_alu instid0(VALU_DEP_1) | instskip(SKIP_3) | instid1(VALU_DEP_1)
	v_fmac_f32_e32 v140, v112, v143
	ds_load_b128 v[109:112], v2 offset:320
	s_waitcnt lgkmcnt(1)
	v_fmac_f32_e32 v140, v113, v144
	v_fmac_f32_e32 v140, v114, v145
	s_delay_alu instid0(VALU_DEP_1) | instskip(SKIP_1) | instid1(VALU_DEP_1)
	v_fmac_f32_e32 v140, v115, v146
	s_waitcnt vmcnt(6)
	v_fmac_f32_e32 v140, v116, v147
	ds_load_b128 v[113:116], v2 offset:336
	s_waitcnt lgkmcnt(1)
	v_fmac_f32_e32 v140, v117, v109
	s_delay_alu instid0(VALU_DEP_1) | instskip(NEXT) | instid1(VALU_DEP_1)
	v_fmac_f32_e32 v140, v118, v110
	v_fmac_f32_e32 v140, v119, v111
	s_waitcnt vmcnt(5)
	s_delay_alu instid0(VALU_DEP_1) | instskip(SKIP_3) | instid1(VALU_DEP_1)
	v_fmac_f32_e32 v140, v120, v112
	ds_load_b128 v[109:112], v2 offset:352
	s_waitcnt lgkmcnt(1)
	v_fmac_f32_e32 v140, v121, v113
	v_fmac_f32_e32 v140, v122, v114
	s_delay_alu instid0(VALU_DEP_1) | instskip(SKIP_1) | instid1(VALU_DEP_1)
	v_fmac_f32_e32 v140, v123, v115
	s_waitcnt vmcnt(4)
	v_fmac_f32_e32 v140, v124, v116
	ds_load_b128 v[113:116], v2 offset:368
	s_waitcnt lgkmcnt(1)
	v_fmac_f32_e32 v140, v125, v109
	;; [unrolled: 17-line block ×3, first 2 shown]
	s_delay_alu instid0(VALU_DEP_1) | instskip(NEXT) | instid1(VALU_DEP_1)
	v_fmac_f32_e32 v140, v134, v110
	v_fmac_f32_e32 v140, v135, v111
	s_waitcnt vmcnt(1)
	s_delay_alu instid0(VALU_DEP_1) | instskip(SKIP_1) | instid1(VALU_DEP_1)
	v_fmac_f32_e32 v140, v136, v112
	s_waitcnt lgkmcnt(0)
	v_fmac_f32_e32 v140, v137, v113
	s_delay_alu instid0(VALU_DEP_1) | instskip(NEXT) | instid1(VALU_DEP_1)
	v_fmac_f32_e32 v140, v138, v114
	v_fmac_f32_e32 v140, v139, v115
	s_waitcnt vmcnt(0)
	s_delay_alu instid0(VALU_DEP_1) | instskip(NEXT) | instid1(VALU_DEP_1)
	v_fmac_f32_e32 v140, v3, v116
	v_sub_f32_e32 v2, v108, v140
	scratch_store_b32 off, v2, off offset:76
	v_cmpx_lt_u32_e32 18, v0
	s_cbranch_execz .LBB51_283
; %bb.282:
	scratch_load_b32 v2, off, off offset:72
	v_mov_b32_e32 v3, 0
	scratch_store_b32 off, v3, off offset:72
	s_waitcnt vmcnt(0)
	ds_store_b32 v1, v2
.LBB51_283:
	s_or_b32 exec_lo, exec_lo, s0
	s_waitcnt lgkmcnt(0)
	s_waitcnt_vscnt null, 0x0
	s_barrier
	buffer_gl0_inv
	s_clause 0x8
	scratch_load_b128 v[108:111], off, off offset:72
	scratch_load_b128 v[112:115], off, off offset:88
	;; [unrolled: 1-line block ×8, first 2 shown]
	scratch_load_b64 v[140:141], off, off offset:200
	v_mov_b32_e32 v2, 0
	ds_load_2addr_b32 v[142:143], v2 offset0:71 offset1:72
	ds_load_2addr_b32 v[144:145], v2 offset0:73 offset1:74
	;; [unrolled: 1-line block ×4, first 2 shown]
	s_mov_b32 s0, exec_lo
	s_waitcnt vmcnt(8) lgkmcnt(3)
	v_fma_f32 v3, v109, v142, 0
	s_delay_alu instid0(VALU_DEP_1) | instskip(SKIP_4) | instid1(VALU_DEP_1)
	v_fmac_f32_e32 v3, v110, v143
	ds_load_2addr_b32 v[109:110], v2 offset0:79 offset1:80
	s_waitcnt lgkmcnt(3)
	v_fmac_f32_e32 v3, v111, v144
	s_waitcnt vmcnt(7)
	v_fmac_f32_e32 v3, v112, v145
	ds_load_2addr_b32 v[111:112], v2 offset0:81 offset1:82
	s_waitcnt lgkmcnt(3)
	v_fmac_f32_e32 v3, v113, v146
	s_delay_alu instid0(VALU_DEP_1) | instskip(SKIP_1) | instid1(VALU_DEP_1)
	v_fmac_f32_e32 v3, v114, v147
	s_waitcnt lgkmcnt(2)
	v_fmac_f32_e32 v3, v115, v148
	s_waitcnt vmcnt(6)
	s_delay_alu instid0(VALU_DEP_1) | instskip(SKIP_4) | instid1(VALU_DEP_1)
	v_fmac_f32_e32 v3, v116, v149
	ds_load_2addr_b32 v[113:114], v2 offset0:83 offset1:84
	ds_load_2addr_b32 v[115:116], v2 offset0:85 offset1:86
	s_waitcnt lgkmcnt(3)
	v_fmac_f32_e32 v3, v117, v109
	v_fmac_f32_e32 v3, v118, v110
	ds_load_2addr_b32 v[109:110], v2 offset0:87 offset1:88
	s_waitcnt lgkmcnt(3)
	v_fmac_f32_e32 v3, v119, v111
	s_waitcnt vmcnt(5)
	s_delay_alu instid0(VALU_DEP_1) | instskip(SKIP_3) | instid1(VALU_DEP_1)
	v_fmac_f32_e32 v3, v120, v112
	ds_load_2addr_b32 v[111:112], v2 offset0:89 offset1:90
	s_waitcnt lgkmcnt(3)
	v_fmac_f32_e32 v3, v121, v113
	v_fmac_f32_e32 v3, v122, v114
	s_waitcnt lgkmcnt(2)
	s_delay_alu instid0(VALU_DEP_1) | instskip(SKIP_1) | instid1(VALU_DEP_1)
	v_fmac_f32_e32 v3, v123, v115
	s_waitcnt vmcnt(4)
	v_fmac_f32_e32 v3, v124, v116
	ds_load_2addr_b32 v[113:114], v2 offset0:91 offset1:92
	ds_load_2addr_b32 v[115:116], v2 offset0:93 offset1:94
	s_waitcnt lgkmcnt(3)
	v_fmac_f32_e32 v3, v125, v109
	s_delay_alu instid0(VALU_DEP_1) | instskip(SKIP_4) | instid1(VALU_DEP_1)
	v_fmac_f32_e32 v3, v126, v110
	ds_load_2addr_b32 v[109:110], v2 offset0:95 offset1:96
	s_waitcnt lgkmcnt(3)
	v_fmac_f32_e32 v3, v127, v111
	s_waitcnt vmcnt(3)
	v_fmac_f32_e32 v3, v128, v112
	ds_load_2addr_b32 v[111:112], v2 offset0:97 offset1:98
	s_waitcnt lgkmcnt(3)
	v_fmac_f32_e32 v3, v129, v113
	s_delay_alu instid0(VALU_DEP_1) | instskip(SKIP_1) | instid1(VALU_DEP_1)
	v_fmac_f32_e32 v3, v130, v114
	s_waitcnt lgkmcnt(2)
	v_fmac_f32_e32 v3, v131, v115
	s_waitcnt vmcnt(2)
	s_delay_alu instid0(VALU_DEP_1)
	v_fmac_f32_e32 v3, v132, v116
	ds_load_2addr_b32 v[113:114], v2 offset0:99 offset1:100
	ds_load_2addr_b32 v[115:116], v2 offset0:101 offset1:102
	s_waitcnt lgkmcnt(3)
	v_fmac_f32_e32 v3, v133, v109
	ds_load_b32 v109, v2 offset:412
	v_fmac_f32_e32 v3, v134, v110
	s_waitcnt lgkmcnt(3)
	s_delay_alu instid0(VALU_DEP_1) | instskip(SKIP_1) | instid1(VALU_DEP_1)
	v_fmac_f32_e32 v3, v135, v111
	s_waitcnt vmcnt(1)
	v_fmac_f32_e32 v3, v136, v112
	s_waitcnt lgkmcnt(2)
	s_delay_alu instid0(VALU_DEP_1) | instskip(NEXT) | instid1(VALU_DEP_1)
	v_fmac_f32_e32 v3, v137, v113
	v_fmac_f32_e32 v3, v138, v114
	s_waitcnt lgkmcnt(1)
	s_delay_alu instid0(VALU_DEP_1) | instskip(SKIP_1) | instid1(VALU_DEP_1)
	v_fmac_f32_e32 v3, v139, v115
	s_waitcnt vmcnt(0)
	v_fmac_f32_e32 v3, v140, v116
	s_waitcnt lgkmcnt(0)
	s_delay_alu instid0(VALU_DEP_1) | instskip(NEXT) | instid1(VALU_DEP_1)
	v_fmac_f32_e32 v3, v141, v109
	v_sub_f32_e32 v3, v108, v3
	scratch_store_b32 off, v3, off offset:72
	v_cmpx_lt_u32_e32 17, v0
	s_cbranch_execz .LBB51_285
; %bb.284:
	scratch_load_b32 v3, off, off offset:68
	scratch_store_b32 off, v2, off offset:68
	s_waitcnt vmcnt(0)
	ds_store_b32 v1, v3
.LBB51_285:
	s_or_b32 exec_lo, exec_lo, s0
	s_waitcnt lgkmcnt(0)
	s_waitcnt_vscnt null, 0x0
	s_barrier
	buffer_gl0_inv
	s_clause 0x8
	scratch_load_b128 v[108:111], off, off offset:68
	scratch_load_b128 v[112:115], off, off offset:84
	;; [unrolled: 1-line block ×8, first 2 shown]
	scratch_load_b96 v[148:150], off, off offset:196
	ds_load_2addr_b64 v[140:143], v2 offset0:35 offset1:36
	ds_load_2addr_b64 v[144:147], v2 offset0:37 offset1:38
	s_mov_b32 s0, exec_lo
	s_waitcnt vmcnt(8) lgkmcnt(1)
	v_fma_f32 v140, v109, v140, 0
	s_delay_alu instid0(VALU_DEP_1) | instskip(NEXT) | instid1(VALU_DEP_1)
	v_fmac_f32_e32 v140, v110, v141
	v_fmac_f32_e32 v140, v111, v142
	s_waitcnt vmcnt(7)
	s_delay_alu instid0(VALU_DEP_1) | instskip(SKIP_3) | instid1(VALU_DEP_1)
	v_fmac_f32_e32 v140, v112, v143
	ds_load_2addr_b64 v[109:112], v2 offset0:39 offset1:40
	s_waitcnt lgkmcnt(1)
	v_fmac_f32_e32 v140, v113, v144
	v_fmac_f32_e32 v140, v114, v145
	s_delay_alu instid0(VALU_DEP_1) | instskip(SKIP_1) | instid1(VALU_DEP_1)
	v_fmac_f32_e32 v140, v115, v146
	s_waitcnt vmcnt(6)
	v_fmac_f32_e32 v140, v116, v147
	ds_load_2addr_b64 v[113:116], v2 offset0:41 offset1:42
	s_waitcnt lgkmcnt(1)
	v_fmac_f32_e32 v140, v117, v109
	s_delay_alu instid0(VALU_DEP_1) | instskip(NEXT) | instid1(VALU_DEP_1)
	v_fmac_f32_e32 v140, v118, v110
	v_fmac_f32_e32 v140, v119, v111
	s_waitcnt vmcnt(5)
	s_delay_alu instid0(VALU_DEP_1) | instskip(SKIP_3) | instid1(VALU_DEP_1)
	v_fmac_f32_e32 v140, v120, v112
	ds_load_2addr_b64 v[109:112], v2 offset0:43 offset1:44
	s_waitcnt lgkmcnt(1)
	v_fmac_f32_e32 v140, v121, v113
	v_fmac_f32_e32 v140, v122, v114
	s_delay_alu instid0(VALU_DEP_1) | instskip(SKIP_1) | instid1(VALU_DEP_1)
	v_fmac_f32_e32 v140, v123, v115
	s_waitcnt vmcnt(4)
	v_fmac_f32_e32 v140, v124, v116
	ds_load_2addr_b64 v[113:116], v2 offset0:45 offset1:46
	s_waitcnt lgkmcnt(1)
	v_fmac_f32_e32 v140, v125, v109
	s_delay_alu instid0(VALU_DEP_1) | instskip(NEXT) | instid1(VALU_DEP_1)
	v_fmac_f32_e32 v140, v126, v110
	v_fmac_f32_e32 v140, v127, v111
	s_waitcnt vmcnt(3)
	s_delay_alu instid0(VALU_DEP_1) | instskip(SKIP_3) | instid1(VALU_DEP_1)
	v_fmac_f32_e32 v140, v128, v112
	ds_load_2addr_b64 v[109:112], v2 offset0:47 offset1:48
	s_waitcnt lgkmcnt(1)
	v_fmac_f32_e32 v140, v129, v113
	v_fmac_f32_e32 v140, v130, v114
	s_delay_alu instid0(VALU_DEP_1) | instskip(SKIP_1) | instid1(VALU_DEP_1)
	v_fmac_f32_e32 v140, v131, v115
	s_waitcnt vmcnt(2)
	v_fmac_f32_e32 v140, v132, v116
	ds_load_2addr_b64 v[113:116], v2 offset0:49 offset1:50
	ds_load_b64 v[2:3], v2 offset:408
	s_waitcnt lgkmcnt(2)
	v_fmac_f32_e32 v140, v133, v109
	s_delay_alu instid0(VALU_DEP_1) | instskip(NEXT) | instid1(VALU_DEP_1)
	v_fmac_f32_e32 v140, v134, v110
	v_fmac_f32_e32 v140, v135, v111
	s_waitcnt vmcnt(1)
	s_delay_alu instid0(VALU_DEP_1) | instskip(SKIP_1) | instid1(VALU_DEP_1)
	v_fmac_f32_e32 v140, v136, v112
	s_waitcnt lgkmcnt(1)
	v_fmac_f32_e32 v140, v137, v113
	s_delay_alu instid0(VALU_DEP_1) | instskip(NEXT) | instid1(VALU_DEP_1)
	v_fmac_f32_e32 v140, v138, v114
	v_fmac_f32_e32 v140, v139, v115
	s_waitcnt vmcnt(0)
	s_delay_alu instid0(VALU_DEP_1) | instskip(SKIP_1) | instid1(VALU_DEP_1)
	v_fmac_f32_e32 v140, v148, v116
	s_waitcnt lgkmcnt(0)
	v_fmac_f32_e32 v140, v149, v2
	s_delay_alu instid0(VALU_DEP_1) | instskip(NEXT) | instid1(VALU_DEP_1)
	v_fmac_f32_e32 v140, v150, v3
	v_sub_f32_e32 v2, v108, v140
	scratch_store_b32 off, v2, off offset:68
	v_cmpx_lt_u32_e32 16, v0
	s_cbranch_execz .LBB51_287
; %bb.286:
	scratch_load_b32 v2, off, off offset:64
	v_mov_b32_e32 v3, 0
	scratch_store_b32 off, v3, off offset:64
	s_waitcnt vmcnt(0)
	ds_store_b32 v1, v2
.LBB51_287:
	s_or_b32 exec_lo, exec_lo, s0
	s_waitcnt lgkmcnt(0)
	s_waitcnt_vscnt null, 0x0
	s_barrier
	buffer_gl0_inv
	s_clause 0x8
	scratch_load_b128 v[108:111], off, off offset:64
	scratch_load_b128 v[112:115], off, off offset:80
	;; [unrolled: 1-line block ×9, first 2 shown]
	v_mov_b32_e32 v2, 0
	ds_load_2addr_b32 v[144:145], v2 offset0:69 offset1:70
	ds_load_2addr_b32 v[146:147], v2 offset0:71 offset1:72
	;; [unrolled: 1-line block ×4, first 2 shown]
	s_mov_b32 s0, exec_lo
	s_waitcnt vmcnt(8) lgkmcnt(3)
	v_fma_f32 v3, v109, v144, 0
	s_delay_alu instid0(VALU_DEP_1) | instskip(SKIP_4) | instid1(VALU_DEP_1)
	v_fmac_f32_e32 v3, v110, v145
	ds_load_2addr_b32 v[109:110], v2 offset0:77 offset1:78
	s_waitcnt lgkmcnt(3)
	v_fmac_f32_e32 v3, v111, v146
	s_waitcnt vmcnt(7)
	v_fmac_f32_e32 v3, v112, v147
	ds_load_2addr_b32 v[111:112], v2 offset0:79 offset1:80
	s_waitcnt lgkmcnt(3)
	v_fmac_f32_e32 v3, v113, v148
	s_delay_alu instid0(VALU_DEP_1) | instskip(SKIP_1) | instid1(VALU_DEP_1)
	v_fmac_f32_e32 v3, v114, v149
	s_waitcnt lgkmcnt(2)
	v_fmac_f32_e32 v3, v115, v150
	s_waitcnt vmcnt(6)
	s_delay_alu instid0(VALU_DEP_1) | instskip(SKIP_4) | instid1(VALU_DEP_1)
	v_fmac_f32_e32 v3, v116, v151
	ds_load_2addr_b32 v[113:114], v2 offset0:81 offset1:82
	ds_load_2addr_b32 v[115:116], v2 offset0:83 offset1:84
	s_waitcnt lgkmcnt(3)
	v_fmac_f32_e32 v3, v117, v109
	v_fmac_f32_e32 v3, v118, v110
	ds_load_2addr_b32 v[109:110], v2 offset0:85 offset1:86
	s_waitcnt lgkmcnt(3)
	v_fmac_f32_e32 v3, v119, v111
	s_waitcnt vmcnt(5)
	s_delay_alu instid0(VALU_DEP_1) | instskip(SKIP_3) | instid1(VALU_DEP_1)
	v_fmac_f32_e32 v3, v120, v112
	ds_load_2addr_b32 v[111:112], v2 offset0:87 offset1:88
	s_waitcnt lgkmcnt(3)
	v_fmac_f32_e32 v3, v121, v113
	v_fmac_f32_e32 v3, v122, v114
	s_waitcnt lgkmcnt(2)
	s_delay_alu instid0(VALU_DEP_1) | instskip(SKIP_1) | instid1(VALU_DEP_1)
	v_fmac_f32_e32 v3, v123, v115
	s_waitcnt vmcnt(4)
	v_fmac_f32_e32 v3, v124, v116
	ds_load_2addr_b32 v[113:114], v2 offset0:89 offset1:90
	ds_load_2addr_b32 v[115:116], v2 offset0:91 offset1:92
	s_waitcnt lgkmcnt(3)
	v_fmac_f32_e32 v3, v125, v109
	s_delay_alu instid0(VALU_DEP_1) | instskip(SKIP_4) | instid1(VALU_DEP_1)
	v_fmac_f32_e32 v3, v126, v110
	ds_load_2addr_b32 v[109:110], v2 offset0:93 offset1:94
	s_waitcnt lgkmcnt(3)
	v_fmac_f32_e32 v3, v127, v111
	s_waitcnt vmcnt(3)
	v_fmac_f32_e32 v3, v128, v112
	ds_load_2addr_b32 v[111:112], v2 offset0:95 offset1:96
	s_waitcnt lgkmcnt(3)
	v_fmac_f32_e32 v3, v129, v113
	s_delay_alu instid0(VALU_DEP_1) | instskip(SKIP_1) | instid1(VALU_DEP_1)
	v_fmac_f32_e32 v3, v130, v114
	s_waitcnt lgkmcnt(2)
	v_fmac_f32_e32 v3, v131, v115
	s_waitcnt vmcnt(2)
	s_delay_alu instid0(VALU_DEP_1) | instskip(SKIP_4) | instid1(VALU_DEP_1)
	v_fmac_f32_e32 v3, v132, v116
	ds_load_2addr_b32 v[113:114], v2 offset0:97 offset1:98
	ds_load_2addr_b32 v[115:116], v2 offset0:99 offset1:100
	s_waitcnt lgkmcnt(3)
	v_fmac_f32_e32 v3, v133, v109
	v_fmac_f32_e32 v3, v134, v110
	ds_load_2addr_b32 v[109:110], v2 offset0:101 offset1:102
	s_waitcnt lgkmcnt(3)
	v_fmac_f32_e32 v3, v135, v111
	ds_load_b32 v111, v2 offset:412
	s_waitcnt vmcnt(1)
	v_fmac_f32_e32 v3, v136, v112
	s_waitcnt lgkmcnt(3)
	s_delay_alu instid0(VALU_DEP_1) | instskip(NEXT) | instid1(VALU_DEP_1)
	v_fmac_f32_e32 v3, v137, v113
	v_fmac_f32_e32 v3, v138, v114
	s_waitcnt lgkmcnt(2)
	s_delay_alu instid0(VALU_DEP_1) | instskip(SKIP_1) | instid1(VALU_DEP_1)
	v_fmac_f32_e32 v3, v139, v115
	s_waitcnt vmcnt(0)
	v_fmac_f32_e32 v3, v140, v116
	s_waitcnt lgkmcnt(1)
	s_delay_alu instid0(VALU_DEP_1) | instskip(NEXT) | instid1(VALU_DEP_1)
	v_fmac_f32_e32 v3, v141, v109
	v_fmac_f32_e32 v3, v142, v110
	s_waitcnt lgkmcnt(0)
	s_delay_alu instid0(VALU_DEP_1) | instskip(NEXT) | instid1(VALU_DEP_1)
	v_fmac_f32_e32 v3, v143, v111
	v_sub_f32_e32 v3, v108, v3
	scratch_store_b32 off, v3, off offset:64
	v_cmpx_lt_u32_e32 15, v0
	s_cbranch_execz .LBB51_289
; %bb.288:
	scratch_load_b32 v3, off, off offset:60
	scratch_store_b32 off, v2, off offset:60
	s_waitcnt vmcnt(0)
	ds_store_b32 v1, v3
.LBB51_289:
	s_or_b32 exec_lo, exec_lo, s0
	s_waitcnt lgkmcnt(0)
	s_waitcnt_vscnt null, 0x0
	s_barrier
	buffer_gl0_inv
	s_clause 0x9
	scratch_load_b128 v[108:111], off, off offset:60
	scratch_load_b128 v[112:115], off, off offset:76
	;; [unrolled: 1-line block ×9, first 2 shown]
	scratch_load_b32 v3, off, off offset:204
	ds_load_b128 v[144:147], v2 offset:272
	ds_load_b128 v[148:151], v2 offset:288
	s_mov_b32 s0, exec_lo
	s_waitcnt vmcnt(9) lgkmcnt(1)
	v_fma_f32 v144, v109, v144, 0
	s_delay_alu instid0(VALU_DEP_1) | instskip(NEXT) | instid1(VALU_DEP_1)
	v_fmac_f32_e32 v144, v110, v145
	v_fmac_f32_e32 v144, v111, v146
	s_waitcnt vmcnt(8)
	s_delay_alu instid0(VALU_DEP_1) | instskip(SKIP_3) | instid1(VALU_DEP_1)
	v_fmac_f32_e32 v144, v112, v147
	ds_load_b128 v[109:112], v2 offset:304
	s_waitcnt lgkmcnt(1)
	v_fmac_f32_e32 v144, v113, v148
	v_fmac_f32_e32 v144, v114, v149
	s_delay_alu instid0(VALU_DEP_1) | instskip(SKIP_1) | instid1(VALU_DEP_1)
	v_fmac_f32_e32 v144, v115, v150
	s_waitcnt vmcnt(7)
	v_fmac_f32_e32 v144, v116, v151
	ds_load_b128 v[113:116], v2 offset:320
	s_waitcnt lgkmcnt(1)
	v_fmac_f32_e32 v144, v117, v109
	s_delay_alu instid0(VALU_DEP_1) | instskip(NEXT) | instid1(VALU_DEP_1)
	v_fmac_f32_e32 v144, v118, v110
	v_fmac_f32_e32 v144, v119, v111
	s_waitcnt vmcnt(6)
	s_delay_alu instid0(VALU_DEP_1) | instskip(SKIP_3) | instid1(VALU_DEP_1)
	v_fmac_f32_e32 v144, v120, v112
	ds_load_b128 v[109:112], v2 offset:336
	s_waitcnt lgkmcnt(1)
	v_fmac_f32_e32 v144, v121, v113
	v_fmac_f32_e32 v144, v122, v114
	s_delay_alu instid0(VALU_DEP_1) | instskip(SKIP_1) | instid1(VALU_DEP_1)
	v_fmac_f32_e32 v144, v123, v115
	s_waitcnt vmcnt(5)
	v_fmac_f32_e32 v144, v124, v116
	ds_load_b128 v[113:116], v2 offset:352
	s_waitcnt lgkmcnt(1)
	v_fmac_f32_e32 v144, v125, v109
	;; [unrolled: 17-line block ×3, first 2 shown]
	s_delay_alu instid0(VALU_DEP_1) | instskip(NEXT) | instid1(VALU_DEP_1)
	v_fmac_f32_e32 v144, v134, v110
	v_fmac_f32_e32 v144, v135, v111
	s_waitcnt vmcnt(2)
	s_delay_alu instid0(VALU_DEP_1) | instskip(SKIP_3) | instid1(VALU_DEP_1)
	v_fmac_f32_e32 v144, v136, v112
	ds_load_b128 v[109:112], v2 offset:400
	s_waitcnt lgkmcnt(1)
	v_fmac_f32_e32 v144, v137, v113
	v_fmac_f32_e32 v144, v138, v114
	s_delay_alu instid0(VALU_DEP_1) | instskip(SKIP_1) | instid1(VALU_DEP_1)
	v_fmac_f32_e32 v144, v139, v115
	s_waitcnt vmcnt(1)
	v_fmac_f32_e32 v144, v140, v116
	s_waitcnt lgkmcnt(0)
	s_delay_alu instid0(VALU_DEP_1) | instskip(NEXT) | instid1(VALU_DEP_1)
	v_fmac_f32_e32 v144, v141, v109
	v_fmac_f32_e32 v144, v142, v110
	s_delay_alu instid0(VALU_DEP_1) | instskip(SKIP_1) | instid1(VALU_DEP_1)
	v_fmac_f32_e32 v144, v143, v111
	s_waitcnt vmcnt(0)
	v_fmac_f32_e32 v144, v3, v112
	s_delay_alu instid0(VALU_DEP_1)
	v_sub_f32_e32 v2, v108, v144
	scratch_store_b32 off, v2, off offset:60
	v_cmpx_lt_u32_e32 14, v0
	s_cbranch_execz .LBB51_291
; %bb.290:
	scratch_load_b32 v2, off, off offset:56
	v_mov_b32_e32 v3, 0
	scratch_store_b32 off, v3, off offset:56
	s_waitcnt vmcnt(0)
	ds_store_b32 v1, v2
.LBB51_291:
	s_or_b32 exec_lo, exec_lo, s0
	s_waitcnt lgkmcnt(0)
	s_waitcnt_vscnt null, 0x0
	s_barrier
	buffer_gl0_inv
	s_clause 0x9
	scratch_load_b128 v[108:111], off, off offset:56
	scratch_load_b128 v[112:115], off, off offset:72
	;; [unrolled: 1-line block ×9, first 2 shown]
	scratch_load_b64 v[144:145], off, off offset:200
	v_mov_b32_e32 v2, 0
	ds_load_2addr_b32 v[146:147], v2 offset0:67 offset1:68
	ds_load_2addr_b32 v[148:149], v2 offset0:69 offset1:70
	;; [unrolled: 1-line block ×4, first 2 shown]
	s_mov_b32 s0, exec_lo
	s_waitcnt vmcnt(9) lgkmcnt(3)
	v_fma_f32 v3, v109, v146, 0
	s_delay_alu instid0(VALU_DEP_1) | instskip(SKIP_4) | instid1(VALU_DEP_1)
	v_fmac_f32_e32 v3, v110, v147
	ds_load_2addr_b32 v[109:110], v2 offset0:75 offset1:76
	s_waitcnt lgkmcnt(3)
	v_fmac_f32_e32 v3, v111, v148
	s_waitcnt vmcnt(8)
	v_fmac_f32_e32 v3, v112, v149
	ds_load_2addr_b32 v[111:112], v2 offset0:77 offset1:78
	s_waitcnt lgkmcnt(3)
	v_fmac_f32_e32 v3, v113, v150
	s_delay_alu instid0(VALU_DEP_1) | instskip(SKIP_1) | instid1(VALU_DEP_1)
	v_fmac_f32_e32 v3, v114, v151
	s_waitcnt lgkmcnt(2)
	v_fmac_f32_e32 v3, v115, v152
	s_waitcnt vmcnt(7)
	s_delay_alu instid0(VALU_DEP_1) | instskip(SKIP_4) | instid1(VALU_DEP_1)
	v_fmac_f32_e32 v3, v116, v153
	ds_load_2addr_b32 v[113:114], v2 offset0:79 offset1:80
	ds_load_2addr_b32 v[115:116], v2 offset0:81 offset1:82
	s_waitcnt lgkmcnt(3)
	v_fmac_f32_e32 v3, v117, v109
	v_fmac_f32_e32 v3, v118, v110
	ds_load_2addr_b32 v[109:110], v2 offset0:83 offset1:84
	s_waitcnt lgkmcnt(3)
	v_fmac_f32_e32 v3, v119, v111
	s_waitcnt vmcnt(6)
	s_delay_alu instid0(VALU_DEP_1) | instskip(SKIP_3) | instid1(VALU_DEP_1)
	v_fmac_f32_e32 v3, v120, v112
	ds_load_2addr_b32 v[111:112], v2 offset0:85 offset1:86
	s_waitcnt lgkmcnt(3)
	v_fmac_f32_e32 v3, v121, v113
	v_fmac_f32_e32 v3, v122, v114
	s_waitcnt lgkmcnt(2)
	s_delay_alu instid0(VALU_DEP_1) | instskip(SKIP_1) | instid1(VALU_DEP_1)
	v_fmac_f32_e32 v3, v123, v115
	s_waitcnt vmcnt(5)
	v_fmac_f32_e32 v3, v124, v116
	ds_load_2addr_b32 v[113:114], v2 offset0:87 offset1:88
	ds_load_2addr_b32 v[115:116], v2 offset0:89 offset1:90
	s_waitcnt lgkmcnt(3)
	v_fmac_f32_e32 v3, v125, v109
	s_delay_alu instid0(VALU_DEP_1) | instskip(SKIP_4) | instid1(VALU_DEP_1)
	v_fmac_f32_e32 v3, v126, v110
	ds_load_2addr_b32 v[109:110], v2 offset0:91 offset1:92
	s_waitcnt lgkmcnt(3)
	v_fmac_f32_e32 v3, v127, v111
	s_waitcnt vmcnt(4)
	v_fmac_f32_e32 v3, v128, v112
	ds_load_2addr_b32 v[111:112], v2 offset0:93 offset1:94
	s_waitcnt lgkmcnt(3)
	v_fmac_f32_e32 v3, v129, v113
	s_delay_alu instid0(VALU_DEP_1) | instskip(SKIP_1) | instid1(VALU_DEP_1)
	v_fmac_f32_e32 v3, v130, v114
	s_waitcnt lgkmcnt(2)
	v_fmac_f32_e32 v3, v131, v115
	s_waitcnt vmcnt(3)
	s_delay_alu instid0(VALU_DEP_1) | instskip(SKIP_4) | instid1(VALU_DEP_1)
	v_fmac_f32_e32 v3, v132, v116
	ds_load_2addr_b32 v[113:114], v2 offset0:95 offset1:96
	ds_load_2addr_b32 v[115:116], v2 offset0:97 offset1:98
	s_waitcnt lgkmcnt(3)
	v_fmac_f32_e32 v3, v133, v109
	v_fmac_f32_e32 v3, v134, v110
	ds_load_2addr_b32 v[109:110], v2 offset0:99 offset1:100
	s_waitcnt lgkmcnt(3)
	v_fmac_f32_e32 v3, v135, v111
	s_waitcnt vmcnt(2)
	s_delay_alu instid0(VALU_DEP_1)
	v_fmac_f32_e32 v3, v136, v112
	ds_load_2addr_b32 v[111:112], v2 offset0:101 offset1:102
	s_waitcnt lgkmcnt(3)
	v_fmac_f32_e32 v3, v137, v113
	ds_load_b32 v113, v2 offset:412
	v_fmac_f32_e32 v3, v138, v114
	s_waitcnt lgkmcnt(3)
	s_delay_alu instid0(VALU_DEP_1) | instskip(SKIP_1) | instid1(VALU_DEP_1)
	v_fmac_f32_e32 v3, v139, v115
	s_waitcnt vmcnt(1)
	v_fmac_f32_e32 v3, v140, v116
	s_waitcnt lgkmcnt(2)
	s_delay_alu instid0(VALU_DEP_1) | instskip(NEXT) | instid1(VALU_DEP_1)
	v_fmac_f32_e32 v3, v141, v109
	v_fmac_f32_e32 v3, v142, v110
	s_waitcnt lgkmcnt(1)
	s_delay_alu instid0(VALU_DEP_1) | instskip(SKIP_1) | instid1(VALU_DEP_1)
	v_fmac_f32_e32 v3, v143, v111
	s_waitcnt vmcnt(0)
	v_fmac_f32_e32 v3, v144, v112
	s_waitcnt lgkmcnt(0)
	s_delay_alu instid0(VALU_DEP_1) | instskip(NEXT) | instid1(VALU_DEP_1)
	v_fmac_f32_e32 v3, v145, v113
	v_sub_f32_e32 v3, v108, v3
	scratch_store_b32 off, v3, off offset:56
	v_cmpx_lt_u32_e32 13, v0
	s_cbranch_execz .LBB51_293
; %bb.292:
	scratch_load_b32 v3, off, off offset:52
	scratch_store_b32 off, v2, off offset:52
	s_waitcnt vmcnt(0)
	ds_store_b32 v1, v3
.LBB51_293:
	s_or_b32 exec_lo, exec_lo, s0
	s_waitcnt lgkmcnt(0)
	s_waitcnt_vscnt null, 0x0
	s_barrier
	buffer_gl0_inv
	s_clause 0x9
	scratch_load_b128 v[108:111], off, off offset:52
	scratch_load_b128 v[112:115], off, off offset:68
	;; [unrolled: 1-line block ×9, first 2 shown]
	scratch_load_b96 v[152:154], off, off offset:196
	ds_load_2addr_b64 v[144:147], v2 offset0:33 offset1:34
	ds_load_2addr_b64 v[148:151], v2 offset0:35 offset1:36
	s_mov_b32 s0, exec_lo
	s_waitcnt vmcnt(9) lgkmcnt(1)
	v_fma_f32 v144, v109, v144, 0
	s_delay_alu instid0(VALU_DEP_1) | instskip(NEXT) | instid1(VALU_DEP_1)
	v_fmac_f32_e32 v144, v110, v145
	v_fmac_f32_e32 v144, v111, v146
	s_waitcnt vmcnt(8)
	s_delay_alu instid0(VALU_DEP_1) | instskip(SKIP_3) | instid1(VALU_DEP_1)
	v_fmac_f32_e32 v144, v112, v147
	ds_load_2addr_b64 v[109:112], v2 offset0:37 offset1:38
	s_waitcnt lgkmcnt(1)
	v_fmac_f32_e32 v144, v113, v148
	v_fmac_f32_e32 v144, v114, v149
	s_delay_alu instid0(VALU_DEP_1) | instskip(SKIP_1) | instid1(VALU_DEP_1)
	v_fmac_f32_e32 v144, v115, v150
	s_waitcnt vmcnt(7)
	v_fmac_f32_e32 v144, v116, v151
	ds_load_2addr_b64 v[113:116], v2 offset0:39 offset1:40
	s_waitcnt lgkmcnt(1)
	v_fmac_f32_e32 v144, v117, v109
	s_delay_alu instid0(VALU_DEP_1) | instskip(NEXT) | instid1(VALU_DEP_1)
	v_fmac_f32_e32 v144, v118, v110
	v_fmac_f32_e32 v144, v119, v111
	s_waitcnt vmcnt(6)
	s_delay_alu instid0(VALU_DEP_1) | instskip(SKIP_3) | instid1(VALU_DEP_1)
	v_fmac_f32_e32 v144, v120, v112
	ds_load_2addr_b64 v[109:112], v2 offset0:41 offset1:42
	s_waitcnt lgkmcnt(1)
	v_fmac_f32_e32 v144, v121, v113
	v_fmac_f32_e32 v144, v122, v114
	s_delay_alu instid0(VALU_DEP_1) | instskip(SKIP_1) | instid1(VALU_DEP_1)
	v_fmac_f32_e32 v144, v123, v115
	s_waitcnt vmcnt(5)
	v_fmac_f32_e32 v144, v124, v116
	ds_load_2addr_b64 v[113:116], v2 offset0:43 offset1:44
	s_waitcnt lgkmcnt(1)
	v_fmac_f32_e32 v144, v125, v109
	;; [unrolled: 17-line block ×3, first 2 shown]
	s_delay_alu instid0(VALU_DEP_1) | instskip(NEXT) | instid1(VALU_DEP_1)
	v_fmac_f32_e32 v144, v134, v110
	v_fmac_f32_e32 v144, v135, v111
	s_waitcnt vmcnt(2)
	s_delay_alu instid0(VALU_DEP_1) | instskip(SKIP_4) | instid1(VALU_DEP_1)
	v_fmac_f32_e32 v144, v136, v112
	ds_load_2addr_b64 v[109:112], v2 offset0:49 offset1:50
	ds_load_b64 v[2:3], v2 offset:408
	s_waitcnt lgkmcnt(2)
	v_fmac_f32_e32 v144, v137, v113
	v_fmac_f32_e32 v144, v138, v114
	s_delay_alu instid0(VALU_DEP_1) | instskip(SKIP_1) | instid1(VALU_DEP_1)
	v_fmac_f32_e32 v144, v139, v115
	s_waitcnt vmcnt(1)
	v_fmac_f32_e32 v144, v140, v116
	s_waitcnt lgkmcnt(1)
	s_delay_alu instid0(VALU_DEP_1) | instskip(NEXT) | instid1(VALU_DEP_1)
	v_fmac_f32_e32 v144, v141, v109
	v_fmac_f32_e32 v144, v142, v110
	s_delay_alu instid0(VALU_DEP_1) | instskip(SKIP_1) | instid1(VALU_DEP_1)
	v_fmac_f32_e32 v144, v143, v111
	s_waitcnt vmcnt(0)
	v_fmac_f32_e32 v144, v152, v112
	s_waitcnt lgkmcnt(0)
	s_delay_alu instid0(VALU_DEP_1) | instskip(NEXT) | instid1(VALU_DEP_1)
	v_fmac_f32_e32 v144, v153, v2
	v_fmac_f32_e32 v144, v154, v3
	s_delay_alu instid0(VALU_DEP_1)
	v_sub_f32_e32 v2, v108, v144
	scratch_store_b32 off, v2, off offset:52
	v_cmpx_lt_u32_e32 12, v0
	s_cbranch_execz .LBB51_295
; %bb.294:
	scratch_load_b32 v2, off, off offset:48
	v_mov_b32_e32 v3, 0
	scratch_store_b32 off, v3, off offset:48
	s_waitcnt vmcnt(0)
	ds_store_b32 v1, v2
.LBB51_295:
	s_or_b32 exec_lo, exec_lo, s0
	s_waitcnt lgkmcnt(0)
	s_waitcnt_vscnt null, 0x0
	s_barrier
	buffer_gl0_inv
	s_clause 0x9
	scratch_load_b128 v[108:111], off, off offset:48
	scratch_load_b128 v[112:115], off, off offset:64
	;; [unrolled: 1-line block ×10, first 2 shown]
	v_mov_b32_e32 v2, 0
	ds_load_2addr_b32 v[148:149], v2 offset0:65 offset1:66
	ds_load_2addr_b32 v[150:151], v2 offset0:67 offset1:68
	;; [unrolled: 1-line block ×4, first 2 shown]
	s_mov_b32 s0, exec_lo
	s_waitcnt vmcnt(9) lgkmcnt(3)
	v_fma_f32 v3, v109, v148, 0
	s_delay_alu instid0(VALU_DEP_1) | instskip(SKIP_4) | instid1(VALU_DEP_1)
	v_fmac_f32_e32 v3, v110, v149
	ds_load_2addr_b32 v[109:110], v2 offset0:73 offset1:74
	s_waitcnt lgkmcnt(3)
	v_fmac_f32_e32 v3, v111, v150
	s_waitcnt vmcnt(8)
	v_fmac_f32_e32 v3, v112, v151
	ds_load_2addr_b32 v[111:112], v2 offset0:75 offset1:76
	s_waitcnt lgkmcnt(3)
	v_fmac_f32_e32 v3, v113, v152
	s_delay_alu instid0(VALU_DEP_1) | instskip(SKIP_1) | instid1(VALU_DEP_1)
	v_fmac_f32_e32 v3, v114, v153
	s_waitcnt lgkmcnt(2)
	v_fmac_f32_e32 v3, v115, v154
	s_waitcnt vmcnt(7)
	s_delay_alu instid0(VALU_DEP_1) | instskip(SKIP_4) | instid1(VALU_DEP_1)
	v_fmac_f32_e32 v3, v116, v155
	ds_load_2addr_b32 v[113:114], v2 offset0:77 offset1:78
	ds_load_2addr_b32 v[115:116], v2 offset0:79 offset1:80
	s_waitcnt lgkmcnt(3)
	v_fmac_f32_e32 v3, v117, v109
	v_fmac_f32_e32 v3, v118, v110
	ds_load_2addr_b32 v[109:110], v2 offset0:81 offset1:82
	s_waitcnt lgkmcnt(3)
	v_fmac_f32_e32 v3, v119, v111
	s_waitcnt vmcnt(6)
	s_delay_alu instid0(VALU_DEP_1) | instskip(SKIP_3) | instid1(VALU_DEP_1)
	v_fmac_f32_e32 v3, v120, v112
	ds_load_2addr_b32 v[111:112], v2 offset0:83 offset1:84
	s_waitcnt lgkmcnt(3)
	v_fmac_f32_e32 v3, v121, v113
	v_fmac_f32_e32 v3, v122, v114
	s_waitcnt lgkmcnt(2)
	s_delay_alu instid0(VALU_DEP_1) | instskip(SKIP_1) | instid1(VALU_DEP_1)
	v_fmac_f32_e32 v3, v123, v115
	s_waitcnt vmcnt(5)
	v_fmac_f32_e32 v3, v124, v116
	ds_load_2addr_b32 v[113:114], v2 offset0:85 offset1:86
	ds_load_2addr_b32 v[115:116], v2 offset0:87 offset1:88
	s_waitcnt lgkmcnt(3)
	v_fmac_f32_e32 v3, v125, v109
	s_delay_alu instid0(VALU_DEP_1) | instskip(SKIP_4) | instid1(VALU_DEP_1)
	v_fmac_f32_e32 v3, v126, v110
	ds_load_2addr_b32 v[109:110], v2 offset0:89 offset1:90
	s_waitcnt lgkmcnt(3)
	v_fmac_f32_e32 v3, v127, v111
	s_waitcnt vmcnt(4)
	v_fmac_f32_e32 v3, v128, v112
	ds_load_2addr_b32 v[111:112], v2 offset0:91 offset1:92
	s_waitcnt lgkmcnt(3)
	v_fmac_f32_e32 v3, v129, v113
	s_delay_alu instid0(VALU_DEP_1) | instskip(SKIP_1) | instid1(VALU_DEP_1)
	v_fmac_f32_e32 v3, v130, v114
	s_waitcnt lgkmcnt(2)
	v_fmac_f32_e32 v3, v131, v115
	s_waitcnt vmcnt(3)
	s_delay_alu instid0(VALU_DEP_1) | instskip(SKIP_4) | instid1(VALU_DEP_1)
	v_fmac_f32_e32 v3, v132, v116
	ds_load_2addr_b32 v[113:114], v2 offset0:93 offset1:94
	ds_load_2addr_b32 v[115:116], v2 offset0:95 offset1:96
	s_waitcnt lgkmcnt(3)
	v_fmac_f32_e32 v3, v133, v109
	v_fmac_f32_e32 v3, v134, v110
	ds_load_2addr_b32 v[109:110], v2 offset0:97 offset1:98
	s_waitcnt lgkmcnt(3)
	v_fmac_f32_e32 v3, v135, v111
	s_waitcnt vmcnt(2)
	s_delay_alu instid0(VALU_DEP_1) | instskip(SKIP_3) | instid1(VALU_DEP_1)
	v_fmac_f32_e32 v3, v136, v112
	ds_load_2addr_b32 v[111:112], v2 offset0:99 offset1:100
	s_waitcnt lgkmcnt(3)
	v_fmac_f32_e32 v3, v137, v113
	v_fmac_f32_e32 v3, v138, v114
	s_waitcnt lgkmcnt(2)
	s_delay_alu instid0(VALU_DEP_1)
	v_fmac_f32_e32 v3, v139, v115
	ds_load_2addr_b32 v[113:114], v2 offset0:101 offset1:102
	ds_load_b32 v115, v2 offset:412
	s_waitcnt vmcnt(1)
	v_fmac_f32_e32 v3, v140, v116
	s_waitcnt lgkmcnt(3)
	s_delay_alu instid0(VALU_DEP_1) | instskip(NEXT) | instid1(VALU_DEP_1)
	v_fmac_f32_e32 v3, v141, v109
	v_fmac_f32_e32 v3, v142, v110
	s_waitcnt lgkmcnt(2)
	s_delay_alu instid0(VALU_DEP_1) | instskip(SKIP_1) | instid1(VALU_DEP_1)
	v_fmac_f32_e32 v3, v143, v111
	s_waitcnt vmcnt(0)
	v_fmac_f32_e32 v3, v144, v112
	s_waitcnt lgkmcnt(1)
	s_delay_alu instid0(VALU_DEP_1) | instskip(NEXT) | instid1(VALU_DEP_1)
	v_fmac_f32_e32 v3, v145, v113
	v_fmac_f32_e32 v3, v146, v114
	s_waitcnt lgkmcnt(0)
	s_delay_alu instid0(VALU_DEP_1) | instskip(NEXT) | instid1(VALU_DEP_1)
	v_fmac_f32_e32 v3, v147, v115
	v_sub_f32_e32 v3, v108, v3
	scratch_store_b32 off, v3, off offset:48
	v_cmpx_lt_u32_e32 11, v0
	s_cbranch_execz .LBB51_297
; %bb.296:
	scratch_load_b32 v3, off, off offset:44
	scratch_store_b32 off, v2, off offset:44
	s_waitcnt vmcnt(0)
	ds_store_b32 v1, v3
.LBB51_297:
	s_or_b32 exec_lo, exec_lo, s0
	s_waitcnt lgkmcnt(0)
	s_waitcnt_vscnt null, 0x0
	s_barrier
	buffer_gl0_inv
	s_clause 0xa
	scratch_load_b128 v[108:111], off, off offset:44
	scratch_load_b128 v[112:115], off, off offset:60
	;; [unrolled: 1-line block ×10, first 2 shown]
	scratch_load_b32 v3, off, off offset:204
	ds_load_b128 v[148:151], v2 offset:256
	ds_load_b128 v[152:155], v2 offset:272
	s_mov_b32 s0, exec_lo
	s_waitcnt vmcnt(10) lgkmcnt(1)
	v_fma_f32 v148, v109, v148, 0
	s_delay_alu instid0(VALU_DEP_1) | instskip(NEXT) | instid1(VALU_DEP_1)
	v_fmac_f32_e32 v148, v110, v149
	v_fmac_f32_e32 v148, v111, v150
	s_waitcnt vmcnt(9)
	s_delay_alu instid0(VALU_DEP_1) | instskip(SKIP_3) | instid1(VALU_DEP_1)
	v_fmac_f32_e32 v148, v112, v151
	ds_load_b128 v[109:112], v2 offset:288
	s_waitcnt lgkmcnt(1)
	v_fmac_f32_e32 v148, v113, v152
	v_fmac_f32_e32 v148, v114, v153
	s_delay_alu instid0(VALU_DEP_1) | instskip(SKIP_1) | instid1(VALU_DEP_1)
	v_fmac_f32_e32 v148, v115, v154
	s_waitcnt vmcnt(8)
	v_fmac_f32_e32 v148, v116, v155
	ds_load_b128 v[113:116], v2 offset:304
	s_waitcnt lgkmcnt(1)
	v_fmac_f32_e32 v148, v117, v109
	s_delay_alu instid0(VALU_DEP_1) | instskip(NEXT) | instid1(VALU_DEP_1)
	v_fmac_f32_e32 v148, v118, v110
	v_fmac_f32_e32 v148, v119, v111
	s_waitcnt vmcnt(7)
	s_delay_alu instid0(VALU_DEP_1) | instskip(SKIP_3) | instid1(VALU_DEP_1)
	v_fmac_f32_e32 v148, v120, v112
	ds_load_b128 v[109:112], v2 offset:320
	s_waitcnt lgkmcnt(1)
	v_fmac_f32_e32 v148, v121, v113
	v_fmac_f32_e32 v148, v122, v114
	s_delay_alu instid0(VALU_DEP_1) | instskip(SKIP_1) | instid1(VALU_DEP_1)
	v_fmac_f32_e32 v148, v123, v115
	s_waitcnt vmcnt(6)
	v_fmac_f32_e32 v148, v124, v116
	ds_load_b128 v[113:116], v2 offset:336
	s_waitcnt lgkmcnt(1)
	v_fmac_f32_e32 v148, v125, v109
	;; [unrolled: 17-line block ×4, first 2 shown]
	s_delay_alu instid0(VALU_DEP_1) | instskip(NEXT) | instid1(VALU_DEP_1)
	v_fmac_f32_e32 v148, v142, v110
	v_fmac_f32_e32 v148, v143, v111
	s_waitcnt vmcnt(1)
	s_delay_alu instid0(VALU_DEP_1) | instskip(SKIP_1) | instid1(VALU_DEP_1)
	v_fmac_f32_e32 v148, v144, v112
	s_waitcnt lgkmcnt(0)
	v_fmac_f32_e32 v148, v145, v113
	s_delay_alu instid0(VALU_DEP_1) | instskip(NEXT) | instid1(VALU_DEP_1)
	v_fmac_f32_e32 v148, v146, v114
	v_fmac_f32_e32 v148, v147, v115
	s_waitcnt vmcnt(0)
	s_delay_alu instid0(VALU_DEP_1) | instskip(NEXT) | instid1(VALU_DEP_1)
	v_fmac_f32_e32 v148, v3, v116
	v_sub_f32_e32 v2, v108, v148
	scratch_store_b32 off, v2, off offset:44
	v_cmpx_lt_u32_e32 10, v0
	s_cbranch_execz .LBB51_299
; %bb.298:
	scratch_load_b32 v2, off, off offset:40
	v_mov_b32_e32 v3, 0
	scratch_store_b32 off, v3, off offset:40
	s_waitcnt vmcnt(0)
	ds_store_b32 v1, v2
.LBB51_299:
	s_or_b32 exec_lo, exec_lo, s0
	s_waitcnt lgkmcnt(0)
	s_waitcnt_vscnt null, 0x0
	s_barrier
	buffer_gl0_inv
	s_clause 0xa
	scratch_load_b128 v[108:111], off, off offset:40
	scratch_load_b128 v[112:115], off, off offset:56
	;; [unrolled: 1-line block ×10, first 2 shown]
	scratch_load_b64 v[148:149], off, off offset:200
	v_mov_b32_e32 v2, 0
	ds_load_2addr_b32 v[150:151], v2 offset0:63 offset1:64
	ds_load_2addr_b32 v[152:153], v2 offset0:65 offset1:66
	ds_load_2addr_b32 v[154:155], v2 offset0:67 offset1:68
	ds_load_2addr_b32 v[156:157], v2 offset0:69 offset1:70
	s_mov_b32 s0, exec_lo
	s_waitcnt vmcnt(10) lgkmcnt(3)
	v_fma_f32 v3, v109, v150, 0
	s_delay_alu instid0(VALU_DEP_1) | instskip(SKIP_4) | instid1(VALU_DEP_1)
	v_fmac_f32_e32 v3, v110, v151
	ds_load_2addr_b32 v[109:110], v2 offset0:71 offset1:72
	s_waitcnt lgkmcnt(3)
	v_fmac_f32_e32 v3, v111, v152
	s_waitcnt vmcnt(9)
	v_fmac_f32_e32 v3, v112, v153
	ds_load_2addr_b32 v[111:112], v2 offset0:73 offset1:74
	s_waitcnt lgkmcnt(3)
	v_fmac_f32_e32 v3, v113, v154
	s_delay_alu instid0(VALU_DEP_1) | instskip(SKIP_1) | instid1(VALU_DEP_1)
	v_fmac_f32_e32 v3, v114, v155
	s_waitcnt lgkmcnt(2)
	v_fmac_f32_e32 v3, v115, v156
	s_waitcnt vmcnt(8)
	s_delay_alu instid0(VALU_DEP_1) | instskip(SKIP_4) | instid1(VALU_DEP_1)
	v_fmac_f32_e32 v3, v116, v157
	ds_load_2addr_b32 v[113:114], v2 offset0:75 offset1:76
	ds_load_2addr_b32 v[115:116], v2 offset0:77 offset1:78
	s_waitcnt lgkmcnt(3)
	v_fmac_f32_e32 v3, v117, v109
	v_fmac_f32_e32 v3, v118, v110
	ds_load_2addr_b32 v[109:110], v2 offset0:79 offset1:80
	s_waitcnt lgkmcnt(3)
	v_fmac_f32_e32 v3, v119, v111
	s_waitcnt vmcnt(7)
	s_delay_alu instid0(VALU_DEP_1) | instskip(SKIP_3) | instid1(VALU_DEP_1)
	v_fmac_f32_e32 v3, v120, v112
	ds_load_2addr_b32 v[111:112], v2 offset0:81 offset1:82
	s_waitcnt lgkmcnt(3)
	v_fmac_f32_e32 v3, v121, v113
	v_fmac_f32_e32 v3, v122, v114
	s_waitcnt lgkmcnt(2)
	s_delay_alu instid0(VALU_DEP_1) | instskip(SKIP_1) | instid1(VALU_DEP_1)
	v_fmac_f32_e32 v3, v123, v115
	s_waitcnt vmcnt(6)
	v_fmac_f32_e32 v3, v124, v116
	ds_load_2addr_b32 v[113:114], v2 offset0:83 offset1:84
	ds_load_2addr_b32 v[115:116], v2 offset0:85 offset1:86
	s_waitcnt lgkmcnt(3)
	v_fmac_f32_e32 v3, v125, v109
	s_delay_alu instid0(VALU_DEP_1) | instskip(SKIP_4) | instid1(VALU_DEP_1)
	v_fmac_f32_e32 v3, v126, v110
	ds_load_2addr_b32 v[109:110], v2 offset0:87 offset1:88
	s_waitcnt lgkmcnt(3)
	v_fmac_f32_e32 v3, v127, v111
	s_waitcnt vmcnt(5)
	v_fmac_f32_e32 v3, v128, v112
	ds_load_2addr_b32 v[111:112], v2 offset0:89 offset1:90
	s_waitcnt lgkmcnt(3)
	v_fmac_f32_e32 v3, v129, v113
	s_delay_alu instid0(VALU_DEP_1) | instskip(SKIP_1) | instid1(VALU_DEP_1)
	v_fmac_f32_e32 v3, v130, v114
	s_waitcnt lgkmcnt(2)
	v_fmac_f32_e32 v3, v131, v115
	s_waitcnt vmcnt(4)
	s_delay_alu instid0(VALU_DEP_1) | instskip(SKIP_4) | instid1(VALU_DEP_1)
	v_fmac_f32_e32 v3, v132, v116
	ds_load_2addr_b32 v[113:114], v2 offset0:91 offset1:92
	ds_load_2addr_b32 v[115:116], v2 offset0:93 offset1:94
	s_waitcnt lgkmcnt(3)
	v_fmac_f32_e32 v3, v133, v109
	v_fmac_f32_e32 v3, v134, v110
	ds_load_2addr_b32 v[109:110], v2 offset0:95 offset1:96
	s_waitcnt lgkmcnt(3)
	v_fmac_f32_e32 v3, v135, v111
	s_waitcnt vmcnt(3)
	s_delay_alu instid0(VALU_DEP_1) | instskip(SKIP_3) | instid1(VALU_DEP_1)
	v_fmac_f32_e32 v3, v136, v112
	ds_load_2addr_b32 v[111:112], v2 offset0:97 offset1:98
	s_waitcnt lgkmcnt(3)
	v_fmac_f32_e32 v3, v137, v113
	v_fmac_f32_e32 v3, v138, v114
	s_waitcnt lgkmcnt(2)
	s_delay_alu instid0(VALU_DEP_1) | instskip(SKIP_1) | instid1(VALU_DEP_1)
	v_fmac_f32_e32 v3, v139, v115
	s_waitcnt vmcnt(2)
	v_fmac_f32_e32 v3, v140, v116
	ds_load_2addr_b32 v[113:114], v2 offset0:99 offset1:100
	ds_load_2addr_b32 v[115:116], v2 offset0:101 offset1:102
	s_waitcnt lgkmcnt(3)
	v_fmac_f32_e32 v3, v141, v109
	ds_load_b32 v109, v2 offset:412
	v_fmac_f32_e32 v3, v142, v110
	s_waitcnt lgkmcnt(3)
	s_delay_alu instid0(VALU_DEP_1) | instskip(SKIP_1) | instid1(VALU_DEP_1)
	v_fmac_f32_e32 v3, v143, v111
	s_waitcnt vmcnt(1)
	v_fmac_f32_e32 v3, v144, v112
	s_waitcnt lgkmcnt(2)
	s_delay_alu instid0(VALU_DEP_1) | instskip(NEXT) | instid1(VALU_DEP_1)
	v_fmac_f32_e32 v3, v145, v113
	v_fmac_f32_e32 v3, v146, v114
	s_waitcnt lgkmcnt(1)
	s_delay_alu instid0(VALU_DEP_1) | instskip(SKIP_1) | instid1(VALU_DEP_1)
	v_fmac_f32_e32 v3, v147, v115
	s_waitcnt vmcnt(0)
	v_fmac_f32_e32 v3, v148, v116
	s_waitcnt lgkmcnt(0)
	s_delay_alu instid0(VALU_DEP_1) | instskip(NEXT) | instid1(VALU_DEP_1)
	v_fmac_f32_e32 v3, v149, v109
	v_sub_f32_e32 v3, v108, v3
	scratch_store_b32 off, v3, off offset:40
	v_cmpx_lt_u32_e32 9, v0
	s_cbranch_execz .LBB51_301
; %bb.300:
	scratch_load_b32 v3, off, off offset:36
	scratch_store_b32 off, v2, off offset:36
	s_waitcnt vmcnt(0)
	ds_store_b32 v1, v3
.LBB51_301:
	s_or_b32 exec_lo, exec_lo, s0
	s_waitcnt lgkmcnt(0)
	s_waitcnt_vscnt null, 0x0
	s_barrier
	buffer_gl0_inv
	s_clause 0xa
	scratch_load_b128 v[108:111], off, off offset:36
	scratch_load_b128 v[112:115], off, off offset:52
	;; [unrolled: 1-line block ×10, first 2 shown]
	scratch_load_b96 v[156:158], off, off offset:196
	ds_load_2addr_b64 v[148:151], v2 offset0:31 offset1:32
	ds_load_2addr_b64 v[152:155], v2 offset0:33 offset1:34
	s_mov_b32 s0, exec_lo
	s_waitcnt vmcnt(10) lgkmcnt(1)
	v_fma_f32 v148, v109, v148, 0
	s_delay_alu instid0(VALU_DEP_1) | instskip(NEXT) | instid1(VALU_DEP_1)
	v_fmac_f32_e32 v148, v110, v149
	v_fmac_f32_e32 v148, v111, v150
	s_waitcnt vmcnt(9)
	s_delay_alu instid0(VALU_DEP_1) | instskip(SKIP_3) | instid1(VALU_DEP_1)
	v_fmac_f32_e32 v148, v112, v151
	ds_load_2addr_b64 v[109:112], v2 offset0:35 offset1:36
	s_waitcnt lgkmcnt(1)
	v_fmac_f32_e32 v148, v113, v152
	v_fmac_f32_e32 v148, v114, v153
	s_delay_alu instid0(VALU_DEP_1) | instskip(SKIP_1) | instid1(VALU_DEP_1)
	v_fmac_f32_e32 v148, v115, v154
	s_waitcnt vmcnt(8)
	v_fmac_f32_e32 v148, v116, v155
	ds_load_2addr_b64 v[113:116], v2 offset0:37 offset1:38
	s_waitcnt lgkmcnt(1)
	v_fmac_f32_e32 v148, v117, v109
	s_delay_alu instid0(VALU_DEP_1) | instskip(NEXT) | instid1(VALU_DEP_1)
	v_fmac_f32_e32 v148, v118, v110
	v_fmac_f32_e32 v148, v119, v111
	s_waitcnt vmcnt(7)
	s_delay_alu instid0(VALU_DEP_1) | instskip(SKIP_3) | instid1(VALU_DEP_1)
	v_fmac_f32_e32 v148, v120, v112
	ds_load_2addr_b64 v[109:112], v2 offset0:39 offset1:40
	s_waitcnt lgkmcnt(1)
	v_fmac_f32_e32 v148, v121, v113
	v_fmac_f32_e32 v148, v122, v114
	s_delay_alu instid0(VALU_DEP_1) | instskip(SKIP_1) | instid1(VALU_DEP_1)
	v_fmac_f32_e32 v148, v123, v115
	s_waitcnt vmcnt(6)
	v_fmac_f32_e32 v148, v124, v116
	ds_load_2addr_b64 v[113:116], v2 offset0:41 offset1:42
	s_waitcnt lgkmcnt(1)
	v_fmac_f32_e32 v148, v125, v109
	;; [unrolled: 17-line block ×3, first 2 shown]
	s_delay_alu instid0(VALU_DEP_1) | instskip(NEXT) | instid1(VALU_DEP_1)
	v_fmac_f32_e32 v148, v134, v110
	v_fmac_f32_e32 v148, v135, v111
	s_waitcnt vmcnt(3)
	s_delay_alu instid0(VALU_DEP_1) | instskip(SKIP_3) | instid1(VALU_DEP_1)
	v_fmac_f32_e32 v148, v136, v112
	ds_load_2addr_b64 v[109:112], v2 offset0:47 offset1:48
	s_waitcnt lgkmcnt(1)
	v_fmac_f32_e32 v148, v137, v113
	v_fmac_f32_e32 v148, v138, v114
	s_delay_alu instid0(VALU_DEP_1) | instskip(SKIP_1) | instid1(VALU_DEP_1)
	v_fmac_f32_e32 v148, v139, v115
	s_waitcnt vmcnt(2)
	v_fmac_f32_e32 v148, v140, v116
	ds_load_2addr_b64 v[113:116], v2 offset0:49 offset1:50
	ds_load_b64 v[2:3], v2 offset:408
	s_waitcnt lgkmcnt(2)
	v_fmac_f32_e32 v148, v141, v109
	s_delay_alu instid0(VALU_DEP_1) | instskip(NEXT) | instid1(VALU_DEP_1)
	v_fmac_f32_e32 v148, v142, v110
	v_fmac_f32_e32 v148, v143, v111
	s_waitcnt vmcnt(1)
	s_delay_alu instid0(VALU_DEP_1) | instskip(SKIP_1) | instid1(VALU_DEP_1)
	v_fmac_f32_e32 v148, v144, v112
	s_waitcnt lgkmcnt(1)
	v_fmac_f32_e32 v148, v145, v113
	s_delay_alu instid0(VALU_DEP_1) | instskip(NEXT) | instid1(VALU_DEP_1)
	v_fmac_f32_e32 v148, v146, v114
	v_fmac_f32_e32 v148, v147, v115
	s_waitcnt vmcnt(0)
	s_delay_alu instid0(VALU_DEP_1) | instskip(SKIP_1) | instid1(VALU_DEP_1)
	v_fmac_f32_e32 v148, v156, v116
	s_waitcnt lgkmcnt(0)
	v_fmac_f32_e32 v148, v157, v2
	s_delay_alu instid0(VALU_DEP_1) | instskip(NEXT) | instid1(VALU_DEP_1)
	v_fmac_f32_e32 v148, v158, v3
	v_sub_f32_e32 v2, v108, v148
	scratch_store_b32 off, v2, off offset:36
	v_cmpx_lt_u32_e32 8, v0
	s_cbranch_execz .LBB51_303
; %bb.302:
	scratch_load_b32 v2, off, off offset:32
	v_mov_b32_e32 v3, 0
	scratch_store_b32 off, v3, off offset:32
	s_waitcnt vmcnt(0)
	ds_store_b32 v1, v2
.LBB51_303:
	s_or_b32 exec_lo, exec_lo, s0
	s_waitcnt lgkmcnt(0)
	s_waitcnt_vscnt null, 0x0
	s_barrier
	buffer_gl0_inv
	s_clause 0xa
	scratch_load_b128 v[108:111], off, off offset:32
	scratch_load_b128 v[112:115], off, off offset:48
	;; [unrolled: 1-line block ×11, first 2 shown]
	v_mov_b32_e32 v2, 0
	ds_load_2addr_b32 v[152:153], v2 offset0:61 offset1:62
	ds_load_2addr_b32 v[154:155], v2 offset0:63 offset1:64
	;; [unrolled: 1-line block ×4, first 2 shown]
	s_mov_b32 s0, exec_lo
	s_waitcnt vmcnt(10) lgkmcnt(3)
	v_fma_f32 v3, v109, v152, 0
	s_delay_alu instid0(VALU_DEP_1) | instskip(SKIP_4) | instid1(VALU_DEP_1)
	v_fmac_f32_e32 v3, v110, v153
	ds_load_2addr_b32 v[109:110], v2 offset0:69 offset1:70
	s_waitcnt lgkmcnt(3)
	v_fmac_f32_e32 v3, v111, v154
	s_waitcnt vmcnt(9)
	v_fmac_f32_e32 v3, v112, v155
	ds_load_2addr_b32 v[111:112], v2 offset0:71 offset1:72
	s_waitcnt lgkmcnt(3)
	v_fmac_f32_e32 v3, v113, v156
	s_delay_alu instid0(VALU_DEP_1) | instskip(SKIP_1) | instid1(VALU_DEP_1)
	v_fmac_f32_e32 v3, v114, v157
	s_waitcnt lgkmcnt(2)
	v_fmac_f32_e32 v3, v115, v158
	s_waitcnt vmcnt(8)
	s_delay_alu instid0(VALU_DEP_1) | instskip(SKIP_4) | instid1(VALU_DEP_1)
	v_fmac_f32_e32 v3, v116, v159
	ds_load_2addr_b32 v[113:114], v2 offset0:73 offset1:74
	ds_load_2addr_b32 v[115:116], v2 offset0:75 offset1:76
	s_waitcnt lgkmcnt(3)
	v_fmac_f32_e32 v3, v117, v109
	v_fmac_f32_e32 v3, v118, v110
	ds_load_2addr_b32 v[109:110], v2 offset0:77 offset1:78
	s_waitcnt lgkmcnt(3)
	v_fmac_f32_e32 v3, v119, v111
	s_waitcnt vmcnt(7)
	s_delay_alu instid0(VALU_DEP_1) | instskip(SKIP_3) | instid1(VALU_DEP_1)
	v_fmac_f32_e32 v3, v120, v112
	ds_load_2addr_b32 v[111:112], v2 offset0:79 offset1:80
	s_waitcnt lgkmcnt(3)
	v_fmac_f32_e32 v3, v121, v113
	v_fmac_f32_e32 v3, v122, v114
	s_waitcnt lgkmcnt(2)
	s_delay_alu instid0(VALU_DEP_1) | instskip(SKIP_1) | instid1(VALU_DEP_1)
	v_fmac_f32_e32 v3, v123, v115
	s_waitcnt vmcnt(6)
	v_fmac_f32_e32 v3, v124, v116
	ds_load_2addr_b32 v[113:114], v2 offset0:81 offset1:82
	ds_load_2addr_b32 v[115:116], v2 offset0:83 offset1:84
	s_waitcnt lgkmcnt(3)
	v_fmac_f32_e32 v3, v125, v109
	s_delay_alu instid0(VALU_DEP_1) | instskip(SKIP_4) | instid1(VALU_DEP_1)
	v_fmac_f32_e32 v3, v126, v110
	ds_load_2addr_b32 v[109:110], v2 offset0:85 offset1:86
	s_waitcnt lgkmcnt(3)
	v_fmac_f32_e32 v3, v127, v111
	s_waitcnt vmcnt(5)
	v_fmac_f32_e32 v3, v128, v112
	ds_load_2addr_b32 v[111:112], v2 offset0:87 offset1:88
	s_waitcnt lgkmcnt(3)
	v_fmac_f32_e32 v3, v129, v113
	s_delay_alu instid0(VALU_DEP_1) | instskip(SKIP_1) | instid1(VALU_DEP_1)
	v_fmac_f32_e32 v3, v130, v114
	s_waitcnt lgkmcnt(2)
	v_fmac_f32_e32 v3, v131, v115
	s_waitcnt vmcnt(4)
	s_delay_alu instid0(VALU_DEP_1) | instskip(SKIP_4) | instid1(VALU_DEP_1)
	v_fmac_f32_e32 v3, v132, v116
	ds_load_2addr_b32 v[113:114], v2 offset0:89 offset1:90
	ds_load_2addr_b32 v[115:116], v2 offset0:91 offset1:92
	s_waitcnt lgkmcnt(3)
	v_fmac_f32_e32 v3, v133, v109
	v_fmac_f32_e32 v3, v134, v110
	ds_load_2addr_b32 v[109:110], v2 offset0:93 offset1:94
	s_waitcnt lgkmcnt(3)
	v_fmac_f32_e32 v3, v135, v111
	s_waitcnt vmcnt(3)
	s_delay_alu instid0(VALU_DEP_1) | instskip(SKIP_3) | instid1(VALU_DEP_1)
	v_fmac_f32_e32 v3, v136, v112
	ds_load_2addr_b32 v[111:112], v2 offset0:95 offset1:96
	s_waitcnt lgkmcnt(3)
	v_fmac_f32_e32 v3, v137, v113
	v_fmac_f32_e32 v3, v138, v114
	s_waitcnt lgkmcnt(2)
	s_delay_alu instid0(VALU_DEP_1) | instskip(SKIP_1) | instid1(VALU_DEP_1)
	v_fmac_f32_e32 v3, v139, v115
	s_waitcnt vmcnt(2)
	v_fmac_f32_e32 v3, v140, v116
	ds_load_2addr_b32 v[113:114], v2 offset0:97 offset1:98
	ds_load_2addr_b32 v[115:116], v2 offset0:99 offset1:100
	s_waitcnt lgkmcnt(3)
	v_fmac_f32_e32 v3, v141, v109
	s_delay_alu instid0(VALU_DEP_1)
	v_fmac_f32_e32 v3, v142, v110
	ds_load_2addr_b32 v[109:110], v2 offset0:101 offset1:102
	s_waitcnt lgkmcnt(3)
	v_fmac_f32_e32 v3, v143, v111
	ds_load_b32 v111, v2 offset:412
	s_waitcnt vmcnt(1)
	v_fmac_f32_e32 v3, v144, v112
	s_waitcnt lgkmcnt(3)
	s_delay_alu instid0(VALU_DEP_1) | instskip(NEXT) | instid1(VALU_DEP_1)
	v_fmac_f32_e32 v3, v145, v113
	v_fmac_f32_e32 v3, v146, v114
	s_waitcnt lgkmcnt(2)
	s_delay_alu instid0(VALU_DEP_1) | instskip(SKIP_1) | instid1(VALU_DEP_1)
	v_fmac_f32_e32 v3, v147, v115
	s_waitcnt vmcnt(0)
	v_fmac_f32_e32 v3, v148, v116
	s_waitcnt lgkmcnt(1)
	s_delay_alu instid0(VALU_DEP_1) | instskip(NEXT) | instid1(VALU_DEP_1)
	v_fmac_f32_e32 v3, v149, v109
	v_fmac_f32_e32 v3, v150, v110
	s_waitcnt lgkmcnt(0)
	s_delay_alu instid0(VALU_DEP_1) | instskip(NEXT) | instid1(VALU_DEP_1)
	v_fmac_f32_e32 v3, v151, v111
	v_sub_f32_e32 v3, v108, v3
	scratch_store_b32 off, v3, off offset:32
	v_cmpx_lt_u32_e32 7, v0
	s_cbranch_execz .LBB51_305
; %bb.304:
	scratch_load_b32 v3, off, off offset:28
	scratch_store_b32 off, v2, off offset:28
	s_waitcnt vmcnt(0)
	ds_store_b32 v1, v3
.LBB51_305:
	s_or_b32 exec_lo, exec_lo, s0
	s_waitcnt lgkmcnt(0)
	s_waitcnt_vscnt null, 0x0
	s_barrier
	buffer_gl0_inv
	s_clause 0xb
	scratch_load_b128 v[108:111], off, off offset:28
	scratch_load_b128 v[112:115], off, off offset:44
	;; [unrolled: 1-line block ×11, first 2 shown]
	scratch_load_b32 v3, off, off offset:204
	ds_load_b128 v[152:155], v2 offset:240
	ds_load_b128 v[156:159], v2 offset:256
	s_mov_b32 s0, exec_lo
	s_waitcnt vmcnt(11) lgkmcnt(1)
	v_fma_f32 v152, v109, v152, 0
	s_delay_alu instid0(VALU_DEP_1) | instskip(NEXT) | instid1(VALU_DEP_1)
	v_fmac_f32_e32 v152, v110, v153
	v_fmac_f32_e32 v152, v111, v154
	s_waitcnt vmcnt(10)
	s_delay_alu instid0(VALU_DEP_1) | instskip(SKIP_3) | instid1(VALU_DEP_1)
	v_fmac_f32_e32 v152, v112, v155
	ds_load_b128 v[109:112], v2 offset:272
	s_waitcnt lgkmcnt(1)
	v_fmac_f32_e32 v152, v113, v156
	v_fmac_f32_e32 v152, v114, v157
	s_delay_alu instid0(VALU_DEP_1) | instskip(SKIP_1) | instid1(VALU_DEP_1)
	v_fmac_f32_e32 v152, v115, v158
	s_waitcnt vmcnt(9)
	v_fmac_f32_e32 v152, v116, v159
	ds_load_b128 v[113:116], v2 offset:288
	s_waitcnt lgkmcnt(1)
	v_fmac_f32_e32 v152, v117, v109
	s_delay_alu instid0(VALU_DEP_1) | instskip(NEXT) | instid1(VALU_DEP_1)
	v_fmac_f32_e32 v152, v118, v110
	v_fmac_f32_e32 v152, v119, v111
	s_waitcnt vmcnt(8)
	s_delay_alu instid0(VALU_DEP_1) | instskip(SKIP_3) | instid1(VALU_DEP_1)
	v_fmac_f32_e32 v152, v120, v112
	ds_load_b128 v[109:112], v2 offset:304
	s_waitcnt lgkmcnt(1)
	v_fmac_f32_e32 v152, v121, v113
	v_fmac_f32_e32 v152, v122, v114
	s_delay_alu instid0(VALU_DEP_1) | instskip(SKIP_1) | instid1(VALU_DEP_1)
	v_fmac_f32_e32 v152, v123, v115
	s_waitcnt vmcnt(7)
	v_fmac_f32_e32 v152, v124, v116
	ds_load_b128 v[113:116], v2 offset:320
	s_waitcnt lgkmcnt(1)
	v_fmac_f32_e32 v152, v125, v109
	;; [unrolled: 17-line block ×4, first 2 shown]
	s_delay_alu instid0(VALU_DEP_1) | instskip(NEXT) | instid1(VALU_DEP_1)
	v_fmac_f32_e32 v152, v142, v110
	v_fmac_f32_e32 v152, v143, v111
	s_waitcnt vmcnt(2)
	s_delay_alu instid0(VALU_DEP_1) | instskip(SKIP_3) | instid1(VALU_DEP_1)
	v_fmac_f32_e32 v152, v144, v112
	ds_load_b128 v[109:112], v2 offset:400
	s_waitcnt lgkmcnt(1)
	v_fmac_f32_e32 v152, v145, v113
	v_fmac_f32_e32 v152, v146, v114
	s_delay_alu instid0(VALU_DEP_1) | instskip(SKIP_1) | instid1(VALU_DEP_1)
	v_fmac_f32_e32 v152, v147, v115
	s_waitcnt vmcnt(1)
	v_fmac_f32_e32 v152, v148, v116
	s_waitcnt lgkmcnt(0)
	s_delay_alu instid0(VALU_DEP_1) | instskip(NEXT) | instid1(VALU_DEP_1)
	v_fmac_f32_e32 v152, v149, v109
	v_fmac_f32_e32 v152, v150, v110
	s_delay_alu instid0(VALU_DEP_1) | instskip(SKIP_1) | instid1(VALU_DEP_1)
	v_fmac_f32_e32 v152, v151, v111
	s_waitcnt vmcnt(0)
	v_fmac_f32_e32 v152, v3, v112
	s_delay_alu instid0(VALU_DEP_1)
	v_sub_f32_e32 v2, v108, v152
	scratch_store_b32 off, v2, off offset:28
	v_cmpx_lt_u32_e32 6, v0
	s_cbranch_execz .LBB51_307
; %bb.306:
	scratch_load_b32 v2, off, off offset:24
	v_mov_b32_e32 v3, 0
	scratch_store_b32 off, v3, off offset:24
	s_waitcnt vmcnt(0)
	ds_store_b32 v1, v2
.LBB51_307:
	s_or_b32 exec_lo, exec_lo, s0
	s_waitcnt lgkmcnt(0)
	s_waitcnt_vscnt null, 0x0
	s_barrier
	buffer_gl0_inv
	s_clause 0xb
	scratch_load_b128 v[108:111], off, off offset:24
	scratch_load_b128 v[112:115], off, off offset:40
	;; [unrolled: 1-line block ×11, first 2 shown]
	scratch_load_b64 v[152:153], off, off offset:200
	v_mov_b32_e32 v2, 0
	ds_load_2addr_b32 v[154:155], v2 offset0:59 offset1:60
	ds_load_2addr_b32 v[156:157], v2 offset0:61 offset1:62
	;; [unrolled: 1-line block ×4, first 2 shown]
	s_mov_b32 s0, exec_lo
	s_waitcnt vmcnt(11) lgkmcnt(3)
	v_fma_f32 v3, v109, v154, 0
	s_delay_alu instid0(VALU_DEP_1) | instskip(SKIP_4) | instid1(VALU_DEP_1)
	v_fmac_f32_e32 v3, v110, v155
	ds_load_2addr_b32 v[109:110], v2 offset0:67 offset1:68
	s_waitcnt lgkmcnt(3)
	v_fmac_f32_e32 v3, v111, v156
	s_waitcnt vmcnt(10)
	v_fmac_f32_e32 v3, v112, v157
	ds_load_2addr_b32 v[111:112], v2 offset0:69 offset1:70
	s_waitcnt lgkmcnt(3)
	v_fmac_f32_e32 v3, v113, v158
	s_delay_alu instid0(VALU_DEP_1) | instskip(SKIP_1) | instid1(VALU_DEP_1)
	v_fmac_f32_e32 v3, v114, v159
	s_waitcnt lgkmcnt(2)
	v_fmac_f32_e32 v3, v115, v160
	s_waitcnt vmcnt(9)
	s_delay_alu instid0(VALU_DEP_1) | instskip(SKIP_4) | instid1(VALU_DEP_1)
	v_fmac_f32_e32 v3, v116, v161
	ds_load_2addr_b32 v[113:114], v2 offset0:71 offset1:72
	ds_load_2addr_b32 v[115:116], v2 offset0:73 offset1:74
	s_waitcnt lgkmcnt(3)
	v_fmac_f32_e32 v3, v117, v109
	v_fmac_f32_e32 v3, v118, v110
	ds_load_2addr_b32 v[109:110], v2 offset0:75 offset1:76
	s_waitcnt lgkmcnt(3)
	v_fmac_f32_e32 v3, v119, v111
	s_waitcnt vmcnt(8)
	s_delay_alu instid0(VALU_DEP_1) | instskip(SKIP_3) | instid1(VALU_DEP_1)
	v_fmac_f32_e32 v3, v120, v112
	ds_load_2addr_b32 v[111:112], v2 offset0:77 offset1:78
	s_waitcnt lgkmcnt(3)
	v_fmac_f32_e32 v3, v121, v113
	v_fmac_f32_e32 v3, v122, v114
	s_waitcnt lgkmcnt(2)
	s_delay_alu instid0(VALU_DEP_1) | instskip(SKIP_1) | instid1(VALU_DEP_1)
	v_fmac_f32_e32 v3, v123, v115
	s_waitcnt vmcnt(7)
	v_fmac_f32_e32 v3, v124, v116
	ds_load_2addr_b32 v[113:114], v2 offset0:79 offset1:80
	ds_load_2addr_b32 v[115:116], v2 offset0:81 offset1:82
	s_waitcnt lgkmcnt(3)
	v_fmac_f32_e32 v3, v125, v109
	s_delay_alu instid0(VALU_DEP_1) | instskip(SKIP_4) | instid1(VALU_DEP_1)
	v_fmac_f32_e32 v3, v126, v110
	ds_load_2addr_b32 v[109:110], v2 offset0:83 offset1:84
	s_waitcnt lgkmcnt(3)
	v_fmac_f32_e32 v3, v127, v111
	s_waitcnt vmcnt(6)
	v_fmac_f32_e32 v3, v128, v112
	ds_load_2addr_b32 v[111:112], v2 offset0:85 offset1:86
	s_waitcnt lgkmcnt(3)
	v_fmac_f32_e32 v3, v129, v113
	s_delay_alu instid0(VALU_DEP_1) | instskip(SKIP_1) | instid1(VALU_DEP_1)
	v_fmac_f32_e32 v3, v130, v114
	s_waitcnt lgkmcnt(2)
	v_fmac_f32_e32 v3, v131, v115
	s_waitcnt vmcnt(5)
	s_delay_alu instid0(VALU_DEP_1) | instskip(SKIP_4) | instid1(VALU_DEP_1)
	v_fmac_f32_e32 v3, v132, v116
	ds_load_2addr_b32 v[113:114], v2 offset0:87 offset1:88
	ds_load_2addr_b32 v[115:116], v2 offset0:89 offset1:90
	s_waitcnt lgkmcnt(3)
	v_fmac_f32_e32 v3, v133, v109
	v_fmac_f32_e32 v3, v134, v110
	ds_load_2addr_b32 v[109:110], v2 offset0:91 offset1:92
	s_waitcnt lgkmcnt(3)
	v_fmac_f32_e32 v3, v135, v111
	s_waitcnt vmcnt(4)
	s_delay_alu instid0(VALU_DEP_1) | instskip(SKIP_3) | instid1(VALU_DEP_1)
	v_fmac_f32_e32 v3, v136, v112
	ds_load_2addr_b32 v[111:112], v2 offset0:93 offset1:94
	s_waitcnt lgkmcnt(3)
	v_fmac_f32_e32 v3, v137, v113
	v_fmac_f32_e32 v3, v138, v114
	s_waitcnt lgkmcnt(2)
	s_delay_alu instid0(VALU_DEP_1) | instskip(SKIP_1) | instid1(VALU_DEP_1)
	v_fmac_f32_e32 v3, v139, v115
	s_waitcnt vmcnt(3)
	v_fmac_f32_e32 v3, v140, v116
	ds_load_2addr_b32 v[113:114], v2 offset0:95 offset1:96
	ds_load_2addr_b32 v[115:116], v2 offset0:97 offset1:98
	s_waitcnt lgkmcnt(3)
	v_fmac_f32_e32 v3, v141, v109
	s_delay_alu instid0(VALU_DEP_1) | instskip(SKIP_4) | instid1(VALU_DEP_1)
	v_fmac_f32_e32 v3, v142, v110
	ds_load_2addr_b32 v[109:110], v2 offset0:99 offset1:100
	s_waitcnt lgkmcnt(3)
	v_fmac_f32_e32 v3, v143, v111
	s_waitcnt vmcnt(2)
	v_fmac_f32_e32 v3, v144, v112
	ds_load_2addr_b32 v[111:112], v2 offset0:101 offset1:102
	s_waitcnt lgkmcnt(3)
	v_fmac_f32_e32 v3, v145, v113
	ds_load_b32 v113, v2 offset:412
	v_fmac_f32_e32 v3, v146, v114
	s_waitcnt lgkmcnt(3)
	s_delay_alu instid0(VALU_DEP_1) | instskip(SKIP_1) | instid1(VALU_DEP_1)
	v_fmac_f32_e32 v3, v147, v115
	s_waitcnt vmcnt(1)
	v_fmac_f32_e32 v3, v148, v116
	s_waitcnt lgkmcnt(2)
	s_delay_alu instid0(VALU_DEP_1) | instskip(NEXT) | instid1(VALU_DEP_1)
	v_fmac_f32_e32 v3, v149, v109
	v_fmac_f32_e32 v3, v150, v110
	s_waitcnt lgkmcnt(1)
	s_delay_alu instid0(VALU_DEP_1) | instskip(SKIP_1) | instid1(VALU_DEP_1)
	v_fmac_f32_e32 v3, v151, v111
	s_waitcnt vmcnt(0)
	v_fmac_f32_e32 v3, v152, v112
	s_waitcnt lgkmcnt(0)
	s_delay_alu instid0(VALU_DEP_1) | instskip(NEXT) | instid1(VALU_DEP_1)
	v_fmac_f32_e32 v3, v153, v113
	v_sub_f32_e32 v3, v108, v3
	scratch_store_b32 off, v3, off offset:24
	v_cmpx_lt_u32_e32 5, v0
	s_cbranch_execz .LBB51_309
; %bb.308:
	scratch_load_b32 v3, off, off offset:20
	scratch_store_b32 off, v2, off offset:20
	s_waitcnt vmcnt(0)
	ds_store_b32 v1, v3
.LBB51_309:
	s_or_b32 exec_lo, exec_lo, s0
	s_waitcnt lgkmcnt(0)
	s_waitcnt_vscnt null, 0x0
	s_barrier
	buffer_gl0_inv
	s_clause 0xb
	scratch_load_b128 v[108:111], off, off offset:20
	scratch_load_b128 v[112:115], off, off offset:36
	;; [unrolled: 1-line block ×11, first 2 shown]
	scratch_load_b96 v[160:162], off, off offset:196
	ds_load_2addr_b64 v[152:155], v2 offset0:29 offset1:30
	ds_load_2addr_b64 v[156:159], v2 offset0:31 offset1:32
	s_mov_b32 s0, exec_lo
	s_waitcnt vmcnt(11) lgkmcnt(1)
	v_fma_f32 v152, v109, v152, 0
	s_delay_alu instid0(VALU_DEP_1) | instskip(NEXT) | instid1(VALU_DEP_1)
	v_fmac_f32_e32 v152, v110, v153
	v_fmac_f32_e32 v152, v111, v154
	s_waitcnt vmcnt(10)
	s_delay_alu instid0(VALU_DEP_1) | instskip(SKIP_3) | instid1(VALU_DEP_1)
	v_fmac_f32_e32 v152, v112, v155
	ds_load_2addr_b64 v[109:112], v2 offset0:33 offset1:34
	s_waitcnt lgkmcnt(1)
	v_fmac_f32_e32 v152, v113, v156
	v_fmac_f32_e32 v152, v114, v157
	s_delay_alu instid0(VALU_DEP_1) | instskip(SKIP_1) | instid1(VALU_DEP_1)
	v_fmac_f32_e32 v152, v115, v158
	s_waitcnt vmcnt(9)
	v_fmac_f32_e32 v152, v116, v159
	ds_load_2addr_b64 v[113:116], v2 offset0:35 offset1:36
	s_waitcnt lgkmcnt(1)
	v_fmac_f32_e32 v152, v117, v109
	s_delay_alu instid0(VALU_DEP_1) | instskip(NEXT) | instid1(VALU_DEP_1)
	v_fmac_f32_e32 v152, v118, v110
	v_fmac_f32_e32 v152, v119, v111
	s_waitcnt vmcnt(8)
	s_delay_alu instid0(VALU_DEP_1) | instskip(SKIP_3) | instid1(VALU_DEP_1)
	v_fmac_f32_e32 v152, v120, v112
	ds_load_2addr_b64 v[109:112], v2 offset0:37 offset1:38
	s_waitcnt lgkmcnt(1)
	v_fmac_f32_e32 v152, v121, v113
	v_fmac_f32_e32 v152, v122, v114
	s_delay_alu instid0(VALU_DEP_1) | instskip(SKIP_1) | instid1(VALU_DEP_1)
	v_fmac_f32_e32 v152, v123, v115
	s_waitcnt vmcnt(7)
	v_fmac_f32_e32 v152, v124, v116
	ds_load_2addr_b64 v[113:116], v2 offset0:39 offset1:40
	s_waitcnt lgkmcnt(1)
	v_fmac_f32_e32 v152, v125, v109
	;; [unrolled: 17-line block ×4, first 2 shown]
	s_delay_alu instid0(VALU_DEP_1) | instskip(NEXT) | instid1(VALU_DEP_1)
	v_fmac_f32_e32 v152, v142, v110
	v_fmac_f32_e32 v152, v143, v111
	s_waitcnt vmcnt(2)
	s_delay_alu instid0(VALU_DEP_1) | instskip(SKIP_4) | instid1(VALU_DEP_1)
	v_fmac_f32_e32 v152, v144, v112
	ds_load_2addr_b64 v[109:112], v2 offset0:49 offset1:50
	ds_load_b64 v[2:3], v2 offset:408
	s_waitcnt lgkmcnt(2)
	v_fmac_f32_e32 v152, v145, v113
	v_fmac_f32_e32 v152, v146, v114
	s_delay_alu instid0(VALU_DEP_1) | instskip(SKIP_1) | instid1(VALU_DEP_1)
	v_fmac_f32_e32 v152, v147, v115
	s_waitcnt vmcnt(1)
	v_fmac_f32_e32 v152, v148, v116
	s_waitcnt lgkmcnt(1)
	s_delay_alu instid0(VALU_DEP_1) | instskip(NEXT) | instid1(VALU_DEP_1)
	v_fmac_f32_e32 v152, v149, v109
	v_fmac_f32_e32 v152, v150, v110
	s_delay_alu instid0(VALU_DEP_1) | instskip(SKIP_1) | instid1(VALU_DEP_1)
	v_fmac_f32_e32 v152, v151, v111
	s_waitcnt vmcnt(0)
	v_fmac_f32_e32 v152, v160, v112
	s_waitcnt lgkmcnt(0)
	s_delay_alu instid0(VALU_DEP_1) | instskip(NEXT) | instid1(VALU_DEP_1)
	v_fmac_f32_e32 v152, v161, v2
	v_fmac_f32_e32 v152, v162, v3
	s_delay_alu instid0(VALU_DEP_1)
	v_sub_f32_e32 v2, v108, v152
	scratch_store_b32 off, v2, off offset:20
	v_cmpx_lt_u32_e32 4, v0
	s_cbranch_execz .LBB51_311
; %bb.310:
	scratch_load_b32 v2, off, off offset:16
	v_mov_b32_e32 v3, 0
	scratch_store_b32 off, v3, off offset:16
	s_waitcnt vmcnt(0)
	ds_store_b32 v1, v2
.LBB51_311:
	s_or_b32 exec_lo, exec_lo, s0
	s_waitcnt lgkmcnt(0)
	s_waitcnt_vscnt null, 0x0
	s_barrier
	buffer_gl0_inv
	s_clause 0xb
	scratch_load_b128 v[108:111], off, off offset:16
	scratch_load_b128 v[112:115], off, off offset:32
	;; [unrolled: 1-line block ×12, first 2 shown]
	v_mov_b32_e32 v2, 0
	ds_load_2addr_b32 v[156:157], v2 offset0:57 offset1:58
	ds_load_2addr_b32 v[158:159], v2 offset0:59 offset1:60
	ds_load_2addr_b32 v[160:161], v2 offset0:61 offset1:62
	ds_load_2addr_b32 v[162:163], v2 offset0:63 offset1:64
	s_mov_b32 s0, exec_lo
	s_waitcnt vmcnt(11) lgkmcnt(3)
	v_fma_f32 v3, v109, v156, 0
	s_delay_alu instid0(VALU_DEP_1) | instskip(SKIP_4) | instid1(VALU_DEP_1)
	v_fmac_f32_e32 v3, v110, v157
	ds_load_2addr_b32 v[109:110], v2 offset0:65 offset1:66
	s_waitcnt lgkmcnt(3)
	v_fmac_f32_e32 v3, v111, v158
	s_waitcnt vmcnt(10)
	v_fmac_f32_e32 v3, v112, v159
	ds_load_2addr_b32 v[111:112], v2 offset0:67 offset1:68
	s_waitcnt lgkmcnt(3)
	v_fmac_f32_e32 v3, v113, v160
	s_delay_alu instid0(VALU_DEP_1) | instskip(SKIP_1) | instid1(VALU_DEP_1)
	v_fmac_f32_e32 v3, v114, v161
	s_waitcnt lgkmcnt(2)
	v_fmac_f32_e32 v3, v115, v162
	s_waitcnt vmcnt(9)
	s_delay_alu instid0(VALU_DEP_1) | instskip(SKIP_4) | instid1(VALU_DEP_1)
	v_fmac_f32_e32 v3, v116, v163
	ds_load_2addr_b32 v[113:114], v2 offset0:69 offset1:70
	ds_load_2addr_b32 v[115:116], v2 offset0:71 offset1:72
	s_waitcnt lgkmcnt(3)
	v_fmac_f32_e32 v3, v117, v109
	v_fmac_f32_e32 v3, v118, v110
	ds_load_2addr_b32 v[109:110], v2 offset0:73 offset1:74
	s_waitcnt lgkmcnt(3)
	v_fmac_f32_e32 v3, v119, v111
	s_waitcnt vmcnt(8)
	s_delay_alu instid0(VALU_DEP_1) | instskip(SKIP_3) | instid1(VALU_DEP_1)
	v_fmac_f32_e32 v3, v120, v112
	ds_load_2addr_b32 v[111:112], v2 offset0:75 offset1:76
	s_waitcnt lgkmcnt(3)
	v_fmac_f32_e32 v3, v121, v113
	v_fmac_f32_e32 v3, v122, v114
	s_waitcnt lgkmcnt(2)
	s_delay_alu instid0(VALU_DEP_1) | instskip(SKIP_1) | instid1(VALU_DEP_1)
	v_fmac_f32_e32 v3, v123, v115
	s_waitcnt vmcnt(7)
	v_fmac_f32_e32 v3, v124, v116
	ds_load_2addr_b32 v[113:114], v2 offset0:77 offset1:78
	ds_load_2addr_b32 v[115:116], v2 offset0:79 offset1:80
	s_waitcnt lgkmcnt(3)
	v_fmac_f32_e32 v3, v125, v109
	s_delay_alu instid0(VALU_DEP_1) | instskip(SKIP_4) | instid1(VALU_DEP_1)
	v_fmac_f32_e32 v3, v126, v110
	ds_load_2addr_b32 v[109:110], v2 offset0:81 offset1:82
	s_waitcnt lgkmcnt(3)
	v_fmac_f32_e32 v3, v127, v111
	s_waitcnt vmcnt(6)
	v_fmac_f32_e32 v3, v128, v112
	ds_load_2addr_b32 v[111:112], v2 offset0:83 offset1:84
	s_waitcnt lgkmcnt(3)
	v_fmac_f32_e32 v3, v129, v113
	s_delay_alu instid0(VALU_DEP_1) | instskip(SKIP_1) | instid1(VALU_DEP_1)
	v_fmac_f32_e32 v3, v130, v114
	s_waitcnt lgkmcnt(2)
	v_fmac_f32_e32 v3, v131, v115
	s_waitcnt vmcnt(5)
	s_delay_alu instid0(VALU_DEP_1) | instskip(SKIP_4) | instid1(VALU_DEP_1)
	v_fmac_f32_e32 v3, v132, v116
	ds_load_2addr_b32 v[113:114], v2 offset0:85 offset1:86
	ds_load_2addr_b32 v[115:116], v2 offset0:87 offset1:88
	s_waitcnt lgkmcnt(3)
	v_fmac_f32_e32 v3, v133, v109
	v_fmac_f32_e32 v3, v134, v110
	ds_load_2addr_b32 v[109:110], v2 offset0:89 offset1:90
	s_waitcnt lgkmcnt(3)
	v_fmac_f32_e32 v3, v135, v111
	s_waitcnt vmcnt(4)
	s_delay_alu instid0(VALU_DEP_1) | instskip(SKIP_3) | instid1(VALU_DEP_1)
	v_fmac_f32_e32 v3, v136, v112
	ds_load_2addr_b32 v[111:112], v2 offset0:91 offset1:92
	s_waitcnt lgkmcnt(3)
	v_fmac_f32_e32 v3, v137, v113
	v_fmac_f32_e32 v3, v138, v114
	s_waitcnt lgkmcnt(2)
	s_delay_alu instid0(VALU_DEP_1) | instskip(SKIP_1) | instid1(VALU_DEP_1)
	v_fmac_f32_e32 v3, v139, v115
	s_waitcnt vmcnt(3)
	v_fmac_f32_e32 v3, v140, v116
	ds_load_2addr_b32 v[113:114], v2 offset0:93 offset1:94
	ds_load_2addr_b32 v[115:116], v2 offset0:95 offset1:96
	s_waitcnt lgkmcnt(3)
	v_fmac_f32_e32 v3, v141, v109
	s_delay_alu instid0(VALU_DEP_1) | instskip(SKIP_4) | instid1(VALU_DEP_1)
	v_fmac_f32_e32 v3, v142, v110
	ds_load_2addr_b32 v[109:110], v2 offset0:97 offset1:98
	s_waitcnt lgkmcnt(3)
	v_fmac_f32_e32 v3, v143, v111
	s_waitcnt vmcnt(2)
	v_fmac_f32_e32 v3, v144, v112
	ds_load_2addr_b32 v[111:112], v2 offset0:99 offset1:100
	s_waitcnt lgkmcnt(3)
	v_fmac_f32_e32 v3, v145, v113
	s_delay_alu instid0(VALU_DEP_1) | instskip(SKIP_1) | instid1(VALU_DEP_1)
	v_fmac_f32_e32 v3, v146, v114
	s_waitcnt lgkmcnt(2)
	v_fmac_f32_e32 v3, v147, v115
	ds_load_2addr_b32 v[113:114], v2 offset0:101 offset1:102
	ds_load_b32 v115, v2 offset:412
	s_waitcnt vmcnt(1)
	v_fmac_f32_e32 v3, v148, v116
	s_waitcnt lgkmcnt(3)
	s_delay_alu instid0(VALU_DEP_1) | instskip(NEXT) | instid1(VALU_DEP_1)
	v_fmac_f32_e32 v3, v149, v109
	v_fmac_f32_e32 v3, v150, v110
	s_waitcnt lgkmcnt(2)
	s_delay_alu instid0(VALU_DEP_1) | instskip(SKIP_1) | instid1(VALU_DEP_1)
	v_fmac_f32_e32 v3, v151, v111
	s_waitcnt vmcnt(0)
	v_fmac_f32_e32 v3, v152, v112
	s_waitcnt lgkmcnt(1)
	s_delay_alu instid0(VALU_DEP_1) | instskip(NEXT) | instid1(VALU_DEP_1)
	v_fmac_f32_e32 v3, v153, v113
	v_fmac_f32_e32 v3, v154, v114
	s_waitcnt lgkmcnt(0)
	s_delay_alu instid0(VALU_DEP_1) | instskip(NEXT) | instid1(VALU_DEP_1)
	v_fmac_f32_e32 v3, v155, v115
	v_sub_f32_e32 v3, v108, v3
	scratch_store_b32 off, v3, off offset:16
	v_cmpx_lt_u32_e32 3, v0
	s_cbranch_execz .LBB51_313
; %bb.312:
	scratch_load_b32 v3, off, off offset:12
	scratch_store_b32 off, v2, off offset:12
	s_waitcnt vmcnt(0)
	ds_store_b32 v1, v3
.LBB51_313:
	s_or_b32 exec_lo, exec_lo, s0
	s_waitcnt lgkmcnt(0)
	s_waitcnt_vscnt null, 0x0
	s_barrier
	buffer_gl0_inv
	s_clause 0xc
	scratch_load_b128 v[108:111], off, off offset:12
	scratch_load_b128 v[112:115], off, off offset:28
	;; [unrolled: 1-line block ×12, first 2 shown]
	scratch_load_b32 v3, off, off offset:204
	ds_load_b128 v[156:159], v2 offset:224
	ds_load_b128 v[160:163], v2 offset:240
	s_mov_b32 s0, exec_lo
	s_waitcnt vmcnt(12) lgkmcnt(1)
	v_fma_f32 v156, v109, v156, 0
	s_delay_alu instid0(VALU_DEP_1) | instskip(NEXT) | instid1(VALU_DEP_1)
	v_fmac_f32_e32 v156, v110, v157
	v_fmac_f32_e32 v156, v111, v158
	s_waitcnt vmcnt(11)
	s_delay_alu instid0(VALU_DEP_1) | instskip(SKIP_3) | instid1(VALU_DEP_1)
	v_fmac_f32_e32 v156, v112, v159
	ds_load_b128 v[109:112], v2 offset:256
	s_waitcnt lgkmcnt(1)
	v_fmac_f32_e32 v156, v113, v160
	v_fmac_f32_e32 v156, v114, v161
	s_delay_alu instid0(VALU_DEP_1) | instskip(SKIP_1) | instid1(VALU_DEP_1)
	v_fmac_f32_e32 v156, v115, v162
	s_waitcnt vmcnt(10)
	v_fmac_f32_e32 v156, v116, v163
	ds_load_b128 v[113:116], v2 offset:272
	s_waitcnt lgkmcnt(1)
	v_fmac_f32_e32 v156, v117, v109
	s_delay_alu instid0(VALU_DEP_1) | instskip(NEXT) | instid1(VALU_DEP_1)
	v_fmac_f32_e32 v156, v118, v110
	v_fmac_f32_e32 v156, v119, v111
	s_waitcnt vmcnt(9)
	s_delay_alu instid0(VALU_DEP_1) | instskip(SKIP_3) | instid1(VALU_DEP_1)
	v_fmac_f32_e32 v156, v120, v112
	ds_load_b128 v[109:112], v2 offset:288
	s_waitcnt lgkmcnt(1)
	v_fmac_f32_e32 v156, v121, v113
	v_fmac_f32_e32 v156, v122, v114
	s_delay_alu instid0(VALU_DEP_1) | instskip(SKIP_1) | instid1(VALU_DEP_1)
	v_fmac_f32_e32 v156, v123, v115
	s_waitcnt vmcnt(8)
	v_fmac_f32_e32 v156, v124, v116
	ds_load_b128 v[113:116], v2 offset:304
	s_waitcnt lgkmcnt(1)
	v_fmac_f32_e32 v156, v125, v109
	s_delay_alu instid0(VALU_DEP_1) | instskip(NEXT) | instid1(VALU_DEP_1)
	v_fmac_f32_e32 v156, v126, v110
	v_fmac_f32_e32 v156, v127, v111
	s_waitcnt vmcnt(7)
	s_delay_alu instid0(VALU_DEP_1) | instskip(SKIP_3) | instid1(VALU_DEP_1)
	v_fmac_f32_e32 v156, v128, v112
	ds_load_b128 v[109:112], v2 offset:320
	s_waitcnt lgkmcnt(1)
	v_fmac_f32_e32 v156, v129, v113
	v_fmac_f32_e32 v156, v130, v114
	s_delay_alu instid0(VALU_DEP_1) | instskip(SKIP_1) | instid1(VALU_DEP_1)
	v_fmac_f32_e32 v156, v131, v115
	s_waitcnt vmcnt(6)
	v_fmac_f32_e32 v156, v132, v116
	ds_load_b128 v[113:116], v2 offset:336
	s_waitcnt lgkmcnt(1)
	v_fmac_f32_e32 v156, v133, v109
	s_delay_alu instid0(VALU_DEP_1) | instskip(NEXT) | instid1(VALU_DEP_1)
	v_fmac_f32_e32 v156, v134, v110
	v_fmac_f32_e32 v156, v135, v111
	s_waitcnt vmcnt(5)
	s_delay_alu instid0(VALU_DEP_1) | instskip(SKIP_3) | instid1(VALU_DEP_1)
	v_fmac_f32_e32 v156, v136, v112
	ds_load_b128 v[109:112], v2 offset:352
	s_waitcnt lgkmcnt(1)
	v_fmac_f32_e32 v156, v137, v113
	v_fmac_f32_e32 v156, v138, v114
	s_delay_alu instid0(VALU_DEP_1) | instskip(SKIP_1) | instid1(VALU_DEP_1)
	v_fmac_f32_e32 v156, v139, v115
	s_waitcnt vmcnt(4)
	v_fmac_f32_e32 v156, v140, v116
	ds_load_b128 v[113:116], v2 offset:368
	s_waitcnt lgkmcnt(1)
	v_fmac_f32_e32 v156, v141, v109
	s_delay_alu instid0(VALU_DEP_1) | instskip(NEXT) | instid1(VALU_DEP_1)
	v_fmac_f32_e32 v156, v142, v110
	v_fmac_f32_e32 v156, v143, v111
	s_waitcnt vmcnt(3)
	s_delay_alu instid0(VALU_DEP_1) | instskip(SKIP_3) | instid1(VALU_DEP_1)
	v_fmac_f32_e32 v156, v144, v112
	ds_load_b128 v[109:112], v2 offset:384
	s_waitcnt lgkmcnt(1)
	v_fmac_f32_e32 v156, v145, v113
	v_fmac_f32_e32 v156, v146, v114
	s_delay_alu instid0(VALU_DEP_1) | instskip(SKIP_1) | instid1(VALU_DEP_1)
	v_fmac_f32_e32 v156, v147, v115
	s_waitcnt vmcnt(2)
	v_fmac_f32_e32 v156, v148, v116
	ds_load_b128 v[113:116], v2 offset:400
	s_waitcnt lgkmcnt(1)
	v_fmac_f32_e32 v156, v149, v109
	s_delay_alu instid0(VALU_DEP_1) | instskip(NEXT) | instid1(VALU_DEP_1)
	v_fmac_f32_e32 v156, v150, v110
	v_fmac_f32_e32 v156, v151, v111
	s_waitcnt vmcnt(1)
	s_delay_alu instid0(VALU_DEP_1) | instskip(SKIP_1) | instid1(VALU_DEP_1)
	v_fmac_f32_e32 v156, v152, v112
	s_waitcnt lgkmcnt(0)
	v_fmac_f32_e32 v156, v153, v113
	s_delay_alu instid0(VALU_DEP_1) | instskip(NEXT) | instid1(VALU_DEP_1)
	v_fmac_f32_e32 v156, v154, v114
	v_fmac_f32_e32 v156, v155, v115
	s_waitcnt vmcnt(0)
	s_delay_alu instid0(VALU_DEP_1) | instskip(NEXT) | instid1(VALU_DEP_1)
	v_fmac_f32_e32 v156, v3, v116
	v_sub_f32_e32 v2, v108, v156
	scratch_store_b32 off, v2, off offset:12
	v_cmpx_lt_u32_e32 2, v0
	s_cbranch_execz .LBB51_315
; %bb.314:
	scratch_load_b32 v2, off, off offset:8
	v_mov_b32_e32 v3, 0
	scratch_store_b32 off, v3, off offset:8
	s_waitcnt vmcnt(0)
	ds_store_b32 v1, v2
.LBB51_315:
	s_or_b32 exec_lo, exec_lo, s0
	s_waitcnt lgkmcnt(0)
	s_waitcnt_vscnt null, 0x0
	s_barrier
	buffer_gl0_inv
	s_clause 0xc
	scratch_load_b128 v[108:111], off, off offset:8
	scratch_load_b128 v[112:115], off, off offset:24
	;; [unrolled: 1-line block ×12, first 2 shown]
	scratch_load_b64 v[156:157], off, off offset:200
	v_mov_b32_e32 v2, 0
	ds_load_2addr_b32 v[158:159], v2 offset0:55 offset1:56
	ds_load_2addr_b32 v[160:161], v2 offset0:57 offset1:58
	;; [unrolled: 1-line block ×4, first 2 shown]
	s_mov_b32 s0, exec_lo
	s_waitcnt vmcnt(12) lgkmcnt(3)
	v_fma_f32 v3, v109, v158, 0
	s_delay_alu instid0(VALU_DEP_1) | instskip(SKIP_4) | instid1(VALU_DEP_1)
	v_fmac_f32_e32 v3, v110, v159
	ds_load_2addr_b32 v[109:110], v2 offset0:63 offset1:64
	s_waitcnt lgkmcnt(3)
	v_fmac_f32_e32 v3, v111, v160
	s_waitcnt vmcnt(11)
	v_fmac_f32_e32 v3, v112, v161
	ds_load_2addr_b32 v[111:112], v2 offset0:65 offset1:66
	s_waitcnt lgkmcnt(3)
	v_fmac_f32_e32 v3, v113, v162
	s_delay_alu instid0(VALU_DEP_1) | instskip(SKIP_1) | instid1(VALU_DEP_1)
	v_fmac_f32_e32 v3, v114, v163
	s_waitcnt lgkmcnt(2)
	v_fmac_f32_e32 v3, v115, v164
	s_waitcnt vmcnt(10)
	s_delay_alu instid0(VALU_DEP_1) | instskip(SKIP_4) | instid1(VALU_DEP_1)
	v_fmac_f32_e32 v3, v116, v165
	ds_load_2addr_b32 v[113:114], v2 offset0:67 offset1:68
	ds_load_2addr_b32 v[115:116], v2 offset0:69 offset1:70
	s_waitcnt lgkmcnt(3)
	v_fmac_f32_e32 v3, v117, v109
	v_fmac_f32_e32 v3, v118, v110
	ds_load_2addr_b32 v[109:110], v2 offset0:71 offset1:72
	s_waitcnt lgkmcnt(3)
	v_fmac_f32_e32 v3, v119, v111
	s_waitcnt vmcnt(9)
	s_delay_alu instid0(VALU_DEP_1) | instskip(SKIP_3) | instid1(VALU_DEP_1)
	v_fmac_f32_e32 v3, v120, v112
	ds_load_2addr_b32 v[111:112], v2 offset0:73 offset1:74
	s_waitcnt lgkmcnt(3)
	v_fmac_f32_e32 v3, v121, v113
	v_fmac_f32_e32 v3, v122, v114
	s_waitcnt lgkmcnt(2)
	s_delay_alu instid0(VALU_DEP_1) | instskip(SKIP_1) | instid1(VALU_DEP_1)
	v_fmac_f32_e32 v3, v123, v115
	s_waitcnt vmcnt(8)
	v_fmac_f32_e32 v3, v124, v116
	ds_load_2addr_b32 v[113:114], v2 offset0:75 offset1:76
	ds_load_2addr_b32 v[115:116], v2 offset0:77 offset1:78
	s_waitcnt lgkmcnt(3)
	v_fmac_f32_e32 v3, v125, v109
	s_delay_alu instid0(VALU_DEP_1) | instskip(SKIP_4) | instid1(VALU_DEP_1)
	v_fmac_f32_e32 v3, v126, v110
	ds_load_2addr_b32 v[109:110], v2 offset0:79 offset1:80
	s_waitcnt lgkmcnt(3)
	v_fmac_f32_e32 v3, v127, v111
	s_waitcnt vmcnt(7)
	v_fmac_f32_e32 v3, v128, v112
	ds_load_2addr_b32 v[111:112], v2 offset0:81 offset1:82
	s_waitcnt lgkmcnt(3)
	v_fmac_f32_e32 v3, v129, v113
	s_delay_alu instid0(VALU_DEP_1) | instskip(SKIP_1) | instid1(VALU_DEP_1)
	v_fmac_f32_e32 v3, v130, v114
	s_waitcnt lgkmcnt(2)
	v_fmac_f32_e32 v3, v131, v115
	s_waitcnt vmcnt(6)
	s_delay_alu instid0(VALU_DEP_1) | instskip(SKIP_4) | instid1(VALU_DEP_1)
	v_fmac_f32_e32 v3, v132, v116
	ds_load_2addr_b32 v[113:114], v2 offset0:83 offset1:84
	ds_load_2addr_b32 v[115:116], v2 offset0:85 offset1:86
	s_waitcnt lgkmcnt(3)
	v_fmac_f32_e32 v3, v133, v109
	v_fmac_f32_e32 v3, v134, v110
	ds_load_2addr_b32 v[109:110], v2 offset0:87 offset1:88
	s_waitcnt lgkmcnt(3)
	v_fmac_f32_e32 v3, v135, v111
	s_waitcnt vmcnt(5)
	s_delay_alu instid0(VALU_DEP_1) | instskip(SKIP_3) | instid1(VALU_DEP_1)
	v_fmac_f32_e32 v3, v136, v112
	ds_load_2addr_b32 v[111:112], v2 offset0:89 offset1:90
	s_waitcnt lgkmcnt(3)
	v_fmac_f32_e32 v3, v137, v113
	v_fmac_f32_e32 v3, v138, v114
	s_waitcnt lgkmcnt(2)
	s_delay_alu instid0(VALU_DEP_1) | instskip(SKIP_1) | instid1(VALU_DEP_1)
	v_fmac_f32_e32 v3, v139, v115
	s_waitcnt vmcnt(4)
	v_fmac_f32_e32 v3, v140, v116
	ds_load_2addr_b32 v[113:114], v2 offset0:91 offset1:92
	ds_load_2addr_b32 v[115:116], v2 offset0:93 offset1:94
	s_waitcnt lgkmcnt(3)
	v_fmac_f32_e32 v3, v141, v109
	s_delay_alu instid0(VALU_DEP_1) | instskip(SKIP_4) | instid1(VALU_DEP_1)
	v_fmac_f32_e32 v3, v142, v110
	ds_load_2addr_b32 v[109:110], v2 offset0:95 offset1:96
	s_waitcnt lgkmcnt(3)
	v_fmac_f32_e32 v3, v143, v111
	s_waitcnt vmcnt(3)
	v_fmac_f32_e32 v3, v144, v112
	ds_load_2addr_b32 v[111:112], v2 offset0:97 offset1:98
	s_waitcnt lgkmcnt(3)
	v_fmac_f32_e32 v3, v145, v113
	s_delay_alu instid0(VALU_DEP_1) | instskip(SKIP_1) | instid1(VALU_DEP_1)
	v_fmac_f32_e32 v3, v146, v114
	s_waitcnt lgkmcnt(2)
	v_fmac_f32_e32 v3, v147, v115
	s_waitcnt vmcnt(2)
	s_delay_alu instid0(VALU_DEP_1)
	v_fmac_f32_e32 v3, v148, v116
	ds_load_2addr_b32 v[113:114], v2 offset0:99 offset1:100
	ds_load_2addr_b32 v[115:116], v2 offset0:101 offset1:102
	s_waitcnt lgkmcnt(3)
	v_fmac_f32_e32 v3, v149, v109
	ds_load_b32 v109, v2 offset:412
	v_fmac_f32_e32 v3, v150, v110
	s_waitcnt lgkmcnt(3)
	s_delay_alu instid0(VALU_DEP_1) | instskip(SKIP_1) | instid1(VALU_DEP_1)
	v_fmac_f32_e32 v3, v151, v111
	s_waitcnt vmcnt(1)
	v_fmac_f32_e32 v3, v152, v112
	s_waitcnt lgkmcnt(2)
	s_delay_alu instid0(VALU_DEP_1) | instskip(NEXT) | instid1(VALU_DEP_1)
	v_fmac_f32_e32 v3, v153, v113
	v_fmac_f32_e32 v3, v154, v114
	s_waitcnt lgkmcnt(1)
	s_delay_alu instid0(VALU_DEP_1) | instskip(SKIP_1) | instid1(VALU_DEP_1)
	v_fmac_f32_e32 v3, v155, v115
	s_waitcnt vmcnt(0)
	v_fmac_f32_e32 v3, v156, v116
	s_waitcnt lgkmcnt(0)
	s_delay_alu instid0(VALU_DEP_1) | instskip(NEXT) | instid1(VALU_DEP_1)
	v_fmac_f32_e32 v3, v157, v109
	v_sub_f32_e32 v3, v108, v3
	scratch_store_b32 off, v3, off offset:8
	v_cmpx_lt_u32_e32 1, v0
	s_cbranch_execz .LBB51_317
; %bb.316:
	scratch_load_b32 v3, off, off offset:4
	scratch_store_b32 off, v2, off offset:4
	s_waitcnt vmcnt(0)
	ds_store_b32 v1, v3
.LBB51_317:
	s_or_b32 exec_lo, exec_lo, s0
	s_waitcnt lgkmcnt(0)
	s_waitcnt_vscnt null, 0x0
	s_barrier
	buffer_gl0_inv
	s_clause 0xc
	scratch_load_b128 v[108:111], off, off offset:4
	scratch_load_b128 v[112:115], off, off offset:20
	;; [unrolled: 1-line block ×12, first 2 shown]
	scratch_load_b96 v[164:166], off, off offset:196
	ds_load_2addr_b64 v[156:159], v2 offset0:27 offset1:28
	ds_load_2addr_b64 v[160:163], v2 offset0:29 offset1:30
	s_mov_b32 s0, exec_lo
	s_waitcnt vmcnt(12) lgkmcnt(1)
	v_fma_f32 v156, v109, v156, 0
	s_delay_alu instid0(VALU_DEP_1) | instskip(NEXT) | instid1(VALU_DEP_1)
	v_fmac_f32_e32 v156, v110, v157
	v_fmac_f32_e32 v156, v111, v158
	s_waitcnt vmcnt(11)
	s_delay_alu instid0(VALU_DEP_1) | instskip(SKIP_3) | instid1(VALU_DEP_1)
	v_fmac_f32_e32 v156, v112, v159
	ds_load_2addr_b64 v[109:112], v2 offset0:31 offset1:32
	s_waitcnt lgkmcnt(1)
	v_fmac_f32_e32 v156, v113, v160
	v_fmac_f32_e32 v156, v114, v161
	s_delay_alu instid0(VALU_DEP_1) | instskip(SKIP_1) | instid1(VALU_DEP_1)
	v_fmac_f32_e32 v156, v115, v162
	s_waitcnt vmcnt(10)
	v_fmac_f32_e32 v156, v116, v163
	ds_load_2addr_b64 v[113:116], v2 offset0:33 offset1:34
	s_waitcnt lgkmcnt(1)
	v_fmac_f32_e32 v156, v117, v109
	s_delay_alu instid0(VALU_DEP_1) | instskip(NEXT) | instid1(VALU_DEP_1)
	v_fmac_f32_e32 v156, v118, v110
	v_fmac_f32_e32 v156, v119, v111
	s_waitcnt vmcnt(9)
	s_delay_alu instid0(VALU_DEP_1) | instskip(SKIP_3) | instid1(VALU_DEP_1)
	v_fmac_f32_e32 v156, v120, v112
	ds_load_2addr_b64 v[109:112], v2 offset0:35 offset1:36
	s_waitcnt lgkmcnt(1)
	v_fmac_f32_e32 v156, v121, v113
	v_fmac_f32_e32 v156, v122, v114
	s_delay_alu instid0(VALU_DEP_1) | instskip(SKIP_1) | instid1(VALU_DEP_1)
	v_fmac_f32_e32 v156, v123, v115
	s_waitcnt vmcnt(8)
	v_fmac_f32_e32 v156, v124, v116
	ds_load_2addr_b64 v[113:116], v2 offset0:37 offset1:38
	s_waitcnt lgkmcnt(1)
	v_fmac_f32_e32 v156, v125, v109
	;; [unrolled: 17-line block ×4, first 2 shown]
	s_delay_alu instid0(VALU_DEP_1) | instskip(NEXT) | instid1(VALU_DEP_1)
	v_fmac_f32_e32 v156, v142, v110
	v_fmac_f32_e32 v156, v143, v111
	s_waitcnt vmcnt(3)
	s_delay_alu instid0(VALU_DEP_1) | instskip(SKIP_3) | instid1(VALU_DEP_1)
	v_fmac_f32_e32 v156, v144, v112
	ds_load_2addr_b64 v[109:112], v2 offset0:47 offset1:48
	s_waitcnt lgkmcnt(1)
	v_fmac_f32_e32 v156, v145, v113
	v_fmac_f32_e32 v156, v146, v114
	s_delay_alu instid0(VALU_DEP_1) | instskip(SKIP_1) | instid1(VALU_DEP_1)
	v_fmac_f32_e32 v156, v147, v115
	s_waitcnt vmcnt(2)
	v_fmac_f32_e32 v156, v148, v116
	ds_load_2addr_b64 v[113:116], v2 offset0:49 offset1:50
	ds_load_b64 v[2:3], v2 offset:408
	s_waitcnt lgkmcnt(2)
	v_fmac_f32_e32 v156, v149, v109
	s_delay_alu instid0(VALU_DEP_1) | instskip(NEXT) | instid1(VALU_DEP_1)
	v_fmac_f32_e32 v156, v150, v110
	v_fmac_f32_e32 v156, v151, v111
	s_waitcnt vmcnt(1)
	s_delay_alu instid0(VALU_DEP_1) | instskip(SKIP_1) | instid1(VALU_DEP_1)
	v_fmac_f32_e32 v156, v152, v112
	s_waitcnt lgkmcnt(1)
	v_fmac_f32_e32 v156, v153, v113
	s_delay_alu instid0(VALU_DEP_1) | instskip(NEXT) | instid1(VALU_DEP_1)
	v_fmac_f32_e32 v156, v154, v114
	v_fmac_f32_e32 v156, v155, v115
	s_waitcnt vmcnt(0)
	s_delay_alu instid0(VALU_DEP_1) | instskip(SKIP_1) | instid1(VALU_DEP_1)
	v_fmac_f32_e32 v156, v164, v116
	s_waitcnt lgkmcnt(0)
	v_fmac_f32_e32 v156, v165, v2
	s_delay_alu instid0(VALU_DEP_1) | instskip(NEXT) | instid1(VALU_DEP_1)
	v_fmac_f32_e32 v156, v166, v3
	v_sub_f32_e32 v2, v108, v156
	scratch_store_b32 off, v2, off offset:4
	v_cmpx_ne_u32_e32 0, v0
	s_cbranch_execz .LBB51_319
; %bb.318:
	scratch_load_b32 v0, off, off
	v_mov_b32_e32 v2, 0
	scratch_store_b32 off, v2, off
	s_waitcnt vmcnt(0)
	ds_store_b32 v1, v0
.LBB51_319:
	s_or_b32 exec_lo, exec_lo, s0
	s_waitcnt lgkmcnt(0)
	s_waitcnt_vscnt null, 0x0
	s_barrier
	buffer_gl0_inv
	s_clause 0xc
	scratch_load_b128 v[108:111], off, off
	scratch_load_b128 v[112:115], off, off offset:16
	scratch_load_b128 v[116:119], off, off offset:32
	;; [unrolled: 1-line block ×12, first 2 shown]
	v_mov_b32_e32 v164, 0
	ds_load_2addr_b32 v[156:157], v164 offset0:53 offset1:54
	ds_load_2addr_b32 v[158:159], v164 offset0:55 offset1:56
	;; [unrolled: 1-line block ×4, first 2 shown]
	s_and_b32 vcc_lo, exec_lo, s16
	s_waitcnt vmcnt(12) lgkmcnt(3)
	v_fma_f32 v156, v109, v156, 0
	s_delay_alu instid0(VALU_DEP_1) | instskip(SKIP_4) | instid1(VALU_DEP_1)
	v_fmac_f32_e32 v156, v110, v157
	ds_load_2addr_b32 v[109:110], v164 offset0:61 offset1:62
	s_waitcnt lgkmcnt(3)
	v_fmac_f32_e32 v156, v111, v158
	s_waitcnt vmcnt(11)
	v_fmac_f32_e32 v156, v112, v159
	ds_load_2addr_b32 v[111:112], v164 offset0:63 offset1:64
	s_waitcnt lgkmcnt(3)
	v_fmac_f32_e32 v156, v113, v160
	s_delay_alu instid0(VALU_DEP_1) | instskip(SKIP_1) | instid1(VALU_DEP_1)
	v_fmac_f32_e32 v156, v114, v161
	s_waitcnt lgkmcnt(2)
	v_fmac_f32_e32 v156, v115, v162
	s_waitcnt vmcnt(10)
	s_delay_alu instid0(VALU_DEP_1) | instskip(SKIP_4) | instid1(VALU_DEP_1)
	v_fmac_f32_e32 v156, v116, v163
	ds_load_2addr_b32 v[113:114], v164 offset0:65 offset1:66
	ds_load_2addr_b32 v[115:116], v164 offset0:67 offset1:68
	s_waitcnt lgkmcnt(3)
	v_fmac_f32_e32 v156, v117, v109
	v_fmac_f32_e32 v156, v118, v110
	ds_load_2addr_b32 v[109:110], v164 offset0:69 offset1:70
	s_waitcnt lgkmcnt(3)
	v_fmac_f32_e32 v156, v119, v111
	s_waitcnt vmcnt(9)
	s_delay_alu instid0(VALU_DEP_1) | instskip(SKIP_3) | instid1(VALU_DEP_1)
	v_fmac_f32_e32 v156, v120, v112
	ds_load_2addr_b32 v[111:112], v164 offset0:71 offset1:72
	s_waitcnt lgkmcnt(3)
	v_fmac_f32_e32 v156, v121, v113
	v_fmac_f32_e32 v156, v122, v114
	s_waitcnt lgkmcnt(2)
	s_delay_alu instid0(VALU_DEP_1) | instskip(SKIP_1) | instid1(VALU_DEP_1)
	v_fmac_f32_e32 v156, v123, v115
	s_waitcnt vmcnt(8)
	v_fmac_f32_e32 v156, v124, v116
	ds_load_2addr_b32 v[113:114], v164 offset0:73 offset1:74
	ds_load_2addr_b32 v[115:116], v164 offset0:75 offset1:76
	s_waitcnt lgkmcnt(3)
	v_fmac_f32_e32 v156, v125, v109
	s_delay_alu instid0(VALU_DEP_1) | instskip(SKIP_4) | instid1(VALU_DEP_1)
	v_fmac_f32_e32 v156, v126, v110
	ds_load_2addr_b32 v[109:110], v164 offset0:77 offset1:78
	s_waitcnt lgkmcnt(3)
	v_fmac_f32_e32 v156, v127, v111
	s_waitcnt vmcnt(7)
	v_fmac_f32_e32 v156, v128, v112
	ds_load_2addr_b32 v[111:112], v164 offset0:79 offset1:80
	s_waitcnt lgkmcnt(3)
	v_fmac_f32_e32 v156, v129, v113
	s_delay_alu instid0(VALU_DEP_1) | instskip(SKIP_1) | instid1(VALU_DEP_1)
	v_fmac_f32_e32 v156, v130, v114
	s_waitcnt lgkmcnt(2)
	v_fmac_f32_e32 v156, v131, v115
	s_waitcnt vmcnt(6)
	s_delay_alu instid0(VALU_DEP_1) | instskip(SKIP_4) | instid1(VALU_DEP_1)
	v_fmac_f32_e32 v156, v132, v116
	ds_load_2addr_b32 v[113:114], v164 offset0:81 offset1:82
	ds_load_2addr_b32 v[115:116], v164 offset0:83 offset1:84
	s_waitcnt lgkmcnt(3)
	v_fmac_f32_e32 v156, v133, v109
	v_fmac_f32_e32 v156, v134, v110
	ds_load_2addr_b32 v[109:110], v164 offset0:85 offset1:86
	s_waitcnt lgkmcnt(3)
	v_fmac_f32_e32 v156, v135, v111
	s_waitcnt vmcnt(5)
	s_delay_alu instid0(VALU_DEP_1) | instskip(SKIP_3) | instid1(VALU_DEP_1)
	v_fmac_f32_e32 v156, v136, v112
	ds_load_2addr_b32 v[111:112], v164 offset0:87 offset1:88
	s_waitcnt lgkmcnt(3)
	v_fmac_f32_e32 v156, v137, v113
	v_fmac_f32_e32 v156, v138, v114
	s_waitcnt lgkmcnt(2)
	s_delay_alu instid0(VALU_DEP_1) | instskip(SKIP_1) | instid1(VALU_DEP_1)
	v_fmac_f32_e32 v156, v139, v115
	s_waitcnt vmcnt(4)
	v_fmac_f32_e32 v156, v140, v116
	ds_load_2addr_b32 v[113:114], v164 offset0:89 offset1:90
	ds_load_2addr_b32 v[115:116], v164 offset0:91 offset1:92
	s_waitcnt lgkmcnt(3)
	v_fmac_f32_e32 v156, v141, v109
	s_delay_alu instid0(VALU_DEP_1) | instskip(SKIP_4) | instid1(VALU_DEP_1)
	v_fmac_f32_e32 v156, v142, v110
	ds_load_2addr_b32 v[109:110], v164 offset0:93 offset1:94
	s_waitcnt lgkmcnt(3)
	v_fmac_f32_e32 v156, v143, v111
	s_waitcnt vmcnt(3)
	v_fmac_f32_e32 v156, v144, v112
	ds_load_2addr_b32 v[111:112], v164 offset0:95 offset1:96
	s_waitcnt lgkmcnt(3)
	v_fmac_f32_e32 v156, v145, v113
	s_delay_alu instid0(VALU_DEP_1) | instskip(SKIP_1) | instid1(VALU_DEP_1)
	v_fmac_f32_e32 v156, v146, v114
	s_waitcnt lgkmcnt(2)
	v_fmac_f32_e32 v156, v147, v115
	s_waitcnt vmcnt(2)
	s_delay_alu instid0(VALU_DEP_1) | instskip(SKIP_4) | instid1(VALU_DEP_1)
	v_fmac_f32_e32 v156, v148, v116
	ds_load_2addr_b32 v[113:114], v164 offset0:97 offset1:98
	ds_load_2addr_b32 v[115:116], v164 offset0:99 offset1:100
	s_waitcnt lgkmcnt(3)
	v_fmac_f32_e32 v156, v149, v109
	v_fmac_f32_e32 v156, v150, v110
	ds_load_2addr_b32 v[109:110], v164 offset0:101 offset1:102
	s_waitcnt lgkmcnt(3)
	v_fmac_f32_e32 v156, v151, v111
	ds_load_b32 v111, v164 offset:412
	s_waitcnt vmcnt(1)
	v_fmac_f32_e32 v156, v152, v112
	s_waitcnt lgkmcnt(3)
	s_delay_alu instid0(VALU_DEP_1) | instskip(NEXT) | instid1(VALU_DEP_1)
	v_fmac_f32_e32 v156, v153, v113
	v_fmac_f32_e32 v156, v154, v114
	s_waitcnt lgkmcnt(2)
	s_delay_alu instid0(VALU_DEP_1) | instskip(SKIP_1) | instid1(VALU_DEP_1)
	v_fmac_f32_e32 v156, v155, v115
	s_waitcnt vmcnt(0)
	v_fmac_f32_e32 v156, v0, v116
	s_waitcnt lgkmcnt(1)
	s_delay_alu instid0(VALU_DEP_1) | instskip(NEXT) | instid1(VALU_DEP_1)
	v_fmac_f32_e32 v156, v1, v109
	v_fmac_f32_e32 v156, v2, v110
	s_waitcnt lgkmcnt(0)
	s_delay_alu instid0(VALU_DEP_1) | instskip(NEXT) | instid1(VALU_DEP_1)
	v_fmac_f32_e32 v156, v3, v111
	v_sub_f32_e32 v0, v108, v156
	scratch_store_b32 off, v0, off
	s_cbranch_vccz .LBB51_423
; %bb.320:
	v_dual_mov_b32 v0, s12 :: v_dual_mov_b32 v1, s13
	s_mov_b32 s0, exec_lo
	flat_load_b32 v0, v[0:1] offset:200
	s_waitcnt vmcnt(0) lgkmcnt(0)
	v_cmpx_ne_u32_e32 51, v0
	s_cbranch_execz .LBB51_322
; %bb.321:
	v_lshl_add_u32 v0, v0, 2, 0
	scratch_load_b32 v1, v0, off offset:-4
	s_waitcnt vmcnt(0)
	scratch_store_b32 off, v1, off offset:200
	scratch_store_b32 v0, v2, off offset:-4
.LBB51_322:
	s_or_b32 exec_lo, exec_lo, s0
	v_dual_mov_b32 v0, s12 :: v_dual_mov_b32 v1, s13
	s_mov_b32 s0, exec_lo
	flat_load_b32 v0, v[0:1] offset:196
	s_waitcnt vmcnt(0) lgkmcnt(0)
	v_cmpx_ne_u32_e32 50, v0
	s_cbranch_execz .LBB51_324
; %bb.323:
	v_lshl_add_u32 v0, v0, 2, 0
	scratch_load_b32 v1, v0, off offset:-4
	scratch_load_b32 v2, off, off offset:196
	s_waitcnt vmcnt(1)
	scratch_store_b32 off, v1, off offset:196
	s_waitcnt vmcnt(0)
	scratch_store_b32 v0, v2, off offset:-4
.LBB51_324:
	s_or_b32 exec_lo, exec_lo, s0
	v_dual_mov_b32 v0, s12 :: v_dual_mov_b32 v1, s13
	s_mov_b32 s0, exec_lo
	flat_load_b32 v0, v[0:1] offset:192
	s_waitcnt vmcnt(0) lgkmcnt(0)
	v_cmpx_ne_u32_e32 49, v0
	s_cbranch_execz .LBB51_326
; %bb.325:
	v_lshl_add_u32 v0, v0, 2, 0
	scratch_load_b32 v1, v0, off offset:-4
	scratch_load_b32 v2, off, off offset:192
	s_waitcnt vmcnt(1)
	scratch_store_b32 off, v1, off offset:192
	s_waitcnt vmcnt(0)
	scratch_store_b32 v0, v2, off offset:-4
.LBB51_326:
	;; [unrolled: 16-line block ×49, first 2 shown]
	s_or_b32 exec_lo, exec_lo, s0
	v_dual_mov_b32 v0, s12 :: v_dual_mov_b32 v1, s13
	s_mov_b32 s0, exec_lo
	flat_load_b32 v1, v[0:1]
	scratch_load_b32 v0, off, off
	s_waitcnt vmcnt(1) lgkmcnt(0)
	v_cmpx_ne_u32_e32 1, v1
	s_cbranch_execz .LBB51_422
; %bb.421:
	v_lshl_add_u32 v1, v1, 2, 0
	scratch_load_b32 v2, v1, off offset:-4
	s_waitcnt vmcnt(0)
	scratch_store_b32 off, v2, off
	scratch_store_b32 v1, v0, off offset:-4
	scratch_load_b32 v0, off, off
.LBB51_422:
	s_or_b32 exec_lo, exec_lo, s0
.LBB51_423:
	s_clause 0xc
	scratch_load_b128 v[108:111], off, off offset:4
	scratch_load_b128 v[112:115], off, off offset:20
	;; [unrolled: 1-line block ×12, first 2 shown]
	scratch_load_b96 v[1:3], off, off offset:196
	s_waitcnt vmcnt(13)
	global_store_b32 v[4:5], v0, off
	s_waitcnt vmcnt(12)
	s_clause 0x3
	global_store_b32 v[6:7], v108, off
	global_store_b32 v[8:9], v109, off
	global_store_b32 v[10:11], v110, off
	global_store_b32 v[12:13], v111, off
	s_waitcnt vmcnt(11)
	s_clause 0x3
	global_store_b32 v[14:15], v112, off
	global_store_b32 v[16:17], v113, off
	global_store_b32 v[18:19], v114, off
	;; [unrolled: 6-line block ×13, first 2 shown]
	s_endpgm
	.section	.rodata,"a",@progbits
	.p2align	6, 0x0
	.amdhsa_kernel _ZN9rocsolver6v33100L18getri_kernel_smallILi52EfPfEEvT1_iilPiilS4_bb
		.amdhsa_group_segment_fixed_size 420
		.amdhsa_private_segment_fixed_size 224
		.amdhsa_kernarg_size 60
		.amdhsa_user_sgpr_count 15
		.amdhsa_user_sgpr_dispatch_ptr 0
		.amdhsa_user_sgpr_queue_ptr 0
		.amdhsa_user_sgpr_kernarg_segment_ptr 1
		.amdhsa_user_sgpr_dispatch_id 0
		.amdhsa_user_sgpr_private_segment_size 0
		.amdhsa_wavefront_size32 1
		.amdhsa_uses_dynamic_stack 0
		.amdhsa_enable_private_segment 1
		.amdhsa_system_sgpr_workgroup_id_x 1
		.amdhsa_system_sgpr_workgroup_id_y 0
		.amdhsa_system_sgpr_workgroup_id_z 0
		.amdhsa_system_sgpr_workgroup_info 0
		.amdhsa_system_vgpr_workitem_id 0
		.amdhsa_next_free_vgpr 167
		.amdhsa_next_free_sgpr 18
		.amdhsa_reserve_vcc 1
		.amdhsa_float_round_mode_32 0
		.amdhsa_float_round_mode_16_64 0
		.amdhsa_float_denorm_mode_32 3
		.amdhsa_float_denorm_mode_16_64 3
		.amdhsa_dx10_clamp 1
		.amdhsa_ieee_mode 1
		.amdhsa_fp16_overflow 0
		.amdhsa_workgroup_processor_mode 1
		.amdhsa_memory_ordered 1
		.amdhsa_forward_progress 0
		.amdhsa_shared_vgpr_count 0
		.amdhsa_exception_fp_ieee_invalid_op 0
		.amdhsa_exception_fp_denorm_src 0
		.amdhsa_exception_fp_ieee_div_zero 0
		.amdhsa_exception_fp_ieee_overflow 0
		.amdhsa_exception_fp_ieee_underflow 0
		.amdhsa_exception_fp_ieee_inexact 0
		.amdhsa_exception_int_div_zero 0
	.end_amdhsa_kernel
	.section	.text._ZN9rocsolver6v33100L18getri_kernel_smallILi52EfPfEEvT1_iilPiilS4_bb,"axG",@progbits,_ZN9rocsolver6v33100L18getri_kernel_smallILi52EfPfEEvT1_iilPiilS4_bb,comdat
.Lfunc_end51:
	.size	_ZN9rocsolver6v33100L18getri_kernel_smallILi52EfPfEEvT1_iilPiilS4_bb, .Lfunc_end51-_ZN9rocsolver6v33100L18getri_kernel_smallILi52EfPfEEvT1_iilPiilS4_bb
                                        ; -- End function
	.section	.AMDGPU.csdata,"",@progbits
; Kernel info:
; codeLenInByte = 39132
; NumSgprs: 20
; NumVgprs: 167
; ScratchSize: 224
; MemoryBound: 0
; FloatMode: 240
; IeeeMode: 1
; LDSByteSize: 420 bytes/workgroup (compile time only)
; SGPRBlocks: 2
; VGPRBlocks: 20
; NumSGPRsForWavesPerEU: 20
; NumVGPRsForWavesPerEU: 167
; Occupancy: 9
; WaveLimiterHint : 1
; COMPUTE_PGM_RSRC2:SCRATCH_EN: 1
; COMPUTE_PGM_RSRC2:USER_SGPR: 15
; COMPUTE_PGM_RSRC2:TRAP_HANDLER: 0
; COMPUTE_PGM_RSRC2:TGID_X_EN: 1
; COMPUTE_PGM_RSRC2:TGID_Y_EN: 0
; COMPUTE_PGM_RSRC2:TGID_Z_EN: 0
; COMPUTE_PGM_RSRC2:TIDIG_COMP_CNT: 0
	.section	.text._ZN9rocsolver6v33100L18getri_kernel_smallILi53EfPfEEvT1_iilPiilS4_bb,"axG",@progbits,_ZN9rocsolver6v33100L18getri_kernel_smallILi53EfPfEEvT1_iilPiilS4_bb,comdat
	.globl	_ZN9rocsolver6v33100L18getri_kernel_smallILi53EfPfEEvT1_iilPiilS4_bb ; -- Begin function _ZN9rocsolver6v33100L18getri_kernel_smallILi53EfPfEEvT1_iilPiilS4_bb
	.p2align	8
	.type	_ZN9rocsolver6v33100L18getri_kernel_smallILi53EfPfEEvT1_iilPiilS4_bb,@function
_ZN9rocsolver6v33100L18getri_kernel_smallILi53EfPfEEvT1_iilPiilS4_bb: ; @_ZN9rocsolver6v33100L18getri_kernel_smallILi53EfPfEEvT1_iilPiilS4_bb
; %bb.0:
	s_mov_b32 s2, exec_lo
	v_cmpx_gt_u32_e32 53, v0
	s_cbranch_execz .LBB52_220
; %bb.1:
	s_clause 0x2
	s_load_b32 s17, s[0:1], 0x38
	s_load_b128 s[8:11], s[0:1], 0x10
	s_load_b128 s[4:7], s[0:1], 0x28
	s_mov_b32 s14, s15
                                        ; implicit-def: $sgpr12_sgpr13
	s_waitcnt lgkmcnt(0)
	s_bitcmp1_b32 s17, 8
	s_cselect_b32 s16, -1, 0
	s_bfe_u32 s2, s17, 0x10008
	s_ashr_i32 s15, s15, 31
	s_cmp_eq_u32 s2, 0
	s_cbranch_scc1 .LBB52_3
; %bb.2:
	s_load_b32 s2, s[0:1], 0x20
	s_mul_i32 s3, s14, s5
	s_mul_hi_u32 s5, s14, s4
	s_mul_i32 s12, s15, s4
	s_add_i32 s3, s5, s3
	s_mul_i32 s4, s14, s4
	s_add_i32 s5, s3, s12
	s_delay_alu instid0(SALU_CYCLE_1)
	s_lshl_b64 s[4:5], s[4:5], 2
	s_waitcnt lgkmcnt(0)
	s_ashr_i32 s3, s2, 31
	s_add_u32 s4, s10, s4
	s_addc_u32 s5, s11, s5
	s_lshl_b64 s[2:3], s[2:3], 2
	s_delay_alu instid0(SALU_CYCLE_1)
	s_add_u32 s12, s4, s2
	s_addc_u32 s13, s5, s3
.LBB52_3:
	s_load_b128 s[0:3], s[0:1], 0x0
	s_mul_i32 s4, s14, s9
	s_mul_hi_u32 s5, s14, s8
	s_mul_i32 s9, s15, s8
	s_add_i32 s5, s5, s4
	s_mul_i32 s4, s14, s8
	s_add_i32 s5, s5, s9
	v_lshlrev_b32_e32 v3, 2, v0
	s_lshl_b64 s[4:5], s[4:5], 2
	s_waitcnt lgkmcnt(0)
	v_add3_u32 v1, s3, s3, v0
	s_ashr_i32 s9, s2, 31
	s_mov_b32 s8, s2
	s_add_u32 s2, s0, s4
	s_addc_u32 s4, s1, s5
	v_add_nc_u32_e32 v8, s3, v1
	s_lshl_b64 s[0:1], s[8:9], 2
	v_ashrrev_i32_e32 v2, 31, v1
	s_add_u32 s0, s2, s0
	s_addc_u32 s1, s4, s1
	v_add_nc_u32_e32 v10, s3, v8
	v_add_co_u32 v4, s2, s0, v3
	s_mov_b32 s10, s3
	s_ashr_i32 s11, s3, 31
	s_delay_alu instid0(VALU_DEP_2) | instskip(SKIP_3) | instid1(VALU_DEP_4)
	v_add_nc_u32_e32 v12, s3, v10
	v_add_co_ci_u32_e64 v5, null, s1, 0, s2
	v_ashrrev_i32_e32 v9, 31, v8
	v_lshlrev_b64 v[1:2], 2, v[1:2]
	v_add_nc_u32_e32 v14, s3, v12
	s_lshl_b64 s[4:5], s[10:11], 2
	v_ashrrev_i32_e32 v11, 31, v10
	v_add_co_u32 v6, vcc_lo, v4, s4
	s_delay_alu instid0(VALU_DEP_3) | instskip(SKIP_3) | instid1(VALU_DEP_4)
	v_add_nc_u32_e32 v16, s3, v14
	v_add_co_ci_u32_e32 v7, vcc_lo, s5, v5, vcc_lo
	v_lshlrev_b64 v[47:48], 2, v[8:9]
	v_add_co_u32 v8, vcc_lo, s0, v1
	v_add_nc_u32_e32 v18, s3, v16
	v_add_co_ci_u32_e32 v9, vcc_lo, s1, v2, vcc_lo
	v_lshlrev_b64 v[1:2], 2, v[10:11]
	v_ashrrev_i32_e32 v13, 31, v12
	s_delay_alu instid0(VALU_DEP_4) | instskip(SKIP_3) | instid1(VALU_DEP_4)
	v_add_nc_u32_e32 v20, s3, v18
	v_add_co_u32 v10, vcc_lo, s0, v47
	v_ashrrev_i32_e32 v15, 31, v14
	v_add_co_ci_u32_e32 v11, vcc_lo, s1, v48, vcc_lo
	v_add_nc_u32_e32 v22, s3, v20
	v_lshlrev_b64 v[47:48], 2, v[12:13]
	v_add_co_u32 v12, vcc_lo, s0, v1
	v_add_co_ci_u32_e32 v13, vcc_lo, s1, v2, vcc_lo
	s_delay_alu instid0(VALU_DEP_4) | instskip(SKIP_3) | instid1(VALU_DEP_4)
	v_add_nc_u32_e32 v24, s3, v22
	v_lshlrev_b64 v[1:2], 2, v[14:15]
	v_ashrrev_i32_e32 v17, 31, v16
	v_add_co_u32 v14, vcc_lo, s0, v47
	v_add_nc_u32_e32 v26, s3, v24
	v_ashrrev_i32_e32 v19, 31, v18
	v_add_co_ci_u32_e32 v15, vcc_lo, s1, v48, vcc_lo
	v_lshlrev_b64 v[47:48], 2, v[16:17]
	s_delay_alu instid0(VALU_DEP_4) | instskip(SKIP_2) | instid1(VALU_DEP_3)
	v_add_nc_u32_e32 v28, s3, v26
	v_add_co_u32 v16, vcc_lo, s0, v1
	v_add_co_ci_u32_e32 v17, vcc_lo, s1, v2, vcc_lo
	v_add_nc_u32_e32 v30, s3, v28
	v_lshlrev_b64 v[1:2], 2, v[18:19]
	v_ashrrev_i32_e32 v21, 31, v20
	v_add_co_u32 v18, vcc_lo, s0, v47
	s_delay_alu instid0(VALU_DEP_4) | instskip(SKIP_3) | instid1(VALU_DEP_4)
	v_add_nc_u32_e32 v32, s3, v30
	v_ashrrev_i32_e32 v23, 31, v22
	v_add_co_ci_u32_e32 v19, vcc_lo, s1, v48, vcc_lo
	v_lshlrev_b64 v[47:48], 2, v[20:21]
	v_add_nc_u32_e32 v34, s3, v32
	v_add_co_u32 v20, vcc_lo, s0, v1
	v_add_co_ci_u32_e32 v21, vcc_lo, s1, v2, vcc_lo
	s_delay_alu instid0(VALU_DEP_3) | instskip(SKIP_3) | instid1(VALU_DEP_4)
	v_add_nc_u32_e32 v36, s3, v34
	v_lshlrev_b64 v[1:2], 2, v[22:23]
	v_ashrrev_i32_e32 v25, 31, v24
	v_add_co_u32 v22, vcc_lo, s0, v47
	v_add_nc_u32_e32 v38, s3, v36
	v_ashrrev_i32_e32 v27, 31, v26
	v_add_co_ci_u32_e32 v23, vcc_lo, s1, v48, vcc_lo
	v_lshlrev_b64 v[47:48], 2, v[24:25]
	s_delay_alu instid0(VALU_DEP_4) | instskip(SKIP_2) | instid1(VALU_DEP_3)
	v_add_nc_u32_e32 v40, s3, v38
	v_add_co_u32 v24, vcc_lo, s0, v1
	v_add_co_ci_u32_e32 v25, vcc_lo, s1, v2, vcc_lo
	v_add_nc_u32_e32 v42, s3, v40
	v_lshlrev_b64 v[1:2], 2, v[26:27]
	v_ashrrev_i32_e32 v29, 31, v28
	v_add_co_u32 v26, vcc_lo, s0, v47
	s_delay_alu instid0(VALU_DEP_4) | instskip(SKIP_3) | instid1(VALU_DEP_4)
	v_add_nc_u32_e32 v44, s3, v42
	v_ashrrev_i32_e32 v31, 31, v30
	v_add_co_ci_u32_e32 v27, vcc_lo, s1, v48, vcc_lo
	v_lshlrev_b64 v[47:48], 2, v[28:29]
	v_add_nc_u32_e32 v46, s3, v44
	v_add_co_u32 v28, vcc_lo, s0, v1
	v_add_co_ci_u32_e32 v29, vcc_lo, s1, v2, vcc_lo
	s_delay_alu instid0(VALU_DEP_3) | instskip(SKIP_3) | instid1(VALU_DEP_4)
	;; [unrolled: 25-line block ×4, first 2 shown]
	v_add_nc_u32_e32 v76, s3, v74
	v_lshlrev_b64 v[1:2], 2, v[46:47]
	v_ashrrev_i32_e32 v50, 31, v49
	v_add_co_u32 v46, vcc_lo, s0, v60
	v_add_nc_u32_e32 v78, s3, v76
	v_ashrrev_i32_e32 v52, 31, v51
	v_add_co_ci_u32_e32 v47, vcc_lo, s1, v61, vcc_lo
	v_lshlrev_b64 v[60:61], 2, v[49:50]
	s_delay_alu instid0(VALU_DEP_4) | instskip(SKIP_2) | instid1(VALU_DEP_3)
	v_add_nc_u32_e32 v80, s3, v78
	v_add_co_u32 v48, vcc_lo, s0, v1
	v_add_co_ci_u32_e32 v49, vcc_lo, s1, v2, vcc_lo
	v_add_nc_u32_e32 v82, s3, v80
	v_lshlrev_b64 v[1:2], 2, v[51:52]
	v_ashrrev_i32_e32 v54, 31, v53
	v_add_co_u32 v50, vcc_lo, s0, v60
	s_delay_alu instid0(VALU_DEP_4) | instskip(SKIP_3) | instid1(VALU_DEP_4)
	v_add_nc_u32_e32 v84, s3, v82
	v_ashrrev_i32_e32 v56, 31, v55
	v_add_co_ci_u32_e32 v51, vcc_lo, s1, v61, vcc_lo
	v_lshlrev_b64 v[60:61], 2, v[53:54]
	v_add_nc_u32_e32 v86, s3, v84
	v_add_co_u32 v52, vcc_lo, s0, v1
	v_ashrrev_i32_e32 v58, 31, v57
	v_add_co_ci_u32_e32 v53, vcc_lo, s1, v2, vcc_lo
	s_delay_alu instid0(VALU_DEP_4) | instskip(SKIP_3) | instid1(VALU_DEP_4)
	v_add_nc_u32_e32 v88, s3, v86
	v_lshlrev_b64 v[1:2], 2, v[55:56]
	v_add_co_u32 v54, vcc_lo, s0, v60
	v_lshlrev_b64 v[69:70], 2, v[57:58]
	v_add_nc_u32_e32 v90, s3, v88
	v_ashrrev_i32_e32 v60, 31, v59
	v_add_co_ci_u32_e32 v55, vcc_lo, s1, v61, vcc_lo
	v_add_co_u32 v56, vcc_lo, s0, v1
	s_delay_alu instid0(VALU_DEP_4) | instskip(SKIP_3) | instid1(VALU_DEP_4)
	v_add_nc_u32_e32 v92, s3, v90
	v_add_co_ci_u32_e32 v57, vcc_lo, s1, v2, vcc_lo
	v_ashrrev_i32_e32 v63, 31, v62
	v_lshlrev_b64 v[1:2], 2, v[59:60]
	v_add_nc_u32_e32 v94, s3, v92
	v_add_co_u32 v60, vcc_lo, s0, v69
	v_add_co_ci_u32_e32 v61, vcc_lo, s1, v70, vcc_lo
	s_delay_alu instid0(VALU_DEP_3) | instskip(SKIP_3) | instid1(VALU_DEP_4)
	v_add_nc_u32_e32 v96, s3, v94
	v_lshlrev_b64 v[58:59], 2, v[62:63]
	v_ashrrev_i32_e32 v65, 31, v64
	v_add_co_u32 v62, vcc_lo, s0, v1
	v_add_nc_u32_e32 v98, s3, v96
	v_add_co_ci_u32_e32 v63, vcc_lo, s1, v2, vcc_lo
	s_delay_alu instid0(VALU_DEP_4) | instskip(SKIP_1) | instid1(VALU_DEP_4)
	v_lshlrev_b64 v[1:2], 2, v[64:65]
	v_ashrrev_i32_e32 v67, 31, v66
	v_add_nc_u32_e32 v100, s3, v98
	v_add_co_u32 v64, vcc_lo, s0, v58
	v_add_co_ci_u32_e32 v65, vcc_lo, s1, v59, vcc_lo
	s_delay_alu instid0(VALU_DEP_3) | instskip(SKIP_3) | instid1(VALU_DEP_4)
	v_add_nc_u32_e32 v102, s3, v100
	v_ashrrev_i32_e32 v69, 31, v68
	v_lshlrev_b64 v[135:136], 2, v[66:67]
	v_add_co_u32 v66, vcc_lo, s0, v1
	v_add_nc_u32_e32 v104, s3, v102
	v_add_co_ci_u32_e32 v67, vcc_lo, s1, v2, vcc_lo
	v_lshlrev_b64 v[1:2], 2, v[68:69]
	v_ashrrev_i32_e32 v73, 31, v72
	s_delay_alu instid0(VALU_DEP_4)
	v_add_nc_u32_e32 v106, s3, v104
	v_ashrrev_i32_e32 v75, 31, v74
	v_ashrrev_i32_e32 v77, 31, v76
	;; [unrolled: 1-line block ×4, first 2 shown]
	v_add_nc_u32_e32 v108, s3, v106
	v_lshlrev_b64 v[74:75], 2, v[74:75]
	v_ashrrev_i32_e32 v83, 31, v82
	v_lshlrev_b64 v[78:79], 2, v[78:79]
	v_ashrrev_i32_e32 v85, 31, v84
	v_add_nc_u32_e32 v70, s3, v108
	v_ashrrev_i32_e32 v87, 31, v86
	v_lshlrev_b64 v[82:83], 2, v[82:83]
	v_ashrrev_i32_e32 v89, 31, v88
	v_ashrrev_i32_e32 v91, 31, v90
	;; [unrolled: 1-line block ×3, first 2 shown]
	v_lshlrev_b64 v[86:87], 2, v[86:87]
	v_ashrrev_i32_e32 v93, 31, v92
	v_ashrrev_i32_e32 v95, 31, v94
	v_lshlrev_b64 v[90:91], 2, v[90:91]
	v_lshlrev_b64 v[58:59], 2, v[70:71]
	v_ashrrev_i32_e32 v97, 31, v96
	v_ashrrev_i32_e32 v99, 31, v98
	v_lshlrev_b64 v[94:95], 2, v[94:95]
	v_ashrrev_i32_e32 v101, 31, v100
	v_ashrrev_i32_e32 v103, 31, v102
	v_add_co_u32 v58, vcc_lo, s0, v58
	v_add_co_ci_u32_e32 v59, vcc_lo, s1, v59, vcc_lo
	v_add_co_u32 v68, vcc_lo, s0, v135
	v_add_co_ci_u32_e32 v69, vcc_lo, s1, v136, vcc_lo
	;; [unrolled: 2-line block ×3, first 2 shown]
	v_lshlrev_b64 v[1:2], 2, v[72:73]
	v_lshlrev_b64 v[98:99], 2, v[98:99]
	v_ashrrev_i32_e32 v105, 31, v104
	v_lshlrev_b64 v[102:103], 2, v[102:103]
	v_ashrrev_i32_e32 v107, 31, v106
	v_ashrrev_i32_e32 v109, 31, v108
	v_add_co_u32 v72, vcc_lo, s0, v1
	v_add_co_ci_u32_e32 v73, vcc_lo, s1, v2, vcc_lo
	v_lshlrev_b64 v[1:2], 2, v[76:77]
	v_add_co_u32 v74, vcc_lo, s0, v74
	v_add_co_ci_u32_e32 v75, vcc_lo, s1, v75, vcc_lo
	v_lshlrev_b64 v[106:107], 2, v[106:107]
	s_delay_alu instid0(VALU_DEP_4)
	v_add_co_u32 v76, vcc_lo, s0, v1
	v_add_co_ci_u32_e32 v77, vcc_lo, s1, v2, vcc_lo
	v_lshlrev_b64 v[1:2], 2, v[80:81]
	v_add_co_u32 v78, vcc_lo, s0, v78
	v_add_co_ci_u32_e32 v79, vcc_lo, s1, v79, vcc_lo
	global_load_b32 v110, v3, s[0:1]
	v_add_co_u32 v80, vcc_lo, s0, v1
	v_add_co_ci_u32_e32 v81, vcc_lo, s1, v2, vcc_lo
	v_lshlrev_b64 v[1:2], 2, v[84:85]
	v_add_co_u32 v82, vcc_lo, s0, v82
	v_add_co_ci_u32_e32 v83, vcc_lo, s1, v83, vcc_lo
	s_clause 0x7
	global_load_b32 v111, v[6:7], off
	global_load_b32 v112, v[8:9], off
	global_load_b32 v113, v[10:11], off
	global_load_b32 v114, v[12:13], off
	global_load_b32 v115, v[14:15], off
	global_load_b32 v116, v[16:17], off
	global_load_b32 v117, v[18:19], off
	global_load_b32 v118, v[20:21], off
	v_add_co_u32 v84, vcc_lo, s0, v1
	v_add_co_ci_u32_e32 v85, vcc_lo, s1, v2, vcc_lo
	v_lshlrev_b64 v[1:2], 2, v[88:89]
	v_add_co_u32 v86, vcc_lo, s0, v86
	v_add_co_ci_u32_e32 v87, vcc_lo, s1, v87, vcc_lo
	s_clause 0x7
	global_load_b32 v119, v[22:23], off
	global_load_b32 v120, v[24:25], off
	global_load_b32 v121, v[26:27], off
	global_load_b32 v122, v[28:29], off
	global_load_b32 v123, v[30:31], off
	global_load_b32 v124, v[32:33], off
	global_load_b32 v125, v[34:35], off
	global_load_b32 v126, v[36:37], off
	;; [unrolled: 14-line block ×5, first 2 shown]
	v_add_co_u32 v100, vcc_lo, s0, v1
	v_add_co_ci_u32_e32 v101, vcc_lo, s1, v2, vcc_lo
	v_lshlrev_b64 v[1:2], 2, v[104:105]
	v_add_co_u32 v102, vcc_lo, s0, v102
	v_add_co_ci_u32_e32 v103, vcc_lo, s1, v103, vcc_lo
	s_bitcmp0_b32 s17, 0
	s_delay_alu instid0(VALU_DEP_3) | instskip(NEXT) | instid1(VALU_DEP_4)
	v_add_co_u32 v104, vcc_lo, s0, v1
	v_add_co_ci_u32_e32 v105, vcc_lo, s1, v2, vcc_lo
	v_lshlrev_b64 v[1:2], 2, v[108:109]
	v_add_co_u32 v106, vcc_lo, s0, v106
	v_add_co_ci_u32_e32 v107, vcc_lo, s1, v107, vcc_lo
	s_delay_alu instid0(VALU_DEP_3) | instskip(NEXT) | instid1(VALU_DEP_4)
	v_add_co_u32 v108, vcc_lo, s0, v1
	v_add_co_ci_u32_e32 v109, vcc_lo, s1, v2, vcc_lo
	s_clause 0xb
	global_load_b32 v151, v[88:89], off
	global_load_b32 v152, v[90:91], off
	;; [unrolled: 1-line block ×12, first 2 shown]
	s_mov_b32 s1, -1
	s_waitcnt vmcnt(49)
	scratch_store_b128 off, v[110:113], off
	s_waitcnt vmcnt(45)
	scratch_store_b128 off, v[114:117], off offset:16
	s_waitcnt vmcnt(41)
	scratch_store_b128 off, v[118:121], off offset:32
	;; [unrolled: 2-line block ×12, first 2 shown]
	s_waitcnt vmcnt(0)
	scratch_store_b32 off, v1, off offset:208
	s_cbranch_scc1 .LBB52_218
; %bb.4:
	v_cmp_eq_u32_e64 s0, 0, v0
	s_delay_alu instid0(VALU_DEP_1)
	s_and_saveexec_b32 s1, s0
	s_cbranch_execz .LBB52_6
; %bb.5:
	v_mov_b32_e32 v1, 0
	ds_store_b32 v1, v1 offset:212
.LBB52_6:
	s_or_b32 exec_lo, exec_lo, s1
	s_waitcnt lgkmcnt(0)
	s_waitcnt_vscnt null, 0x0
	s_barrier
	buffer_gl0_inv
	scratch_load_b32 v1, v3, off
	s_mov_b32 s2, exec_lo
	s_waitcnt vmcnt(0)
	v_cmpx_eq_f32_e32 0, v1
	s_cbranch_execz .LBB52_10
; %bb.7:
	v_mov_b32_e32 v1, 0
	s_mov_b32 s3, 0
	ds_load_b32 v2, v1 offset:212
	s_waitcnt lgkmcnt(0)
	v_readfirstlane_b32 s1, v2
	v_add_nc_u32_e32 v2, 1, v0
	s_delay_alu instid0(VALU_DEP_2) | instskip(NEXT) | instid1(VALU_DEP_1)
	s_cmp_eq_u32 s1, 0
	v_cmp_gt_i32_e32 vcc_lo, s1, v2
	s_cselect_b32 s4, -1, 0
	s_delay_alu instid0(SALU_CYCLE_1) | instskip(NEXT) | instid1(SALU_CYCLE_1)
	s_or_b32 s4, s4, vcc_lo
	s_and_b32 exec_lo, exec_lo, s4
	s_cbranch_execz .LBB52_10
; %bb.8:
	v_mov_b32_e32 v110, s1
.LBB52_9:                               ; =>This Inner Loop Header: Depth=1
	ds_cmpstore_rtn_b32 v110, v1, v2, v110 offset:212
	s_waitcnt lgkmcnt(0)
	v_cmp_ne_u32_e32 vcc_lo, 0, v110
	v_cmp_le_i32_e64 s1, v110, v2
	s_delay_alu instid0(VALU_DEP_1) | instskip(NEXT) | instid1(SALU_CYCLE_1)
	s_and_b32 s1, vcc_lo, s1
	s_and_b32 s1, exec_lo, s1
	s_delay_alu instid0(SALU_CYCLE_1) | instskip(NEXT) | instid1(SALU_CYCLE_1)
	s_or_b32 s3, s1, s3
	s_and_not1_b32 exec_lo, exec_lo, s3
	s_cbranch_execnz .LBB52_9
.LBB52_10:
	s_or_b32 exec_lo, exec_lo, s2
	v_mov_b32_e32 v1, 0
	s_barrier
	buffer_gl0_inv
	ds_load_b32 v2, v1 offset:212
	s_and_saveexec_b32 s1, s0
	s_cbranch_execz .LBB52_12
; %bb.11:
	s_lshl_b64 s[2:3], s[14:15], 2
	s_delay_alu instid0(SALU_CYCLE_1)
	s_add_u32 s2, s6, s2
	s_addc_u32 s3, s7, s3
	s_waitcnt lgkmcnt(0)
	global_store_b32 v1, v2, s[2:3]
.LBB52_12:
	s_or_b32 exec_lo, exec_lo, s1
	s_waitcnt lgkmcnt(0)
	v_cmp_ne_u32_e32 vcc_lo, 0, v2
	s_mov_b32 s1, 0
	s_cbranch_vccnz .LBB52_218
; %bb.13:
	v_add_nc_u32_e32 v1, 0, v3
	scratch_load_b32 v2, v1, off
	s_waitcnt vmcnt(0)
	v_div_scale_f32 v110, null, v2, v2, 1.0
	v_div_scale_f32 v113, vcc_lo, 1.0, v2, 1.0
	s_delay_alu instid0(VALU_DEP_2) | instskip(SKIP_2) | instid1(VALU_DEP_1)
	v_rcp_f32_e32 v111, v110
	s_waitcnt_depctr 0xfff
	v_fma_f32 v112, -v110, v111, 1.0
	v_fmac_f32_e32 v111, v112, v111
	s_delay_alu instid0(VALU_DEP_1) | instskip(NEXT) | instid1(VALU_DEP_1)
	v_mul_f32_e32 v112, v113, v111
	v_fma_f32 v114, -v110, v112, v113
	s_delay_alu instid0(VALU_DEP_1) | instskip(NEXT) | instid1(VALU_DEP_1)
	v_fmac_f32_e32 v112, v114, v111
	v_fma_f32 v110, -v110, v112, v113
	s_delay_alu instid0(VALU_DEP_1) | instskip(NEXT) | instid1(VALU_DEP_1)
	v_div_fmas_f32 v110, v110, v111, v112
	v_div_fixup_f32 v2, v110, v2, 1.0
	scratch_store_b32 v1, v2, off
	scratch_load_b32 v110, off, off offset:4
	v_xor_b32_e32 v111, 0x80000000, v2
	v_add_nc_u32_e32 v2, 0xe0, v3
	s_waitcnt vmcnt(0)
	ds_store_2addr_b32 v3, v111, v110 offset1:56
	s_waitcnt lgkmcnt(0)
	s_waitcnt_vscnt null, 0x0
	s_barrier
	buffer_gl0_inv
	s_and_saveexec_b32 s1, s0
	s_cbranch_execz .LBB52_15
; %bb.14:
	scratch_load_b32 v110, v1, off
	ds_load_b32 v111, v2
	v_mov_b32_e32 v112, 0
	ds_load_b32 v112, v112 offset:4
	s_waitcnt vmcnt(0) lgkmcnt(1)
	v_fma_f32 v110, v110, v111, 0
	s_waitcnt lgkmcnt(0)
	s_delay_alu instid0(VALU_DEP_1)
	v_mul_f32_e32 v110, v110, v112
	scratch_store_b32 off, v110, off offset:4
.LBB52_15:
	s_or_b32 exec_lo, exec_lo, s1
	s_waitcnt_vscnt null, 0x0
	s_barrier
	buffer_gl0_inv
	scratch_load_b32 v110, off, off offset:8
	s_mov_b32 s1, exec_lo
	s_waitcnt vmcnt(0)
	ds_store_b32 v2, v110
	s_waitcnt lgkmcnt(0)
	s_barrier
	buffer_gl0_inv
	v_cmpx_gt_u32_e32 2, v0
	s_cbranch_execz .LBB52_17
; %bb.16:
	scratch_load_b32 v112, v1, off
	scratch_load_b32 v113, off, off offset:4
	ds_load_b32 v114, v2
	v_mov_b32_e32 v110, 0
	ds_load_2addr_b32 v[110:111], v110 offset0:2 offset1:57
	s_waitcnt vmcnt(1) lgkmcnt(1)
	v_fma_f32 v112, v112, v114, 0
	s_waitcnt vmcnt(0) lgkmcnt(0)
	s_delay_alu instid0(VALU_DEP_1) | instskip(NEXT) | instid1(VALU_DEP_1)
	v_fma_f32 v111, v113, v111, v112
	v_cndmask_b32_e64 v111, v112, v111, s0
	s_delay_alu instid0(VALU_DEP_1)
	v_mul_f32_e32 v110, v111, v110
	scratch_store_b32 off, v110, off offset:8
.LBB52_17:
	s_or_b32 exec_lo, exec_lo, s1
	s_waitcnt_vscnt null, 0x0
	s_barrier
	buffer_gl0_inv
	scratch_load_b32 v111, off, off offset:12
	v_add_nc_u32_e32 v110, -1, v0
	s_mov_b32 s0, exec_lo
	s_waitcnt vmcnt(0)
	ds_store_b32 v2, v111
	s_waitcnt lgkmcnt(0)
	s_barrier
	buffer_gl0_inv
	v_cmpx_gt_u32_e32 3, v0
	s_cbranch_execz .LBB52_21
; %bb.18:
	v_dual_mov_b32 v111, 0 :: v_dual_add_nc_u32 v112, -1, v0
	v_add_nc_u32_e32 v113, 0xe0, v3
	v_add_nc_u32_e32 v114, 0, v3
	s_mov_b32 s1, 0
.LBB52_19:                              ; =>This Inner Loop Header: Depth=1
	scratch_load_b32 v115, v114, off
	ds_load_b32 v116, v113
	v_add_nc_u32_e32 v112, 1, v112
	v_add_nc_u32_e32 v113, 4, v113
	v_add_nc_u32_e32 v114, 4, v114
	s_delay_alu instid0(VALU_DEP_3)
	v_cmp_lt_u32_e32 vcc_lo, 1, v112
	s_or_b32 s1, vcc_lo, s1
	s_waitcnt vmcnt(0) lgkmcnt(0)
	v_fmac_f32_e32 v111, v115, v116
	s_and_not1_b32 exec_lo, exec_lo, s1
	s_cbranch_execnz .LBB52_19
; %bb.20:
	s_or_b32 exec_lo, exec_lo, s1
	v_mov_b32_e32 v112, 0
	ds_load_b32 v112, v112 offset:12
	s_waitcnt lgkmcnt(0)
	v_mul_f32_e32 v111, v111, v112
	scratch_store_b32 off, v111, off offset:12
.LBB52_21:
	s_or_b32 exec_lo, exec_lo, s0
	s_waitcnt_vscnt null, 0x0
	s_barrier
	buffer_gl0_inv
	scratch_load_b32 v111, off, off offset:16
	s_mov_b32 s0, exec_lo
	s_waitcnt vmcnt(0)
	ds_store_b32 v2, v111
	s_waitcnt lgkmcnt(0)
	s_barrier
	buffer_gl0_inv
	v_cmpx_gt_u32_e32 4, v0
	s_cbranch_execz .LBB52_25
; %bb.22:
	v_dual_mov_b32 v111, 0 :: v_dual_add_nc_u32 v112, -1, v0
	v_add_nc_u32_e32 v113, 0xe0, v3
	v_add_nc_u32_e32 v114, 0, v3
	s_mov_b32 s1, 0
.LBB52_23:                              ; =>This Inner Loop Header: Depth=1
	scratch_load_b32 v115, v114, off
	ds_load_b32 v116, v113
	v_add_nc_u32_e32 v112, 1, v112
	v_add_nc_u32_e32 v113, 4, v113
	v_add_nc_u32_e32 v114, 4, v114
	s_delay_alu instid0(VALU_DEP_3)
	v_cmp_lt_u32_e32 vcc_lo, 2, v112
	s_or_b32 s1, vcc_lo, s1
	s_waitcnt vmcnt(0) lgkmcnt(0)
	v_fmac_f32_e32 v111, v115, v116
	s_and_not1_b32 exec_lo, exec_lo, s1
	s_cbranch_execnz .LBB52_23
; %bb.24:
	s_or_b32 exec_lo, exec_lo, s1
	v_mov_b32_e32 v112, 0
	ds_load_b32 v112, v112 offset:16
	s_waitcnt lgkmcnt(0)
	v_mul_f32_e32 v111, v111, v112
	scratch_store_b32 off, v111, off offset:16
.LBB52_25:
	s_or_b32 exec_lo, exec_lo, s0
	s_waitcnt_vscnt null, 0x0
	s_barrier
	buffer_gl0_inv
	scratch_load_b32 v111, off, off offset:20
	;; [unrolled: 39-line block ×21, first 2 shown]
	s_mov_b32 s0, exec_lo
	s_waitcnt vmcnt(0)
	ds_store_b32 v2, v111
	s_waitcnt lgkmcnt(0)
	s_barrier
	buffer_gl0_inv
	v_cmpx_gt_u32_e32 24, v0
	s_cbranch_execz .LBB52_105
; %bb.102:
	v_dual_mov_b32 v111, 0 :: v_dual_add_nc_u32 v112, -1, v0
	v_add_nc_u32_e32 v113, 0xe0, v3
	v_add_nc_u32_e32 v114, 0, v3
	s_mov_b32 s1, 0
.LBB52_103:                             ; =>This Inner Loop Header: Depth=1
	scratch_load_b32 v115, v114, off
	ds_load_b32 v116, v113
	v_add_nc_u32_e32 v112, 1, v112
	v_add_nc_u32_e32 v113, 4, v113
	v_add_nc_u32_e32 v114, 4, v114
	s_delay_alu instid0(VALU_DEP_3)
	v_cmp_lt_u32_e32 vcc_lo, 22, v112
	s_or_b32 s1, vcc_lo, s1
	s_waitcnt vmcnt(0) lgkmcnt(0)
	v_fmac_f32_e32 v111, v115, v116
	s_and_not1_b32 exec_lo, exec_lo, s1
	s_cbranch_execnz .LBB52_103
; %bb.104:
	s_or_b32 exec_lo, exec_lo, s1
	v_mov_b32_e32 v112, 0
	ds_load_b32 v112, v112 offset:96
	s_waitcnt lgkmcnt(0)
	v_mul_f32_e32 v111, v111, v112
	scratch_store_b32 off, v111, off offset:96
.LBB52_105:
	s_or_b32 exec_lo, exec_lo, s0
	s_waitcnt_vscnt null, 0x0
	s_barrier
	buffer_gl0_inv
	scratch_load_b32 v111, off, off offset:100
	s_mov_b32 s0, exec_lo
	s_waitcnt vmcnt(0)
	ds_store_b32 v2, v111
	s_waitcnt lgkmcnt(0)
	s_barrier
	buffer_gl0_inv
	v_cmpx_gt_u32_e32 25, v0
	s_cbranch_execz .LBB52_109
; %bb.106:
	v_dual_mov_b32 v111, 0 :: v_dual_add_nc_u32 v112, -1, v0
	v_add_nc_u32_e32 v113, 0xe0, v3
	v_add_nc_u32_e32 v114, 0, v3
	s_mov_b32 s1, 0
.LBB52_107:                             ; =>This Inner Loop Header: Depth=1
	scratch_load_b32 v115, v114, off
	ds_load_b32 v116, v113
	v_add_nc_u32_e32 v112, 1, v112
	v_add_nc_u32_e32 v113, 4, v113
	v_add_nc_u32_e32 v114, 4, v114
	s_delay_alu instid0(VALU_DEP_3)
	v_cmp_lt_u32_e32 vcc_lo, 23, v112
	s_or_b32 s1, vcc_lo, s1
	s_waitcnt vmcnt(0) lgkmcnt(0)
	v_fmac_f32_e32 v111, v115, v116
	s_and_not1_b32 exec_lo, exec_lo, s1
	s_cbranch_execnz .LBB52_107
; %bb.108:
	s_or_b32 exec_lo, exec_lo, s1
	v_mov_b32_e32 v112, 0
	ds_load_b32 v112, v112 offset:100
	s_waitcnt lgkmcnt(0)
	v_mul_f32_e32 v111, v111, v112
	scratch_store_b32 off, v111, off offset:100
.LBB52_109:
	s_or_b32 exec_lo, exec_lo, s0
	s_waitcnt_vscnt null, 0x0
	s_barrier
	buffer_gl0_inv
	scratch_load_b32 v111, off, off offset:104
	;; [unrolled: 39-line block ×27, first 2 shown]
	s_mov_b32 s0, exec_lo
	s_waitcnt vmcnt(0)
	ds_store_b32 v2, v111
	s_waitcnt lgkmcnt(0)
	s_barrier
	buffer_gl0_inv
	v_cmpx_gt_u32_e32 51, v0
	s_cbranch_execz .LBB52_213
; %bb.210:
	v_add_nc_u32_e32 v111, -1, v0
	v_add_nc_u32_e32 v112, 0xe0, v3
	v_add_nc_u32_e32 v113, 0, v3
	v_mov_b32_e32 v3, 0
	s_mov_b32 s1, 0
.LBB52_211:                             ; =>This Inner Loop Header: Depth=1
	scratch_load_b32 v114, v113, off
	ds_load_b32 v115, v112
	v_add_nc_u32_e32 v111, 1, v111
	v_add_nc_u32_e32 v112, 4, v112
	;; [unrolled: 1-line block ×3, first 2 shown]
	s_delay_alu instid0(VALU_DEP_3)
	v_cmp_lt_u32_e32 vcc_lo, 49, v111
	s_or_b32 s1, vcc_lo, s1
	s_waitcnt vmcnt(0) lgkmcnt(0)
	v_fmac_f32_e32 v3, v114, v115
	s_and_not1_b32 exec_lo, exec_lo, s1
	s_cbranch_execnz .LBB52_211
; %bb.212:
	s_or_b32 exec_lo, exec_lo, s1
	v_mov_b32_e32 v111, 0
	ds_load_b32 v111, v111 offset:204
	s_waitcnt lgkmcnt(0)
	v_mul_f32_e32 v3, v3, v111
	scratch_store_b32 off, v3, off offset:204
.LBB52_213:
	s_or_b32 exec_lo, exec_lo, s0
	s_waitcnt_vscnt null, 0x0
	s_barrier
	buffer_gl0_inv
	scratch_load_b32 v3, off, off offset:208
	s_mov_b32 s0, exec_lo
	s_waitcnt vmcnt(0)
	ds_store_b32 v2, v3
	s_waitcnt lgkmcnt(0)
	s_barrier
	buffer_gl0_inv
	v_cmpx_ne_u32_e32 52, v0
	s_cbranch_execz .LBB52_217
; %bb.214:
	v_mov_b32_e32 v3, 0
	s_mov_b32 s1, 0
.LBB52_215:                             ; =>This Inner Loop Header: Depth=1
	scratch_load_b32 v111, v1, off
	ds_load_b32 v112, v2
	v_add_nc_u32_e32 v110, 1, v110
	v_add_nc_u32_e32 v2, 4, v2
	;; [unrolled: 1-line block ×3, first 2 shown]
	s_waitcnt vmcnt(0) lgkmcnt(0)
	v_fmac_f32_e32 v3, v111, v112
	v_cmp_lt_u32_e32 vcc_lo, 50, v110
	s_or_b32 s1, vcc_lo, s1
	s_delay_alu instid0(SALU_CYCLE_1)
	s_and_not1_b32 exec_lo, exec_lo, s1
	s_cbranch_execnz .LBB52_215
; %bb.216:
	s_or_b32 exec_lo, exec_lo, s1
	v_mov_b32_e32 v1, 0
	ds_load_b32 v1, v1 offset:208
	s_waitcnt lgkmcnt(0)
	v_mul_f32_e32 v1, v3, v1
	scratch_store_b32 off, v1, off offset:208
.LBB52_217:
	s_or_b32 exec_lo, exec_lo, s0
	s_mov_b32 s1, -1
	s_waitcnt_vscnt null, 0x0
	s_barrier
	buffer_gl0_inv
.LBB52_218:
	s_and_b32 vcc_lo, exec_lo, s1
	s_cbranch_vccz .LBB52_220
; %bb.219:
	s_lshl_b64 s[0:1], s[14:15], 2
	v_mov_b32_e32 v1, 0
	s_add_u32 s0, s6, s0
	s_addc_u32 s1, s7, s1
	global_load_b32 v1, v1, s[0:1]
	s_waitcnt vmcnt(0)
	v_cmp_ne_u32_e32 vcc_lo, 0, v1
	s_cbranch_vccz .LBB52_221
.LBB52_220:
	s_endpgm
.LBB52_221:
	v_lshl_add_u32 v1, v0, 2, 0xe0
	s_mov_b32 s0, exec_lo
	v_cmpx_eq_u32_e32 52, v0
	s_cbranch_execz .LBB52_223
; %bb.222:
	scratch_load_b32 v2, off, off offset:204
	v_mov_b32_e32 v3, 0
	scratch_store_b32 off, v3, off offset:204
	s_waitcnt vmcnt(0)
	ds_store_b32 v1, v2
.LBB52_223:
	s_or_b32 exec_lo, exec_lo, s0
	s_waitcnt lgkmcnt(0)
	s_waitcnt_vscnt null, 0x0
	s_barrier
	buffer_gl0_inv
	scratch_load_b64 v[110:111], off, off offset:204
	v_mov_b32_e32 v2, 0
	s_mov_b32 s0, exec_lo
	ds_load_b32 v3, v2 offset:432
	s_waitcnt vmcnt(0) lgkmcnt(0)
	v_fma_f32 v3, v111, v3, 0
	s_delay_alu instid0(VALU_DEP_1)
	v_sub_f32_e32 v3, v110, v3
	scratch_store_b32 off, v3, off offset:204
	v_cmpx_lt_u32_e32 50, v0
	s_cbranch_execz .LBB52_225
; %bb.224:
	scratch_load_b32 v3, off, off offset:200
	scratch_store_b32 off, v2, off offset:200
	s_waitcnt vmcnt(0)
	ds_store_b32 v1, v3
.LBB52_225:
	s_or_b32 exec_lo, exec_lo, s0
	s_waitcnt lgkmcnt(0)
	s_waitcnt_vscnt null, 0x0
	s_barrier
	buffer_gl0_inv
	scratch_load_b96 v[110:112], off, off offset:200
	ds_load_2addr_b32 v[2:3], v2 offset0:107 offset1:108
	s_mov_b32 s0, exec_lo
	s_waitcnt vmcnt(0) lgkmcnt(0)
	v_fma_f32 v2, v111, v2, 0
	s_delay_alu instid0(VALU_DEP_1) | instskip(NEXT) | instid1(VALU_DEP_1)
	v_fmac_f32_e32 v2, v112, v3
	v_sub_f32_e32 v2, v110, v2
	scratch_store_b32 off, v2, off offset:200
	v_cmpx_lt_u32_e32 49, v0
	s_cbranch_execz .LBB52_227
; %bb.226:
	scratch_load_b32 v2, off, off offset:196
	v_mov_b32_e32 v3, 0
	scratch_store_b32 off, v3, off offset:196
	s_waitcnt vmcnt(0)
	ds_store_b32 v1, v2
.LBB52_227:
	s_or_b32 exec_lo, exec_lo, s0
	s_waitcnt lgkmcnt(0)
	s_waitcnt_vscnt null, 0x0
	s_barrier
	buffer_gl0_inv
	scratch_load_b128 v[110:113], off, off offset:196
	v_mov_b32_e32 v2, 0
	ds_load_b64 v[114:115], v2 offset:424
	ds_load_b32 v3, v2 offset:432
	s_mov_b32 s0, exec_lo
	s_waitcnt vmcnt(0) lgkmcnt(1)
	v_fma_f32 v111, v111, v114, 0
	s_delay_alu instid0(VALU_DEP_1) | instskip(SKIP_1) | instid1(VALU_DEP_1)
	v_fmac_f32_e32 v111, v112, v115
	s_waitcnt lgkmcnt(0)
	v_fmac_f32_e32 v111, v113, v3
	s_delay_alu instid0(VALU_DEP_1)
	v_sub_f32_e32 v3, v110, v111
	scratch_store_b32 off, v3, off offset:196
	v_cmpx_lt_u32_e32 48, v0
	s_cbranch_execz .LBB52_229
; %bb.228:
	scratch_load_b32 v3, off, off offset:192
	scratch_store_b32 off, v2, off offset:192
	s_waitcnt vmcnt(0)
	ds_store_b32 v1, v3
.LBB52_229:
	s_or_b32 exec_lo, exec_lo, s0
	s_waitcnt lgkmcnt(0)
	s_waitcnt_vscnt null, 0x0
	s_barrier
	buffer_gl0_inv
	s_clause 0x1
	scratch_load_b128 v[110:113], off, off offset:192
	scratch_load_b32 v116, off, off offset:208
	ds_load_2addr_b32 v[114:115], v2 offset0:105 offset1:106
	ds_load_2addr_b32 v[2:3], v2 offset0:107 offset1:108
	s_mov_b32 s0, exec_lo
	s_waitcnt vmcnt(1) lgkmcnt(1)
	v_fma_f32 v111, v111, v114, 0
	s_delay_alu instid0(VALU_DEP_1) | instskip(SKIP_1) | instid1(VALU_DEP_1)
	v_fmac_f32_e32 v111, v112, v115
	s_waitcnt lgkmcnt(0)
	v_fmac_f32_e32 v111, v113, v2
	s_waitcnt vmcnt(0)
	s_delay_alu instid0(VALU_DEP_1) | instskip(NEXT) | instid1(VALU_DEP_1)
	v_fmac_f32_e32 v111, v116, v3
	v_sub_f32_e32 v2, v110, v111
	scratch_store_b32 off, v2, off offset:192
	v_cmpx_lt_u32_e32 47, v0
	s_cbranch_execz .LBB52_231
; %bb.230:
	scratch_load_b32 v2, off, off offset:188
	v_mov_b32_e32 v3, 0
	scratch_store_b32 off, v3, off offset:188
	s_waitcnt vmcnt(0)
	ds_store_b32 v1, v2
.LBB52_231:
	s_or_b32 exec_lo, exec_lo, s0
	s_waitcnt lgkmcnt(0)
	s_waitcnt_vscnt null, 0x0
	s_barrier
	buffer_gl0_inv
	s_clause 0x1
	scratch_load_b128 v[110:113], off, off offset:188
	scratch_load_b64 v[118:119], off, off offset:204
	v_mov_b32_e32 v2, 0
	ds_load_b128 v[114:117], v2 offset:416
	ds_load_b32 v3, v2 offset:432
	s_mov_b32 s0, exec_lo
	s_waitcnt vmcnt(1) lgkmcnt(1)
	v_fma_f32 v111, v111, v114, 0
	s_delay_alu instid0(VALU_DEP_1) | instskip(NEXT) | instid1(VALU_DEP_1)
	v_fmac_f32_e32 v111, v112, v115
	v_fmac_f32_e32 v111, v113, v116
	s_waitcnt vmcnt(0)
	s_delay_alu instid0(VALU_DEP_1) | instskip(SKIP_1) | instid1(VALU_DEP_1)
	v_fmac_f32_e32 v111, v118, v117
	s_waitcnt lgkmcnt(0)
	v_fmac_f32_e32 v111, v119, v3
	s_delay_alu instid0(VALU_DEP_1)
	v_sub_f32_e32 v3, v110, v111
	scratch_store_b32 off, v3, off offset:188
	v_cmpx_lt_u32_e32 46, v0
	s_cbranch_execz .LBB52_233
; %bb.232:
	scratch_load_b32 v3, off, off offset:184
	scratch_store_b32 off, v2, off offset:184
	s_waitcnt vmcnt(0)
	ds_store_b32 v1, v3
.LBB52_233:
	s_or_b32 exec_lo, exec_lo, s0
	s_waitcnt lgkmcnt(0)
	s_waitcnt_vscnt null, 0x0
	s_barrier
	buffer_gl0_inv
	s_clause 0x1
	scratch_load_b128 v[110:113], off, off offset:184
	scratch_load_b96 v[114:116], off, off offset:200
	ds_load_2addr_b32 v[117:118], v2 offset0:103 offset1:104
	ds_load_2addr_b32 v[119:120], v2 offset0:105 offset1:106
	;; [unrolled: 1-line block ×3, first 2 shown]
	s_mov_b32 s0, exec_lo
	s_waitcnt vmcnt(1) lgkmcnt(2)
	v_fma_f32 v111, v111, v117, 0
	s_delay_alu instid0(VALU_DEP_1) | instskip(SKIP_1) | instid1(VALU_DEP_1)
	v_fmac_f32_e32 v111, v112, v118
	s_waitcnt lgkmcnt(1)
	v_fmac_f32_e32 v111, v113, v119
	s_waitcnt vmcnt(0)
	s_delay_alu instid0(VALU_DEP_1) | instskip(SKIP_1) | instid1(VALU_DEP_1)
	v_fmac_f32_e32 v111, v114, v120
	s_waitcnt lgkmcnt(0)
	v_fmac_f32_e32 v111, v115, v2
	s_delay_alu instid0(VALU_DEP_1) | instskip(NEXT) | instid1(VALU_DEP_1)
	v_fmac_f32_e32 v111, v116, v3
	v_sub_f32_e32 v2, v110, v111
	scratch_store_b32 off, v2, off offset:184
	v_cmpx_lt_u32_e32 45, v0
	s_cbranch_execz .LBB52_235
; %bb.234:
	scratch_load_b32 v2, off, off offset:180
	v_mov_b32_e32 v3, 0
	scratch_store_b32 off, v3, off offset:180
	s_waitcnt vmcnt(0)
	ds_store_b32 v1, v2
.LBB52_235:
	s_or_b32 exec_lo, exec_lo, s0
	s_waitcnt lgkmcnt(0)
	s_waitcnt_vscnt null, 0x0
	s_barrier
	buffer_gl0_inv
	s_clause 0x1
	scratch_load_b128 v[110:113], off, off offset:180
	scratch_load_b128 v[114:117], off, off offset:196
	v_mov_b32_e32 v2, 0
	ds_load_2addr_b64 v[118:121], v2 offset0:51 offset1:52
	ds_load_b64 v[122:123], v2 offset:424
	s_mov_b32 s0, exec_lo
	s_waitcnt vmcnt(1) lgkmcnt(1)
	v_fma_f32 v3, v111, v118, 0
	s_delay_alu instid0(VALU_DEP_1) | instskip(SKIP_3) | instid1(VALU_DEP_1)
	v_fmac_f32_e32 v3, v112, v119
	ds_load_b32 v111, v2 offset:432
	v_fmac_f32_e32 v3, v113, v120
	s_waitcnt vmcnt(0)
	v_fmac_f32_e32 v3, v114, v121
	s_waitcnt lgkmcnt(1)
	s_delay_alu instid0(VALU_DEP_1) | instskip(NEXT) | instid1(VALU_DEP_1)
	v_fmac_f32_e32 v3, v115, v122
	v_fmac_f32_e32 v3, v116, v123
	s_waitcnt lgkmcnt(0)
	s_delay_alu instid0(VALU_DEP_1) | instskip(NEXT) | instid1(VALU_DEP_1)
	v_fmac_f32_e32 v3, v117, v111
	v_sub_f32_e32 v3, v110, v3
	scratch_store_b32 off, v3, off offset:180
	v_cmpx_lt_u32_e32 44, v0
	s_cbranch_execz .LBB52_237
; %bb.236:
	scratch_load_b32 v3, off, off offset:176
	scratch_store_b32 off, v2, off offset:176
	s_waitcnt vmcnt(0)
	ds_store_b32 v1, v3
.LBB52_237:
	s_or_b32 exec_lo, exec_lo, s0
	s_waitcnt lgkmcnt(0)
	s_waitcnt_vscnt null, 0x0
	s_barrier
	buffer_gl0_inv
	s_clause 0x2
	scratch_load_b128 v[110:113], off, off offset:176
	scratch_load_b128 v[114:117], off, off offset:192
	scratch_load_b32 v124, off, off offset:208
	ds_load_2addr_b32 v[118:119], v2 offset0:101 offset1:102
	ds_load_2addr_b32 v[120:121], v2 offset0:103 offset1:104
	ds_load_2addr_b32 v[122:123], v2 offset0:105 offset1:106
	ds_load_2addr_b32 v[2:3], v2 offset0:107 offset1:108
	s_mov_b32 s0, exec_lo
	s_waitcnt vmcnt(2) lgkmcnt(3)
	v_fma_f32 v111, v111, v118, 0
	s_delay_alu instid0(VALU_DEP_1) | instskip(SKIP_1) | instid1(VALU_DEP_1)
	v_fmac_f32_e32 v111, v112, v119
	s_waitcnt lgkmcnt(2)
	v_fmac_f32_e32 v111, v113, v120
	s_waitcnt vmcnt(1)
	s_delay_alu instid0(VALU_DEP_1) | instskip(SKIP_1) | instid1(VALU_DEP_1)
	v_fmac_f32_e32 v111, v114, v121
	s_waitcnt lgkmcnt(1)
	v_fmac_f32_e32 v111, v115, v122
	s_delay_alu instid0(VALU_DEP_1) | instskip(SKIP_1) | instid1(VALU_DEP_1)
	v_fmac_f32_e32 v111, v116, v123
	s_waitcnt lgkmcnt(0)
	v_fmac_f32_e32 v111, v117, v2
	s_waitcnt vmcnt(0)
	s_delay_alu instid0(VALU_DEP_1) | instskip(NEXT) | instid1(VALU_DEP_1)
	v_fmac_f32_e32 v111, v124, v3
	v_sub_f32_e32 v2, v110, v111
	scratch_store_b32 off, v2, off offset:176
	v_cmpx_lt_u32_e32 43, v0
	s_cbranch_execz .LBB52_239
; %bb.238:
	scratch_load_b32 v2, off, off offset:172
	v_mov_b32_e32 v3, 0
	scratch_store_b32 off, v3, off offset:172
	s_waitcnt vmcnt(0)
	ds_store_b32 v1, v2
.LBB52_239:
	s_or_b32 exec_lo, exec_lo, s0
	s_waitcnt lgkmcnt(0)
	s_waitcnt_vscnt null, 0x0
	s_barrier
	buffer_gl0_inv
	s_clause 0x2
	scratch_load_b128 v[110:113], off, off offset:172
	scratch_load_b128 v[114:117], off, off offset:188
	scratch_load_b64 v[126:127], off, off offset:204
	v_mov_b32_e32 v2, 0
	ds_load_b128 v[118:121], v2 offset:400
	ds_load_b128 v[122:125], v2 offset:416
	s_mov_b32 s0, exec_lo
	s_waitcnt vmcnt(2) lgkmcnt(1)
	v_fma_f32 v3, v111, v118, 0
	s_delay_alu instid0(VALU_DEP_1) | instskip(SKIP_3) | instid1(VALU_DEP_1)
	v_fmac_f32_e32 v3, v112, v119
	ds_load_b32 v111, v2 offset:432
	v_fmac_f32_e32 v3, v113, v120
	s_waitcnt vmcnt(1)
	v_fmac_f32_e32 v3, v114, v121
	s_waitcnt lgkmcnt(1)
	s_delay_alu instid0(VALU_DEP_1) | instskip(NEXT) | instid1(VALU_DEP_1)
	v_fmac_f32_e32 v3, v115, v122
	v_fmac_f32_e32 v3, v116, v123
	s_delay_alu instid0(VALU_DEP_1) | instskip(SKIP_1) | instid1(VALU_DEP_1)
	v_fmac_f32_e32 v3, v117, v124
	s_waitcnt vmcnt(0)
	v_fmac_f32_e32 v3, v126, v125
	s_waitcnt lgkmcnt(0)
	s_delay_alu instid0(VALU_DEP_1) | instskip(NEXT) | instid1(VALU_DEP_1)
	v_fmac_f32_e32 v3, v127, v111
	v_sub_f32_e32 v3, v110, v3
	scratch_store_b32 off, v3, off offset:172
	v_cmpx_lt_u32_e32 42, v0
	s_cbranch_execz .LBB52_241
; %bb.240:
	scratch_load_b32 v3, off, off offset:168
	scratch_store_b32 off, v2, off offset:168
	s_waitcnt vmcnt(0)
	ds_store_b32 v1, v3
.LBB52_241:
	s_or_b32 exec_lo, exec_lo, s0
	s_waitcnt lgkmcnt(0)
	s_waitcnt_vscnt null, 0x0
	s_barrier
	buffer_gl0_inv
	s_clause 0x2
	scratch_load_b128 v[110:113], off, off offset:168
	scratch_load_b128 v[114:117], off, off offset:184
	scratch_load_b96 v[118:120], off, off offset:200
	ds_load_2addr_b32 v[121:122], v2 offset0:99 offset1:100
	ds_load_2addr_b32 v[123:124], v2 offset0:101 offset1:102
	;; [unrolled: 1-line block ×5, first 2 shown]
	s_mov_b32 s0, exec_lo
	s_waitcnt vmcnt(2) lgkmcnt(4)
	v_fma_f32 v111, v111, v121, 0
	s_delay_alu instid0(VALU_DEP_1) | instskip(SKIP_1) | instid1(VALU_DEP_1)
	v_fmac_f32_e32 v111, v112, v122
	s_waitcnt lgkmcnt(3)
	v_fmac_f32_e32 v111, v113, v123
	s_waitcnt vmcnt(1)
	s_delay_alu instid0(VALU_DEP_1) | instskip(SKIP_1) | instid1(VALU_DEP_1)
	v_fmac_f32_e32 v111, v114, v124
	s_waitcnt lgkmcnt(2)
	v_fmac_f32_e32 v111, v115, v125
	s_delay_alu instid0(VALU_DEP_1) | instskip(SKIP_1) | instid1(VALU_DEP_1)
	v_fmac_f32_e32 v111, v116, v126
	s_waitcnt lgkmcnt(1)
	v_fmac_f32_e32 v111, v117, v127
	s_waitcnt vmcnt(0)
	s_delay_alu instid0(VALU_DEP_1) | instskip(SKIP_1) | instid1(VALU_DEP_1)
	v_fmac_f32_e32 v111, v118, v128
	s_waitcnt lgkmcnt(0)
	v_fmac_f32_e32 v111, v119, v2
	s_delay_alu instid0(VALU_DEP_1) | instskip(NEXT) | instid1(VALU_DEP_1)
	v_fmac_f32_e32 v111, v120, v3
	v_sub_f32_e32 v2, v110, v111
	scratch_store_b32 off, v2, off offset:168
	v_cmpx_lt_u32_e32 41, v0
	s_cbranch_execz .LBB52_243
; %bb.242:
	scratch_load_b32 v2, off, off offset:164
	v_mov_b32_e32 v3, 0
	scratch_store_b32 off, v3, off offset:164
	s_waitcnt vmcnt(0)
	ds_store_b32 v1, v2
.LBB52_243:
	s_or_b32 exec_lo, exec_lo, s0
	s_waitcnt lgkmcnt(0)
	s_waitcnt_vscnt null, 0x0
	s_barrier
	buffer_gl0_inv
	s_clause 0x2
	scratch_load_b128 v[110:113], off, off offset:164
	scratch_load_b128 v[114:117], off, off offset:180
	;; [unrolled: 1-line block ×3, first 2 shown]
	v_mov_b32_e32 v2, 0
	ds_load_2addr_b64 v[122:125], v2 offset0:49 offset1:50
	ds_load_2addr_b64 v[126:129], v2 offset0:51 offset1:52
	s_mov_b32 s0, exec_lo
	s_waitcnt vmcnt(2) lgkmcnt(1)
	v_fma_f32 v3, v111, v122, 0
	s_delay_alu instid0(VALU_DEP_1)
	v_fmac_f32_e32 v3, v112, v123
	ds_load_b64 v[111:112], v2 offset:424
	v_fmac_f32_e32 v3, v113, v124
	ds_load_b32 v113, v2 offset:432
	s_waitcnt vmcnt(1)
	v_fmac_f32_e32 v3, v114, v125
	s_waitcnt lgkmcnt(2)
	s_delay_alu instid0(VALU_DEP_1) | instskip(NEXT) | instid1(VALU_DEP_1)
	v_fmac_f32_e32 v3, v115, v126
	v_fmac_f32_e32 v3, v116, v127
	s_delay_alu instid0(VALU_DEP_1) | instskip(SKIP_1) | instid1(VALU_DEP_1)
	v_fmac_f32_e32 v3, v117, v128
	s_waitcnt vmcnt(0)
	v_fmac_f32_e32 v3, v118, v129
	s_waitcnt lgkmcnt(1)
	s_delay_alu instid0(VALU_DEP_1) | instskip(NEXT) | instid1(VALU_DEP_1)
	v_fmac_f32_e32 v3, v119, v111
	v_fmac_f32_e32 v3, v120, v112
	s_waitcnt lgkmcnt(0)
	s_delay_alu instid0(VALU_DEP_1) | instskip(NEXT) | instid1(VALU_DEP_1)
	v_fmac_f32_e32 v3, v121, v113
	v_sub_f32_e32 v3, v110, v3
	scratch_store_b32 off, v3, off offset:164
	v_cmpx_lt_u32_e32 40, v0
	s_cbranch_execz .LBB52_245
; %bb.244:
	scratch_load_b32 v3, off, off offset:160
	scratch_store_b32 off, v2, off offset:160
	s_waitcnt vmcnt(0)
	ds_store_b32 v1, v3
.LBB52_245:
	s_or_b32 exec_lo, exec_lo, s0
	s_waitcnt lgkmcnt(0)
	s_waitcnt_vscnt null, 0x0
	s_barrier
	buffer_gl0_inv
	s_clause 0x3
	scratch_load_b128 v[110:113], off, off offset:160
	scratch_load_b128 v[114:117], off, off offset:176
	;; [unrolled: 1-line block ×3, first 2 shown]
	scratch_load_b32 v130, off, off offset:208
	ds_load_2addr_b32 v[122:123], v2 offset0:97 offset1:98
	ds_load_2addr_b32 v[124:125], v2 offset0:99 offset1:100
	;; [unrolled: 1-line block ×4, first 2 shown]
	s_mov_b32 s0, exec_lo
	s_waitcnt vmcnt(3) lgkmcnt(3)
	v_fma_f32 v122, v111, v122, 0
	s_delay_alu instid0(VALU_DEP_1)
	v_fmac_f32_e32 v122, v112, v123
	ds_load_2addr_b32 v[111:112], v2 offset0:105 offset1:106
	ds_load_2addr_b32 v[2:3], v2 offset0:107 offset1:108
	s_waitcnt lgkmcnt(4)
	v_fmac_f32_e32 v122, v113, v124
	s_waitcnt vmcnt(2)
	s_delay_alu instid0(VALU_DEP_1) | instskip(SKIP_1) | instid1(VALU_DEP_1)
	v_fmac_f32_e32 v122, v114, v125
	s_waitcnt lgkmcnt(3)
	v_fmac_f32_e32 v122, v115, v126
	s_delay_alu instid0(VALU_DEP_1) | instskip(SKIP_1) | instid1(VALU_DEP_1)
	v_fmac_f32_e32 v122, v116, v127
	s_waitcnt lgkmcnt(2)
	v_fmac_f32_e32 v122, v117, v128
	s_waitcnt vmcnt(1)
	s_delay_alu instid0(VALU_DEP_1) | instskip(SKIP_1) | instid1(VALU_DEP_1)
	v_fmac_f32_e32 v122, v118, v129
	s_waitcnt lgkmcnt(1)
	v_fmac_f32_e32 v122, v119, v111
	s_delay_alu instid0(VALU_DEP_1) | instskip(SKIP_1) | instid1(VALU_DEP_1)
	v_fmac_f32_e32 v122, v120, v112
	s_waitcnt lgkmcnt(0)
	v_fmac_f32_e32 v122, v121, v2
	s_waitcnt vmcnt(0)
	s_delay_alu instid0(VALU_DEP_1) | instskip(NEXT) | instid1(VALU_DEP_1)
	v_fmac_f32_e32 v122, v130, v3
	v_sub_f32_e32 v2, v110, v122
	scratch_store_b32 off, v2, off offset:160
	v_cmpx_lt_u32_e32 39, v0
	s_cbranch_execz .LBB52_247
; %bb.246:
	scratch_load_b32 v2, off, off offset:156
	v_mov_b32_e32 v3, 0
	scratch_store_b32 off, v3, off offset:156
	s_waitcnt vmcnt(0)
	ds_store_b32 v1, v2
.LBB52_247:
	s_or_b32 exec_lo, exec_lo, s0
	s_waitcnt lgkmcnt(0)
	s_waitcnt_vscnt null, 0x0
	s_barrier
	buffer_gl0_inv
	s_clause 0x3
	scratch_load_b128 v[110:113], off, off offset:156
	scratch_load_b128 v[114:117], off, off offset:172
	;; [unrolled: 1-line block ×3, first 2 shown]
	scratch_load_b64 v[130:131], off, off offset:204
	v_mov_b32_e32 v2, 0
	ds_load_b128 v[122:125], v2 offset:384
	ds_load_b128 v[126:129], v2 offset:400
	s_mov_b32 s0, exec_lo
	s_waitcnt vmcnt(3) lgkmcnt(1)
	v_fma_f32 v3, v111, v122, 0
	s_delay_alu instid0(VALU_DEP_1) | instskip(NEXT) | instid1(VALU_DEP_1)
	v_fmac_f32_e32 v3, v112, v123
	v_fmac_f32_e32 v3, v113, v124
	s_waitcnt vmcnt(2)
	s_delay_alu instid0(VALU_DEP_1)
	v_fmac_f32_e32 v3, v114, v125
	ds_load_b128 v[111:114], v2 offset:416
	s_waitcnt lgkmcnt(1)
	v_fmac_f32_e32 v3, v115, v126
	ds_load_b32 v115, v2 offset:432
	v_fmac_f32_e32 v3, v116, v127
	s_delay_alu instid0(VALU_DEP_1) | instskip(SKIP_1) | instid1(VALU_DEP_1)
	v_fmac_f32_e32 v3, v117, v128
	s_waitcnt vmcnt(1)
	v_fmac_f32_e32 v3, v118, v129
	s_waitcnt lgkmcnt(1)
	s_delay_alu instid0(VALU_DEP_1) | instskip(NEXT) | instid1(VALU_DEP_1)
	v_fmac_f32_e32 v3, v119, v111
	v_fmac_f32_e32 v3, v120, v112
	s_delay_alu instid0(VALU_DEP_1) | instskip(SKIP_1) | instid1(VALU_DEP_1)
	v_fmac_f32_e32 v3, v121, v113
	s_waitcnt vmcnt(0)
	v_fmac_f32_e32 v3, v130, v114
	s_waitcnt lgkmcnt(0)
	s_delay_alu instid0(VALU_DEP_1) | instskip(NEXT) | instid1(VALU_DEP_1)
	v_fmac_f32_e32 v3, v131, v115
	v_sub_f32_e32 v3, v110, v3
	scratch_store_b32 off, v3, off offset:156
	v_cmpx_lt_u32_e32 38, v0
	s_cbranch_execz .LBB52_249
; %bb.248:
	scratch_load_b32 v3, off, off offset:152
	scratch_store_b32 off, v2, off offset:152
	s_waitcnt vmcnt(0)
	ds_store_b32 v1, v3
.LBB52_249:
	s_or_b32 exec_lo, exec_lo, s0
	s_waitcnt lgkmcnt(0)
	s_waitcnt_vscnt null, 0x0
	s_barrier
	buffer_gl0_inv
	s_clause 0x3
	scratch_load_b128 v[110:113], off, off offset:152
	scratch_load_b128 v[114:117], off, off offset:168
	;; [unrolled: 1-line block ×3, first 2 shown]
	scratch_load_b96 v[122:124], off, off offset:200
	ds_load_2addr_b32 v[125:126], v2 offset0:95 offset1:96
	ds_load_2addr_b32 v[127:128], v2 offset0:97 offset1:98
	;; [unrolled: 1-line block ×4, first 2 shown]
	s_mov_b32 s0, exec_lo
	s_waitcnt vmcnt(3) lgkmcnt(3)
	v_fma_f32 v125, v111, v125, 0
	s_delay_alu instid0(VALU_DEP_1) | instskip(SKIP_4) | instid1(VALU_DEP_1)
	v_fmac_f32_e32 v125, v112, v126
	ds_load_2addr_b32 v[111:112], v2 offset0:103 offset1:104
	s_waitcnt lgkmcnt(3)
	v_fmac_f32_e32 v125, v113, v127
	s_waitcnt vmcnt(2)
	v_fmac_f32_e32 v125, v114, v128
	ds_load_2addr_b32 v[113:114], v2 offset0:105 offset1:106
	ds_load_2addr_b32 v[2:3], v2 offset0:107 offset1:108
	s_waitcnt lgkmcnt(4)
	v_fmac_f32_e32 v125, v115, v129
	s_delay_alu instid0(VALU_DEP_1) | instskip(SKIP_1) | instid1(VALU_DEP_1)
	v_fmac_f32_e32 v125, v116, v130
	s_waitcnt lgkmcnt(3)
	v_fmac_f32_e32 v125, v117, v131
	s_waitcnt vmcnt(1)
	s_delay_alu instid0(VALU_DEP_1) | instskip(SKIP_1) | instid1(VALU_DEP_1)
	v_fmac_f32_e32 v125, v118, v132
	s_waitcnt lgkmcnt(2)
	v_fmac_f32_e32 v125, v119, v111
	s_delay_alu instid0(VALU_DEP_1) | instskip(SKIP_1) | instid1(VALU_DEP_1)
	v_fmac_f32_e32 v125, v120, v112
	s_waitcnt lgkmcnt(1)
	v_fmac_f32_e32 v125, v121, v113
	s_waitcnt vmcnt(0)
	s_delay_alu instid0(VALU_DEP_1) | instskip(SKIP_1) | instid1(VALU_DEP_1)
	v_fmac_f32_e32 v125, v122, v114
	s_waitcnt lgkmcnt(0)
	v_fmac_f32_e32 v125, v123, v2
	s_delay_alu instid0(VALU_DEP_1) | instskip(NEXT) | instid1(VALU_DEP_1)
	v_fmac_f32_e32 v125, v124, v3
	v_sub_f32_e32 v2, v110, v125
	scratch_store_b32 off, v2, off offset:152
	v_cmpx_lt_u32_e32 37, v0
	s_cbranch_execz .LBB52_251
; %bb.250:
	scratch_load_b32 v2, off, off offset:148
	v_mov_b32_e32 v3, 0
	scratch_store_b32 off, v3, off offset:148
	s_waitcnt vmcnt(0)
	ds_store_b32 v1, v2
.LBB52_251:
	s_or_b32 exec_lo, exec_lo, s0
	s_waitcnt lgkmcnt(0)
	s_waitcnt_vscnt null, 0x0
	s_barrier
	buffer_gl0_inv
	s_clause 0x3
	scratch_load_b128 v[110:113], off, off offset:148
	scratch_load_b128 v[114:117], off, off offset:164
	;; [unrolled: 1-line block ×4, first 2 shown]
	v_mov_b32_e32 v2, 0
	ds_load_2addr_b64 v[126:129], v2 offset0:47 offset1:48
	ds_load_2addr_b64 v[130:133], v2 offset0:49 offset1:50
	s_mov_b32 s0, exec_lo
	s_waitcnt vmcnt(3) lgkmcnt(1)
	v_fma_f32 v3, v111, v126, 0
	s_delay_alu instid0(VALU_DEP_1) | instskip(NEXT) | instid1(VALU_DEP_1)
	v_fmac_f32_e32 v3, v112, v127
	v_fmac_f32_e32 v3, v113, v128
	s_waitcnt vmcnt(2)
	s_delay_alu instid0(VALU_DEP_1) | instskip(SKIP_3) | instid1(VALU_DEP_1)
	v_fmac_f32_e32 v3, v114, v129
	ds_load_2addr_b64 v[111:114], v2 offset0:51 offset1:52
	s_waitcnt lgkmcnt(1)
	v_fmac_f32_e32 v3, v115, v130
	v_fmac_f32_e32 v3, v116, v131
	ds_load_b64 v[115:116], v2 offset:424
	v_fmac_f32_e32 v3, v117, v132
	s_waitcnt vmcnt(1)
	s_delay_alu instid0(VALU_DEP_1) | instskip(SKIP_1) | instid1(VALU_DEP_1)
	v_fmac_f32_e32 v3, v118, v133
	s_waitcnt lgkmcnt(1)
	v_fmac_f32_e32 v3, v119, v111
	ds_load_b32 v111, v2 offset:432
	v_fmac_f32_e32 v3, v120, v112
	s_delay_alu instid0(VALU_DEP_1) | instskip(SKIP_1) | instid1(VALU_DEP_1)
	v_fmac_f32_e32 v3, v121, v113
	s_waitcnt vmcnt(0)
	v_fmac_f32_e32 v3, v122, v114
	s_waitcnt lgkmcnt(1)
	s_delay_alu instid0(VALU_DEP_1) | instskip(NEXT) | instid1(VALU_DEP_1)
	v_fmac_f32_e32 v3, v123, v115
	v_fmac_f32_e32 v3, v124, v116
	s_waitcnt lgkmcnt(0)
	s_delay_alu instid0(VALU_DEP_1) | instskip(NEXT) | instid1(VALU_DEP_1)
	v_fmac_f32_e32 v3, v125, v111
	v_sub_f32_e32 v3, v110, v3
	scratch_store_b32 off, v3, off offset:148
	v_cmpx_lt_u32_e32 36, v0
	s_cbranch_execz .LBB52_253
; %bb.252:
	scratch_load_b32 v3, off, off offset:144
	scratch_store_b32 off, v2, off offset:144
	s_waitcnt vmcnt(0)
	ds_store_b32 v1, v3
.LBB52_253:
	s_or_b32 exec_lo, exec_lo, s0
	s_waitcnt lgkmcnt(0)
	s_waitcnt_vscnt null, 0x0
	s_barrier
	buffer_gl0_inv
	s_clause 0x4
	scratch_load_b128 v[110:113], off, off offset:144
	scratch_load_b128 v[114:117], off, off offset:160
	;; [unrolled: 1-line block ×4, first 2 shown]
	scratch_load_b32 v134, off, off offset:208
	ds_load_2addr_b32 v[126:127], v2 offset0:93 offset1:94
	ds_load_2addr_b32 v[128:129], v2 offset0:95 offset1:96
	;; [unrolled: 1-line block ×4, first 2 shown]
	s_mov_b32 s0, exec_lo
	s_waitcnt vmcnt(4) lgkmcnt(3)
	v_fma_f32 v126, v111, v126, 0
	s_delay_alu instid0(VALU_DEP_1) | instskip(SKIP_4) | instid1(VALU_DEP_1)
	v_fmac_f32_e32 v126, v112, v127
	ds_load_2addr_b32 v[111:112], v2 offset0:101 offset1:102
	s_waitcnt lgkmcnt(3)
	v_fmac_f32_e32 v126, v113, v128
	s_waitcnt vmcnt(3)
	v_fmac_f32_e32 v126, v114, v129
	ds_load_2addr_b32 v[113:114], v2 offset0:103 offset1:104
	s_waitcnt lgkmcnt(3)
	v_fmac_f32_e32 v126, v115, v130
	s_delay_alu instid0(VALU_DEP_1)
	v_fmac_f32_e32 v126, v116, v131
	ds_load_2addr_b32 v[115:116], v2 offset0:105 offset1:106
	ds_load_2addr_b32 v[2:3], v2 offset0:107 offset1:108
	s_waitcnt lgkmcnt(4)
	v_fmac_f32_e32 v126, v117, v132
	s_waitcnt vmcnt(2)
	s_delay_alu instid0(VALU_DEP_1) | instskip(SKIP_1) | instid1(VALU_DEP_1)
	v_fmac_f32_e32 v126, v118, v133
	s_waitcnt lgkmcnt(3)
	v_fmac_f32_e32 v126, v119, v111
	s_delay_alu instid0(VALU_DEP_1) | instskip(SKIP_1) | instid1(VALU_DEP_1)
	v_fmac_f32_e32 v126, v120, v112
	s_waitcnt lgkmcnt(2)
	v_fmac_f32_e32 v126, v121, v113
	s_waitcnt vmcnt(1)
	s_delay_alu instid0(VALU_DEP_1) | instskip(SKIP_1) | instid1(VALU_DEP_1)
	v_fmac_f32_e32 v126, v122, v114
	s_waitcnt lgkmcnt(1)
	v_fmac_f32_e32 v126, v123, v115
	s_delay_alu instid0(VALU_DEP_1) | instskip(SKIP_1) | instid1(VALU_DEP_1)
	v_fmac_f32_e32 v126, v124, v116
	s_waitcnt lgkmcnt(0)
	v_fmac_f32_e32 v126, v125, v2
	s_waitcnt vmcnt(0)
	s_delay_alu instid0(VALU_DEP_1) | instskip(NEXT) | instid1(VALU_DEP_1)
	v_fmac_f32_e32 v126, v134, v3
	v_sub_f32_e32 v2, v110, v126
	scratch_store_b32 off, v2, off offset:144
	v_cmpx_lt_u32_e32 35, v0
	s_cbranch_execz .LBB52_255
; %bb.254:
	scratch_load_b32 v2, off, off offset:140
	v_mov_b32_e32 v3, 0
	scratch_store_b32 off, v3, off offset:140
	s_waitcnt vmcnt(0)
	ds_store_b32 v1, v2
.LBB52_255:
	s_or_b32 exec_lo, exec_lo, s0
	s_waitcnt lgkmcnt(0)
	s_waitcnt_vscnt null, 0x0
	s_barrier
	buffer_gl0_inv
	s_clause 0x4
	scratch_load_b128 v[110:113], off, off offset:140
	scratch_load_b128 v[114:117], off, off offset:156
	;; [unrolled: 1-line block ×4, first 2 shown]
	scratch_load_b64 v[134:135], off, off offset:204
	v_mov_b32_e32 v2, 0
	ds_load_b128 v[126:129], v2 offset:368
	ds_load_b128 v[130:133], v2 offset:384
	s_mov_b32 s0, exec_lo
	s_waitcnt vmcnt(4) lgkmcnt(1)
	v_fma_f32 v3, v111, v126, 0
	s_delay_alu instid0(VALU_DEP_1) | instskip(NEXT) | instid1(VALU_DEP_1)
	v_fmac_f32_e32 v3, v112, v127
	v_fmac_f32_e32 v3, v113, v128
	s_waitcnt vmcnt(3)
	s_delay_alu instid0(VALU_DEP_1) | instskip(SKIP_3) | instid1(VALU_DEP_1)
	v_fmac_f32_e32 v3, v114, v129
	ds_load_b128 v[111:114], v2 offset:400
	s_waitcnt lgkmcnt(1)
	v_fmac_f32_e32 v3, v115, v130
	v_fmac_f32_e32 v3, v116, v131
	s_delay_alu instid0(VALU_DEP_1) | instskip(SKIP_1) | instid1(VALU_DEP_1)
	v_fmac_f32_e32 v3, v117, v132
	s_waitcnt vmcnt(2)
	v_fmac_f32_e32 v3, v118, v133
	ds_load_b128 v[115:118], v2 offset:416
	s_waitcnt lgkmcnt(1)
	v_fmac_f32_e32 v3, v119, v111
	ds_load_b32 v111, v2 offset:432
	v_fmac_f32_e32 v3, v120, v112
	s_delay_alu instid0(VALU_DEP_1) | instskip(SKIP_1) | instid1(VALU_DEP_1)
	v_fmac_f32_e32 v3, v121, v113
	s_waitcnt vmcnt(1)
	v_fmac_f32_e32 v3, v122, v114
	s_waitcnt lgkmcnt(1)
	s_delay_alu instid0(VALU_DEP_1) | instskip(NEXT) | instid1(VALU_DEP_1)
	v_fmac_f32_e32 v3, v123, v115
	v_fmac_f32_e32 v3, v124, v116
	s_delay_alu instid0(VALU_DEP_1) | instskip(SKIP_1) | instid1(VALU_DEP_1)
	v_fmac_f32_e32 v3, v125, v117
	s_waitcnt vmcnt(0)
	v_fmac_f32_e32 v3, v134, v118
	s_waitcnt lgkmcnt(0)
	s_delay_alu instid0(VALU_DEP_1) | instskip(NEXT) | instid1(VALU_DEP_1)
	v_fmac_f32_e32 v3, v135, v111
	v_sub_f32_e32 v3, v110, v3
	scratch_store_b32 off, v3, off offset:140
	v_cmpx_lt_u32_e32 34, v0
	s_cbranch_execz .LBB52_257
; %bb.256:
	scratch_load_b32 v3, off, off offset:136
	scratch_store_b32 off, v2, off offset:136
	s_waitcnt vmcnt(0)
	ds_store_b32 v1, v3
.LBB52_257:
	s_or_b32 exec_lo, exec_lo, s0
	s_waitcnt lgkmcnt(0)
	s_waitcnt_vscnt null, 0x0
	s_barrier
	buffer_gl0_inv
	s_clause 0x4
	scratch_load_b128 v[110:113], off, off offset:136
	scratch_load_b128 v[114:117], off, off offset:152
	;; [unrolled: 1-line block ×4, first 2 shown]
	scratch_load_b96 v[126:128], off, off offset:200
	ds_load_2addr_b32 v[129:130], v2 offset0:91 offset1:92
	ds_load_2addr_b32 v[131:132], v2 offset0:93 offset1:94
	;; [unrolled: 1-line block ×4, first 2 shown]
	s_mov_b32 s0, exec_lo
	s_waitcnt vmcnt(4) lgkmcnt(3)
	v_fma_f32 v129, v111, v129, 0
	s_delay_alu instid0(VALU_DEP_1) | instskip(SKIP_4) | instid1(VALU_DEP_1)
	v_fmac_f32_e32 v129, v112, v130
	ds_load_2addr_b32 v[111:112], v2 offset0:99 offset1:100
	s_waitcnt lgkmcnt(3)
	v_fmac_f32_e32 v129, v113, v131
	s_waitcnt vmcnt(3)
	v_fmac_f32_e32 v129, v114, v132
	ds_load_2addr_b32 v[113:114], v2 offset0:101 offset1:102
	s_waitcnt lgkmcnt(3)
	v_fmac_f32_e32 v129, v115, v133
	s_delay_alu instid0(VALU_DEP_1) | instskip(SKIP_1) | instid1(VALU_DEP_1)
	v_fmac_f32_e32 v129, v116, v134
	s_waitcnt lgkmcnt(2)
	v_fmac_f32_e32 v129, v117, v135
	s_waitcnt vmcnt(2)
	s_delay_alu instid0(VALU_DEP_1)
	v_fmac_f32_e32 v129, v118, v136
	ds_load_2addr_b32 v[115:116], v2 offset0:103 offset1:104
	ds_load_2addr_b32 v[117:118], v2 offset0:105 offset1:106
	;; [unrolled: 1-line block ×3, first 2 shown]
	s_waitcnt lgkmcnt(4)
	v_fmac_f32_e32 v129, v119, v111
	s_delay_alu instid0(VALU_DEP_1) | instskip(SKIP_1) | instid1(VALU_DEP_1)
	v_fmac_f32_e32 v129, v120, v112
	s_waitcnt lgkmcnt(3)
	v_fmac_f32_e32 v129, v121, v113
	s_waitcnt vmcnt(1)
	s_delay_alu instid0(VALU_DEP_1) | instskip(SKIP_1) | instid1(VALU_DEP_1)
	v_fmac_f32_e32 v129, v122, v114
	s_waitcnt lgkmcnt(2)
	v_fmac_f32_e32 v129, v123, v115
	s_delay_alu instid0(VALU_DEP_1) | instskip(SKIP_1) | instid1(VALU_DEP_1)
	v_fmac_f32_e32 v129, v124, v116
	s_waitcnt lgkmcnt(1)
	v_fmac_f32_e32 v129, v125, v117
	s_waitcnt vmcnt(0)
	s_delay_alu instid0(VALU_DEP_1) | instskip(SKIP_1) | instid1(VALU_DEP_1)
	v_fmac_f32_e32 v129, v126, v118
	s_waitcnt lgkmcnt(0)
	v_fmac_f32_e32 v129, v127, v2
	s_delay_alu instid0(VALU_DEP_1) | instskip(NEXT) | instid1(VALU_DEP_1)
	v_fmac_f32_e32 v129, v128, v3
	v_sub_f32_e32 v2, v110, v129
	scratch_store_b32 off, v2, off offset:136
	v_cmpx_lt_u32_e32 33, v0
	s_cbranch_execz .LBB52_259
; %bb.258:
	scratch_load_b32 v2, off, off offset:132
	v_mov_b32_e32 v3, 0
	scratch_store_b32 off, v3, off offset:132
	s_waitcnt vmcnt(0)
	ds_store_b32 v1, v2
.LBB52_259:
	s_or_b32 exec_lo, exec_lo, s0
	s_waitcnt lgkmcnt(0)
	s_waitcnt_vscnt null, 0x0
	s_barrier
	buffer_gl0_inv
	s_clause 0x4
	scratch_load_b128 v[110:113], off, off offset:132
	scratch_load_b128 v[114:117], off, off offset:148
	;; [unrolled: 1-line block ×5, first 2 shown]
	v_mov_b32_e32 v2, 0
	ds_load_2addr_b64 v[130:133], v2 offset0:45 offset1:46
	ds_load_2addr_b64 v[134:137], v2 offset0:47 offset1:48
	s_mov_b32 s0, exec_lo
	s_waitcnt vmcnt(4) lgkmcnt(1)
	v_fma_f32 v3, v111, v130, 0
	s_delay_alu instid0(VALU_DEP_1) | instskip(NEXT) | instid1(VALU_DEP_1)
	v_fmac_f32_e32 v3, v112, v131
	v_fmac_f32_e32 v3, v113, v132
	s_waitcnt vmcnt(3)
	s_delay_alu instid0(VALU_DEP_1) | instskip(SKIP_3) | instid1(VALU_DEP_1)
	v_fmac_f32_e32 v3, v114, v133
	ds_load_2addr_b64 v[111:114], v2 offset0:49 offset1:50
	s_waitcnt lgkmcnt(1)
	v_fmac_f32_e32 v3, v115, v134
	v_fmac_f32_e32 v3, v116, v135
	s_delay_alu instid0(VALU_DEP_1) | instskip(SKIP_1) | instid1(VALU_DEP_1)
	v_fmac_f32_e32 v3, v117, v136
	s_waitcnt vmcnt(2)
	v_fmac_f32_e32 v3, v118, v137
	ds_load_2addr_b64 v[115:118], v2 offset0:51 offset1:52
	s_waitcnt lgkmcnt(1)
	v_fmac_f32_e32 v3, v119, v111
	s_delay_alu instid0(VALU_DEP_1)
	v_fmac_f32_e32 v3, v120, v112
	ds_load_b64 v[111:112], v2 offset:424
	v_fmac_f32_e32 v3, v121, v113
	ds_load_b32 v113, v2 offset:432
	s_waitcnt vmcnt(1)
	v_fmac_f32_e32 v3, v122, v114
	s_waitcnt lgkmcnt(2)
	s_delay_alu instid0(VALU_DEP_1) | instskip(NEXT) | instid1(VALU_DEP_1)
	v_fmac_f32_e32 v3, v123, v115
	v_fmac_f32_e32 v3, v124, v116
	s_delay_alu instid0(VALU_DEP_1) | instskip(SKIP_1) | instid1(VALU_DEP_1)
	v_fmac_f32_e32 v3, v125, v117
	s_waitcnt vmcnt(0)
	v_fmac_f32_e32 v3, v126, v118
	s_waitcnt lgkmcnt(1)
	s_delay_alu instid0(VALU_DEP_1) | instskip(NEXT) | instid1(VALU_DEP_1)
	v_fmac_f32_e32 v3, v127, v111
	v_fmac_f32_e32 v3, v128, v112
	s_waitcnt lgkmcnt(0)
	s_delay_alu instid0(VALU_DEP_1) | instskip(NEXT) | instid1(VALU_DEP_1)
	v_fmac_f32_e32 v3, v129, v113
	v_sub_f32_e32 v3, v110, v3
	scratch_store_b32 off, v3, off offset:132
	v_cmpx_lt_u32_e32 32, v0
	s_cbranch_execz .LBB52_261
; %bb.260:
	scratch_load_b32 v3, off, off offset:128
	scratch_store_b32 off, v2, off offset:128
	s_waitcnt vmcnt(0)
	ds_store_b32 v1, v3
.LBB52_261:
	s_or_b32 exec_lo, exec_lo, s0
	s_waitcnt lgkmcnt(0)
	s_waitcnt_vscnt null, 0x0
	s_barrier
	buffer_gl0_inv
	s_clause 0x5
	scratch_load_b128 v[110:113], off, off offset:128
	scratch_load_b128 v[114:117], off, off offset:144
	;; [unrolled: 1-line block ×5, first 2 shown]
	scratch_load_b32 v138, off, off offset:208
	ds_load_2addr_b32 v[130:131], v2 offset0:89 offset1:90
	ds_load_2addr_b32 v[132:133], v2 offset0:91 offset1:92
	;; [unrolled: 1-line block ×4, first 2 shown]
	s_mov_b32 s0, exec_lo
	s_waitcnt vmcnt(5) lgkmcnt(3)
	v_fma_f32 v130, v111, v130, 0
	s_delay_alu instid0(VALU_DEP_1) | instskip(SKIP_4) | instid1(VALU_DEP_1)
	v_fmac_f32_e32 v130, v112, v131
	ds_load_2addr_b32 v[111:112], v2 offset0:97 offset1:98
	s_waitcnt lgkmcnt(3)
	v_fmac_f32_e32 v130, v113, v132
	s_waitcnt vmcnt(4)
	v_fmac_f32_e32 v130, v114, v133
	ds_load_2addr_b32 v[113:114], v2 offset0:99 offset1:100
	s_waitcnt lgkmcnt(3)
	v_fmac_f32_e32 v130, v115, v134
	s_delay_alu instid0(VALU_DEP_1) | instskip(SKIP_1) | instid1(VALU_DEP_1)
	v_fmac_f32_e32 v130, v116, v135
	s_waitcnt lgkmcnt(2)
	v_fmac_f32_e32 v130, v117, v136
	s_waitcnt vmcnt(3)
	s_delay_alu instid0(VALU_DEP_1) | instskip(SKIP_4) | instid1(VALU_DEP_1)
	v_fmac_f32_e32 v130, v118, v137
	ds_load_2addr_b32 v[115:116], v2 offset0:101 offset1:102
	ds_load_2addr_b32 v[117:118], v2 offset0:103 offset1:104
	s_waitcnt lgkmcnt(3)
	v_fmac_f32_e32 v130, v119, v111
	v_fmac_f32_e32 v130, v120, v112
	ds_load_2addr_b32 v[111:112], v2 offset0:105 offset1:106
	ds_load_2addr_b32 v[2:3], v2 offset0:107 offset1:108
	s_waitcnt lgkmcnt(4)
	v_fmac_f32_e32 v130, v121, v113
	s_waitcnt vmcnt(2)
	s_delay_alu instid0(VALU_DEP_1) | instskip(SKIP_1) | instid1(VALU_DEP_1)
	v_fmac_f32_e32 v130, v122, v114
	s_waitcnt lgkmcnt(3)
	v_fmac_f32_e32 v130, v123, v115
	s_delay_alu instid0(VALU_DEP_1) | instskip(SKIP_1) | instid1(VALU_DEP_1)
	v_fmac_f32_e32 v130, v124, v116
	s_waitcnt lgkmcnt(2)
	v_fmac_f32_e32 v130, v125, v117
	s_waitcnt vmcnt(1)
	s_delay_alu instid0(VALU_DEP_1) | instskip(SKIP_1) | instid1(VALU_DEP_1)
	v_fmac_f32_e32 v130, v126, v118
	s_waitcnt lgkmcnt(1)
	v_fmac_f32_e32 v130, v127, v111
	s_delay_alu instid0(VALU_DEP_1) | instskip(SKIP_1) | instid1(VALU_DEP_1)
	v_fmac_f32_e32 v130, v128, v112
	s_waitcnt lgkmcnt(0)
	v_fmac_f32_e32 v130, v129, v2
	s_waitcnt vmcnt(0)
	s_delay_alu instid0(VALU_DEP_1) | instskip(NEXT) | instid1(VALU_DEP_1)
	v_fmac_f32_e32 v130, v138, v3
	v_sub_f32_e32 v2, v110, v130
	scratch_store_b32 off, v2, off offset:128
	v_cmpx_lt_u32_e32 31, v0
	s_cbranch_execz .LBB52_263
; %bb.262:
	scratch_load_b32 v2, off, off offset:124
	v_mov_b32_e32 v3, 0
	scratch_store_b32 off, v3, off offset:124
	s_waitcnt vmcnt(0)
	ds_store_b32 v1, v2
.LBB52_263:
	s_or_b32 exec_lo, exec_lo, s0
	s_waitcnt lgkmcnt(0)
	s_waitcnt_vscnt null, 0x0
	s_barrier
	buffer_gl0_inv
	s_clause 0x5
	scratch_load_b128 v[110:113], off, off offset:124
	scratch_load_b128 v[114:117], off, off offset:140
	scratch_load_b128 v[118:121], off, off offset:156
	scratch_load_b128 v[122:125], off, off offset:172
	scratch_load_b128 v[126:129], off, off offset:188
	scratch_load_b64 v[138:139], off, off offset:204
	v_mov_b32_e32 v2, 0
	ds_load_b128 v[130:133], v2 offset:352
	ds_load_b128 v[134:137], v2 offset:368
	s_mov_b32 s0, exec_lo
	s_waitcnt vmcnt(5) lgkmcnt(1)
	v_fma_f32 v3, v111, v130, 0
	s_delay_alu instid0(VALU_DEP_1) | instskip(NEXT) | instid1(VALU_DEP_1)
	v_fmac_f32_e32 v3, v112, v131
	v_fmac_f32_e32 v3, v113, v132
	s_waitcnt vmcnt(4)
	s_delay_alu instid0(VALU_DEP_1) | instskip(SKIP_3) | instid1(VALU_DEP_1)
	v_fmac_f32_e32 v3, v114, v133
	ds_load_b128 v[111:114], v2 offset:384
	s_waitcnt lgkmcnt(1)
	v_fmac_f32_e32 v3, v115, v134
	v_fmac_f32_e32 v3, v116, v135
	s_delay_alu instid0(VALU_DEP_1) | instskip(SKIP_1) | instid1(VALU_DEP_1)
	v_fmac_f32_e32 v3, v117, v136
	s_waitcnt vmcnt(3)
	v_fmac_f32_e32 v3, v118, v137
	ds_load_b128 v[115:118], v2 offset:400
	s_waitcnt lgkmcnt(1)
	v_fmac_f32_e32 v3, v119, v111
	s_delay_alu instid0(VALU_DEP_1) | instskip(NEXT) | instid1(VALU_DEP_1)
	v_fmac_f32_e32 v3, v120, v112
	v_fmac_f32_e32 v3, v121, v113
	s_waitcnt vmcnt(2)
	s_delay_alu instid0(VALU_DEP_1)
	v_fmac_f32_e32 v3, v122, v114
	ds_load_b128 v[111:114], v2 offset:416
	s_waitcnt lgkmcnt(1)
	v_fmac_f32_e32 v3, v123, v115
	ds_load_b32 v115, v2 offset:432
	v_fmac_f32_e32 v3, v124, v116
	s_delay_alu instid0(VALU_DEP_1) | instskip(SKIP_1) | instid1(VALU_DEP_1)
	v_fmac_f32_e32 v3, v125, v117
	s_waitcnt vmcnt(1)
	v_fmac_f32_e32 v3, v126, v118
	s_waitcnt lgkmcnt(1)
	s_delay_alu instid0(VALU_DEP_1) | instskip(NEXT) | instid1(VALU_DEP_1)
	v_fmac_f32_e32 v3, v127, v111
	v_fmac_f32_e32 v3, v128, v112
	s_delay_alu instid0(VALU_DEP_1) | instskip(SKIP_1) | instid1(VALU_DEP_1)
	v_fmac_f32_e32 v3, v129, v113
	s_waitcnt vmcnt(0)
	v_fmac_f32_e32 v3, v138, v114
	s_waitcnt lgkmcnt(0)
	s_delay_alu instid0(VALU_DEP_1) | instskip(NEXT) | instid1(VALU_DEP_1)
	v_fmac_f32_e32 v3, v139, v115
	v_sub_f32_e32 v3, v110, v3
	scratch_store_b32 off, v3, off offset:124
	v_cmpx_lt_u32_e32 30, v0
	s_cbranch_execz .LBB52_265
; %bb.264:
	scratch_load_b32 v3, off, off offset:120
	scratch_store_b32 off, v2, off offset:120
	s_waitcnt vmcnt(0)
	ds_store_b32 v1, v3
.LBB52_265:
	s_or_b32 exec_lo, exec_lo, s0
	s_waitcnt lgkmcnt(0)
	s_waitcnt_vscnt null, 0x0
	s_barrier
	buffer_gl0_inv
	s_clause 0x5
	scratch_load_b128 v[110:113], off, off offset:120
	scratch_load_b128 v[114:117], off, off offset:136
	;; [unrolled: 1-line block ×5, first 2 shown]
	scratch_load_b96 v[130:132], off, off offset:200
	ds_load_2addr_b32 v[133:134], v2 offset0:87 offset1:88
	ds_load_2addr_b32 v[135:136], v2 offset0:89 offset1:90
	ds_load_2addr_b32 v[137:138], v2 offset0:91 offset1:92
	ds_load_2addr_b32 v[139:140], v2 offset0:93 offset1:94
	s_mov_b32 s0, exec_lo
	s_waitcnt vmcnt(5) lgkmcnt(3)
	v_fma_f32 v133, v111, v133, 0
	s_delay_alu instid0(VALU_DEP_1) | instskip(SKIP_4) | instid1(VALU_DEP_1)
	v_fmac_f32_e32 v133, v112, v134
	ds_load_2addr_b32 v[111:112], v2 offset0:95 offset1:96
	s_waitcnt lgkmcnt(3)
	v_fmac_f32_e32 v133, v113, v135
	s_waitcnt vmcnt(4)
	v_fmac_f32_e32 v133, v114, v136
	ds_load_2addr_b32 v[113:114], v2 offset0:97 offset1:98
	s_waitcnt lgkmcnt(3)
	v_fmac_f32_e32 v133, v115, v137
	s_delay_alu instid0(VALU_DEP_1) | instskip(SKIP_1) | instid1(VALU_DEP_1)
	v_fmac_f32_e32 v133, v116, v138
	s_waitcnt lgkmcnt(2)
	v_fmac_f32_e32 v133, v117, v139
	s_waitcnt vmcnt(3)
	s_delay_alu instid0(VALU_DEP_1) | instskip(SKIP_4) | instid1(VALU_DEP_1)
	v_fmac_f32_e32 v133, v118, v140
	ds_load_2addr_b32 v[115:116], v2 offset0:99 offset1:100
	ds_load_2addr_b32 v[117:118], v2 offset0:101 offset1:102
	s_waitcnt lgkmcnt(3)
	v_fmac_f32_e32 v133, v119, v111
	v_fmac_f32_e32 v133, v120, v112
	ds_load_2addr_b32 v[111:112], v2 offset0:103 offset1:104
	s_waitcnt lgkmcnt(3)
	v_fmac_f32_e32 v133, v121, v113
	s_waitcnt vmcnt(2)
	s_delay_alu instid0(VALU_DEP_1) | instskip(SKIP_4) | instid1(VALU_DEP_1)
	v_fmac_f32_e32 v133, v122, v114
	ds_load_2addr_b32 v[113:114], v2 offset0:105 offset1:106
	ds_load_2addr_b32 v[2:3], v2 offset0:107 offset1:108
	s_waitcnt lgkmcnt(4)
	v_fmac_f32_e32 v133, v123, v115
	v_fmac_f32_e32 v133, v124, v116
	s_waitcnt lgkmcnt(3)
	s_delay_alu instid0(VALU_DEP_1) | instskip(SKIP_1) | instid1(VALU_DEP_1)
	v_fmac_f32_e32 v133, v125, v117
	s_waitcnt vmcnt(1)
	v_fmac_f32_e32 v133, v126, v118
	s_waitcnt lgkmcnt(2)
	s_delay_alu instid0(VALU_DEP_1) | instskip(NEXT) | instid1(VALU_DEP_1)
	v_fmac_f32_e32 v133, v127, v111
	v_fmac_f32_e32 v133, v128, v112
	s_waitcnt lgkmcnt(1)
	s_delay_alu instid0(VALU_DEP_1) | instskip(SKIP_1) | instid1(VALU_DEP_1)
	v_fmac_f32_e32 v133, v129, v113
	s_waitcnt vmcnt(0)
	v_fmac_f32_e32 v133, v130, v114
	s_waitcnt lgkmcnt(0)
	s_delay_alu instid0(VALU_DEP_1) | instskip(NEXT) | instid1(VALU_DEP_1)
	v_fmac_f32_e32 v133, v131, v2
	v_fmac_f32_e32 v133, v132, v3
	s_delay_alu instid0(VALU_DEP_1)
	v_sub_f32_e32 v2, v110, v133
	scratch_store_b32 off, v2, off offset:120
	v_cmpx_lt_u32_e32 29, v0
	s_cbranch_execz .LBB52_267
; %bb.266:
	scratch_load_b32 v2, off, off offset:116
	v_mov_b32_e32 v3, 0
	scratch_store_b32 off, v3, off offset:116
	s_waitcnt vmcnt(0)
	ds_store_b32 v1, v2
.LBB52_267:
	s_or_b32 exec_lo, exec_lo, s0
	s_waitcnt lgkmcnt(0)
	s_waitcnt_vscnt null, 0x0
	s_barrier
	buffer_gl0_inv
	s_clause 0x5
	scratch_load_b128 v[110:113], off, off offset:116
	scratch_load_b128 v[114:117], off, off offset:132
	;; [unrolled: 1-line block ×6, first 2 shown]
	v_mov_b32_e32 v2, 0
	ds_load_2addr_b64 v[134:137], v2 offset0:43 offset1:44
	ds_load_2addr_b64 v[138:141], v2 offset0:45 offset1:46
	s_mov_b32 s0, exec_lo
	s_waitcnt vmcnt(5) lgkmcnt(1)
	v_fma_f32 v3, v111, v134, 0
	s_delay_alu instid0(VALU_DEP_1) | instskip(NEXT) | instid1(VALU_DEP_1)
	v_fmac_f32_e32 v3, v112, v135
	v_fmac_f32_e32 v3, v113, v136
	s_waitcnt vmcnt(4)
	s_delay_alu instid0(VALU_DEP_1) | instskip(SKIP_3) | instid1(VALU_DEP_1)
	v_fmac_f32_e32 v3, v114, v137
	ds_load_2addr_b64 v[111:114], v2 offset0:47 offset1:48
	s_waitcnt lgkmcnt(1)
	v_fmac_f32_e32 v3, v115, v138
	v_fmac_f32_e32 v3, v116, v139
	s_delay_alu instid0(VALU_DEP_1) | instskip(SKIP_1) | instid1(VALU_DEP_1)
	v_fmac_f32_e32 v3, v117, v140
	s_waitcnt vmcnt(3)
	v_fmac_f32_e32 v3, v118, v141
	ds_load_2addr_b64 v[115:118], v2 offset0:49 offset1:50
	s_waitcnt lgkmcnt(1)
	v_fmac_f32_e32 v3, v119, v111
	s_delay_alu instid0(VALU_DEP_1) | instskip(NEXT) | instid1(VALU_DEP_1)
	v_fmac_f32_e32 v3, v120, v112
	v_fmac_f32_e32 v3, v121, v113
	s_waitcnt vmcnt(2)
	s_delay_alu instid0(VALU_DEP_1) | instskip(SKIP_3) | instid1(VALU_DEP_1)
	v_fmac_f32_e32 v3, v122, v114
	ds_load_2addr_b64 v[111:114], v2 offset0:51 offset1:52
	s_waitcnt lgkmcnt(1)
	v_fmac_f32_e32 v3, v123, v115
	v_fmac_f32_e32 v3, v124, v116
	ds_load_b64 v[115:116], v2 offset:424
	v_fmac_f32_e32 v3, v125, v117
	s_waitcnt vmcnt(1)
	s_delay_alu instid0(VALU_DEP_1) | instskip(SKIP_1) | instid1(VALU_DEP_1)
	v_fmac_f32_e32 v3, v126, v118
	s_waitcnt lgkmcnt(1)
	v_fmac_f32_e32 v3, v127, v111
	ds_load_b32 v111, v2 offset:432
	v_fmac_f32_e32 v3, v128, v112
	s_delay_alu instid0(VALU_DEP_1) | instskip(SKIP_1) | instid1(VALU_DEP_1)
	v_fmac_f32_e32 v3, v129, v113
	s_waitcnt vmcnt(0)
	v_fmac_f32_e32 v3, v130, v114
	s_waitcnt lgkmcnt(1)
	s_delay_alu instid0(VALU_DEP_1) | instskip(NEXT) | instid1(VALU_DEP_1)
	v_fmac_f32_e32 v3, v131, v115
	v_fmac_f32_e32 v3, v132, v116
	s_waitcnt lgkmcnt(0)
	s_delay_alu instid0(VALU_DEP_1) | instskip(NEXT) | instid1(VALU_DEP_1)
	v_fmac_f32_e32 v3, v133, v111
	v_sub_f32_e32 v3, v110, v3
	scratch_store_b32 off, v3, off offset:116
	v_cmpx_lt_u32_e32 28, v0
	s_cbranch_execz .LBB52_269
; %bb.268:
	scratch_load_b32 v3, off, off offset:112
	scratch_store_b32 off, v2, off offset:112
	s_waitcnt vmcnt(0)
	ds_store_b32 v1, v3
.LBB52_269:
	s_or_b32 exec_lo, exec_lo, s0
	s_waitcnt lgkmcnt(0)
	s_waitcnt_vscnt null, 0x0
	s_barrier
	buffer_gl0_inv
	s_clause 0x6
	scratch_load_b128 v[110:113], off, off offset:112
	scratch_load_b128 v[114:117], off, off offset:128
	;; [unrolled: 1-line block ×6, first 2 shown]
	scratch_load_b32 v142, off, off offset:208
	ds_load_2addr_b32 v[134:135], v2 offset0:85 offset1:86
	ds_load_2addr_b32 v[136:137], v2 offset0:87 offset1:88
	ds_load_2addr_b32 v[138:139], v2 offset0:89 offset1:90
	ds_load_2addr_b32 v[140:141], v2 offset0:91 offset1:92
	s_mov_b32 s0, exec_lo
	s_waitcnt vmcnt(6) lgkmcnt(3)
	v_fma_f32 v134, v111, v134, 0
	s_delay_alu instid0(VALU_DEP_1) | instskip(SKIP_4) | instid1(VALU_DEP_1)
	v_fmac_f32_e32 v134, v112, v135
	ds_load_2addr_b32 v[111:112], v2 offset0:93 offset1:94
	s_waitcnt lgkmcnt(3)
	v_fmac_f32_e32 v134, v113, v136
	s_waitcnt vmcnt(5)
	v_fmac_f32_e32 v134, v114, v137
	ds_load_2addr_b32 v[113:114], v2 offset0:95 offset1:96
	s_waitcnt lgkmcnt(3)
	v_fmac_f32_e32 v134, v115, v138
	s_delay_alu instid0(VALU_DEP_1) | instskip(SKIP_1) | instid1(VALU_DEP_1)
	v_fmac_f32_e32 v134, v116, v139
	s_waitcnt lgkmcnt(2)
	v_fmac_f32_e32 v134, v117, v140
	s_waitcnt vmcnt(4)
	s_delay_alu instid0(VALU_DEP_1) | instskip(SKIP_4) | instid1(VALU_DEP_1)
	v_fmac_f32_e32 v134, v118, v141
	ds_load_2addr_b32 v[115:116], v2 offset0:97 offset1:98
	ds_load_2addr_b32 v[117:118], v2 offset0:99 offset1:100
	s_waitcnt lgkmcnt(3)
	v_fmac_f32_e32 v134, v119, v111
	v_fmac_f32_e32 v134, v120, v112
	ds_load_2addr_b32 v[111:112], v2 offset0:101 offset1:102
	s_waitcnt lgkmcnt(3)
	v_fmac_f32_e32 v134, v121, v113
	s_waitcnt vmcnt(3)
	s_delay_alu instid0(VALU_DEP_1) | instskip(SKIP_3) | instid1(VALU_DEP_1)
	v_fmac_f32_e32 v134, v122, v114
	ds_load_2addr_b32 v[113:114], v2 offset0:103 offset1:104
	s_waitcnt lgkmcnt(3)
	v_fmac_f32_e32 v134, v123, v115
	v_fmac_f32_e32 v134, v124, v116
	ds_load_2addr_b32 v[115:116], v2 offset0:105 offset1:106
	ds_load_2addr_b32 v[2:3], v2 offset0:107 offset1:108
	s_waitcnt lgkmcnt(4)
	v_fmac_f32_e32 v134, v125, v117
	s_waitcnt vmcnt(2)
	s_delay_alu instid0(VALU_DEP_1) | instskip(SKIP_1) | instid1(VALU_DEP_1)
	v_fmac_f32_e32 v134, v126, v118
	s_waitcnt lgkmcnt(3)
	v_fmac_f32_e32 v134, v127, v111
	s_delay_alu instid0(VALU_DEP_1) | instskip(SKIP_1) | instid1(VALU_DEP_1)
	v_fmac_f32_e32 v134, v128, v112
	s_waitcnt lgkmcnt(2)
	v_fmac_f32_e32 v134, v129, v113
	s_waitcnt vmcnt(1)
	s_delay_alu instid0(VALU_DEP_1) | instskip(SKIP_1) | instid1(VALU_DEP_1)
	v_fmac_f32_e32 v134, v130, v114
	s_waitcnt lgkmcnt(1)
	v_fmac_f32_e32 v134, v131, v115
	s_delay_alu instid0(VALU_DEP_1) | instskip(SKIP_1) | instid1(VALU_DEP_1)
	v_fmac_f32_e32 v134, v132, v116
	s_waitcnt lgkmcnt(0)
	v_fmac_f32_e32 v134, v133, v2
	s_waitcnt vmcnt(0)
	s_delay_alu instid0(VALU_DEP_1) | instskip(NEXT) | instid1(VALU_DEP_1)
	v_fmac_f32_e32 v134, v142, v3
	v_sub_f32_e32 v2, v110, v134
	scratch_store_b32 off, v2, off offset:112
	v_cmpx_lt_u32_e32 27, v0
	s_cbranch_execz .LBB52_271
; %bb.270:
	scratch_load_b32 v2, off, off offset:108
	v_mov_b32_e32 v3, 0
	scratch_store_b32 off, v3, off offset:108
	s_waitcnt vmcnt(0)
	ds_store_b32 v1, v2
.LBB52_271:
	s_or_b32 exec_lo, exec_lo, s0
	s_waitcnt lgkmcnt(0)
	s_waitcnt_vscnt null, 0x0
	s_barrier
	buffer_gl0_inv
	s_clause 0x6
	scratch_load_b128 v[110:113], off, off offset:108
	scratch_load_b128 v[114:117], off, off offset:124
	scratch_load_b128 v[118:121], off, off offset:140
	scratch_load_b128 v[122:125], off, off offset:156
	scratch_load_b128 v[126:129], off, off offset:172
	scratch_load_b128 v[130:133], off, off offset:188
	scratch_load_b64 v[142:143], off, off offset:204
	v_mov_b32_e32 v2, 0
	ds_load_b128 v[134:137], v2 offset:336
	ds_load_b128 v[138:141], v2 offset:352
	s_mov_b32 s0, exec_lo
	s_waitcnt vmcnt(6) lgkmcnt(1)
	v_fma_f32 v3, v111, v134, 0
	s_delay_alu instid0(VALU_DEP_1) | instskip(NEXT) | instid1(VALU_DEP_1)
	v_fmac_f32_e32 v3, v112, v135
	v_fmac_f32_e32 v3, v113, v136
	s_waitcnt vmcnt(5)
	s_delay_alu instid0(VALU_DEP_1) | instskip(SKIP_3) | instid1(VALU_DEP_1)
	v_fmac_f32_e32 v3, v114, v137
	ds_load_b128 v[111:114], v2 offset:368
	s_waitcnt lgkmcnt(1)
	v_fmac_f32_e32 v3, v115, v138
	v_fmac_f32_e32 v3, v116, v139
	s_delay_alu instid0(VALU_DEP_1) | instskip(SKIP_1) | instid1(VALU_DEP_1)
	v_fmac_f32_e32 v3, v117, v140
	s_waitcnt vmcnt(4)
	v_fmac_f32_e32 v3, v118, v141
	ds_load_b128 v[115:118], v2 offset:384
	s_waitcnt lgkmcnt(1)
	v_fmac_f32_e32 v3, v119, v111
	s_delay_alu instid0(VALU_DEP_1) | instskip(NEXT) | instid1(VALU_DEP_1)
	v_fmac_f32_e32 v3, v120, v112
	v_fmac_f32_e32 v3, v121, v113
	s_waitcnt vmcnt(3)
	s_delay_alu instid0(VALU_DEP_1) | instskip(SKIP_3) | instid1(VALU_DEP_1)
	v_fmac_f32_e32 v3, v122, v114
	ds_load_b128 v[111:114], v2 offset:400
	s_waitcnt lgkmcnt(1)
	v_fmac_f32_e32 v3, v123, v115
	v_fmac_f32_e32 v3, v124, v116
	s_delay_alu instid0(VALU_DEP_1) | instskip(SKIP_1) | instid1(VALU_DEP_1)
	v_fmac_f32_e32 v3, v125, v117
	s_waitcnt vmcnt(2)
	v_fmac_f32_e32 v3, v126, v118
	ds_load_b128 v[115:118], v2 offset:416
	s_waitcnt lgkmcnt(1)
	v_fmac_f32_e32 v3, v127, v111
	ds_load_b32 v111, v2 offset:432
	v_fmac_f32_e32 v3, v128, v112
	s_delay_alu instid0(VALU_DEP_1) | instskip(SKIP_1) | instid1(VALU_DEP_1)
	v_fmac_f32_e32 v3, v129, v113
	s_waitcnt vmcnt(1)
	v_fmac_f32_e32 v3, v130, v114
	s_waitcnt lgkmcnt(1)
	s_delay_alu instid0(VALU_DEP_1) | instskip(NEXT) | instid1(VALU_DEP_1)
	v_fmac_f32_e32 v3, v131, v115
	v_fmac_f32_e32 v3, v132, v116
	s_delay_alu instid0(VALU_DEP_1) | instskip(SKIP_1) | instid1(VALU_DEP_1)
	v_fmac_f32_e32 v3, v133, v117
	s_waitcnt vmcnt(0)
	v_fmac_f32_e32 v3, v142, v118
	s_waitcnt lgkmcnt(0)
	s_delay_alu instid0(VALU_DEP_1) | instskip(NEXT) | instid1(VALU_DEP_1)
	v_fmac_f32_e32 v3, v143, v111
	v_sub_f32_e32 v3, v110, v3
	scratch_store_b32 off, v3, off offset:108
	v_cmpx_lt_u32_e32 26, v0
	s_cbranch_execz .LBB52_273
; %bb.272:
	scratch_load_b32 v3, off, off offset:104
	scratch_store_b32 off, v2, off offset:104
	s_waitcnt vmcnt(0)
	ds_store_b32 v1, v3
.LBB52_273:
	s_or_b32 exec_lo, exec_lo, s0
	s_waitcnt lgkmcnt(0)
	s_waitcnt_vscnt null, 0x0
	s_barrier
	buffer_gl0_inv
	s_clause 0x6
	scratch_load_b128 v[110:113], off, off offset:104
	scratch_load_b128 v[114:117], off, off offset:120
	;; [unrolled: 1-line block ×6, first 2 shown]
	scratch_load_b96 v[134:136], off, off offset:200
	ds_load_2addr_b32 v[137:138], v2 offset0:83 offset1:84
	ds_load_2addr_b32 v[139:140], v2 offset0:85 offset1:86
	;; [unrolled: 1-line block ×4, first 2 shown]
	s_mov_b32 s0, exec_lo
	s_waitcnt vmcnt(6) lgkmcnt(3)
	v_fma_f32 v137, v111, v137, 0
	s_delay_alu instid0(VALU_DEP_1) | instskip(SKIP_4) | instid1(VALU_DEP_1)
	v_fmac_f32_e32 v137, v112, v138
	ds_load_2addr_b32 v[111:112], v2 offset0:91 offset1:92
	s_waitcnt lgkmcnt(3)
	v_fmac_f32_e32 v137, v113, v139
	s_waitcnt vmcnt(5)
	v_fmac_f32_e32 v137, v114, v140
	ds_load_2addr_b32 v[113:114], v2 offset0:93 offset1:94
	s_waitcnt lgkmcnt(3)
	v_fmac_f32_e32 v137, v115, v141
	s_delay_alu instid0(VALU_DEP_1) | instskip(SKIP_1) | instid1(VALU_DEP_1)
	v_fmac_f32_e32 v137, v116, v142
	s_waitcnt lgkmcnt(2)
	v_fmac_f32_e32 v137, v117, v143
	s_waitcnt vmcnt(4)
	s_delay_alu instid0(VALU_DEP_1) | instskip(SKIP_4) | instid1(VALU_DEP_1)
	v_fmac_f32_e32 v137, v118, v144
	ds_load_2addr_b32 v[115:116], v2 offset0:95 offset1:96
	ds_load_2addr_b32 v[117:118], v2 offset0:97 offset1:98
	s_waitcnt lgkmcnt(3)
	v_fmac_f32_e32 v137, v119, v111
	v_fmac_f32_e32 v137, v120, v112
	ds_load_2addr_b32 v[111:112], v2 offset0:99 offset1:100
	s_waitcnt lgkmcnt(3)
	v_fmac_f32_e32 v137, v121, v113
	s_waitcnt vmcnt(3)
	s_delay_alu instid0(VALU_DEP_1) | instskip(SKIP_3) | instid1(VALU_DEP_1)
	v_fmac_f32_e32 v137, v122, v114
	ds_load_2addr_b32 v[113:114], v2 offset0:101 offset1:102
	s_waitcnt lgkmcnt(3)
	v_fmac_f32_e32 v137, v123, v115
	v_fmac_f32_e32 v137, v124, v116
	s_waitcnt lgkmcnt(2)
	s_delay_alu instid0(VALU_DEP_1) | instskip(SKIP_1) | instid1(VALU_DEP_1)
	v_fmac_f32_e32 v137, v125, v117
	s_waitcnt vmcnt(2)
	v_fmac_f32_e32 v137, v126, v118
	ds_load_2addr_b32 v[115:116], v2 offset0:103 offset1:104
	ds_load_2addr_b32 v[117:118], v2 offset0:105 offset1:106
	ds_load_2addr_b32 v[2:3], v2 offset0:107 offset1:108
	s_waitcnt lgkmcnt(4)
	v_fmac_f32_e32 v137, v127, v111
	s_delay_alu instid0(VALU_DEP_1) | instskip(SKIP_1) | instid1(VALU_DEP_1)
	v_fmac_f32_e32 v137, v128, v112
	s_waitcnt lgkmcnt(3)
	v_fmac_f32_e32 v137, v129, v113
	s_waitcnt vmcnt(1)
	s_delay_alu instid0(VALU_DEP_1) | instskip(SKIP_1) | instid1(VALU_DEP_1)
	v_fmac_f32_e32 v137, v130, v114
	s_waitcnt lgkmcnt(2)
	v_fmac_f32_e32 v137, v131, v115
	s_delay_alu instid0(VALU_DEP_1) | instskip(SKIP_1) | instid1(VALU_DEP_1)
	v_fmac_f32_e32 v137, v132, v116
	s_waitcnt lgkmcnt(1)
	v_fmac_f32_e32 v137, v133, v117
	s_waitcnt vmcnt(0)
	s_delay_alu instid0(VALU_DEP_1) | instskip(SKIP_1) | instid1(VALU_DEP_1)
	v_fmac_f32_e32 v137, v134, v118
	s_waitcnt lgkmcnt(0)
	v_fmac_f32_e32 v137, v135, v2
	s_delay_alu instid0(VALU_DEP_1) | instskip(NEXT) | instid1(VALU_DEP_1)
	v_fmac_f32_e32 v137, v136, v3
	v_sub_f32_e32 v2, v110, v137
	scratch_store_b32 off, v2, off offset:104
	v_cmpx_lt_u32_e32 25, v0
	s_cbranch_execz .LBB52_275
; %bb.274:
	scratch_load_b32 v2, off, off offset:100
	v_mov_b32_e32 v3, 0
	scratch_store_b32 off, v3, off offset:100
	s_waitcnt vmcnt(0)
	ds_store_b32 v1, v2
.LBB52_275:
	s_or_b32 exec_lo, exec_lo, s0
	s_waitcnt lgkmcnt(0)
	s_waitcnt_vscnt null, 0x0
	s_barrier
	buffer_gl0_inv
	s_clause 0x6
	scratch_load_b128 v[110:113], off, off offset:100
	scratch_load_b128 v[114:117], off, off offset:116
	;; [unrolled: 1-line block ×7, first 2 shown]
	v_mov_b32_e32 v2, 0
	ds_load_2addr_b64 v[138:141], v2 offset0:41 offset1:42
	ds_load_2addr_b64 v[142:145], v2 offset0:43 offset1:44
	s_mov_b32 s0, exec_lo
	s_waitcnt vmcnt(6) lgkmcnt(1)
	v_fma_f32 v3, v111, v138, 0
	s_delay_alu instid0(VALU_DEP_1) | instskip(NEXT) | instid1(VALU_DEP_1)
	v_fmac_f32_e32 v3, v112, v139
	v_fmac_f32_e32 v3, v113, v140
	s_waitcnt vmcnt(5)
	s_delay_alu instid0(VALU_DEP_1) | instskip(SKIP_3) | instid1(VALU_DEP_1)
	v_fmac_f32_e32 v3, v114, v141
	ds_load_2addr_b64 v[111:114], v2 offset0:45 offset1:46
	s_waitcnt lgkmcnt(1)
	v_fmac_f32_e32 v3, v115, v142
	v_fmac_f32_e32 v3, v116, v143
	s_delay_alu instid0(VALU_DEP_1) | instskip(SKIP_1) | instid1(VALU_DEP_1)
	v_fmac_f32_e32 v3, v117, v144
	s_waitcnt vmcnt(4)
	v_fmac_f32_e32 v3, v118, v145
	ds_load_2addr_b64 v[115:118], v2 offset0:47 offset1:48
	s_waitcnt lgkmcnt(1)
	v_fmac_f32_e32 v3, v119, v111
	s_delay_alu instid0(VALU_DEP_1) | instskip(NEXT) | instid1(VALU_DEP_1)
	v_fmac_f32_e32 v3, v120, v112
	v_fmac_f32_e32 v3, v121, v113
	s_waitcnt vmcnt(3)
	s_delay_alu instid0(VALU_DEP_1) | instskip(SKIP_3) | instid1(VALU_DEP_1)
	v_fmac_f32_e32 v3, v122, v114
	ds_load_2addr_b64 v[111:114], v2 offset0:49 offset1:50
	s_waitcnt lgkmcnt(1)
	v_fmac_f32_e32 v3, v123, v115
	v_fmac_f32_e32 v3, v124, v116
	s_delay_alu instid0(VALU_DEP_1) | instskip(SKIP_1) | instid1(VALU_DEP_1)
	v_fmac_f32_e32 v3, v125, v117
	s_waitcnt vmcnt(2)
	v_fmac_f32_e32 v3, v126, v118
	ds_load_2addr_b64 v[115:118], v2 offset0:51 offset1:52
	s_waitcnt lgkmcnt(1)
	v_fmac_f32_e32 v3, v127, v111
	s_delay_alu instid0(VALU_DEP_1)
	v_fmac_f32_e32 v3, v128, v112
	ds_load_b64 v[111:112], v2 offset:424
	v_fmac_f32_e32 v3, v129, v113
	ds_load_b32 v113, v2 offset:432
	s_waitcnt vmcnt(1)
	v_fmac_f32_e32 v3, v130, v114
	s_waitcnt lgkmcnt(2)
	s_delay_alu instid0(VALU_DEP_1) | instskip(NEXT) | instid1(VALU_DEP_1)
	v_fmac_f32_e32 v3, v131, v115
	v_fmac_f32_e32 v3, v132, v116
	s_delay_alu instid0(VALU_DEP_1) | instskip(SKIP_1) | instid1(VALU_DEP_1)
	v_fmac_f32_e32 v3, v133, v117
	s_waitcnt vmcnt(0)
	v_fmac_f32_e32 v3, v134, v118
	s_waitcnt lgkmcnt(1)
	s_delay_alu instid0(VALU_DEP_1) | instskip(NEXT) | instid1(VALU_DEP_1)
	v_fmac_f32_e32 v3, v135, v111
	v_fmac_f32_e32 v3, v136, v112
	s_waitcnt lgkmcnt(0)
	s_delay_alu instid0(VALU_DEP_1) | instskip(NEXT) | instid1(VALU_DEP_1)
	v_fmac_f32_e32 v3, v137, v113
	v_sub_f32_e32 v3, v110, v3
	scratch_store_b32 off, v3, off offset:100
	v_cmpx_lt_u32_e32 24, v0
	s_cbranch_execz .LBB52_277
; %bb.276:
	scratch_load_b32 v3, off, off offset:96
	scratch_store_b32 off, v2, off offset:96
	s_waitcnt vmcnt(0)
	ds_store_b32 v1, v3
.LBB52_277:
	s_or_b32 exec_lo, exec_lo, s0
	s_waitcnt lgkmcnt(0)
	s_waitcnt_vscnt null, 0x0
	s_barrier
	buffer_gl0_inv
	s_clause 0x7
	scratch_load_b128 v[110:113], off, off offset:96
	scratch_load_b128 v[114:117], off, off offset:112
	;; [unrolled: 1-line block ×7, first 2 shown]
	scratch_load_b32 v146, off, off offset:208
	ds_load_2addr_b32 v[138:139], v2 offset0:81 offset1:82
	ds_load_2addr_b32 v[140:141], v2 offset0:83 offset1:84
	;; [unrolled: 1-line block ×4, first 2 shown]
	s_mov_b32 s0, exec_lo
	s_waitcnt vmcnt(7) lgkmcnt(3)
	v_fma_f32 v138, v111, v138, 0
	s_delay_alu instid0(VALU_DEP_1) | instskip(SKIP_4) | instid1(VALU_DEP_1)
	v_fmac_f32_e32 v138, v112, v139
	ds_load_2addr_b32 v[111:112], v2 offset0:89 offset1:90
	s_waitcnt lgkmcnt(3)
	v_fmac_f32_e32 v138, v113, v140
	s_waitcnt vmcnt(6)
	v_fmac_f32_e32 v138, v114, v141
	ds_load_2addr_b32 v[113:114], v2 offset0:91 offset1:92
	s_waitcnt lgkmcnt(3)
	v_fmac_f32_e32 v138, v115, v142
	s_delay_alu instid0(VALU_DEP_1) | instskip(SKIP_1) | instid1(VALU_DEP_1)
	v_fmac_f32_e32 v138, v116, v143
	s_waitcnt lgkmcnt(2)
	v_fmac_f32_e32 v138, v117, v144
	s_waitcnt vmcnt(5)
	s_delay_alu instid0(VALU_DEP_1) | instskip(SKIP_4) | instid1(VALU_DEP_1)
	v_fmac_f32_e32 v138, v118, v145
	ds_load_2addr_b32 v[115:116], v2 offset0:93 offset1:94
	ds_load_2addr_b32 v[117:118], v2 offset0:95 offset1:96
	s_waitcnt lgkmcnt(3)
	v_fmac_f32_e32 v138, v119, v111
	v_fmac_f32_e32 v138, v120, v112
	ds_load_2addr_b32 v[111:112], v2 offset0:97 offset1:98
	s_waitcnt lgkmcnt(3)
	v_fmac_f32_e32 v138, v121, v113
	s_waitcnt vmcnt(4)
	s_delay_alu instid0(VALU_DEP_1) | instskip(SKIP_3) | instid1(VALU_DEP_1)
	v_fmac_f32_e32 v138, v122, v114
	ds_load_2addr_b32 v[113:114], v2 offset0:99 offset1:100
	s_waitcnt lgkmcnt(3)
	v_fmac_f32_e32 v138, v123, v115
	v_fmac_f32_e32 v138, v124, v116
	s_waitcnt lgkmcnt(2)
	s_delay_alu instid0(VALU_DEP_1) | instskip(SKIP_1) | instid1(VALU_DEP_1)
	v_fmac_f32_e32 v138, v125, v117
	s_waitcnt vmcnt(3)
	v_fmac_f32_e32 v138, v126, v118
	ds_load_2addr_b32 v[115:116], v2 offset0:101 offset1:102
	ds_load_2addr_b32 v[117:118], v2 offset0:103 offset1:104
	s_waitcnt lgkmcnt(3)
	v_fmac_f32_e32 v138, v127, v111
	s_delay_alu instid0(VALU_DEP_1)
	v_fmac_f32_e32 v138, v128, v112
	ds_load_2addr_b32 v[111:112], v2 offset0:105 offset1:106
	ds_load_2addr_b32 v[2:3], v2 offset0:107 offset1:108
	s_waitcnt lgkmcnt(4)
	v_fmac_f32_e32 v138, v129, v113
	s_waitcnt vmcnt(2)
	s_delay_alu instid0(VALU_DEP_1) | instskip(SKIP_1) | instid1(VALU_DEP_1)
	v_fmac_f32_e32 v138, v130, v114
	s_waitcnt lgkmcnt(3)
	v_fmac_f32_e32 v138, v131, v115
	s_delay_alu instid0(VALU_DEP_1) | instskip(SKIP_1) | instid1(VALU_DEP_1)
	v_fmac_f32_e32 v138, v132, v116
	s_waitcnt lgkmcnt(2)
	v_fmac_f32_e32 v138, v133, v117
	s_waitcnt vmcnt(1)
	s_delay_alu instid0(VALU_DEP_1) | instskip(SKIP_1) | instid1(VALU_DEP_1)
	v_fmac_f32_e32 v138, v134, v118
	s_waitcnt lgkmcnt(1)
	v_fmac_f32_e32 v138, v135, v111
	s_delay_alu instid0(VALU_DEP_1) | instskip(SKIP_1) | instid1(VALU_DEP_1)
	v_fmac_f32_e32 v138, v136, v112
	s_waitcnt lgkmcnt(0)
	v_fmac_f32_e32 v138, v137, v2
	s_waitcnt vmcnt(0)
	s_delay_alu instid0(VALU_DEP_1) | instskip(NEXT) | instid1(VALU_DEP_1)
	v_fmac_f32_e32 v138, v146, v3
	v_sub_f32_e32 v2, v110, v138
	scratch_store_b32 off, v2, off offset:96
	v_cmpx_lt_u32_e32 23, v0
	s_cbranch_execz .LBB52_279
; %bb.278:
	scratch_load_b32 v2, off, off offset:92
	v_mov_b32_e32 v3, 0
	scratch_store_b32 off, v3, off offset:92
	s_waitcnt vmcnt(0)
	ds_store_b32 v1, v2
.LBB52_279:
	s_or_b32 exec_lo, exec_lo, s0
	s_waitcnt lgkmcnt(0)
	s_waitcnt_vscnt null, 0x0
	s_barrier
	buffer_gl0_inv
	s_clause 0x7
	scratch_load_b128 v[110:113], off, off offset:92
	scratch_load_b128 v[114:117], off, off offset:108
	;; [unrolled: 1-line block ×7, first 2 shown]
	scratch_load_b64 v[146:147], off, off offset:204
	v_mov_b32_e32 v2, 0
	ds_load_b128 v[138:141], v2 offset:320
	ds_load_b128 v[142:145], v2 offset:336
	s_mov_b32 s0, exec_lo
	s_waitcnt vmcnt(7) lgkmcnt(1)
	v_fma_f32 v3, v111, v138, 0
	s_delay_alu instid0(VALU_DEP_1) | instskip(NEXT) | instid1(VALU_DEP_1)
	v_fmac_f32_e32 v3, v112, v139
	v_fmac_f32_e32 v3, v113, v140
	s_waitcnt vmcnt(6)
	s_delay_alu instid0(VALU_DEP_1) | instskip(SKIP_3) | instid1(VALU_DEP_1)
	v_fmac_f32_e32 v3, v114, v141
	ds_load_b128 v[111:114], v2 offset:352
	s_waitcnt lgkmcnt(1)
	v_fmac_f32_e32 v3, v115, v142
	v_fmac_f32_e32 v3, v116, v143
	s_delay_alu instid0(VALU_DEP_1) | instskip(SKIP_1) | instid1(VALU_DEP_1)
	v_fmac_f32_e32 v3, v117, v144
	s_waitcnt vmcnt(5)
	v_fmac_f32_e32 v3, v118, v145
	ds_load_b128 v[115:118], v2 offset:368
	s_waitcnt lgkmcnt(1)
	v_fmac_f32_e32 v3, v119, v111
	s_delay_alu instid0(VALU_DEP_1) | instskip(NEXT) | instid1(VALU_DEP_1)
	v_fmac_f32_e32 v3, v120, v112
	v_fmac_f32_e32 v3, v121, v113
	s_waitcnt vmcnt(4)
	s_delay_alu instid0(VALU_DEP_1) | instskip(SKIP_3) | instid1(VALU_DEP_1)
	v_fmac_f32_e32 v3, v122, v114
	ds_load_b128 v[111:114], v2 offset:384
	s_waitcnt lgkmcnt(1)
	v_fmac_f32_e32 v3, v123, v115
	v_fmac_f32_e32 v3, v124, v116
	s_delay_alu instid0(VALU_DEP_1) | instskip(SKIP_1) | instid1(VALU_DEP_1)
	v_fmac_f32_e32 v3, v125, v117
	s_waitcnt vmcnt(3)
	v_fmac_f32_e32 v3, v126, v118
	ds_load_b128 v[115:118], v2 offset:400
	s_waitcnt lgkmcnt(1)
	v_fmac_f32_e32 v3, v127, v111
	s_delay_alu instid0(VALU_DEP_1) | instskip(NEXT) | instid1(VALU_DEP_1)
	v_fmac_f32_e32 v3, v128, v112
	v_fmac_f32_e32 v3, v129, v113
	s_waitcnt vmcnt(2)
	s_delay_alu instid0(VALU_DEP_1)
	v_fmac_f32_e32 v3, v130, v114
	ds_load_b128 v[111:114], v2 offset:416
	s_waitcnt lgkmcnt(1)
	v_fmac_f32_e32 v3, v131, v115
	ds_load_b32 v115, v2 offset:432
	v_fmac_f32_e32 v3, v132, v116
	s_delay_alu instid0(VALU_DEP_1) | instskip(SKIP_1) | instid1(VALU_DEP_1)
	v_fmac_f32_e32 v3, v133, v117
	s_waitcnt vmcnt(1)
	v_fmac_f32_e32 v3, v134, v118
	s_waitcnt lgkmcnt(1)
	s_delay_alu instid0(VALU_DEP_1) | instskip(NEXT) | instid1(VALU_DEP_1)
	v_fmac_f32_e32 v3, v135, v111
	v_fmac_f32_e32 v3, v136, v112
	s_delay_alu instid0(VALU_DEP_1) | instskip(SKIP_1) | instid1(VALU_DEP_1)
	v_fmac_f32_e32 v3, v137, v113
	s_waitcnt vmcnt(0)
	v_fmac_f32_e32 v3, v146, v114
	s_waitcnt lgkmcnt(0)
	s_delay_alu instid0(VALU_DEP_1) | instskip(NEXT) | instid1(VALU_DEP_1)
	v_fmac_f32_e32 v3, v147, v115
	v_sub_f32_e32 v3, v110, v3
	scratch_store_b32 off, v3, off offset:92
	v_cmpx_lt_u32_e32 22, v0
	s_cbranch_execz .LBB52_281
; %bb.280:
	scratch_load_b32 v3, off, off offset:88
	scratch_store_b32 off, v2, off offset:88
	s_waitcnt vmcnt(0)
	ds_store_b32 v1, v3
.LBB52_281:
	s_or_b32 exec_lo, exec_lo, s0
	s_waitcnt lgkmcnt(0)
	s_waitcnt_vscnt null, 0x0
	s_barrier
	buffer_gl0_inv
	s_clause 0x7
	scratch_load_b128 v[110:113], off, off offset:88
	scratch_load_b128 v[114:117], off, off offset:104
	;; [unrolled: 1-line block ×7, first 2 shown]
	scratch_load_b96 v[138:140], off, off offset:200
	ds_load_2addr_b32 v[141:142], v2 offset0:79 offset1:80
	ds_load_2addr_b32 v[143:144], v2 offset0:81 offset1:82
	;; [unrolled: 1-line block ×4, first 2 shown]
	s_mov_b32 s0, exec_lo
	s_waitcnt vmcnt(7) lgkmcnt(3)
	v_fma_f32 v141, v111, v141, 0
	s_delay_alu instid0(VALU_DEP_1) | instskip(SKIP_4) | instid1(VALU_DEP_1)
	v_fmac_f32_e32 v141, v112, v142
	ds_load_2addr_b32 v[111:112], v2 offset0:87 offset1:88
	s_waitcnt lgkmcnt(3)
	v_fmac_f32_e32 v141, v113, v143
	s_waitcnt vmcnt(6)
	v_fmac_f32_e32 v141, v114, v144
	ds_load_2addr_b32 v[113:114], v2 offset0:89 offset1:90
	s_waitcnt lgkmcnt(3)
	v_fmac_f32_e32 v141, v115, v145
	s_delay_alu instid0(VALU_DEP_1) | instskip(SKIP_1) | instid1(VALU_DEP_1)
	v_fmac_f32_e32 v141, v116, v146
	s_waitcnt lgkmcnt(2)
	v_fmac_f32_e32 v141, v117, v147
	s_waitcnt vmcnt(5)
	s_delay_alu instid0(VALU_DEP_1) | instskip(SKIP_4) | instid1(VALU_DEP_1)
	v_fmac_f32_e32 v141, v118, v148
	ds_load_2addr_b32 v[115:116], v2 offset0:91 offset1:92
	ds_load_2addr_b32 v[117:118], v2 offset0:93 offset1:94
	s_waitcnt lgkmcnt(3)
	v_fmac_f32_e32 v141, v119, v111
	v_fmac_f32_e32 v141, v120, v112
	ds_load_2addr_b32 v[111:112], v2 offset0:95 offset1:96
	s_waitcnt lgkmcnt(3)
	v_fmac_f32_e32 v141, v121, v113
	s_waitcnt vmcnt(4)
	s_delay_alu instid0(VALU_DEP_1) | instskip(SKIP_3) | instid1(VALU_DEP_1)
	v_fmac_f32_e32 v141, v122, v114
	ds_load_2addr_b32 v[113:114], v2 offset0:97 offset1:98
	s_waitcnt lgkmcnt(3)
	v_fmac_f32_e32 v141, v123, v115
	v_fmac_f32_e32 v141, v124, v116
	s_waitcnt lgkmcnt(2)
	s_delay_alu instid0(VALU_DEP_1) | instskip(SKIP_1) | instid1(VALU_DEP_1)
	v_fmac_f32_e32 v141, v125, v117
	s_waitcnt vmcnt(3)
	v_fmac_f32_e32 v141, v126, v118
	ds_load_2addr_b32 v[115:116], v2 offset0:99 offset1:100
	ds_load_2addr_b32 v[117:118], v2 offset0:101 offset1:102
	s_waitcnt lgkmcnt(3)
	v_fmac_f32_e32 v141, v127, v111
	s_delay_alu instid0(VALU_DEP_1) | instskip(SKIP_4) | instid1(VALU_DEP_1)
	v_fmac_f32_e32 v141, v128, v112
	ds_load_2addr_b32 v[111:112], v2 offset0:103 offset1:104
	s_waitcnt lgkmcnt(3)
	v_fmac_f32_e32 v141, v129, v113
	s_waitcnt vmcnt(2)
	v_fmac_f32_e32 v141, v130, v114
	ds_load_2addr_b32 v[113:114], v2 offset0:105 offset1:106
	ds_load_2addr_b32 v[2:3], v2 offset0:107 offset1:108
	s_waitcnt lgkmcnt(4)
	v_fmac_f32_e32 v141, v131, v115
	s_delay_alu instid0(VALU_DEP_1) | instskip(SKIP_1) | instid1(VALU_DEP_1)
	v_fmac_f32_e32 v141, v132, v116
	s_waitcnt lgkmcnt(3)
	v_fmac_f32_e32 v141, v133, v117
	s_waitcnt vmcnt(1)
	s_delay_alu instid0(VALU_DEP_1) | instskip(SKIP_1) | instid1(VALU_DEP_1)
	v_fmac_f32_e32 v141, v134, v118
	s_waitcnt lgkmcnt(2)
	v_fmac_f32_e32 v141, v135, v111
	s_delay_alu instid0(VALU_DEP_1) | instskip(SKIP_1) | instid1(VALU_DEP_1)
	v_fmac_f32_e32 v141, v136, v112
	s_waitcnt lgkmcnt(1)
	v_fmac_f32_e32 v141, v137, v113
	s_waitcnt vmcnt(0)
	s_delay_alu instid0(VALU_DEP_1) | instskip(SKIP_1) | instid1(VALU_DEP_1)
	v_fmac_f32_e32 v141, v138, v114
	s_waitcnt lgkmcnt(0)
	v_fmac_f32_e32 v141, v139, v2
	s_delay_alu instid0(VALU_DEP_1) | instskip(NEXT) | instid1(VALU_DEP_1)
	v_fmac_f32_e32 v141, v140, v3
	v_sub_f32_e32 v2, v110, v141
	scratch_store_b32 off, v2, off offset:88
	v_cmpx_lt_u32_e32 21, v0
	s_cbranch_execz .LBB52_283
; %bb.282:
	scratch_load_b32 v2, off, off offset:84
	v_mov_b32_e32 v3, 0
	scratch_store_b32 off, v3, off offset:84
	s_waitcnt vmcnt(0)
	ds_store_b32 v1, v2
.LBB52_283:
	s_or_b32 exec_lo, exec_lo, s0
	s_waitcnt lgkmcnt(0)
	s_waitcnt_vscnt null, 0x0
	s_barrier
	buffer_gl0_inv
	s_clause 0x7
	scratch_load_b128 v[110:113], off, off offset:84
	scratch_load_b128 v[114:117], off, off offset:100
	scratch_load_b128 v[118:121], off, off offset:116
	scratch_load_b128 v[122:125], off, off offset:132
	scratch_load_b128 v[126:129], off, off offset:148
	scratch_load_b128 v[130:133], off, off offset:164
	scratch_load_b128 v[134:137], off, off offset:180
	scratch_load_b128 v[138:141], off, off offset:196
	v_mov_b32_e32 v2, 0
	ds_load_2addr_b64 v[142:145], v2 offset0:39 offset1:40
	ds_load_2addr_b64 v[146:149], v2 offset0:41 offset1:42
	s_mov_b32 s0, exec_lo
	s_waitcnt vmcnt(7) lgkmcnt(1)
	v_fma_f32 v3, v111, v142, 0
	s_delay_alu instid0(VALU_DEP_1) | instskip(NEXT) | instid1(VALU_DEP_1)
	v_fmac_f32_e32 v3, v112, v143
	v_fmac_f32_e32 v3, v113, v144
	s_waitcnt vmcnt(6)
	s_delay_alu instid0(VALU_DEP_1) | instskip(SKIP_3) | instid1(VALU_DEP_1)
	v_fmac_f32_e32 v3, v114, v145
	ds_load_2addr_b64 v[111:114], v2 offset0:43 offset1:44
	s_waitcnt lgkmcnt(1)
	v_fmac_f32_e32 v3, v115, v146
	v_fmac_f32_e32 v3, v116, v147
	s_delay_alu instid0(VALU_DEP_1) | instskip(SKIP_1) | instid1(VALU_DEP_1)
	v_fmac_f32_e32 v3, v117, v148
	s_waitcnt vmcnt(5)
	v_fmac_f32_e32 v3, v118, v149
	ds_load_2addr_b64 v[115:118], v2 offset0:45 offset1:46
	s_waitcnt lgkmcnt(1)
	v_fmac_f32_e32 v3, v119, v111
	s_delay_alu instid0(VALU_DEP_1) | instskip(NEXT) | instid1(VALU_DEP_1)
	v_fmac_f32_e32 v3, v120, v112
	v_fmac_f32_e32 v3, v121, v113
	s_waitcnt vmcnt(4)
	s_delay_alu instid0(VALU_DEP_1) | instskip(SKIP_3) | instid1(VALU_DEP_1)
	v_fmac_f32_e32 v3, v122, v114
	ds_load_2addr_b64 v[111:114], v2 offset0:47 offset1:48
	s_waitcnt lgkmcnt(1)
	v_fmac_f32_e32 v3, v123, v115
	v_fmac_f32_e32 v3, v124, v116
	s_delay_alu instid0(VALU_DEP_1) | instskip(SKIP_1) | instid1(VALU_DEP_1)
	v_fmac_f32_e32 v3, v125, v117
	s_waitcnt vmcnt(3)
	v_fmac_f32_e32 v3, v126, v118
	ds_load_2addr_b64 v[115:118], v2 offset0:49 offset1:50
	s_waitcnt lgkmcnt(1)
	v_fmac_f32_e32 v3, v127, v111
	s_delay_alu instid0(VALU_DEP_1) | instskip(NEXT) | instid1(VALU_DEP_1)
	v_fmac_f32_e32 v3, v128, v112
	v_fmac_f32_e32 v3, v129, v113
	s_waitcnt vmcnt(2)
	s_delay_alu instid0(VALU_DEP_1) | instskip(SKIP_3) | instid1(VALU_DEP_1)
	v_fmac_f32_e32 v3, v130, v114
	ds_load_2addr_b64 v[111:114], v2 offset0:51 offset1:52
	s_waitcnt lgkmcnt(1)
	v_fmac_f32_e32 v3, v131, v115
	v_fmac_f32_e32 v3, v132, v116
	ds_load_b64 v[115:116], v2 offset:424
	v_fmac_f32_e32 v3, v133, v117
	s_waitcnt vmcnt(1)
	s_delay_alu instid0(VALU_DEP_1) | instskip(SKIP_1) | instid1(VALU_DEP_1)
	v_fmac_f32_e32 v3, v134, v118
	s_waitcnt lgkmcnt(1)
	v_fmac_f32_e32 v3, v135, v111
	ds_load_b32 v111, v2 offset:432
	v_fmac_f32_e32 v3, v136, v112
	s_delay_alu instid0(VALU_DEP_1) | instskip(SKIP_1) | instid1(VALU_DEP_1)
	v_fmac_f32_e32 v3, v137, v113
	s_waitcnt vmcnt(0)
	v_fmac_f32_e32 v3, v138, v114
	s_waitcnt lgkmcnt(1)
	s_delay_alu instid0(VALU_DEP_1) | instskip(NEXT) | instid1(VALU_DEP_1)
	v_fmac_f32_e32 v3, v139, v115
	v_fmac_f32_e32 v3, v140, v116
	s_waitcnt lgkmcnt(0)
	s_delay_alu instid0(VALU_DEP_1) | instskip(NEXT) | instid1(VALU_DEP_1)
	v_fmac_f32_e32 v3, v141, v111
	v_sub_f32_e32 v3, v110, v3
	scratch_store_b32 off, v3, off offset:84
	v_cmpx_lt_u32_e32 20, v0
	s_cbranch_execz .LBB52_285
; %bb.284:
	scratch_load_b32 v3, off, off offset:80
	scratch_store_b32 off, v2, off offset:80
	s_waitcnt vmcnt(0)
	ds_store_b32 v1, v3
.LBB52_285:
	s_or_b32 exec_lo, exec_lo, s0
	s_waitcnt lgkmcnt(0)
	s_waitcnt_vscnt null, 0x0
	s_barrier
	buffer_gl0_inv
	s_clause 0x8
	scratch_load_b128 v[110:113], off, off offset:80
	scratch_load_b128 v[114:117], off, off offset:96
	;; [unrolled: 1-line block ×8, first 2 shown]
	scratch_load_b32 v150, off, off offset:208
	ds_load_2addr_b32 v[142:143], v2 offset0:77 offset1:78
	ds_load_2addr_b32 v[144:145], v2 offset0:79 offset1:80
	;; [unrolled: 1-line block ×4, first 2 shown]
	s_mov_b32 s0, exec_lo
	s_waitcnt vmcnt(8) lgkmcnt(3)
	v_fma_f32 v142, v111, v142, 0
	s_delay_alu instid0(VALU_DEP_1) | instskip(SKIP_4) | instid1(VALU_DEP_1)
	v_fmac_f32_e32 v142, v112, v143
	ds_load_2addr_b32 v[111:112], v2 offset0:85 offset1:86
	s_waitcnt lgkmcnt(3)
	v_fmac_f32_e32 v142, v113, v144
	s_waitcnt vmcnt(7)
	v_fmac_f32_e32 v142, v114, v145
	ds_load_2addr_b32 v[113:114], v2 offset0:87 offset1:88
	s_waitcnt lgkmcnt(3)
	v_fmac_f32_e32 v142, v115, v146
	s_delay_alu instid0(VALU_DEP_1) | instskip(SKIP_1) | instid1(VALU_DEP_1)
	v_fmac_f32_e32 v142, v116, v147
	s_waitcnt lgkmcnt(2)
	v_fmac_f32_e32 v142, v117, v148
	s_waitcnt vmcnt(6)
	s_delay_alu instid0(VALU_DEP_1) | instskip(SKIP_4) | instid1(VALU_DEP_1)
	v_fmac_f32_e32 v142, v118, v149
	ds_load_2addr_b32 v[115:116], v2 offset0:89 offset1:90
	ds_load_2addr_b32 v[117:118], v2 offset0:91 offset1:92
	s_waitcnt lgkmcnt(3)
	v_fmac_f32_e32 v142, v119, v111
	v_fmac_f32_e32 v142, v120, v112
	ds_load_2addr_b32 v[111:112], v2 offset0:93 offset1:94
	s_waitcnt lgkmcnt(3)
	v_fmac_f32_e32 v142, v121, v113
	s_waitcnt vmcnt(5)
	s_delay_alu instid0(VALU_DEP_1) | instskip(SKIP_3) | instid1(VALU_DEP_1)
	v_fmac_f32_e32 v142, v122, v114
	ds_load_2addr_b32 v[113:114], v2 offset0:95 offset1:96
	s_waitcnt lgkmcnt(3)
	v_fmac_f32_e32 v142, v123, v115
	v_fmac_f32_e32 v142, v124, v116
	s_waitcnt lgkmcnt(2)
	s_delay_alu instid0(VALU_DEP_1) | instskip(SKIP_1) | instid1(VALU_DEP_1)
	v_fmac_f32_e32 v142, v125, v117
	s_waitcnt vmcnt(4)
	v_fmac_f32_e32 v142, v126, v118
	ds_load_2addr_b32 v[115:116], v2 offset0:97 offset1:98
	ds_load_2addr_b32 v[117:118], v2 offset0:99 offset1:100
	s_waitcnt lgkmcnt(3)
	v_fmac_f32_e32 v142, v127, v111
	s_delay_alu instid0(VALU_DEP_1) | instskip(SKIP_4) | instid1(VALU_DEP_1)
	v_fmac_f32_e32 v142, v128, v112
	ds_load_2addr_b32 v[111:112], v2 offset0:101 offset1:102
	s_waitcnt lgkmcnt(3)
	v_fmac_f32_e32 v142, v129, v113
	s_waitcnt vmcnt(3)
	v_fmac_f32_e32 v142, v130, v114
	ds_load_2addr_b32 v[113:114], v2 offset0:103 offset1:104
	s_waitcnt lgkmcnt(3)
	v_fmac_f32_e32 v142, v131, v115
	s_delay_alu instid0(VALU_DEP_1)
	v_fmac_f32_e32 v142, v132, v116
	ds_load_2addr_b32 v[115:116], v2 offset0:105 offset1:106
	ds_load_2addr_b32 v[2:3], v2 offset0:107 offset1:108
	s_waitcnt lgkmcnt(4)
	v_fmac_f32_e32 v142, v133, v117
	s_waitcnt vmcnt(2)
	s_delay_alu instid0(VALU_DEP_1) | instskip(SKIP_1) | instid1(VALU_DEP_1)
	v_fmac_f32_e32 v142, v134, v118
	s_waitcnt lgkmcnt(3)
	v_fmac_f32_e32 v142, v135, v111
	s_delay_alu instid0(VALU_DEP_1) | instskip(SKIP_1) | instid1(VALU_DEP_1)
	v_fmac_f32_e32 v142, v136, v112
	s_waitcnt lgkmcnt(2)
	v_fmac_f32_e32 v142, v137, v113
	s_waitcnt vmcnt(1)
	s_delay_alu instid0(VALU_DEP_1) | instskip(SKIP_1) | instid1(VALU_DEP_1)
	v_fmac_f32_e32 v142, v138, v114
	s_waitcnt lgkmcnt(1)
	v_fmac_f32_e32 v142, v139, v115
	s_delay_alu instid0(VALU_DEP_1) | instskip(SKIP_1) | instid1(VALU_DEP_1)
	v_fmac_f32_e32 v142, v140, v116
	s_waitcnt lgkmcnt(0)
	v_fmac_f32_e32 v142, v141, v2
	s_waitcnt vmcnt(0)
	s_delay_alu instid0(VALU_DEP_1) | instskip(NEXT) | instid1(VALU_DEP_1)
	v_fmac_f32_e32 v142, v150, v3
	v_sub_f32_e32 v2, v110, v142
	scratch_store_b32 off, v2, off offset:80
	v_cmpx_lt_u32_e32 19, v0
	s_cbranch_execz .LBB52_287
; %bb.286:
	scratch_load_b32 v2, off, off offset:76
	v_mov_b32_e32 v3, 0
	scratch_store_b32 off, v3, off offset:76
	s_waitcnt vmcnt(0)
	ds_store_b32 v1, v2
.LBB52_287:
	s_or_b32 exec_lo, exec_lo, s0
	s_waitcnt lgkmcnt(0)
	s_waitcnt_vscnt null, 0x0
	s_barrier
	buffer_gl0_inv
	s_clause 0x8
	scratch_load_b128 v[110:113], off, off offset:76
	scratch_load_b128 v[114:117], off, off offset:92
	scratch_load_b128 v[118:121], off, off offset:108
	scratch_load_b128 v[122:125], off, off offset:124
	scratch_load_b128 v[126:129], off, off offset:140
	scratch_load_b128 v[130:133], off, off offset:156
	scratch_load_b128 v[134:137], off, off offset:172
	scratch_load_b128 v[138:141], off, off offset:188
	scratch_load_b64 v[150:151], off, off offset:204
	v_mov_b32_e32 v2, 0
	ds_load_b128 v[142:145], v2 offset:304
	ds_load_b128 v[146:149], v2 offset:320
	s_mov_b32 s0, exec_lo
	s_waitcnt vmcnt(8) lgkmcnt(1)
	v_fma_f32 v3, v111, v142, 0
	s_delay_alu instid0(VALU_DEP_1) | instskip(NEXT) | instid1(VALU_DEP_1)
	v_fmac_f32_e32 v3, v112, v143
	v_fmac_f32_e32 v3, v113, v144
	s_waitcnt vmcnt(7)
	s_delay_alu instid0(VALU_DEP_1) | instskip(SKIP_3) | instid1(VALU_DEP_1)
	v_fmac_f32_e32 v3, v114, v145
	ds_load_b128 v[111:114], v2 offset:336
	s_waitcnt lgkmcnt(1)
	v_fmac_f32_e32 v3, v115, v146
	v_fmac_f32_e32 v3, v116, v147
	s_delay_alu instid0(VALU_DEP_1) | instskip(SKIP_1) | instid1(VALU_DEP_1)
	v_fmac_f32_e32 v3, v117, v148
	s_waitcnt vmcnt(6)
	v_fmac_f32_e32 v3, v118, v149
	ds_load_b128 v[115:118], v2 offset:352
	s_waitcnt lgkmcnt(1)
	v_fmac_f32_e32 v3, v119, v111
	s_delay_alu instid0(VALU_DEP_1) | instskip(NEXT) | instid1(VALU_DEP_1)
	v_fmac_f32_e32 v3, v120, v112
	v_fmac_f32_e32 v3, v121, v113
	s_waitcnt vmcnt(5)
	s_delay_alu instid0(VALU_DEP_1) | instskip(SKIP_3) | instid1(VALU_DEP_1)
	v_fmac_f32_e32 v3, v122, v114
	ds_load_b128 v[111:114], v2 offset:368
	s_waitcnt lgkmcnt(1)
	v_fmac_f32_e32 v3, v123, v115
	v_fmac_f32_e32 v3, v124, v116
	s_delay_alu instid0(VALU_DEP_1) | instskip(SKIP_1) | instid1(VALU_DEP_1)
	v_fmac_f32_e32 v3, v125, v117
	s_waitcnt vmcnt(4)
	v_fmac_f32_e32 v3, v126, v118
	ds_load_b128 v[115:118], v2 offset:384
	s_waitcnt lgkmcnt(1)
	v_fmac_f32_e32 v3, v127, v111
	s_delay_alu instid0(VALU_DEP_1) | instskip(NEXT) | instid1(VALU_DEP_1)
	v_fmac_f32_e32 v3, v128, v112
	v_fmac_f32_e32 v3, v129, v113
	s_waitcnt vmcnt(3)
	s_delay_alu instid0(VALU_DEP_1) | instskip(SKIP_3) | instid1(VALU_DEP_1)
	v_fmac_f32_e32 v3, v130, v114
	ds_load_b128 v[111:114], v2 offset:400
	s_waitcnt lgkmcnt(1)
	v_fmac_f32_e32 v3, v131, v115
	v_fmac_f32_e32 v3, v132, v116
	s_delay_alu instid0(VALU_DEP_1) | instskip(SKIP_1) | instid1(VALU_DEP_1)
	v_fmac_f32_e32 v3, v133, v117
	s_waitcnt vmcnt(2)
	v_fmac_f32_e32 v3, v134, v118
	ds_load_b128 v[115:118], v2 offset:416
	s_waitcnt lgkmcnt(1)
	v_fmac_f32_e32 v3, v135, v111
	ds_load_b32 v111, v2 offset:432
	v_fmac_f32_e32 v3, v136, v112
	s_delay_alu instid0(VALU_DEP_1) | instskip(SKIP_1) | instid1(VALU_DEP_1)
	v_fmac_f32_e32 v3, v137, v113
	s_waitcnt vmcnt(1)
	v_fmac_f32_e32 v3, v138, v114
	s_waitcnt lgkmcnt(1)
	s_delay_alu instid0(VALU_DEP_1) | instskip(NEXT) | instid1(VALU_DEP_1)
	v_fmac_f32_e32 v3, v139, v115
	v_fmac_f32_e32 v3, v140, v116
	s_delay_alu instid0(VALU_DEP_1) | instskip(SKIP_1) | instid1(VALU_DEP_1)
	v_fmac_f32_e32 v3, v141, v117
	s_waitcnt vmcnt(0)
	v_fmac_f32_e32 v3, v150, v118
	s_waitcnt lgkmcnt(0)
	s_delay_alu instid0(VALU_DEP_1) | instskip(NEXT) | instid1(VALU_DEP_1)
	v_fmac_f32_e32 v3, v151, v111
	v_sub_f32_e32 v3, v110, v3
	scratch_store_b32 off, v3, off offset:76
	v_cmpx_lt_u32_e32 18, v0
	s_cbranch_execz .LBB52_289
; %bb.288:
	scratch_load_b32 v3, off, off offset:72
	scratch_store_b32 off, v2, off offset:72
	s_waitcnt vmcnt(0)
	ds_store_b32 v1, v3
.LBB52_289:
	s_or_b32 exec_lo, exec_lo, s0
	s_waitcnt lgkmcnt(0)
	s_waitcnt_vscnt null, 0x0
	s_barrier
	buffer_gl0_inv
	s_clause 0x8
	scratch_load_b128 v[110:113], off, off offset:72
	scratch_load_b128 v[114:117], off, off offset:88
	;; [unrolled: 1-line block ×8, first 2 shown]
	scratch_load_b96 v[142:144], off, off offset:200
	ds_load_2addr_b32 v[145:146], v2 offset0:75 offset1:76
	ds_load_2addr_b32 v[147:148], v2 offset0:77 offset1:78
	;; [unrolled: 1-line block ×4, first 2 shown]
	s_mov_b32 s0, exec_lo
	s_waitcnt vmcnt(8) lgkmcnt(3)
	v_fma_f32 v145, v111, v145, 0
	s_delay_alu instid0(VALU_DEP_1) | instskip(SKIP_4) | instid1(VALU_DEP_1)
	v_fmac_f32_e32 v145, v112, v146
	ds_load_2addr_b32 v[111:112], v2 offset0:83 offset1:84
	s_waitcnt lgkmcnt(3)
	v_fmac_f32_e32 v145, v113, v147
	s_waitcnt vmcnt(7)
	v_fmac_f32_e32 v145, v114, v148
	ds_load_2addr_b32 v[113:114], v2 offset0:85 offset1:86
	s_waitcnt lgkmcnt(3)
	v_fmac_f32_e32 v145, v115, v149
	s_delay_alu instid0(VALU_DEP_1) | instskip(SKIP_1) | instid1(VALU_DEP_1)
	v_fmac_f32_e32 v145, v116, v150
	s_waitcnt lgkmcnt(2)
	v_fmac_f32_e32 v145, v117, v151
	s_waitcnt vmcnt(6)
	s_delay_alu instid0(VALU_DEP_1) | instskip(SKIP_4) | instid1(VALU_DEP_1)
	v_fmac_f32_e32 v145, v118, v152
	ds_load_2addr_b32 v[115:116], v2 offset0:87 offset1:88
	ds_load_2addr_b32 v[117:118], v2 offset0:89 offset1:90
	s_waitcnt lgkmcnt(3)
	v_fmac_f32_e32 v145, v119, v111
	v_fmac_f32_e32 v145, v120, v112
	ds_load_2addr_b32 v[111:112], v2 offset0:91 offset1:92
	s_waitcnt lgkmcnt(3)
	v_fmac_f32_e32 v145, v121, v113
	s_waitcnt vmcnt(5)
	s_delay_alu instid0(VALU_DEP_1) | instskip(SKIP_3) | instid1(VALU_DEP_1)
	v_fmac_f32_e32 v145, v122, v114
	ds_load_2addr_b32 v[113:114], v2 offset0:93 offset1:94
	s_waitcnt lgkmcnt(3)
	v_fmac_f32_e32 v145, v123, v115
	v_fmac_f32_e32 v145, v124, v116
	s_waitcnt lgkmcnt(2)
	s_delay_alu instid0(VALU_DEP_1) | instskip(SKIP_1) | instid1(VALU_DEP_1)
	v_fmac_f32_e32 v145, v125, v117
	s_waitcnt vmcnt(4)
	v_fmac_f32_e32 v145, v126, v118
	ds_load_2addr_b32 v[115:116], v2 offset0:95 offset1:96
	ds_load_2addr_b32 v[117:118], v2 offset0:97 offset1:98
	s_waitcnt lgkmcnt(3)
	v_fmac_f32_e32 v145, v127, v111
	s_delay_alu instid0(VALU_DEP_1) | instskip(SKIP_4) | instid1(VALU_DEP_1)
	v_fmac_f32_e32 v145, v128, v112
	ds_load_2addr_b32 v[111:112], v2 offset0:99 offset1:100
	s_waitcnt lgkmcnt(3)
	v_fmac_f32_e32 v145, v129, v113
	s_waitcnt vmcnt(3)
	v_fmac_f32_e32 v145, v130, v114
	ds_load_2addr_b32 v[113:114], v2 offset0:101 offset1:102
	s_waitcnt lgkmcnt(3)
	v_fmac_f32_e32 v145, v131, v115
	s_delay_alu instid0(VALU_DEP_1) | instskip(SKIP_1) | instid1(VALU_DEP_1)
	v_fmac_f32_e32 v145, v132, v116
	s_waitcnt lgkmcnt(2)
	v_fmac_f32_e32 v145, v133, v117
	s_waitcnt vmcnt(2)
	s_delay_alu instid0(VALU_DEP_1)
	v_fmac_f32_e32 v145, v134, v118
	ds_load_2addr_b32 v[115:116], v2 offset0:103 offset1:104
	ds_load_2addr_b32 v[117:118], v2 offset0:105 offset1:106
	;; [unrolled: 1-line block ×3, first 2 shown]
	s_waitcnt lgkmcnt(4)
	v_fmac_f32_e32 v145, v135, v111
	s_delay_alu instid0(VALU_DEP_1) | instskip(SKIP_1) | instid1(VALU_DEP_1)
	v_fmac_f32_e32 v145, v136, v112
	s_waitcnt lgkmcnt(3)
	v_fmac_f32_e32 v145, v137, v113
	s_waitcnt vmcnt(1)
	s_delay_alu instid0(VALU_DEP_1) | instskip(SKIP_1) | instid1(VALU_DEP_1)
	v_fmac_f32_e32 v145, v138, v114
	s_waitcnt lgkmcnt(2)
	v_fmac_f32_e32 v145, v139, v115
	s_delay_alu instid0(VALU_DEP_1) | instskip(SKIP_1) | instid1(VALU_DEP_1)
	v_fmac_f32_e32 v145, v140, v116
	s_waitcnt lgkmcnt(1)
	v_fmac_f32_e32 v145, v141, v117
	s_waitcnt vmcnt(0)
	s_delay_alu instid0(VALU_DEP_1) | instskip(SKIP_1) | instid1(VALU_DEP_1)
	v_fmac_f32_e32 v145, v142, v118
	s_waitcnt lgkmcnt(0)
	v_fmac_f32_e32 v145, v143, v2
	s_delay_alu instid0(VALU_DEP_1) | instskip(NEXT) | instid1(VALU_DEP_1)
	v_fmac_f32_e32 v145, v144, v3
	v_sub_f32_e32 v2, v110, v145
	scratch_store_b32 off, v2, off offset:72
	v_cmpx_lt_u32_e32 17, v0
	s_cbranch_execz .LBB52_291
; %bb.290:
	scratch_load_b32 v2, off, off offset:68
	v_mov_b32_e32 v3, 0
	scratch_store_b32 off, v3, off offset:68
	s_waitcnt vmcnt(0)
	ds_store_b32 v1, v2
.LBB52_291:
	s_or_b32 exec_lo, exec_lo, s0
	s_waitcnt lgkmcnt(0)
	s_waitcnt_vscnt null, 0x0
	s_barrier
	buffer_gl0_inv
	s_clause 0x8
	scratch_load_b128 v[110:113], off, off offset:68
	scratch_load_b128 v[114:117], off, off offset:84
	;; [unrolled: 1-line block ×9, first 2 shown]
	v_mov_b32_e32 v2, 0
	ds_load_2addr_b64 v[146:149], v2 offset0:37 offset1:38
	ds_load_2addr_b64 v[150:153], v2 offset0:39 offset1:40
	s_mov_b32 s0, exec_lo
	s_waitcnt vmcnt(8) lgkmcnt(1)
	v_fma_f32 v3, v111, v146, 0
	s_delay_alu instid0(VALU_DEP_1) | instskip(NEXT) | instid1(VALU_DEP_1)
	v_fmac_f32_e32 v3, v112, v147
	v_fmac_f32_e32 v3, v113, v148
	s_waitcnt vmcnt(7)
	s_delay_alu instid0(VALU_DEP_1) | instskip(SKIP_3) | instid1(VALU_DEP_1)
	v_fmac_f32_e32 v3, v114, v149
	ds_load_2addr_b64 v[111:114], v2 offset0:41 offset1:42
	s_waitcnt lgkmcnt(1)
	v_fmac_f32_e32 v3, v115, v150
	v_fmac_f32_e32 v3, v116, v151
	s_delay_alu instid0(VALU_DEP_1) | instskip(SKIP_1) | instid1(VALU_DEP_1)
	v_fmac_f32_e32 v3, v117, v152
	s_waitcnt vmcnt(6)
	v_fmac_f32_e32 v3, v118, v153
	ds_load_2addr_b64 v[115:118], v2 offset0:43 offset1:44
	s_waitcnt lgkmcnt(1)
	v_fmac_f32_e32 v3, v119, v111
	s_delay_alu instid0(VALU_DEP_1) | instskip(NEXT) | instid1(VALU_DEP_1)
	v_fmac_f32_e32 v3, v120, v112
	v_fmac_f32_e32 v3, v121, v113
	s_waitcnt vmcnt(5)
	s_delay_alu instid0(VALU_DEP_1) | instskip(SKIP_3) | instid1(VALU_DEP_1)
	v_fmac_f32_e32 v3, v122, v114
	ds_load_2addr_b64 v[111:114], v2 offset0:45 offset1:46
	s_waitcnt lgkmcnt(1)
	v_fmac_f32_e32 v3, v123, v115
	v_fmac_f32_e32 v3, v124, v116
	s_delay_alu instid0(VALU_DEP_1) | instskip(SKIP_1) | instid1(VALU_DEP_1)
	v_fmac_f32_e32 v3, v125, v117
	s_waitcnt vmcnt(4)
	v_fmac_f32_e32 v3, v126, v118
	ds_load_2addr_b64 v[115:118], v2 offset0:47 offset1:48
	s_waitcnt lgkmcnt(1)
	v_fmac_f32_e32 v3, v127, v111
	;; [unrolled: 17-line block ×3, first 2 shown]
	s_delay_alu instid0(VALU_DEP_1)
	v_fmac_f32_e32 v3, v136, v112
	ds_load_b64 v[111:112], v2 offset:424
	v_fmac_f32_e32 v3, v137, v113
	ds_load_b32 v113, v2 offset:432
	s_waitcnt vmcnt(1)
	v_fmac_f32_e32 v3, v138, v114
	s_waitcnt lgkmcnt(2)
	s_delay_alu instid0(VALU_DEP_1) | instskip(NEXT) | instid1(VALU_DEP_1)
	v_fmac_f32_e32 v3, v139, v115
	v_fmac_f32_e32 v3, v140, v116
	s_delay_alu instid0(VALU_DEP_1) | instskip(SKIP_1) | instid1(VALU_DEP_1)
	v_fmac_f32_e32 v3, v141, v117
	s_waitcnt vmcnt(0)
	v_fmac_f32_e32 v3, v142, v118
	s_waitcnt lgkmcnt(1)
	s_delay_alu instid0(VALU_DEP_1) | instskip(NEXT) | instid1(VALU_DEP_1)
	v_fmac_f32_e32 v3, v143, v111
	v_fmac_f32_e32 v3, v144, v112
	s_waitcnt lgkmcnt(0)
	s_delay_alu instid0(VALU_DEP_1) | instskip(NEXT) | instid1(VALU_DEP_1)
	v_fmac_f32_e32 v3, v145, v113
	v_sub_f32_e32 v3, v110, v3
	scratch_store_b32 off, v3, off offset:68
	v_cmpx_lt_u32_e32 16, v0
	s_cbranch_execz .LBB52_293
; %bb.292:
	scratch_load_b32 v3, off, off offset:64
	scratch_store_b32 off, v2, off offset:64
	s_waitcnt vmcnt(0)
	ds_store_b32 v1, v3
.LBB52_293:
	s_or_b32 exec_lo, exec_lo, s0
	s_waitcnt lgkmcnt(0)
	s_waitcnt_vscnt null, 0x0
	s_barrier
	buffer_gl0_inv
	s_clause 0x9
	scratch_load_b128 v[110:113], off, off offset:64
	scratch_load_b128 v[114:117], off, off offset:80
	;; [unrolled: 1-line block ×9, first 2 shown]
	scratch_load_b32 v154, off, off offset:208
	ds_load_2addr_b32 v[146:147], v2 offset0:73 offset1:74
	ds_load_2addr_b32 v[148:149], v2 offset0:75 offset1:76
	;; [unrolled: 1-line block ×4, first 2 shown]
	s_mov_b32 s0, exec_lo
	s_waitcnt vmcnt(9) lgkmcnt(3)
	v_fma_f32 v146, v111, v146, 0
	s_delay_alu instid0(VALU_DEP_1) | instskip(SKIP_4) | instid1(VALU_DEP_1)
	v_fmac_f32_e32 v146, v112, v147
	ds_load_2addr_b32 v[111:112], v2 offset0:81 offset1:82
	s_waitcnt lgkmcnt(3)
	v_fmac_f32_e32 v146, v113, v148
	s_waitcnt vmcnt(8)
	v_fmac_f32_e32 v146, v114, v149
	ds_load_2addr_b32 v[113:114], v2 offset0:83 offset1:84
	s_waitcnt lgkmcnt(3)
	v_fmac_f32_e32 v146, v115, v150
	s_delay_alu instid0(VALU_DEP_1) | instskip(SKIP_1) | instid1(VALU_DEP_1)
	v_fmac_f32_e32 v146, v116, v151
	s_waitcnt lgkmcnt(2)
	v_fmac_f32_e32 v146, v117, v152
	s_waitcnt vmcnt(7)
	s_delay_alu instid0(VALU_DEP_1) | instskip(SKIP_4) | instid1(VALU_DEP_1)
	v_fmac_f32_e32 v146, v118, v153
	ds_load_2addr_b32 v[115:116], v2 offset0:85 offset1:86
	ds_load_2addr_b32 v[117:118], v2 offset0:87 offset1:88
	s_waitcnt lgkmcnt(3)
	v_fmac_f32_e32 v146, v119, v111
	v_fmac_f32_e32 v146, v120, v112
	ds_load_2addr_b32 v[111:112], v2 offset0:89 offset1:90
	s_waitcnt lgkmcnt(3)
	v_fmac_f32_e32 v146, v121, v113
	s_waitcnt vmcnt(6)
	s_delay_alu instid0(VALU_DEP_1) | instskip(SKIP_3) | instid1(VALU_DEP_1)
	v_fmac_f32_e32 v146, v122, v114
	ds_load_2addr_b32 v[113:114], v2 offset0:91 offset1:92
	s_waitcnt lgkmcnt(3)
	v_fmac_f32_e32 v146, v123, v115
	v_fmac_f32_e32 v146, v124, v116
	s_waitcnt lgkmcnt(2)
	s_delay_alu instid0(VALU_DEP_1) | instskip(SKIP_1) | instid1(VALU_DEP_1)
	v_fmac_f32_e32 v146, v125, v117
	s_waitcnt vmcnt(5)
	v_fmac_f32_e32 v146, v126, v118
	ds_load_2addr_b32 v[115:116], v2 offset0:93 offset1:94
	ds_load_2addr_b32 v[117:118], v2 offset0:95 offset1:96
	s_waitcnt lgkmcnt(3)
	v_fmac_f32_e32 v146, v127, v111
	s_delay_alu instid0(VALU_DEP_1) | instskip(SKIP_4) | instid1(VALU_DEP_1)
	v_fmac_f32_e32 v146, v128, v112
	ds_load_2addr_b32 v[111:112], v2 offset0:97 offset1:98
	s_waitcnt lgkmcnt(3)
	v_fmac_f32_e32 v146, v129, v113
	s_waitcnt vmcnt(4)
	v_fmac_f32_e32 v146, v130, v114
	ds_load_2addr_b32 v[113:114], v2 offset0:99 offset1:100
	s_waitcnt lgkmcnt(3)
	v_fmac_f32_e32 v146, v131, v115
	s_delay_alu instid0(VALU_DEP_1) | instskip(SKIP_1) | instid1(VALU_DEP_1)
	v_fmac_f32_e32 v146, v132, v116
	s_waitcnt lgkmcnt(2)
	v_fmac_f32_e32 v146, v133, v117
	s_waitcnt vmcnt(3)
	s_delay_alu instid0(VALU_DEP_1) | instskip(SKIP_4) | instid1(VALU_DEP_1)
	v_fmac_f32_e32 v146, v134, v118
	ds_load_2addr_b32 v[115:116], v2 offset0:101 offset1:102
	ds_load_2addr_b32 v[117:118], v2 offset0:103 offset1:104
	s_waitcnt lgkmcnt(3)
	v_fmac_f32_e32 v146, v135, v111
	v_fmac_f32_e32 v146, v136, v112
	ds_load_2addr_b32 v[111:112], v2 offset0:105 offset1:106
	ds_load_2addr_b32 v[2:3], v2 offset0:107 offset1:108
	s_waitcnt lgkmcnt(4)
	v_fmac_f32_e32 v146, v137, v113
	s_waitcnt vmcnt(2)
	s_delay_alu instid0(VALU_DEP_1) | instskip(SKIP_1) | instid1(VALU_DEP_1)
	v_fmac_f32_e32 v146, v138, v114
	s_waitcnt lgkmcnt(3)
	v_fmac_f32_e32 v146, v139, v115
	s_delay_alu instid0(VALU_DEP_1) | instskip(SKIP_1) | instid1(VALU_DEP_1)
	v_fmac_f32_e32 v146, v140, v116
	s_waitcnt lgkmcnt(2)
	v_fmac_f32_e32 v146, v141, v117
	s_waitcnt vmcnt(1)
	s_delay_alu instid0(VALU_DEP_1) | instskip(SKIP_1) | instid1(VALU_DEP_1)
	v_fmac_f32_e32 v146, v142, v118
	s_waitcnt lgkmcnt(1)
	v_fmac_f32_e32 v146, v143, v111
	s_delay_alu instid0(VALU_DEP_1) | instskip(SKIP_1) | instid1(VALU_DEP_1)
	v_fmac_f32_e32 v146, v144, v112
	s_waitcnt lgkmcnt(0)
	v_fmac_f32_e32 v146, v145, v2
	s_waitcnt vmcnt(0)
	s_delay_alu instid0(VALU_DEP_1) | instskip(NEXT) | instid1(VALU_DEP_1)
	v_fmac_f32_e32 v146, v154, v3
	v_sub_f32_e32 v2, v110, v146
	scratch_store_b32 off, v2, off offset:64
	v_cmpx_lt_u32_e32 15, v0
	s_cbranch_execz .LBB52_295
; %bb.294:
	scratch_load_b32 v2, off, off offset:60
	v_mov_b32_e32 v3, 0
	scratch_store_b32 off, v3, off offset:60
	s_waitcnt vmcnt(0)
	ds_store_b32 v1, v2
.LBB52_295:
	s_or_b32 exec_lo, exec_lo, s0
	s_waitcnt lgkmcnt(0)
	s_waitcnt_vscnt null, 0x0
	s_barrier
	buffer_gl0_inv
	s_clause 0x9
	scratch_load_b128 v[110:113], off, off offset:60
	scratch_load_b128 v[114:117], off, off offset:76
	;; [unrolled: 1-line block ×9, first 2 shown]
	scratch_load_b64 v[154:155], off, off offset:204
	v_mov_b32_e32 v2, 0
	ds_load_b128 v[146:149], v2 offset:288
	ds_load_b128 v[150:153], v2 offset:304
	s_mov_b32 s0, exec_lo
	s_waitcnt vmcnt(9) lgkmcnt(1)
	v_fma_f32 v3, v111, v146, 0
	s_delay_alu instid0(VALU_DEP_1) | instskip(NEXT) | instid1(VALU_DEP_1)
	v_fmac_f32_e32 v3, v112, v147
	v_fmac_f32_e32 v3, v113, v148
	s_waitcnt vmcnt(8)
	s_delay_alu instid0(VALU_DEP_1) | instskip(SKIP_3) | instid1(VALU_DEP_1)
	v_fmac_f32_e32 v3, v114, v149
	ds_load_b128 v[111:114], v2 offset:320
	s_waitcnt lgkmcnt(1)
	v_fmac_f32_e32 v3, v115, v150
	v_fmac_f32_e32 v3, v116, v151
	s_delay_alu instid0(VALU_DEP_1) | instskip(SKIP_1) | instid1(VALU_DEP_1)
	v_fmac_f32_e32 v3, v117, v152
	s_waitcnt vmcnt(7)
	v_fmac_f32_e32 v3, v118, v153
	ds_load_b128 v[115:118], v2 offset:336
	s_waitcnt lgkmcnt(1)
	v_fmac_f32_e32 v3, v119, v111
	s_delay_alu instid0(VALU_DEP_1) | instskip(NEXT) | instid1(VALU_DEP_1)
	v_fmac_f32_e32 v3, v120, v112
	v_fmac_f32_e32 v3, v121, v113
	s_waitcnt vmcnt(6)
	s_delay_alu instid0(VALU_DEP_1) | instskip(SKIP_3) | instid1(VALU_DEP_1)
	v_fmac_f32_e32 v3, v122, v114
	ds_load_b128 v[111:114], v2 offset:352
	s_waitcnt lgkmcnt(1)
	v_fmac_f32_e32 v3, v123, v115
	v_fmac_f32_e32 v3, v124, v116
	s_delay_alu instid0(VALU_DEP_1) | instskip(SKIP_1) | instid1(VALU_DEP_1)
	v_fmac_f32_e32 v3, v125, v117
	s_waitcnt vmcnt(5)
	v_fmac_f32_e32 v3, v126, v118
	ds_load_b128 v[115:118], v2 offset:368
	s_waitcnt lgkmcnt(1)
	v_fmac_f32_e32 v3, v127, v111
	;; [unrolled: 17-line block ×3, first 2 shown]
	s_delay_alu instid0(VALU_DEP_1) | instskip(NEXT) | instid1(VALU_DEP_1)
	v_fmac_f32_e32 v3, v136, v112
	v_fmac_f32_e32 v3, v137, v113
	s_waitcnt vmcnt(2)
	s_delay_alu instid0(VALU_DEP_1)
	v_fmac_f32_e32 v3, v138, v114
	ds_load_b128 v[111:114], v2 offset:416
	s_waitcnt lgkmcnt(1)
	v_fmac_f32_e32 v3, v139, v115
	ds_load_b32 v115, v2 offset:432
	v_fmac_f32_e32 v3, v140, v116
	s_delay_alu instid0(VALU_DEP_1) | instskip(SKIP_1) | instid1(VALU_DEP_1)
	v_fmac_f32_e32 v3, v141, v117
	s_waitcnt vmcnt(1)
	v_fmac_f32_e32 v3, v142, v118
	s_waitcnt lgkmcnt(1)
	s_delay_alu instid0(VALU_DEP_1) | instskip(NEXT) | instid1(VALU_DEP_1)
	v_fmac_f32_e32 v3, v143, v111
	v_fmac_f32_e32 v3, v144, v112
	s_delay_alu instid0(VALU_DEP_1) | instskip(SKIP_1) | instid1(VALU_DEP_1)
	v_fmac_f32_e32 v3, v145, v113
	s_waitcnt vmcnt(0)
	v_fmac_f32_e32 v3, v154, v114
	s_waitcnt lgkmcnt(0)
	s_delay_alu instid0(VALU_DEP_1) | instskip(NEXT) | instid1(VALU_DEP_1)
	v_fmac_f32_e32 v3, v155, v115
	v_sub_f32_e32 v3, v110, v3
	scratch_store_b32 off, v3, off offset:60
	v_cmpx_lt_u32_e32 14, v0
	s_cbranch_execz .LBB52_297
; %bb.296:
	scratch_load_b32 v3, off, off offset:56
	scratch_store_b32 off, v2, off offset:56
	s_waitcnt vmcnt(0)
	ds_store_b32 v1, v3
.LBB52_297:
	s_or_b32 exec_lo, exec_lo, s0
	s_waitcnt lgkmcnt(0)
	s_waitcnt_vscnt null, 0x0
	s_barrier
	buffer_gl0_inv
	s_clause 0x9
	scratch_load_b128 v[110:113], off, off offset:56
	scratch_load_b128 v[114:117], off, off offset:72
	scratch_load_b128 v[118:121], off, off offset:88
	scratch_load_b128 v[122:125], off, off offset:104
	scratch_load_b128 v[126:129], off, off offset:120
	scratch_load_b128 v[130:133], off, off offset:136
	scratch_load_b128 v[134:137], off, off offset:152
	scratch_load_b128 v[138:141], off, off offset:168
	scratch_load_b128 v[142:145], off, off offset:184
	scratch_load_b96 v[146:148], off, off offset:200
	ds_load_2addr_b32 v[149:150], v2 offset0:71 offset1:72
	ds_load_2addr_b32 v[151:152], v2 offset0:73 offset1:74
	;; [unrolled: 1-line block ×4, first 2 shown]
	s_mov_b32 s0, exec_lo
	s_waitcnt vmcnt(9) lgkmcnt(3)
	v_fma_f32 v149, v111, v149, 0
	s_delay_alu instid0(VALU_DEP_1) | instskip(SKIP_4) | instid1(VALU_DEP_1)
	v_fmac_f32_e32 v149, v112, v150
	ds_load_2addr_b32 v[111:112], v2 offset0:79 offset1:80
	s_waitcnt lgkmcnt(3)
	v_fmac_f32_e32 v149, v113, v151
	s_waitcnt vmcnt(8)
	v_fmac_f32_e32 v149, v114, v152
	ds_load_2addr_b32 v[113:114], v2 offset0:81 offset1:82
	s_waitcnt lgkmcnt(3)
	v_fmac_f32_e32 v149, v115, v153
	s_delay_alu instid0(VALU_DEP_1) | instskip(SKIP_1) | instid1(VALU_DEP_1)
	v_fmac_f32_e32 v149, v116, v154
	s_waitcnt lgkmcnt(2)
	v_fmac_f32_e32 v149, v117, v155
	s_waitcnt vmcnt(7)
	s_delay_alu instid0(VALU_DEP_1) | instskip(SKIP_4) | instid1(VALU_DEP_1)
	v_fmac_f32_e32 v149, v118, v156
	ds_load_2addr_b32 v[115:116], v2 offset0:83 offset1:84
	ds_load_2addr_b32 v[117:118], v2 offset0:85 offset1:86
	s_waitcnt lgkmcnt(3)
	v_fmac_f32_e32 v149, v119, v111
	v_fmac_f32_e32 v149, v120, v112
	ds_load_2addr_b32 v[111:112], v2 offset0:87 offset1:88
	s_waitcnt lgkmcnt(3)
	v_fmac_f32_e32 v149, v121, v113
	s_waitcnt vmcnt(6)
	s_delay_alu instid0(VALU_DEP_1) | instskip(SKIP_3) | instid1(VALU_DEP_1)
	v_fmac_f32_e32 v149, v122, v114
	ds_load_2addr_b32 v[113:114], v2 offset0:89 offset1:90
	s_waitcnt lgkmcnt(3)
	v_fmac_f32_e32 v149, v123, v115
	v_fmac_f32_e32 v149, v124, v116
	s_waitcnt lgkmcnt(2)
	s_delay_alu instid0(VALU_DEP_1) | instskip(SKIP_1) | instid1(VALU_DEP_1)
	v_fmac_f32_e32 v149, v125, v117
	s_waitcnt vmcnt(5)
	v_fmac_f32_e32 v149, v126, v118
	ds_load_2addr_b32 v[115:116], v2 offset0:91 offset1:92
	ds_load_2addr_b32 v[117:118], v2 offset0:93 offset1:94
	s_waitcnt lgkmcnt(3)
	v_fmac_f32_e32 v149, v127, v111
	s_delay_alu instid0(VALU_DEP_1) | instskip(SKIP_4) | instid1(VALU_DEP_1)
	v_fmac_f32_e32 v149, v128, v112
	ds_load_2addr_b32 v[111:112], v2 offset0:95 offset1:96
	s_waitcnt lgkmcnt(3)
	v_fmac_f32_e32 v149, v129, v113
	s_waitcnt vmcnt(4)
	v_fmac_f32_e32 v149, v130, v114
	ds_load_2addr_b32 v[113:114], v2 offset0:97 offset1:98
	s_waitcnt lgkmcnt(3)
	v_fmac_f32_e32 v149, v131, v115
	s_delay_alu instid0(VALU_DEP_1) | instskip(SKIP_1) | instid1(VALU_DEP_1)
	v_fmac_f32_e32 v149, v132, v116
	s_waitcnt lgkmcnt(2)
	v_fmac_f32_e32 v149, v133, v117
	s_waitcnt vmcnt(3)
	s_delay_alu instid0(VALU_DEP_1) | instskip(SKIP_4) | instid1(VALU_DEP_1)
	v_fmac_f32_e32 v149, v134, v118
	ds_load_2addr_b32 v[115:116], v2 offset0:99 offset1:100
	ds_load_2addr_b32 v[117:118], v2 offset0:101 offset1:102
	s_waitcnt lgkmcnt(3)
	v_fmac_f32_e32 v149, v135, v111
	v_fmac_f32_e32 v149, v136, v112
	ds_load_2addr_b32 v[111:112], v2 offset0:103 offset1:104
	s_waitcnt lgkmcnt(3)
	v_fmac_f32_e32 v149, v137, v113
	s_waitcnt vmcnt(2)
	s_delay_alu instid0(VALU_DEP_1) | instskip(SKIP_4) | instid1(VALU_DEP_1)
	v_fmac_f32_e32 v149, v138, v114
	ds_load_2addr_b32 v[113:114], v2 offset0:105 offset1:106
	ds_load_2addr_b32 v[2:3], v2 offset0:107 offset1:108
	s_waitcnt lgkmcnt(4)
	v_fmac_f32_e32 v149, v139, v115
	v_fmac_f32_e32 v149, v140, v116
	s_waitcnt lgkmcnt(3)
	s_delay_alu instid0(VALU_DEP_1) | instskip(SKIP_1) | instid1(VALU_DEP_1)
	v_fmac_f32_e32 v149, v141, v117
	s_waitcnt vmcnt(1)
	v_fmac_f32_e32 v149, v142, v118
	s_waitcnt lgkmcnt(2)
	s_delay_alu instid0(VALU_DEP_1) | instskip(NEXT) | instid1(VALU_DEP_1)
	v_fmac_f32_e32 v149, v143, v111
	v_fmac_f32_e32 v149, v144, v112
	s_waitcnt lgkmcnt(1)
	s_delay_alu instid0(VALU_DEP_1) | instskip(SKIP_1) | instid1(VALU_DEP_1)
	v_fmac_f32_e32 v149, v145, v113
	s_waitcnt vmcnt(0)
	v_fmac_f32_e32 v149, v146, v114
	s_waitcnt lgkmcnt(0)
	s_delay_alu instid0(VALU_DEP_1) | instskip(NEXT) | instid1(VALU_DEP_1)
	v_fmac_f32_e32 v149, v147, v2
	v_fmac_f32_e32 v149, v148, v3
	s_delay_alu instid0(VALU_DEP_1)
	v_sub_f32_e32 v2, v110, v149
	scratch_store_b32 off, v2, off offset:56
	v_cmpx_lt_u32_e32 13, v0
	s_cbranch_execz .LBB52_299
; %bb.298:
	scratch_load_b32 v2, off, off offset:52
	v_mov_b32_e32 v3, 0
	scratch_store_b32 off, v3, off offset:52
	s_waitcnt vmcnt(0)
	ds_store_b32 v1, v2
.LBB52_299:
	s_or_b32 exec_lo, exec_lo, s0
	s_waitcnt lgkmcnt(0)
	s_waitcnt_vscnt null, 0x0
	s_barrier
	buffer_gl0_inv
	s_clause 0x9
	scratch_load_b128 v[110:113], off, off offset:52
	scratch_load_b128 v[114:117], off, off offset:68
	;; [unrolled: 1-line block ×10, first 2 shown]
	v_mov_b32_e32 v2, 0
	ds_load_2addr_b64 v[150:153], v2 offset0:35 offset1:36
	ds_load_2addr_b64 v[154:157], v2 offset0:37 offset1:38
	s_mov_b32 s0, exec_lo
	s_waitcnt vmcnt(9) lgkmcnt(1)
	v_fma_f32 v3, v111, v150, 0
	s_delay_alu instid0(VALU_DEP_1) | instskip(NEXT) | instid1(VALU_DEP_1)
	v_fmac_f32_e32 v3, v112, v151
	v_fmac_f32_e32 v3, v113, v152
	s_waitcnt vmcnt(8)
	s_delay_alu instid0(VALU_DEP_1) | instskip(SKIP_3) | instid1(VALU_DEP_1)
	v_fmac_f32_e32 v3, v114, v153
	ds_load_2addr_b64 v[111:114], v2 offset0:39 offset1:40
	s_waitcnt lgkmcnt(1)
	v_fmac_f32_e32 v3, v115, v154
	v_fmac_f32_e32 v3, v116, v155
	s_delay_alu instid0(VALU_DEP_1) | instskip(SKIP_1) | instid1(VALU_DEP_1)
	v_fmac_f32_e32 v3, v117, v156
	s_waitcnt vmcnt(7)
	v_fmac_f32_e32 v3, v118, v157
	ds_load_2addr_b64 v[115:118], v2 offset0:41 offset1:42
	s_waitcnt lgkmcnt(1)
	v_fmac_f32_e32 v3, v119, v111
	s_delay_alu instid0(VALU_DEP_1) | instskip(NEXT) | instid1(VALU_DEP_1)
	v_fmac_f32_e32 v3, v120, v112
	v_fmac_f32_e32 v3, v121, v113
	s_waitcnt vmcnt(6)
	s_delay_alu instid0(VALU_DEP_1) | instskip(SKIP_3) | instid1(VALU_DEP_1)
	v_fmac_f32_e32 v3, v122, v114
	ds_load_2addr_b64 v[111:114], v2 offset0:43 offset1:44
	s_waitcnt lgkmcnt(1)
	v_fmac_f32_e32 v3, v123, v115
	v_fmac_f32_e32 v3, v124, v116
	s_delay_alu instid0(VALU_DEP_1) | instskip(SKIP_1) | instid1(VALU_DEP_1)
	v_fmac_f32_e32 v3, v125, v117
	s_waitcnt vmcnt(5)
	v_fmac_f32_e32 v3, v126, v118
	ds_load_2addr_b64 v[115:118], v2 offset0:45 offset1:46
	s_waitcnt lgkmcnt(1)
	v_fmac_f32_e32 v3, v127, v111
	;; [unrolled: 17-line block ×3, first 2 shown]
	s_delay_alu instid0(VALU_DEP_1) | instskip(NEXT) | instid1(VALU_DEP_1)
	v_fmac_f32_e32 v3, v136, v112
	v_fmac_f32_e32 v3, v137, v113
	s_waitcnt vmcnt(2)
	s_delay_alu instid0(VALU_DEP_1) | instskip(SKIP_3) | instid1(VALU_DEP_1)
	v_fmac_f32_e32 v3, v138, v114
	ds_load_2addr_b64 v[111:114], v2 offset0:51 offset1:52
	s_waitcnt lgkmcnt(1)
	v_fmac_f32_e32 v3, v139, v115
	v_fmac_f32_e32 v3, v140, v116
	ds_load_b64 v[115:116], v2 offset:424
	v_fmac_f32_e32 v3, v141, v117
	s_waitcnt vmcnt(1)
	s_delay_alu instid0(VALU_DEP_1) | instskip(SKIP_1) | instid1(VALU_DEP_1)
	v_fmac_f32_e32 v3, v142, v118
	s_waitcnt lgkmcnt(1)
	v_fmac_f32_e32 v3, v143, v111
	ds_load_b32 v111, v2 offset:432
	v_fmac_f32_e32 v3, v144, v112
	s_delay_alu instid0(VALU_DEP_1) | instskip(SKIP_1) | instid1(VALU_DEP_1)
	v_fmac_f32_e32 v3, v145, v113
	s_waitcnt vmcnt(0)
	v_fmac_f32_e32 v3, v146, v114
	s_waitcnt lgkmcnt(1)
	s_delay_alu instid0(VALU_DEP_1) | instskip(NEXT) | instid1(VALU_DEP_1)
	v_fmac_f32_e32 v3, v147, v115
	v_fmac_f32_e32 v3, v148, v116
	s_waitcnt lgkmcnt(0)
	s_delay_alu instid0(VALU_DEP_1) | instskip(NEXT) | instid1(VALU_DEP_1)
	v_fmac_f32_e32 v3, v149, v111
	v_sub_f32_e32 v3, v110, v3
	scratch_store_b32 off, v3, off offset:52
	v_cmpx_lt_u32_e32 12, v0
	s_cbranch_execz .LBB52_301
; %bb.300:
	scratch_load_b32 v3, off, off offset:48
	scratch_store_b32 off, v2, off offset:48
	s_waitcnt vmcnt(0)
	ds_store_b32 v1, v3
.LBB52_301:
	s_or_b32 exec_lo, exec_lo, s0
	s_waitcnt lgkmcnt(0)
	s_waitcnt_vscnt null, 0x0
	s_barrier
	buffer_gl0_inv
	s_clause 0xa
	scratch_load_b128 v[110:113], off, off offset:48
	scratch_load_b128 v[114:117], off, off offset:64
	;; [unrolled: 1-line block ×10, first 2 shown]
	scratch_load_b32 v158, off, off offset:208
	ds_load_2addr_b32 v[150:151], v2 offset0:69 offset1:70
	ds_load_2addr_b32 v[152:153], v2 offset0:71 offset1:72
	ds_load_2addr_b32 v[154:155], v2 offset0:73 offset1:74
	ds_load_2addr_b32 v[156:157], v2 offset0:75 offset1:76
	s_mov_b32 s0, exec_lo
	s_waitcnt vmcnt(10) lgkmcnt(3)
	v_fma_f32 v150, v111, v150, 0
	s_delay_alu instid0(VALU_DEP_1) | instskip(SKIP_4) | instid1(VALU_DEP_1)
	v_fmac_f32_e32 v150, v112, v151
	ds_load_2addr_b32 v[111:112], v2 offset0:77 offset1:78
	s_waitcnt lgkmcnt(3)
	v_fmac_f32_e32 v150, v113, v152
	s_waitcnt vmcnt(9)
	v_fmac_f32_e32 v150, v114, v153
	ds_load_2addr_b32 v[113:114], v2 offset0:79 offset1:80
	s_waitcnt lgkmcnt(3)
	v_fmac_f32_e32 v150, v115, v154
	s_delay_alu instid0(VALU_DEP_1) | instskip(SKIP_1) | instid1(VALU_DEP_1)
	v_fmac_f32_e32 v150, v116, v155
	s_waitcnt lgkmcnt(2)
	v_fmac_f32_e32 v150, v117, v156
	s_waitcnt vmcnt(8)
	s_delay_alu instid0(VALU_DEP_1) | instskip(SKIP_4) | instid1(VALU_DEP_1)
	v_fmac_f32_e32 v150, v118, v157
	ds_load_2addr_b32 v[115:116], v2 offset0:81 offset1:82
	ds_load_2addr_b32 v[117:118], v2 offset0:83 offset1:84
	s_waitcnt lgkmcnt(3)
	v_fmac_f32_e32 v150, v119, v111
	v_fmac_f32_e32 v150, v120, v112
	ds_load_2addr_b32 v[111:112], v2 offset0:85 offset1:86
	s_waitcnt lgkmcnt(3)
	v_fmac_f32_e32 v150, v121, v113
	s_waitcnt vmcnt(7)
	s_delay_alu instid0(VALU_DEP_1) | instskip(SKIP_3) | instid1(VALU_DEP_1)
	v_fmac_f32_e32 v150, v122, v114
	ds_load_2addr_b32 v[113:114], v2 offset0:87 offset1:88
	s_waitcnt lgkmcnt(3)
	v_fmac_f32_e32 v150, v123, v115
	v_fmac_f32_e32 v150, v124, v116
	s_waitcnt lgkmcnt(2)
	s_delay_alu instid0(VALU_DEP_1) | instskip(SKIP_1) | instid1(VALU_DEP_1)
	v_fmac_f32_e32 v150, v125, v117
	s_waitcnt vmcnt(6)
	v_fmac_f32_e32 v150, v126, v118
	ds_load_2addr_b32 v[115:116], v2 offset0:89 offset1:90
	ds_load_2addr_b32 v[117:118], v2 offset0:91 offset1:92
	s_waitcnt lgkmcnt(3)
	v_fmac_f32_e32 v150, v127, v111
	s_delay_alu instid0(VALU_DEP_1) | instskip(SKIP_4) | instid1(VALU_DEP_1)
	v_fmac_f32_e32 v150, v128, v112
	ds_load_2addr_b32 v[111:112], v2 offset0:93 offset1:94
	s_waitcnt lgkmcnt(3)
	v_fmac_f32_e32 v150, v129, v113
	s_waitcnt vmcnt(5)
	v_fmac_f32_e32 v150, v130, v114
	ds_load_2addr_b32 v[113:114], v2 offset0:95 offset1:96
	s_waitcnt lgkmcnt(3)
	v_fmac_f32_e32 v150, v131, v115
	s_delay_alu instid0(VALU_DEP_1) | instskip(SKIP_1) | instid1(VALU_DEP_1)
	v_fmac_f32_e32 v150, v132, v116
	s_waitcnt lgkmcnt(2)
	v_fmac_f32_e32 v150, v133, v117
	s_waitcnt vmcnt(4)
	s_delay_alu instid0(VALU_DEP_1) | instskip(SKIP_4) | instid1(VALU_DEP_1)
	v_fmac_f32_e32 v150, v134, v118
	ds_load_2addr_b32 v[115:116], v2 offset0:97 offset1:98
	ds_load_2addr_b32 v[117:118], v2 offset0:99 offset1:100
	s_waitcnt lgkmcnt(3)
	v_fmac_f32_e32 v150, v135, v111
	v_fmac_f32_e32 v150, v136, v112
	ds_load_2addr_b32 v[111:112], v2 offset0:101 offset1:102
	s_waitcnt lgkmcnt(3)
	v_fmac_f32_e32 v150, v137, v113
	s_waitcnt vmcnt(3)
	s_delay_alu instid0(VALU_DEP_1) | instskip(SKIP_3) | instid1(VALU_DEP_1)
	v_fmac_f32_e32 v150, v138, v114
	ds_load_2addr_b32 v[113:114], v2 offset0:103 offset1:104
	s_waitcnt lgkmcnt(3)
	v_fmac_f32_e32 v150, v139, v115
	v_fmac_f32_e32 v150, v140, v116
	ds_load_2addr_b32 v[115:116], v2 offset0:105 offset1:106
	ds_load_2addr_b32 v[2:3], v2 offset0:107 offset1:108
	s_waitcnt lgkmcnt(4)
	v_fmac_f32_e32 v150, v141, v117
	s_waitcnt vmcnt(2)
	s_delay_alu instid0(VALU_DEP_1) | instskip(SKIP_1) | instid1(VALU_DEP_1)
	v_fmac_f32_e32 v150, v142, v118
	s_waitcnt lgkmcnt(3)
	v_fmac_f32_e32 v150, v143, v111
	s_delay_alu instid0(VALU_DEP_1) | instskip(SKIP_1) | instid1(VALU_DEP_1)
	v_fmac_f32_e32 v150, v144, v112
	s_waitcnt lgkmcnt(2)
	v_fmac_f32_e32 v150, v145, v113
	s_waitcnt vmcnt(1)
	s_delay_alu instid0(VALU_DEP_1) | instskip(SKIP_1) | instid1(VALU_DEP_1)
	v_fmac_f32_e32 v150, v146, v114
	s_waitcnt lgkmcnt(1)
	v_fmac_f32_e32 v150, v147, v115
	s_delay_alu instid0(VALU_DEP_1) | instskip(SKIP_1) | instid1(VALU_DEP_1)
	v_fmac_f32_e32 v150, v148, v116
	s_waitcnt lgkmcnt(0)
	v_fmac_f32_e32 v150, v149, v2
	s_waitcnt vmcnt(0)
	s_delay_alu instid0(VALU_DEP_1) | instskip(NEXT) | instid1(VALU_DEP_1)
	v_fmac_f32_e32 v150, v158, v3
	v_sub_f32_e32 v2, v110, v150
	scratch_store_b32 off, v2, off offset:48
	v_cmpx_lt_u32_e32 11, v0
	s_cbranch_execz .LBB52_303
; %bb.302:
	scratch_load_b32 v2, off, off offset:44
	v_mov_b32_e32 v3, 0
	scratch_store_b32 off, v3, off offset:44
	s_waitcnt vmcnt(0)
	ds_store_b32 v1, v2
.LBB52_303:
	s_or_b32 exec_lo, exec_lo, s0
	s_waitcnt lgkmcnt(0)
	s_waitcnt_vscnt null, 0x0
	s_barrier
	buffer_gl0_inv
	s_clause 0xa
	scratch_load_b128 v[110:113], off, off offset:44
	scratch_load_b128 v[114:117], off, off offset:60
	scratch_load_b128 v[118:121], off, off offset:76
	scratch_load_b128 v[122:125], off, off offset:92
	scratch_load_b128 v[126:129], off, off offset:108
	scratch_load_b128 v[130:133], off, off offset:124
	scratch_load_b128 v[134:137], off, off offset:140
	scratch_load_b128 v[138:141], off, off offset:156
	scratch_load_b128 v[142:145], off, off offset:172
	scratch_load_b128 v[146:149], off, off offset:188
	scratch_load_b64 v[158:159], off, off offset:204
	v_mov_b32_e32 v2, 0
	ds_load_b128 v[150:153], v2 offset:272
	ds_load_b128 v[154:157], v2 offset:288
	s_mov_b32 s0, exec_lo
	s_waitcnt vmcnt(10) lgkmcnt(1)
	v_fma_f32 v3, v111, v150, 0
	s_delay_alu instid0(VALU_DEP_1) | instskip(NEXT) | instid1(VALU_DEP_1)
	v_fmac_f32_e32 v3, v112, v151
	v_fmac_f32_e32 v3, v113, v152
	s_waitcnt vmcnt(9)
	s_delay_alu instid0(VALU_DEP_1) | instskip(SKIP_3) | instid1(VALU_DEP_1)
	v_fmac_f32_e32 v3, v114, v153
	ds_load_b128 v[111:114], v2 offset:304
	s_waitcnt lgkmcnt(1)
	v_fmac_f32_e32 v3, v115, v154
	v_fmac_f32_e32 v3, v116, v155
	s_delay_alu instid0(VALU_DEP_1) | instskip(SKIP_1) | instid1(VALU_DEP_1)
	v_fmac_f32_e32 v3, v117, v156
	s_waitcnt vmcnt(8)
	v_fmac_f32_e32 v3, v118, v157
	ds_load_b128 v[115:118], v2 offset:320
	s_waitcnt lgkmcnt(1)
	v_fmac_f32_e32 v3, v119, v111
	s_delay_alu instid0(VALU_DEP_1) | instskip(NEXT) | instid1(VALU_DEP_1)
	v_fmac_f32_e32 v3, v120, v112
	v_fmac_f32_e32 v3, v121, v113
	s_waitcnt vmcnt(7)
	s_delay_alu instid0(VALU_DEP_1) | instskip(SKIP_3) | instid1(VALU_DEP_1)
	v_fmac_f32_e32 v3, v122, v114
	ds_load_b128 v[111:114], v2 offset:336
	s_waitcnt lgkmcnt(1)
	v_fmac_f32_e32 v3, v123, v115
	v_fmac_f32_e32 v3, v124, v116
	s_delay_alu instid0(VALU_DEP_1) | instskip(SKIP_1) | instid1(VALU_DEP_1)
	v_fmac_f32_e32 v3, v125, v117
	s_waitcnt vmcnt(6)
	v_fmac_f32_e32 v3, v126, v118
	ds_load_b128 v[115:118], v2 offset:352
	s_waitcnt lgkmcnt(1)
	v_fmac_f32_e32 v3, v127, v111
	;; [unrolled: 17-line block ×4, first 2 shown]
	ds_load_b32 v111, v2 offset:432
	v_fmac_f32_e32 v3, v144, v112
	s_delay_alu instid0(VALU_DEP_1) | instskip(SKIP_1) | instid1(VALU_DEP_1)
	v_fmac_f32_e32 v3, v145, v113
	s_waitcnt vmcnt(1)
	v_fmac_f32_e32 v3, v146, v114
	s_waitcnt lgkmcnt(1)
	s_delay_alu instid0(VALU_DEP_1) | instskip(NEXT) | instid1(VALU_DEP_1)
	v_fmac_f32_e32 v3, v147, v115
	v_fmac_f32_e32 v3, v148, v116
	s_delay_alu instid0(VALU_DEP_1) | instskip(SKIP_1) | instid1(VALU_DEP_1)
	v_fmac_f32_e32 v3, v149, v117
	s_waitcnt vmcnt(0)
	v_fmac_f32_e32 v3, v158, v118
	s_waitcnt lgkmcnt(0)
	s_delay_alu instid0(VALU_DEP_1) | instskip(NEXT) | instid1(VALU_DEP_1)
	v_fmac_f32_e32 v3, v159, v111
	v_sub_f32_e32 v3, v110, v3
	scratch_store_b32 off, v3, off offset:44
	v_cmpx_lt_u32_e32 10, v0
	s_cbranch_execz .LBB52_305
; %bb.304:
	scratch_load_b32 v3, off, off offset:40
	scratch_store_b32 off, v2, off offset:40
	s_waitcnt vmcnt(0)
	ds_store_b32 v1, v3
.LBB52_305:
	s_or_b32 exec_lo, exec_lo, s0
	s_waitcnt lgkmcnt(0)
	s_waitcnt_vscnt null, 0x0
	s_barrier
	buffer_gl0_inv
	s_clause 0xa
	scratch_load_b128 v[110:113], off, off offset:40
	scratch_load_b128 v[114:117], off, off offset:56
	;; [unrolled: 1-line block ×10, first 2 shown]
	scratch_load_b96 v[150:152], off, off offset:200
	ds_load_2addr_b32 v[153:154], v2 offset0:67 offset1:68
	ds_load_2addr_b32 v[155:156], v2 offset0:69 offset1:70
	;; [unrolled: 1-line block ×4, first 2 shown]
	s_mov_b32 s0, exec_lo
	s_waitcnt vmcnt(10) lgkmcnt(3)
	v_fma_f32 v153, v111, v153, 0
	s_delay_alu instid0(VALU_DEP_1) | instskip(SKIP_4) | instid1(VALU_DEP_1)
	v_fmac_f32_e32 v153, v112, v154
	ds_load_2addr_b32 v[111:112], v2 offset0:75 offset1:76
	s_waitcnt lgkmcnt(3)
	v_fmac_f32_e32 v153, v113, v155
	s_waitcnt vmcnt(9)
	v_fmac_f32_e32 v153, v114, v156
	ds_load_2addr_b32 v[113:114], v2 offset0:77 offset1:78
	s_waitcnt lgkmcnt(3)
	v_fmac_f32_e32 v153, v115, v157
	s_delay_alu instid0(VALU_DEP_1) | instskip(SKIP_1) | instid1(VALU_DEP_1)
	v_fmac_f32_e32 v153, v116, v158
	s_waitcnt lgkmcnt(2)
	v_fmac_f32_e32 v153, v117, v159
	s_waitcnt vmcnt(8)
	s_delay_alu instid0(VALU_DEP_1) | instskip(SKIP_4) | instid1(VALU_DEP_1)
	v_fmac_f32_e32 v153, v118, v160
	ds_load_2addr_b32 v[115:116], v2 offset0:79 offset1:80
	ds_load_2addr_b32 v[117:118], v2 offset0:81 offset1:82
	s_waitcnt lgkmcnt(3)
	v_fmac_f32_e32 v153, v119, v111
	v_fmac_f32_e32 v153, v120, v112
	ds_load_2addr_b32 v[111:112], v2 offset0:83 offset1:84
	s_waitcnt lgkmcnt(3)
	v_fmac_f32_e32 v153, v121, v113
	s_waitcnt vmcnt(7)
	s_delay_alu instid0(VALU_DEP_1) | instskip(SKIP_3) | instid1(VALU_DEP_1)
	v_fmac_f32_e32 v153, v122, v114
	ds_load_2addr_b32 v[113:114], v2 offset0:85 offset1:86
	s_waitcnt lgkmcnt(3)
	v_fmac_f32_e32 v153, v123, v115
	v_fmac_f32_e32 v153, v124, v116
	s_waitcnt lgkmcnt(2)
	s_delay_alu instid0(VALU_DEP_1) | instskip(SKIP_1) | instid1(VALU_DEP_1)
	v_fmac_f32_e32 v153, v125, v117
	s_waitcnt vmcnt(6)
	v_fmac_f32_e32 v153, v126, v118
	ds_load_2addr_b32 v[115:116], v2 offset0:87 offset1:88
	ds_load_2addr_b32 v[117:118], v2 offset0:89 offset1:90
	s_waitcnt lgkmcnt(3)
	v_fmac_f32_e32 v153, v127, v111
	s_delay_alu instid0(VALU_DEP_1) | instskip(SKIP_4) | instid1(VALU_DEP_1)
	v_fmac_f32_e32 v153, v128, v112
	ds_load_2addr_b32 v[111:112], v2 offset0:91 offset1:92
	s_waitcnt lgkmcnt(3)
	v_fmac_f32_e32 v153, v129, v113
	s_waitcnt vmcnt(5)
	v_fmac_f32_e32 v153, v130, v114
	ds_load_2addr_b32 v[113:114], v2 offset0:93 offset1:94
	s_waitcnt lgkmcnt(3)
	v_fmac_f32_e32 v153, v131, v115
	s_delay_alu instid0(VALU_DEP_1) | instskip(SKIP_1) | instid1(VALU_DEP_1)
	v_fmac_f32_e32 v153, v132, v116
	s_waitcnt lgkmcnt(2)
	v_fmac_f32_e32 v153, v133, v117
	s_waitcnt vmcnt(4)
	s_delay_alu instid0(VALU_DEP_1) | instskip(SKIP_4) | instid1(VALU_DEP_1)
	v_fmac_f32_e32 v153, v134, v118
	ds_load_2addr_b32 v[115:116], v2 offset0:95 offset1:96
	ds_load_2addr_b32 v[117:118], v2 offset0:97 offset1:98
	s_waitcnt lgkmcnt(3)
	v_fmac_f32_e32 v153, v135, v111
	v_fmac_f32_e32 v153, v136, v112
	ds_load_2addr_b32 v[111:112], v2 offset0:99 offset1:100
	s_waitcnt lgkmcnt(3)
	v_fmac_f32_e32 v153, v137, v113
	s_waitcnt vmcnt(3)
	s_delay_alu instid0(VALU_DEP_1) | instskip(SKIP_3) | instid1(VALU_DEP_1)
	v_fmac_f32_e32 v153, v138, v114
	ds_load_2addr_b32 v[113:114], v2 offset0:101 offset1:102
	s_waitcnt lgkmcnt(3)
	v_fmac_f32_e32 v153, v139, v115
	v_fmac_f32_e32 v153, v140, v116
	s_waitcnt lgkmcnt(2)
	s_delay_alu instid0(VALU_DEP_1) | instskip(SKIP_1) | instid1(VALU_DEP_1)
	v_fmac_f32_e32 v153, v141, v117
	s_waitcnt vmcnt(2)
	v_fmac_f32_e32 v153, v142, v118
	ds_load_2addr_b32 v[115:116], v2 offset0:103 offset1:104
	ds_load_2addr_b32 v[117:118], v2 offset0:105 offset1:106
	;; [unrolled: 1-line block ×3, first 2 shown]
	s_waitcnt lgkmcnt(4)
	v_fmac_f32_e32 v153, v143, v111
	s_delay_alu instid0(VALU_DEP_1) | instskip(SKIP_1) | instid1(VALU_DEP_1)
	v_fmac_f32_e32 v153, v144, v112
	s_waitcnt lgkmcnt(3)
	v_fmac_f32_e32 v153, v145, v113
	s_waitcnt vmcnt(1)
	s_delay_alu instid0(VALU_DEP_1) | instskip(SKIP_1) | instid1(VALU_DEP_1)
	v_fmac_f32_e32 v153, v146, v114
	s_waitcnt lgkmcnt(2)
	v_fmac_f32_e32 v153, v147, v115
	s_delay_alu instid0(VALU_DEP_1) | instskip(SKIP_1) | instid1(VALU_DEP_1)
	v_fmac_f32_e32 v153, v148, v116
	s_waitcnt lgkmcnt(1)
	v_fmac_f32_e32 v153, v149, v117
	s_waitcnt vmcnt(0)
	s_delay_alu instid0(VALU_DEP_1) | instskip(SKIP_1) | instid1(VALU_DEP_1)
	v_fmac_f32_e32 v153, v150, v118
	s_waitcnt lgkmcnt(0)
	v_fmac_f32_e32 v153, v151, v2
	s_delay_alu instid0(VALU_DEP_1) | instskip(NEXT) | instid1(VALU_DEP_1)
	v_fmac_f32_e32 v153, v152, v3
	v_sub_f32_e32 v2, v110, v153
	scratch_store_b32 off, v2, off offset:40
	v_cmpx_lt_u32_e32 9, v0
	s_cbranch_execz .LBB52_307
; %bb.306:
	scratch_load_b32 v2, off, off offset:36
	v_mov_b32_e32 v3, 0
	scratch_store_b32 off, v3, off offset:36
	s_waitcnt vmcnt(0)
	ds_store_b32 v1, v2
.LBB52_307:
	s_or_b32 exec_lo, exec_lo, s0
	s_waitcnt lgkmcnt(0)
	s_waitcnt_vscnt null, 0x0
	s_barrier
	buffer_gl0_inv
	s_clause 0xa
	scratch_load_b128 v[110:113], off, off offset:36
	scratch_load_b128 v[114:117], off, off offset:52
	;; [unrolled: 1-line block ×11, first 2 shown]
	v_mov_b32_e32 v2, 0
	ds_load_2addr_b64 v[154:157], v2 offset0:33 offset1:34
	ds_load_2addr_b64 v[158:161], v2 offset0:35 offset1:36
	s_mov_b32 s0, exec_lo
	s_waitcnt vmcnt(10) lgkmcnt(1)
	v_fma_f32 v3, v111, v154, 0
	s_delay_alu instid0(VALU_DEP_1) | instskip(NEXT) | instid1(VALU_DEP_1)
	v_fmac_f32_e32 v3, v112, v155
	v_fmac_f32_e32 v3, v113, v156
	s_waitcnt vmcnt(9)
	s_delay_alu instid0(VALU_DEP_1) | instskip(SKIP_3) | instid1(VALU_DEP_1)
	v_fmac_f32_e32 v3, v114, v157
	ds_load_2addr_b64 v[111:114], v2 offset0:37 offset1:38
	s_waitcnt lgkmcnt(1)
	v_fmac_f32_e32 v3, v115, v158
	v_fmac_f32_e32 v3, v116, v159
	s_delay_alu instid0(VALU_DEP_1) | instskip(SKIP_1) | instid1(VALU_DEP_1)
	v_fmac_f32_e32 v3, v117, v160
	s_waitcnt vmcnt(8)
	v_fmac_f32_e32 v3, v118, v161
	ds_load_2addr_b64 v[115:118], v2 offset0:39 offset1:40
	s_waitcnt lgkmcnt(1)
	v_fmac_f32_e32 v3, v119, v111
	s_delay_alu instid0(VALU_DEP_1) | instskip(NEXT) | instid1(VALU_DEP_1)
	v_fmac_f32_e32 v3, v120, v112
	v_fmac_f32_e32 v3, v121, v113
	s_waitcnt vmcnt(7)
	s_delay_alu instid0(VALU_DEP_1) | instskip(SKIP_3) | instid1(VALU_DEP_1)
	v_fmac_f32_e32 v3, v122, v114
	ds_load_2addr_b64 v[111:114], v2 offset0:41 offset1:42
	s_waitcnt lgkmcnt(1)
	v_fmac_f32_e32 v3, v123, v115
	v_fmac_f32_e32 v3, v124, v116
	s_delay_alu instid0(VALU_DEP_1) | instskip(SKIP_1) | instid1(VALU_DEP_1)
	v_fmac_f32_e32 v3, v125, v117
	s_waitcnt vmcnt(6)
	v_fmac_f32_e32 v3, v126, v118
	ds_load_2addr_b64 v[115:118], v2 offset0:43 offset1:44
	s_waitcnt lgkmcnt(1)
	v_fmac_f32_e32 v3, v127, v111
	s_delay_alu instid0(VALU_DEP_1) | instskip(NEXT) | instid1(VALU_DEP_1)
	v_fmac_f32_e32 v3, v128, v112
	v_fmac_f32_e32 v3, v129, v113
	s_waitcnt vmcnt(5)
	s_delay_alu instid0(VALU_DEP_1) | instskip(SKIP_3) | instid1(VALU_DEP_1)
	v_fmac_f32_e32 v3, v130, v114
	ds_load_2addr_b64 v[111:114], v2 offset0:45 offset1:46
	s_waitcnt lgkmcnt(1)
	v_fmac_f32_e32 v3, v131, v115
	v_fmac_f32_e32 v3, v132, v116
	s_delay_alu instid0(VALU_DEP_1) | instskip(SKIP_1) | instid1(VALU_DEP_1)
	v_fmac_f32_e32 v3, v133, v117
	s_waitcnt vmcnt(4)
	v_fmac_f32_e32 v3, v134, v118
	ds_load_2addr_b64 v[115:118], v2 offset0:47 offset1:48
	s_waitcnt lgkmcnt(1)
	v_fmac_f32_e32 v3, v135, v111
	s_delay_alu instid0(VALU_DEP_1) | instskip(NEXT) | instid1(VALU_DEP_1)
	v_fmac_f32_e32 v3, v136, v112
	v_fmac_f32_e32 v3, v137, v113
	s_waitcnt vmcnt(3)
	s_delay_alu instid0(VALU_DEP_1) | instskip(SKIP_3) | instid1(VALU_DEP_1)
	v_fmac_f32_e32 v3, v138, v114
	ds_load_2addr_b64 v[111:114], v2 offset0:49 offset1:50
	s_waitcnt lgkmcnt(1)
	v_fmac_f32_e32 v3, v139, v115
	v_fmac_f32_e32 v3, v140, v116
	s_delay_alu instid0(VALU_DEP_1) | instskip(SKIP_1) | instid1(VALU_DEP_1)
	v_fmac_f32_e32 v3, v141, v117
	s_waitcnt vmcnt(2)
	v_fmac_f32_e32 v3, v142, v118
	ds_load_2addr_b64 v[115:118], v2 offset0:51 offset1:52
	s_waitcnt lgkmcnt(1)
	v_fmac_f32_e32 v3, v143, v111
	s_delay_alu instid0(VALU_DEP_1)
	v_fmac_f32_e32 v3, v144, v112
	ds_load_b64 v[111:112], v2 offset:424
	v_fmac_f32_e32 v3, v145, v113
	ds_load_b32 v113, v2 offset:432
	s_waitcnt vmcnt(1)
	v_fmac_f32_e32 v3, v146, v114
	s_waitcnt lgkmcnt(2)
	s_delay_alu instid0(VALU_DEP_1) | instskip(NEXT) | instid1(VALU_DEP_1)
	v_fmac_f32_e32 v3, v147, v115
	v_fmac_f32_e32 v3, v148, v116
	s_delay_alu instid0(VALU_DEP_1) | instskip(SKIP_1) | instid1(VALU_DEP_1)
	v_fmac_f32_e32 v3, v149, v117
	s_waitcnt vmcnt(0)
	v_fmac_f32_e32 v3, v150, v118
	s_waitcnt lgkmcnt(1)
	s_delay_alu instid0(VALU_DEP_1) | instskip(NEXT) | instid1(VALU_DEP_1)
	v_fmac_f32_e32 v3, v151, v111
	v_fmac_f32_e32 v3, v152, v112
	s_waitcnt lgkmcnt(0)
	s_delay_alu instid0(VALU_DEP_1) | instskip(NEXT) | instid1(VALU_DEP_1)
	v_fmac_f32_e32 v3, v153, v113
	v_sub_f32_e32 v3, v110, v3
	scratch_store_b32 off, v3, off offset:36
	v_cmpx_lt_u32_e32 8, v0
	s_cbranch_execz .LBB52_309
; %bb.308:
	scratch_load_b32 v3, off, off offset:32
	scratch_store_b32 off, v2, off offset:32
	s_waitcnt vmcnt(0)
	ds_store_b32 v1, v3
.LBB52_309:
	s_or_b32 exec_lo, exec_lo, s0
	s_waitcnt lgkmcnt(0)
	s_waitcnt_vscnt null, 0x0
	s_barrier
	buffer_gl0_inv
	s_clause 0xb
	scratch_load_b128 v[110:113], off, off offset:32
	scratch_load_b128 v[114:117], off, off offset:48
	;; [unrolled: 1-line block ×11, first 2 shown]
	scratch_load_b32 v162, off, off offset:208
	ds_load_2addr_b32 v[154:155], v2 offset0:65 offset1:66
	ds_load_2addr_b32 v[156:157], v2 offset0:67 offset1:68
	;; [unrolled: 1-line block ×4, first 2 shown]
	s_mov_b32 s0, exec_lo
	s_waitcnt vmcnt(11) lgkmcnt(3)
	v_fma_f32 v154, v111, v154, 0
	s_delay_alu instid0(VALU_DEP_1) | instskip(SKIP_4) | instid1(VALU_DEP_1)
	v_fmac_f32_e32 v154, v112, v155
	ds_load_2addr_b32 v[111:112], v2 offset0:73 offset1:74
	s_waitcnt lgkmcnt(3)
	v_fmac_f32_e32 v154, v113, v156
	s_waitcnt vmcnt(10)
	v_fmac_f32_e32 v154, v114, v157
	ds_load_2addr_b32 v[113:114], v2 offset0:75 offset1:76
	s_waitcnt lgkmcnt(3)
	v_fmac_f32_e32 v154, v115, v158
	s_delay_alu instid0(VALU_DEP_1) | instskip(SKIP_1) | instid1(VALU_DEP_1)
	v_fmac_f32_e32 v154, v116, v159
	s_waitcnt lgkmcnt(2)
	v_fmac_f32_e32 v154, v117, v160
	s_waitcnt vmcnt(9)
	s_delay_alu instid0(VALU_DEP_1) | instskip(SKIP_4) | instid1(VALU_DEP_1)
	v_fmac_f32_e32 v154, v118, v161
	ds_load_2addr_b32 v[115:116], v2 offset0:77 offset1:78
	ds_load_2addr_b32 v[117:118], v2 offset0:79 offset1:80
	s_waitcnt lgkmcnt(3)
	v_fmac_f32_e32 v154, v119, v111
	v_fmac_f32_e32 v154, v120, v112
	ds_load_2addr_b32 v[111:112], v2 offset0:81 offset1:82
	s_waitcnt lgkmcnt(3)
	v_fmac_f32_e32 v154, v121, v113
	s_waitcnt vmcnt(8)
	s_delay_alu instid0(VALU_DEP_1) | instskip(SKIP_3) | instid1(VALU_DEP_1)
	v_fmac_f32_e32 v154, v122, v114
	ds_load_2addr_b32 v[113:114], v2 offset0:83 offset1:84
	s_waitcnt lgkmcnt(3)
	v_fmac_f32_e32 v154, v123, v115
	v_fmac_f32_e32 v154, v124, v116
	s_waitcnt lgkmcnt(2)
	s_delay_alu instid0(VALU_DEP_1) | instskip(SKIP_1) | instid1(VALU_DEP_1)
	v_fmac_f32_e32 v154, v125, v117
	s_waitcnt vmcnt(7)
	v_fmac_f32_e32 v154, v126, v118
	ds_load_2addr_b32 v[115:116], v2 offset0:85 offset1:86
	ds_load_2addr_b32 v[117:118], v2 offset0:87 offset1:88
	s_waitcnt lgkmcnt(3)
	v_fmac_f32_e32 v154, v127, v111
	s_delay_alu instid0(VALU_DEP_1) | instskip(SKIP_4) | instid1(VALU_DEP_1)
	v_fmac_f32_e32 v154, v128, v112
	ds_load_2addr_b32 v[111:112], v2 offset0:89 offset1:90
	s_waitcnt lgkmcnt(3)
	v_fmac_f32_e32 v154, v129, v113
	s_waitcnt vmcnt(6)
	v_fmac_f32_e32 v154, v130, v114
	ds_load_2addr_b32 v[113:114], v2 offset0:91 offset1:92
	s_waitcnt lgkmcnt(3)
	v_fmac_f32_e32 v154, v131, v115
	s_delay_alu instid0(VALU_DEP_1) | instskip(SKIP_1) | instid1(VALU_DEP_1)
	v_fmac_f32_e32 v154, v132, v116
	s_waitcnt lgkmcnt(2)
	v_fmac_f32_e32 v154, v133, v117
	s_waitcnt vmcnt(5)
	s_delay_alu instid0(VALU_DEP_1) | instskip(SKIP_4) | instid1(VALU_DEP_1)
	v_fmac_f32_e32 v154, v134, v118
	ds_load_2addr_b32 v[115:116], v2 offset0:93 offset1:94
	ds_load_2addr_b32 v[117:118], v2 offset0:95 offset1:96
	s_waitcnt lgkmcnt(3)
	v_fmac_f32_e32 v154, v135, v111
	v_fmac_f32_e32 v154, v136, v112
	ds_load_2addr_b32 v[111:112], v2 offset0:97 offset1:98
	s_waitcnt lgkmcnt(3)
	v_fmac_f32_e32 v154, v137, v113
	s_waitcnt vmcnt(4)
	s_delay_alu instid0(VALU_DEP_1) | instskip(SKIP_3) | instid1(VALU_DEP_1)
	v_fmac_f32_e32 v154, v138, v114
	ds_load_2addr_b32 v[113:114], v2 offset0:99 offset1:100
	s_waitcnt lgkmcnt(3)
	v_fmac_f32_e32 v154, v139, v115
	v_fmac_f32_e32 v154, v140, v116
	s_waitcnt lgkmcnt(2)
	s_delay_alu instid0(VALU_DEP_1) | instskip(SKIP_1) | instid1(VALU_DEP_1)
	v_fmac_f32_e32 v154, v141, v117
	s_waitcnt vmcnt(3)
	v_fmac_f32_e32 v154, v142, v118
	ds_load_2addr_b32 v[115:116], v2 offset0:101 offset1:102
	ds_load_2addr_b32 v[117:118], v2 offset0:103 offset1:104
	s_waitcnt lgkmcnt(3)
	v_fmac_f32_e32 v154, v143, v111
	s_delay_alu instid0(VALU_DEP_1)
	v_fmac_f32_e32 v154, v144, v112
	ds_load_2addr_b32 v[111:112], v2 offset0:105 offset1:106
	ds_load_2addr_b32 v[2:3], v2 offset0:107 offset1:108
	s_waitcnt lgkmcnt(4)
	v_fmac_f32_e32 v154, v145, v113
	s_waitcnt vmcnt(2)
	s_delay_alu instid0(VALU_DEP_1) | instskip(SKIP_1) | instid1(VALU_DEP_1)
	v_fmac_f32_e32 v154, v146, v114
	s_waitcnt lgkmcnt(3)
	v_fmac_f32_e32 v154, v147, v115
	s_delay_alu instid0(VALU_DEP_1) | instskip(SKIP_1) | instid1(VALU_DEP_1)
	v_fmac_f32_e32 v154, v148, v116
	s_waitcnt lgkmcnt(2)
	v_fmac_f32_e32 v154, v149, v117
	s_waitcnt vmcnt(1)
	s_delay_alu instid0(VALU_DEP_1) | instskip(SKIP_1) | instid1(VALU_DEP_1)
	v_fmac_f32_e32 v154, v150, v118
	s_waitcnt lgkmcnt(1)
	v_fmac_f32_e32 v154, v151, v111
	s_delay_alu instid0(VALU_DEP_1) | instskip(SKIP_1) | instid1(VALU_DEP_1)
	v_fmac_f32_e32 v154, v152, v112
	s_waitcnt lgkmcnt(0)
	v_fmac_f32_e32 v154, v153, v2
	s_waitcnt vmcnt(0)
	s_delay_alu instid0(VALU_DEP_1) | instskip(NEXT) | instid1(VALU_DEP_1)
	v_fmac_f32_e32 v154, v162, v3
	v_sub_f32_e32 v2, v110, v154
	scratch_store_b32 off, v2, off offset:32
	v_cmpx_lt_u32_e32 7, v0
	s_cbranch_execz .LBB52_311
; %bb.310:
	scratch_load_b32 v2, off, off offset:28
	v_mov_b32_e32 v3, 0
	scratch_store_b32 off, v3, off offset:28
	s_waitcnt vmcnt(0)
	ds_store_b32 v1, v2
.LBB52_311:
	s_or_b32 exec_lo, exec_lo, s0
	s_waitcnt lgkmcnt(0)
	s_waitcnt_vscnt null, 0x0
	s_barrier
	buffer_gl0_inv
	s_clause 0xb
	scratch_load_b128 v[110:113], off, off offset:28
	scratch_load_b128 v[114:117], off, off offset:44
	;; [unrolled: 1-line block ×11, first 2 shown]
	scratch_load_b64 v[162:163], off, off offset:204
	v_mov_b32_e32 v2, 0
	ds_load_b128 v[154:157], v2 offset:256
	ds_load_b128 v[158:161], v2 offset:272
	s_mov_b32 s0, exec_lo
	s_waitcnt vmcnt(11) lgkmcnt(1)
	v_fma_f32 v3, v111, v154, 0
	s_delay_alu instid0(VALU_DEP_1) | instskip(NEXT) | instid1(VALU_DEP_1)
	v_fmac_f32_e32 v3, v112, v155
	v_fmac_f32_e32 v3, v113, v156
	s_waitcnt vmcnt(10)
	s_delay_alu instid0(VALU_DEP_1) | instskip(SKIP_3) | instid1(VALU_DEP_1)
	v_fmac_f32_e32 v3, v114, v157
	ds_load_b128 v[111:114], v2 offset:288
	s_waitcnt lgkmcnt(1)
	v_fmac_f32_e32 v3, v115, v158
	v_fmac_f32_e32 v3, v116, v159
	s_delay_alu instid0(VALU_DEP_1) | instskip(SKIP_1) | instid1(VALU_DEP_1)
	v_fmac_f32_e32 v3, v117, v160
	s_waitcnt vmcnt(9)
	v_fmac_f32_e32 v3, v118, v161
	ds_load_b128 v[115:118], v2 offset:304
	s_waitcnt lgkmcnt(1)
	v_fmac_f32_e32 v3, v119, v111
	s_delay_alu instid0(VALU_DEP_1) | instskip(NEXT) | instid1(VALU_DEP_1)
	v_fmac_f32_e32 v3, v120, v112
	v_fmac_f32_e32 v3, v121, v113
	s_waitcnt vmcnt(8)
	s_delay_alu instid0(VALU_DEP_1) | instskip(SKIP_3) | instid1(VALU_DEP_1)
	v_fmac_f32_e32 v3, v122, v114
	ds_load_b128 v[111:114], v2 offset:320
	s_waitcnt lgkmcnt(1)
	v_fmac_f32_e32 v3, v123, v115
	v_fmac_f32_e32 v3, v124, v116
	s_delay_alu instid0(VALU_DEP_1) | instskip(SKIP_1) | instid1(VALU_DEP_1)
	v_fmac_f32_e32 v3, v125, v117
	s_waitcnt vmcnt(7)
	v_fmac_f32_e32 v3, v126, v118
	ds_load_b128 v[115:118], v2 offset:336
	s_waitcnt lgkmcnt(1)
	v_fmac_f32_e32 v3, v127, v111
	;; [unrolled: 17-line block ×4, first 2 shown]
	s_delay_alu instid0(VALU_DEP_1) | instskip(NEXT) | instid1(VALU_DEP_1)
	v_fmac_f32_e32 v3, v144, v112
	v_fmac_f32_e32 v3, v145, v113
	s_waitcnt vmcnt(2)
	s_delay_alu instid0(VALU_DEP_1)
	v_fmac_f32_e32 v3, v146, v114
	ds_load_b128 v[111:114], v2 offset:416
	s_waitcnt lgkmcnt(1)
	v_fmac_f32_e32 v3, v147, v115
	ds_load_b32 v115, v2 offset:432
	v_fmac_f32_e32 v3, v148, v116
	s_delay_alu instid0(VALU_DEP_1) | instskip(SKIP_1) | instid1(VALU_DEP_1)
	v_fmac_f32_e32 v3, v149, v117
	s_waitcnt vmcnt(1)
	v_fmac_f32_e32 v3, v150, v118
	s_waitcnt lgkmcnt(1)
	s_delay_alu instid0(VALU_DEP_1) | instskip(NEXT) | instid1(VALU_DEP_1)
	v_fmac_f32_e32 v3, v151, v111
	v_fmac_f32_e32 v3, v152, v112
	s_delay_alu instid0(VALU_DEP_1) | instskip(SKIP_1) | instid1(VALU_DEP_1)
	v_fmac_f32_e32 v3, v153, v113
	s_waitcnt vmcnt(0)
	v_fmac_f32_e32 v3, v162, v114
	s_waitcnt lgkmcnt(0)
	s_delay_alu instid0(VALU_DEP_1) | instskip(NEXT) | instid1(VALU_DEP_1)
	v_fmac_f32_e32 v3, v163, v115
	v_sub_f32_e32 v3, v110, v3
	scratch_store_b32 off, v3, off offset:28
	v_cmpx_lt_u32_e32 6, v0
	s_cbranch_execz .LBB52_313
; %bb.312:
	scratch_load_b32 v3, off, off offset:24
	scratch_store_b32 off, v2, off offset:24
	s_waitcnt vmcnt(0)
	ds_store_b32 v1, v3
.LBB52_313:
	s_or_b32 exec_lo, exec_lo, s0
	s_waitcnt lgkmcnt(0)
	s_waitcnt_vscnt null, 0x0
	s_barrier
	buffer_gl0_inv
	s_clause 0xb
	scratch_load_b128 v[110:113], off, off offset:24
	scratch_load_b128 v[114:117], off, off offset:40
	;; [unrolled: 1-line block ×11, first 2 shown]
	scratch_load_b96 v[154:156], off, off offset:200
	ds_load_2addr_b32 v[157:158], v2 offset0:63 offset1:64
	ds_load_2addr_b32 v[159:160], v2 offset0:65 offset1:66
	ds_load_2addr_b32 v[161:162], v2 offset0:67 offset1:68
	ds_load_2addr_b32 v[163:164], v2 offset0:69 offset1:70
	s_mov_b32 s0, exec_lo
	s_waitcnt vmcnt(11) lgkmcnt(3)
	v_fma_f32 v157, v111, v157, 0
	s_delay_alu instid0(VALU_DEP_1) | instskip(SKIP_4) | instid1(VALU_DEP_1)
	v_fmac_f32_e32 v157, v112, v158
	ds_load_2addr_b32 v[111:112], v2 offset0:71 offset1:72
	s_waitcnt lgkmcnt(3)
	v_fmac_f32_e32 v157, v113, v159
	s_waitcnt vmcnt(10)
	v_fmac_f32_e32 v157, v114, v160
	ds_load_2addr_b32 v[113:114], v2 offset0:73 offset1:74
	s_waitcnt lgkmcnt(3)
	v_fmac_f32_e32 v157, v115, v161
	s_delay_alu instid0(VALU_DEP_1) | instskip(SKIP_1) | instid1(VALU_DEP_1)
	v_fmac_f32_e32 v157, v116, v162
	s_waitcnt lgkmcnt(2)
	v_fmac_f32_e32 v157, v117, v163
	s_waitcnt vmcnt(9)
	s_delay_alu instid0(VALU_DEP_1) | instskip(SKIP_4) | instid1(VALU_DEP_1)
	v_fmac_f32_e32 v157, v118, v164
	ds_load_2addr_b32 v[115:116], v2 offset0:75 offset1:76
	ds_load_2addr_b32 v[117:118], v2 offset0:77 offset1:78
	s_waitcnt lgkmcnt(3)
	v_fmac_f32_e32 v157, v119, v111
	v_fmac_f32_e32 v157, v120, v112
	ds_load_2addr_b32 v[111:112], v2 offset0:79 offset1:80
	s_waitcnt lgkmcnt(3)
	v_fmac_f32_e32 v157, v121, v113
	s_waitcnt vmcnt(8)
	s_delay_alu instid0(VALU_DEP_1) | instskip(SKIP_3) | instid1(VALU_DEP_1)
	v_fmac_f32_e32 v157, v122, v114
	ds_load_2addr_b32 v[113:114], v2 offset0:81 offset1:82
	s_waitcnt lgkmcnt(3)
	v_fmac_f32_e32 v157, v123, v115
	v_fmac_f32_e32 v157, v124, v116
	s_waitcnt lgkmcnt(2)
	s_delay_alu instid0(VALU_DEP_1) | instskip(SKIP_1) | instid1(VALU_DEP_1)
	v_fmac_f32_e32 v157, v125, v117
	s_waitcnt vmcnt(7)
	v_fmac_f32_e32 v157, v126, v118
	ds_load_2addr_b32 v[115:116], v2 offset0:83 offset1:84
	ds_load_2addr_b32 v[117:118], v2 offset0:85 offset1:86
	s_waitcnt lgkmcnt(3)
	v_fmac_f32_e32 v157, v127, v111
	s_delay_alu instid0(VALU_DEP_1) | instskip(SKIP_4) | instid1(VALU_DEP_1)
	v_fmac_f32_e32 v157, v128, v112
	ds_load_2addr_b32 v[111:112], v2 offset0:87 offset1:88
	s_waitcnt lgkmcnt(3)
	v_fmac_f32_e32 v157, v129, v113
	s_waitcnt vmcnt(6)
	v_fmac_f32_e32 v157, v130, v114
	ds_load_2addr_b32 v[113:114], v2 offset0:89 offset1:90
	s_waitcnt lgkmcnt(3)
	v_fmac_f32_e32 v157, v131, v115
	s_delay_alu instid0(VALU_DEP_1) | instskip(SKIP_1) | instid1(VALU_DEP_1)
	v_fmac_f32_e32 v157, v132, v116
	s_waitcnt lgkmcnt(2)
	v_fmac_f32_e32 v157, v133, v117
	s_waitcnt vmcnt(5)
	s_delay_alu instid0(VALU_DEP_1) | instskip(SKIP_4) | instid1(VALU_DEP_1)
	v_fmac_f32_e32 v157, v134, v118
	ds_load_2addr_b32 v[115:116], v2 offset0:91 offset1:92
	ds_load_2addr_b32 v[117:118], v2 offset0:93 offset1:94
	s_waitcnt lgkmcnt(3)
	v_fmac_f32_e32 v157, v135, v111
	v_fmac_f32_e32 v157, v136, v112
	ds_load_2addr_b32 v[111:112], v2 offset0:95 offset1:96
	s_waitcnt lgkmcnt(3)
	v_fmac_f32_e32 v157, v137, v113
	s_waitcnt vmcnt(4)
	s_delay_alu instid0(VALU_DEP_1) | instskip(SKIP_3) | instid1(VALU_DEP_1)
	v_fmac_f32_e32 v157, v138, v114
	ds_load_2addr_b32 v[113:114], v2 offset0:97 offset1:98
	s_waitcnt lgkmcnt(3)
	v_fmac_f32_e32 v157, v139, v115
	v_fmac_f32_e32 v157, v140, v116
	s_waitcnt lgkmcnt(2)
	s_delay_alu instid0(VALU_DEP_1) | instskip(SKIP_1) | instid1(VALU_DEP_1)
	v_fmac_f32_e32 v157, v141, v117
	s_waitcnt vmcnt(3)
	v_fmac_f32_e32 v157, v142, v118
	ds_load_2addr_b32 v[115:116], v2 offset0:99 offset1:100
	ds_load_2addr_b32 v[117:118], v2 offset0:101 offset1:102
	s_waitcnt lgkmcnt(3)
	v_fmac_f32_e32 v157, v143, v111
	s_delay_alu instid0(VALU_DEP_1) | instskip(SKIP_4) | instid1(VALU_DEP_1)
	v_fmac_f32_e32 v157, v144, v112
	ds_load_2addr_b32 v[111:112], v2 offset0:103 offset1:104
	s_waitcnt lgkmcnt(3)
	v_fmac_f32_e32 v157, v145, v113
	s_waitcnt vmcnt(2)
	v_fmac_f32_e32 v157, v146, v114
	ds_load_2addr_b32 v[113:114], v2 offset0:105 offset1:106
	ds_load_2addr_b32 v[2:3], v2 offset0:107 offset1:108
	s_waitcnt lgkmcnt(4)
	v_fmac_f32_e32 v157, v147, v115
	s_delay_alu instid0(VALU_DEP_1) | instskip(SKIP_1) | instid1(VALU_DEP_1)
	v_fmac_f32_e32 v157, v148, v116
	s_waitcnt lgkmcnt(3)
	v_fmac_f32_e32 v157, v149, v117
	s_waitcnt vmcnt(1)
	s_delay_alu instid0(VALU_DEP_1) | instskip(SKIP_1) | instid1(VALU_DEP_1)
	v_fmac_f32_e32 v157, v150, v118
	s_waitcnt lgkmcnt(2)
	v_fmac_f32_e32 v157, v151, v111
	s_delay_alu instid0(VALU_DEP_1) | instskip(SKIP_1) | instid1(VALU_DEP_1)
	v_fmac_f32_e32 v157, v152, v112
	s_waitcnt lgkmcnt(1)
	v_fmac_f32_e32 v157, v153, v113
	s_waitcnt vmcnt(0)
	s_delay_alu instid0(VALU_DEP_1) | instskip(SKIP_1) | instid1(VALU_DEP_1)
	v_fmac_f32_e32 v157, v154, v114
	s_waitcnt lgkmcnt(0)
	v_fmac_f32_e32 v157, v155, v2
	s_delay_alu instid0(VALU_DEP_1) | instskip(NEXT) | instid1(VALU_DEP_1)
	v_fmac_f32_e32 v157, v156, v3
	v_sub_f32_e32 v2, v110, v157
	scratch_store_b32 off, v2, off offset:24
	v_cmpx_lt_u32_e32 5, v0
	s_cbranch_execz .LBB52_315
; %bb.314:
	scratch_load_b32 v2, off, off offset:20
	v_mov_b32_e32 v3, 0
	scratch_store_b32 off, v3, off offset:20
	s_waitcnt vmcnt(0)
	ds_store_b32 v1, v2
.LBB52_315:
	s_or_b32 exec_lo, exec_lo, s0
	s_waitcnt lgkmcnt(0)
	s_waitcnt_vscnt null, 0x0
	s_barrier
	buffer_gl0_inv
	s_clause 0xb
	scratch_load_b128 v[110:113], off, off offset:20
	scratch_load_b128 v[114:117], off, off offset:36
	;; [unrolled: 1-line block ×12, first 2 shown]
	v_mov_b32_e32 v2, 0
	ds_load_2addr_b64 v[158:161], v2 offset0:31 offset1:32
	ds_load_2addr_b64 v[162:165], v2 offset0:33 offset1:34
	s_mov_b32 s0, exec_lo
	s_waitcnt vmcnt(11) lgkmcnt(1)
	v_fma_f32 v3, v111, v158, 0
	s_delay_alu instid0(VALU_DEP_1) | instskip(NEXT) | instid1(VALU_DEP_1)
	v_fmac_f32_e32 v3, v112, v159
	v_fmac_f32_e32 v3, v113, v160
	s_waitcnt vmcnt(10)
	s_delay_alu instid0(VALU_DEP_1) | instskip(SKIP_3) | instid1(VALU_DEP_1)
	v_fmac_f32_e32 v3, v114, v161
	ds_load_2addr_b64 v[111:114], v2 offset0:35 offset1:36
	s_waitcnt lgkmcnt(1)
	v_fmac_f32_e32 v3, v115, v162
	v_fmac_f32_e32 v3, v116, v163
	s_delay_alu instid0(VALU_DEP_1) | instskip(SKIP_1) | instid1(VALU_DEP_1)
	v_fmac_f32_e32 v3, v117, v164
	s_waitcnt vmcnt(9)
	v_fmac_f32_e32 v3, v118, v165
	ds_load_2addr_b64 v[115:118], v2 offset0:37 offset1:38
	s_waitcnt lgkmcnt(1)
	v_fmac_f32_e32 v3, v119, v111
	s_delay_alu instid0(VALU_DEP_1) | instskip(NEXT) | instid1(VALU_DEP_1)
	v_fmac_f32_e32 v3, v120, v112
	v_fmac_f32_e32 v3, v121, v113
	s_waitcnt vmcnt(8)
	s_delay_alu instid0(VALU_DEP_1) | instskip(SKIP_3) | instid1(VALU_DEP_1)
	v_fmac_f32_e32 v3, v122, v114
	ds_load_2addr_b64 v[111:114], v2 offset0:39 offset1:40
	s_waitcnt lgkmcnt(1)
	v_fmac_f32_e32 v3, v123, v115
	v_fmac_f32_e32 v3, v124, v116
	s_delay_alu instid0(VALU_DEP_1) | instskip(SKIP_1) | instid1(VALU_DEP_1)
	v_fmac_f32_e32 v3, v125, v117
	s_waitcnt vmcnt(7)
	v_fmac_f32_e32 v3, v126, v118
	ds_load_2addr_b64 v[115:118], v2 offset0:41 offset1:42
	s_waitcnt lgkmcnt(1)
	v_fmac_f32_e32 v3, v127, v111
	;; [unrolled: 17-line block ×4, first 2 shown]
	s_delay_alu instid0(VALU_DEP_1) | instskip(NEXT) | instid1(VALU_DEP_1)
	v_fmac_f32_e32 v3, v144, v112
	v_fmac_f32_e32 v3, v145, v113
	s_waitcnt vmcnt(2)
	s_delay_alu instid0(VALU_DEP_1) | instskip(SKIP_3) | instid1(VALU_DEP_1)
	v_fmac_f32_e32 v3, v146, v114
	ds_load_2addr_b64 v[111:114], v2 offset0:51 offset1:52
	s_waitcnt lgkmcnt(1)
	v_fmac_f32_e32 v3, v147, v115
	v_fmac_f32_e32 v3, v148, v116
	ds_load_b64 v[115:116], v2 offset:424
	v_fmac_f32_e32 v3, v149, v117
	s_waitcnt vmcnt(1)
	s_delay_alu instid0(VALU_DEP_1) | instskip(SKIP_1) | instid1(VALU_DEP_1)
	v_fmac_f32_e32 v3, v150, v118
	s_waitcnt lgkmcnt(1)
	v_fmac_f32_e32 v3, v151, v111
	ds_load_b32 v111, v2 offset:432
	v_fmac_f32_e32 v3, v152, v112
	s_delay_alu instid0(VALU_DEP_1) | instskip(SKIP_1) | instid1(VALU_DEP_1)
	v_fmac_f32_e32 v3, v153, v113
	s_waitcnt vmcnt(0)
	v_fmac_f32_e32 v3, v154, v114
	s_waitcnt lgkmcnt(1)
	s_delay_alu instid0(VALU_DEP_1) | instskip(NEXT) | instid1(VALU_DEP_1)
	v_fmac_f32_e32 v3, v155, v115
	v_fmac_f32_e32 v3, v156, v116
	s_waitcnt lgkmcnt(0)
	s_delay_alu instid0(VALU_DEP_1) | instskip(NEXT) | instid1(VALU_DEP_1)
	v_fmac_f32_e32 v3, v157, v111
	v_sub_f32_e32 v3, v110, v3
	scratch_store_b32 off, v3, off offset:20
	v_cmpx_lt_u32_e32 4, v0
	s_cbranch_execz .LBB52_317
; %bb.316:
	scratch_load_b32 v3, off, off offset:16
	scratch_store_b32 off, v2, off offset:16
	s_waitcnt vmcnt(0)
	ds_store_b32 v1, v3
.LBB52_317:
	s_or_b32 exec_lo, exec_lo, s0
	s_waitcnt lgkmcnt(0)
	s_waitcnt_vscnt null, 0x0
	s_barrier
	buffer_gl0_inv
	s_clause 0xc
	scratch_load_b128 v[110:113], off, off offset:16
	scratch_load_b128 v[114:117], off, off offset:32
	;; [unrolled: 1-line block ×12, first 2 shown]
	scratch_load_b32 v166, off, off offset:208
	ds_load_2addr_b32 v[158:159], v2 offset0:61 offset1:62
	ds_load_2addr_b32 v[160:161], v2 offset0:63 offset1:64
	;; [unrolled: 1-line block ×4, first 2 shown]
	s_mov_b32 s0, exec_lo
	s_waitcnt vmcnt(12) lgkmcnt(3)
	v_fma_f32 v158, v111, v158, 0
	s_delay_alu instid0(VALU_DEP_1) | instskip(SKIP_4) | instid1(VALU_DEP_1)
	v_fmac_f32_e32 v158, v112, v159
	ds_load_2addr_b32 v[111:112], v2 offset0:69 offset1:70
	s_waitcnt lgkmcnt(3)
	v_fmac_f32_e32 v158, v113, v160
	s_waitcnt vmcnt(11)
	v_fmac_f32_e32 v158, v114, v161
	ds_load_2addr_b32 v[113:114], v2 offset0:71 offset1:72
	s_waitcnt lgkmcnt(3)
	v_fmac_f32_e32 v158, v115, v162
	s_delay_alu instid0(VALU_DEP_1) | instskip(SKIP_1) | instid1(VALU_DEP_1)
	v_fmac_f32_e32 v158, v116, v163
	s_waitcnt lgkmcnt(2)
	v_fmac_f32_e32 v158, v117, v164
	s_waitcnt vmcnt(10)
	s_delay_alu instid0(VALU_DEP_1) | instskip(SKIP_4) | instid1(VALU_DEP_1)
	v_fmac_f32_e32 v158, v118, v165
	ds_load_2addr_b32 v[115:116], v2 offset0:73 offset1:74
	ds_load_2addr_b32 v[117:118], v2 offset0:75 offset1:76
	s_waitcnt lgkmcnt(3)
	v_fmac_f32_e32 v158, v119, v111
	v_fmac_f32_e32 v158, v120, v112
	ds_load_2addr_b32 v[111:112], v2 offset0:77 offset1:78
	s_waitcnt lgkmcnt(3)
	v_fmac_f32_e32 v158, v121, v113
	s_waitcnt vmcnt(9)
	s_delay_alu instid0(VALU_DEP_1) | instskip(SKIP_3) | instid1(VALU_DEP_1)
	v_fmac_f32_e32 v158, v122, v114
	ds_load_2addr_b32 v[113:114], v2 offset0:79 offset1:80
	s_waitcnt lgkmcnt(3)
	v_fmac_f32_e32 v158, v123, v115
	v_fmac_f32_e32 v158, v124, v116
	s_waitcnt lgkmcnt(2)
	s_delay_alu instid0(VALU_DEP_1) | instskip(SKIP_1) | instid1(VALU_DEP_1)
	v_fmac_f32_e32 v158, v125, v117
	s_waitcnt vmcnt(8)
	v_fmac_f32_e32 v158, v126, v118
	ds_load_2addr_b32 v[115:116], v2 offset0:81 offset1:82
	ds_load_2addr_b32 v[117:118], v2 offset0:83 offset1:84
	s_waitcnt lgkmcnt(3)
	v_fmac_f32_e32 v158, v127, v111
	s_delay_alu instid0(VALU_DEP_1) | instskip(SKIP_4) | instid1(VALU_DEP_1)
	v_fmac_f32_e32 v158, v128, v112
	ds_load_2addr_b32 v[111:112], v2 offset0:85 offset1:86
	s_waitcnt lgkmcnt(3)
	v_fmac_f32_e32 v158, v129, v113
	s_waitcnt vmcnt(7)
	v_fmac_f32_e32 v158, v130, v114
	ds_load_2addr_b32 v[113:114], v2 offset0:87 offset1:88
	s_waitcnt lgkmcnt(3)
	v_fmac_f32_e32 v158, v131, v115
	s_delay_alu instid0(VALU_DEP_1) | instskip(SKIP_1) | instid1(VALU_DEP_1)
	v_fmac_f32_e32 v158, v132, v116
	s_waitcnt lgkmcnt(2)
	v_fmac_f32_e32 v158, v133, v117
	s_waitcnt vmcnt(6)
	s_delay_alu instid0(VALU_DEP_1) | instskip(SKIP_4) | instid1(VALU_DEP_1)
	v_fmac_f32_e32 v158, v134, v118
	ds_load_2addr_b32 v[115:116], v2 offset0:89 offset1:90
	ds_load_2addr_b32 v[117:118], v2 offset0:91 offset1:92
	s_waitcnt lgkmcnt(3)
	v_fmac_f32_e32 v158, v135, v111
	v_fmac_f32_e32 v158, v136, v112
	ds_load_2addr_b32 v[111:112], v2 offset0:93 offset1:94
	s_waitcnt lgkmcnt(3)
	v_fmac_f32_e32 v158, v137, v113
	s_waitcnt vmcnt(5)
	s_delay_alu instid0(VALU_DEP_1) | instskip(SKIP_3) | instid1(VALU_DEP_1)
	v_fmac_f32_e32 v158, v138, v114
	ds_load_2addr_b32 v[113:114], v2 offset0:95 offset1:96
	s_waitcnt lgkmcnt(3)
	v_fmac_f32_e32 v158, v139, v115
	v_fmac_f32_e32 v158, v140, v116
	s_waitcnt lgkmcnt(2)
	s_delay_alu instid0(VALU_DEP_1) | instskip(SKIP_1) | instid1(VALU_DEP_1)
	v_fmac_f32_e32 v158, v141, v117
	s_waitcnt vmcnt(4)
	v_fmac_f32_e32 v158, v142, v118
	ds_load_2addr_b32 v[115:116], v2 offset0:97 offset1:98
	ds_load_2addr_b32 v[117:118], v2 offset0:99 offset1:100
	s_waitcnt lgkmcnt(3)
	v_fmac_f32_e32 v158, v143, v111
	s_delay_alu instid0(VALU_DEP_1) | instskip(SKIP_4) | instid1(VALU_DEP_1)
	v_fmac_f32_e32 v158, v144, v112
	ds_load_2addr_b32 v[111:112], v2 offset0:101 offset1:102
	s_waitcnt lgkmcnt(3)
	v_fmac_f32_e32 v158, v145, v113
	s_waitcnt vmcnt(3)
	v_fmac_f32_e32 v158, v146, v114
	ds_load_2addr_b32 v[113:114], v2 offset0:103 offset1:104
	s_waitcnt lgkmcnt(3)
	v_fmac_f32_e32 v158, v147, v115
	s_delay_alu instid0(VALU_DEP_1)
	v_fmac_f32_e32 v158, v148, v116
	ds_load_2addr_b32 v[115:116], v2 offset0:105 offset1:106
	ds_load_2addr_b32 v[2:3], v2 offset0:107 offset1:108
	s_waitcnt lgkmcnt(4)
	v_fmac_f32_e32 v158, v149, v117
	s_waitcnt vmcnt(2)
	s_delay_alu instid0(VALU_DEP_1) | instskip(SKIP_1) | instid1(VALU_DEP_1)
	v_fmac_f32_e32 v158, v150, v118
	s_waitcnt lgkmcnt(3)
	v_fmac_f32_e32 v158, v151, v111
	s_delay_alu instid0(VALU_DEP_1) | instskip(SKIP_1) | instid1(VALU_DEP_1)
	v_fmac_f32_e32 v158, v152, v112
	s_waitcnt lgkmcnt(2)
	v_fmac_f32_e32 v158, v153, v113
	s_waitcnt vmcnt(1)
	s_delay_alu instid0(VALU_DEP_1) | instskip(SKIP_1) | instid1(VALU_DEP_1)
	v_fmac_f32_e32 v158, v154, v114
	s_waitcnt lgkmcnt(1)
	v_fmac_f32_e32 v158, v155, v115
	s_delay_alu instid0(VALU_DEP_1) | instskip(SKIP_1) | instid1(VALU_DEP_1)
	v_fmac_f32_e32 v158, v156, v116
	s_waitcnt lgkmcnt(0)
	v_fmac_f32_e32 v158, v157, v2
	s_waitcnt vmcnt(0)
	s_delay_alu instid0(VALU_DEP_1) | instskip(NEXT) | instid1(VALU_DEP_1)
	v_fmac_f32_e32 v158, v166, v3
	v_sub_f32_e32 v2, v110, v158
	scratch_store_b32 off, v2, off offset:16
	v_cmpx_lt_u32_e32 3, v0
	s_cbranch_execz .LBB52_319
; %bb.318:
	scratch_load_b32 v2, off, off offset:12
	v_mov_b32_e32 v3, 0
	scratch_store_b32 off, v3, off offset:12
	s_waitcnt vmcnt(0)
	ds_store_b32 v1, v2
.LBB52_319:
	s_or_b32 exec_lo, exec_lo, s0
	s_waitcnt lgkmcnt(0)
	s_waitcnt_vscnt null, 0x0
	s_barrier
	buffer_gl0_inv
	s_clause 0xc
	scratch_load_b128 v[110:113], off, off offset:12
	scratch_load_b128 v[114:117], off, off offset:28
	;; [unrolled: 1-line block ×12, first 2 shown]
	scratch_load_b64 v[166:167], off, off offset:204
	v_mov_b32_e32 v2, 0
	ds_load_b128 v[158:161], v2 offset:240
	ds_load_b128 v[162:165], v2 offset:256
	s_mov_b32 s0, exec_lo
	s_waitcnt vmcnt(12) lgkmcnt(1)
	v_fma_f32 v3, v111, v158, 0
	s_delay_alu instid0(VALU_DEP_1) | instskip(NEXT) | instid1(VALU_DEP_1)
	v_fmac_f32_e32 v3, v112, v159
	v_fmac_f32_e32 v3, v113, v160
	s_waitcnt vmcnt(11)
	s_delay_alu instid0(VALU_DEP_1) | instskip(SKIP_3) | instid1(VALU_DEP_1)
	v_fmac_f32_e32 v3, v114, v161
	ds_load_b128 v[111:114], v2 offset:272
	s_waitcnt lgkmcnt(1)
	v_fmac_f32_e32 v3, v115, v162
	v_fmac_f32_e32 v3, v116, v163
	s_delay_alu instid0(VALU_DEP_1) | instskip(SKIP_1) | instid1(VALU_DEP_1)
	v_fmac_f32_e32 v3, v117, v164
	s_waitcnt vmcnt(10)
	v_fmac_f32_e32 v3, v118, v165
	ds_load_b128 v[115:118], v2 offset:288
	s_waitcnt lgkmcnt(1)
	v_fmac_f32_e32 v3, v119, v111
	s_delay_alu instid0(VALU_DEP_1) | instskip(NEXT) | instid1(VALU_DEP_1)
	v_fmac_f32_e32 v3, v120, v112
	v_fmac_f32_e32 v3, v121, v113
	s_waitcnt vmcnt(9)
	s_delay_alu instid0(VALU_DEP_1) | instskip(SKIP_3) | instid1(VALU_DEP_1)
	v_fmac_f32_e32 v3, v122, v114
	ds_load_b128 v[111:114], v2 offset:304
	s_waitcnt lgkmcnt(1)
	v_fmac_f32_e32 v3, v123, v115
	v_fmac_f32_e32 v3, v124, v116
	s_delay_alu instid0(VALU_DEP_1) | instskip(SKIP_1) | instid1(VALU_DEP_1)
	v_fmac_f32_e32 v3, v125, v117
	s_waitcnt vmcnt(8)
	v_fmac_f32_e32 v3, v126, v118
	ds_load_b128 v[115:118], v2 offset:320
	s_waitcnt lgkmcnt(1)
	v_fmac_f32_e32 v3, v127, v111
	;; [unrolled: 17-line block ×5, first 2 shown]
	ds_load_b32 v111, v2 offset:432
	v_fmac_f32_e32 v3, v152, v112
	s_delay_alu instid0(VALU_DEP_1) | instskip(SKIP_1) | instid1(VALU_DEP_1)
	v_fmac_f32_e32 v3, v153, v113
	s_waitcnt vmcnt(1)
	v_fmac_f32_e32 v3, v154, v114
	s_waitcnt lgkmcnt(1)
	s_delay_alu instid0(VALU_DEP_1) | instskip(NEXT) | instid1(VALU_DEP_1)
	v_fmac_f32_e32 v3, v155, v115
	v_fmac_f32_e32 v3, v156, v116
	s_delay_alu instid0(VALU_DEP_1) | instskip(SKIP_1) | instid1(VALU_DEP_1)
	v_fmac_f32_e32 v3, v157, v117
	s_waitcnt vmcnt(0)
	v_fmac_f32_e32 v3, v166, v118
	s_waitcnt lgkmcnt(0)
	s_delay_alu instid0(VALU_DEP_1) | instskip(NEXT) | instid1(VALU_DEP_1)
	v_fmac_f32_e32 v3, v167, v111
	v_sub_f32_e32 v3, v110, v3
	scratch_store_b32 off, v3, off offset:12
	v_cmpx_lt_u32_e32 2, v0
	s_cbranch_execz .LBB52_321
; %bb.320:
	scratch_load_b32 v3, off, off offset:8
	scratch_store_b32 off, v2, off offset:8
	s_waitcnt vmcnt(0)
	ds_store_b32 v1, v3
.LBB52_321:
	s_or_b32 exec_lo, exec_lo, s0
	s_waitcnt lgkmcnt(0)
	s_waitcnt_vscnt null, 0x0
	s_barrier
	buffer_gl0_inv
	s_clause 0xc
	scratch_load_b128 v[110:113], off, off offset:8
	scratch_load_b128 v[114:117], off, off offset:24
	;; [unrolled: 1-line block ×12, first 2 shown]
	scratch_load_b96 v[158:160], off, off offset:200
	ds_load_2addr_b32 v[161:162], v2 offset0:59 offset1:60
	ds_load_2addr_b32 v[163:164], v2 offset0:61 offset1:62
	;; [unrolled: 1-line block ×3, first 2 shown]
	s_mov_b32 s0, exec_lo
	s_waitcnt vmcnt(12) lgkmcnt(2)
	v_fma_f32 v161, v111, v161, 0
	s_delay_alu instid0(VALU_DEP_1) | instskip(SKIP_4) | instid1(VALU_DEP_1)
	v_fmac_f32_e32 v161, v112, v162
	ds_load_2addr_b32 v[111:112], v2 offset0:65 offset1:66
	s_waitcnt lgkmcnt(2)
	v_fmac_f32_e32 v161, v113, v163
	s_waitcnt vmcnt(11)
	v_fmac_f32_e32 v161, v114, v164
	ds_load_2addr_b32 v[113:114], v2 offset0:67 offset1:68
	s_waitcnt lgkmcnt(2)
	v_fmac_f32_e32 v161, v115, v165
	s_delay_alu instid0(VALU_DEP_1) | instskip(SKIP_4) | instid1(VALU_DEP_1)
	v_fmac_f32_e32 v161, v116, v166
	ds_load_2addr_b32 v[115:116], v2 offset0:69 offset1:70
	s_waitcnt lgkmcnt(2)
	v_fmac_f32_e32 v161, v117, v111
	s_waitcnt vmcnt(10)
	v_fmac_f32_e32 v161, v118, v112
	ds_load_2addr_b32 v[111:112], v2 offset0:71 offset1:72
	s_waitcnt lgkmcnt(2)
	v_fmac_f32_e32 v161, v119, v113
	;; [unrolled: 10-line block ×10, first 2 shown]
	s_delay_alu instid0(VALU_DEP_1)
	v_fmac_f32_e32 v161, v152, v116
	ds_load_2addr_b32 v[115:116], v2 offset0:105 offset1:106
	ds_load_2addr_b32 v[2:3], v2 offset0:107 offset1:108
	s_waitcnt lgkmcnt(3)
	v_fmac_f32_e32 v161, v153, v111
	s_waitcnt vmcnt(1)
	s_delay_alu instid0(VALU_DEP_1) | instskip(SKIP_1) | instid1(VALU_DEP_1)
	v_fmac_f32_e32 v161, v154, v112
	s_waitcnt lgkmcnt(2)
	v_fmac_f32_e32 v161, v155, v113
	s_delay_alu instid0(VALU_DEP_1) | instskip(SKIP_1) | instid1(VALU_DEP_1)
	v_fmac_f32_e32 v161, v156, v114
	s_waitcnt lgkmcnt(1)
	v_fmac_f32_e32 v161, v157, v115
	s_waitcnt vmcnt(0)
	s_delay_alu instid0(VALU_DEP_1) | instskip(SKIP_1) | instid1(VALU_DEP_1)
	v_fmac_f32_e32 v161, v158, v116
	s_waitcnt lgkmcnt(0)
	v_fmac_f32_e32 v161, v159, v2
	s_delay_alu instid0(VALU_DEP_1) | instskip(NEXT) | instid1(VALU_DEP_1)
	v_fmac_f32_e32 v161, v160, v3
	v_sub_f32_e32 v2, v110, v161
	scratch_store_b32 off, v2, off offset:8
	v_cmpx_lt_u32_e32 1, v0
	s_cbranch_execz .LBB52_323
; %bb.322:
	scratch_load_b32 v2, off, off offset:4
	v_mov_b32_e32 v3, 0
	scratch_store_b32 off, v3, off offset:4
	s_waitcnt vmcnt(0)
	ds_store_b32 v1, v2
.LBB52_323:
	s_or_b32 exec_lo, exec_lo, s0
	s_waitcnt lgkmcnt(0)
	s_waitcnt_vscnt null, 0x0
	s_barrier
	buffer_gl0_inv
	s_clause 0xc
	scratch_load_b128 v[111:114], off, off offset:4
	scratch_load_b128 v[115:118], off, off offset:20
	;; [unrolled: 1-line block ×13, first 2 shown]
	v_mov_b32_e32 v110, 0
	ds_load_2addr_b64 v[163:166], v110 offset0:29 offset1:30
	ds_load_2addr_b64 v[167:170], v110 offset0:31 offset1:32
	s_mov_b32 s0, exec_lo
	s_waitcnt vmcnt(12) lgkmcnt(1)
	v_fma_f32 v163, v112, v163, 0
	s_delay_alu instid0(VALU_DEP_1) | instskip(SKIP_3) | instid1(VALU_DEP_1)
	v_fmac_f32_e32 v163, v113, v164
	ds_load_b64 v[2:3], v110 offset:424
	v_fmac_f32_e32 v163, v114, v165
	s_waitcnt vmcnt(11)
	v_fmac_f32_e32 v163, v115, v166
	ds_load_2addr_b64 v[112:115], v110 offset0:33 offset1:34
	s_waitcnt lgkmcnt(2)
	v_fmac_f32_e32 v163, v116, v167
	s_delay_alu instid0(VALU_DEP_1) | instskip(NEXT) | instid1(VALU_DEP_1)
	v_fmac_f32_e32 v163, v117, v168
	v_fmac_f32_e32 v163, v118, v169
	s_waitcnt vmcnt(10)
	s_delay_alu instid0(VALU_DEP_1) | instskip(SKIP_3) | instid1(VALU_DEP_1)
	v_fmac_f32_e32 v163, v119, v170
	ds_load_2addr_b64 v[116:119], v110 offset0:35 offset1:36
	s_waitcnt lgkmcnt(1)
	v_fmac_f32_e32 v163, v120, v112
	v_fmac_f32_e32 v163, v121, v113
	s_delay_alu instid0(VALU_DEP_1) | instskip(SKIP_1) | instid1(VALU_DEP_1)
	v_fmac_f32_e32 v163, v122, v114
	s_waitcnt vmcnt(9)
	v_fmac_f32_e32 v163, v123, v115
	ds_load_2addr_b64 v[112:115], v110 offset0:37 offset1:38
	s_waitcnt lgkmcnt(1)
	v_fmac_f32_e32 v163, v124, v116
	s_delay_alu instid0(VALU_DEP_1) | instskip(NEXT) | instid1(VALU_DEP_1)
	v_fmac_f32_e32 v163, v125, v117
	v_fmac_f32_e32 v163, v126, v118
	s_waitcnt vmcnt(8)
	s_delay_alu instid0(VALU_DEP_1) | instskip(SKIP_3) | instid1(VALU_DEP_1)
	v_fmac_f32_e32 v163, v127, v119
	ds_load_2addr_b64 v[116:119], v110 offset0:39 offset1:40
	s_waitcnt lgkmcnt(1)
	v_fmac_f32_e32 v163, v128, v112
	v_fmac_f32_e32 v163, v129, v113
	s_delay_alu instid0(VALU_DEP_1) | instskip(SKIP_1) | instid1(VALU_DEP_1)
	;; [unrolled: 17-line block ×4, first 2 shown]
	v_fmac_f32_e32 v163, v146, v114
	s_waitcnt vmcnt(3)
	v_fmac_f32_e32 v163, v147, v115
	ds_load_2addr_b64 v[112:115], v110 offset0:49 offset1:50
	s_waitcnt lgkmcnt(1)
	v_fmac_f32_e32 v163, v148, v116
	s_delay_alu instid0(VALU_DEP_1) | instskip(NEXT) | instid1(VALU_DEP_1)
	v_fmac_f32_e32 v163, v149, v117
	v_fmac_f32_e32 v163, v150, v118
	s_waitcnt vmcnt(2)
	s_delay_alu instid0(VALU_DEP_1)
	v_fmac_f32_e32 v163, v151, v119
	ds_load_2addr_b64 v[116:119], v110 offset0:51 offset1:52
	s_waitcnt lgkmcnt(1)
	v_fmac_f32_e32 v163, v152, v112
	ds_load_b32 v112, v110 offset:432
	v_fmac_f32_e32 v163, v153, v113
	s_delay_alu instid0(VALU_DEP_1) | instskip(SKIP_1) | instid1(VALU_DEP_1)
	v_fmac_f32_e32 v163, v154, v114
	s_waitcnt vmcnt(1)
	v_fmac_f32_e32 v163, v155, v115
	s_waitcnt lgkmcnt(1)
	s_delay_alu instid0(VALU_DEP_1) | instskip(NEXT) | instid1(VALU_DEP_1)
	v_fmac_f32_e32 v163, v156, v116
	v_fmac_f32_e32 v163, v157, v117
	s_delay_alu instid0(VALU_DEP_1) | instskip(SKIP_1) | instid1(VALU_DEP_1)
	v_fmac_f32_e32 v163, v158, v118
	s_waitcnt vmcnt(0)
	v_fmac_f32_e32 v163, v159, v119
	s_delay_alu instid0(VALU_DEP_1) | instskip(NEXT) | instid1(VALU_DEP_1)
	v_fmac_f32_e32 v163, v160, v2
	v_fmac_f32_e32 v163, v161, v3
	s_waitcnt lgkmcnt(0)
	s_delay_alu instid0(VALU_DEP_1) | instskip(NEXT) | instid1(VALU_DEP_1)
	v_fmac_f32_e32 v163, v162, v112
	v_sub_f32_e32 v2, v111, v163
	scratch_store_b32 off, v2, off offset:4
	v_cmpx_ne_u32_e32 0, v0
	s_cbranch_execz .LBB52_325
; %bb.324:
	scratch_load_b32 v0, off, off
	scratch_store_b32 off, v110, off
	s_waitcnt vmcnt(0)
	ds_store_b32 v1, v0
.LBB52_325:
	s_or_b32 exec_lo, exec_lo, s0
	s_waitcnt lgkmcnt(0)
	s_waitcnt_vscnt null, 0x0
	s_barrier
	buffer_gl0_inv
	s_clause 0xd
	scratch_load_b128 v[111:114], off, off
	scratch_load_b128 v[115:118], off, off offset:16
	scratch_load_b128 v[119:122], off, off offset:32
	;; [unrolled: 1-line block ×12, first 2 shown]
	scratch_load_b32 v167, off, off offset:208
	ds_load_2addr_b32 v[159:160], v110 offset0:57 offset1:58
	ds_load_2addr_b32 v[161:162], v110 offset0:59 offset1:60
	ds_load_2addr_b32 v[163:164], v110 offset0:61 offset1:62
	ds_load_2addr_b32 v[165:166], v110 offset0:63 offset1:64
	s_and_b32 vcc_lo, exec_lo, s16
	s_waitcnt vmcnt(13) lgkmcnt(3)
	v_fma_f32 v159, v112, v159, 0
	s_delay_alu instid0(VALU_DEP_1) | instskip(SKIP_4) | instid1(VALU_DEP_1)
	v_fmac_f32_e32 v159, v113, v160
	ds_load_2addr_b32 v[112:113], v110 offset0:65 offset1:66
	s_waitcnt lgkmcnt(3)
	v_fmac_f32_e32 v159, v114, v161
	s_waitcnt vmcnt(12)
	v_fmac_f32_e32 v159, v115, v162
	ds_load_2addr_b32 v[114:115], v110 offset0:67 offset1:68
	s_waitcnt lgkmcnt(3)
	v_fmac_f32_e32 v159, v116, v163
	s_delay_alu instid0(VALU_DEP_1) | instskip(SKIP_1) | instid1(VALU_DEP_1)
	v_fmac_f32_e32 v159, v117, v164
	s_waitcnt lgkmcnt(2)
	v_fmac_f32_e32 v159, v118, v165
	s_waitcnt vmcnt(11)
	s_delay_alu instid0(VALU_DEP_1) | instskip(SKIP_4) | instid1(VALU_DEP_1)
	v_fmac_f32_e32 v159, v119, v166
	ds_load_2addr_b32 v[116:117], v110 offset0:69 offset1:70
	ds_load_2addr_b32 v[118:119], v110 offset0:71 offset1:72
	s_waitcnt lgkmcnt(3)
	v_fmac_f32_e32 v159, v120, v112
	v_fmac_f32_e32 v159, v121, v113
	ds_load_2addr_b32 v[112:113], v110 offset0:73 offset1:74
	s_waitcnt lgkmcnt(3)
	v_fmac_f32_e32 v159, v122, v114
	s_waitcnt vmcnt(10)
	s_delay_alu instid0(VALU_DEP_1) | instskip(SKIP_3) | instid1(VALU_DEP_1)
	v_fmac_f32_e32 v159, v123, v115
	ds_load_2addr_b32 v[114:115], v110 offset0:75 offset1:76
	s_waitcnt lgkmcnt(3)
	v_fmac_f32_e32 v159, v124, v116
	v_fmac_f32_e32 v159, v125, v117
	s_waitcnt lgkmcnt(2)
	s_delay_alu instid0(VALU_DEP_1) | instskip(SKIP_1) | instid1(VALU_DEP_1)
	v_fmac_f32_e32 v159, v126, v118
	s_waitcnt vmcnt(9)
	v_fmac_f32_e32 v159, v127, v119
	ds_load_2addr_b32 v[116:117], v110 offset0:77 offset1:78
	ds_load_2addr_b32 v[118:119], v110 offset0:79 offset1:80
	s_waitcnt lgkmcnt(3)
	v_fmac_f32_e32 v159, v128, v112
	s_delay_alu instid0(VALU_DEP_1) | instskip(SKIP_4) | instid1(VALU_DEP_1)
	v_fmac_f32_e32 v159, v129, v113
	ds_load_2addr_b32 v[112:113], v110 offset0:81 offset1:82
	s_waitcnt lgkmcnt(3)
	v_fmac_f32_e32 v159, v130, v114
	s_waitcnt vmcnt(8)
	v_fmac_f32_e32 v159, v131, v115
	ds_load_2addr_b32 v[114:115], v110 offset0:83 offset1:84
	s_waitcnt lgkmcnt(3)
	v_fmac_f32_e32 v159, v132, v116
	s_delay_alu instid0(VALU_DEP_1) | instskip(SKIP_1) | instid1(VALU_DEP_1)
	v_fmac_f32_e32 v159, v133, v117
	s_waitcnt lgkmcnt(2)
	v_fmac_f32_e32 v159, v134, v118
	s_waitcnt vmcnt(7)
	s_delay_alu instid0(VALU_DEP_1) | instskip(SKIP_4) | instid1(VALU_DEP_1)
	v_fmac_f32_e32 v159, v135, v119
	ds_load_2addr_b32 v[116:117], v110 offset0:85 offset1:86
	ds_load_2addr_b32 v[118:119], v110 offset0:87 offset1:88
	s_waitcnt lgkmcnt(3)
	v_fmac_f32_e32 v159, v136, v112
	v_fmac_f32_e32 v159, v137, v113
	ds_load_2addr_b32 v[112:113], v110 offset0:89 offset1:90
	s_waitcnt lgkmcnt(3)
	v_fmac_f32_e32 v159, v138, v114
	s_waitcnt vmcnt(6)
	s_delay_alu instid0(VALU_DEP_1) | instskip(SKIP_3) | instid1(VALU_DEP_1)
	v_fmac_f32_e32 v159, v139, v115
	ds_load_2addr_b32 v[114:115], v110 offset0:91 offset1:92
	s_waitcnt lgkmcnt(3)
	v_fmac_f32_e32 v159, v140, v116
	v_fmac_f32_e32 v159, v141, v117
	s_waitcnt lgkmcnt(2)
	s_delay_alu instid0(VALU_DEP_1) | instskip(SKIP_1) | instid1(VALU_DEP_1)
	v_fmac_f32_e32 v159, v142, v118
	s_waitcnt vmcnt(5)
	v_fmac_f32_e32 v159, v143, v119
	ds_load_2addr_b32 v[116:117], v110 offset0:93 offset1:94
	ds_load_2addr_b32 v[118:119], v110 offset0:95 offset1:96
	s_waitcnt lgkmcnt(3)
	v_fmac_f32_e32 v159, v144, v112
	s_delay_alu instid0(VALU_DEP_1) | instskip(SKIP_4) | instid1(VALU_DEP_1)
	v_fmac_f32_e32 v159, v145, v113
	ds_load_2addr_b32 v[112:113], v110 offset0:97 offset1:98
	s_waitcnt lgkmcnt(3)
	v_fmac_f32_e32 v159, v146, v114
	s_waitcnt vmcnt(4)
	v_fmac_f32_e32 v159, v147, v115
	ds_load_2addr_b32 v[114:115], v110 offset0:99 offset1:100
	s_waitcnt lgkmcnt(3)
	v_fmac_f32_e32 v159, v148, v116
	s_delay_alu instid0(VALU_DEP_1) | instskip(SKIP_1) | instid1(VALU_DEP_1)
	v_fmac_f32_e32 v159, v149, v117
	s_waitcnt lgkmcnt(2)
	v_fmac_f32_e32 v159, v150, v118
	s_waitcnt vmcnt(3)
	s_delay_alu instid0(VALU_DEP_1) | instskip(SKIP_4) | instid1(VALU_DEP_1)
	v_fmac_f32_e32 v159, v151, v119
	ds_load_2addr_b32 v[116:117], v110 offset0:101 offset1:102
	ds_load_2addr_b32 v[118:119], v110 offset0:103 offset1:104
	s_waitcnt lgkmcnt(3)
	v_fmac_f32_e32 v159, v152, v112
	v_fmac_f32_e32 v159, v153, v113
	ds_load_2addr_b32 v[112:113], v110 offset0:105 offset1:106
	s_waitcnt lgkmcnt(3)
	v_fmac_f32_e32 v159, v154, v114
	s_waitcnt vmcnt(2)
	s_delay_alu instid0(VALU_DEP_1) | instskip(SKIP_3) | instid1(VALU_DEP_1)
	v_fmac_f32_e32 v159, v155, v115
	ds_load_2addr_b32 v[114:115], v110 offset0:107 offset1:108
	s_waitcnt lgkmcnt(3)
	v_fmac_f32_e32 v159, v156, v116
	v_fmac_f32_e32 v159, v157, v117
	s_waitcnt lgkmcnt(2)
	s_delay_alu instid0(VALU_DEP_1) | instskip(SKIP_1) | instid1(VALU_DEP_1)
	v_fmac_f32_e32 v159, v158, v118
	s_waitcnt vmcnt(1)
	v_fmac_f32_e32 v159, v0, v119
	s_waitcnt lgkmcnt(1)
	s_delay_alu instid0(VALU_DEP_1) | instskip(NEXT) | instid1(VALU_DEP_1)
	v_fmac_f32_e32 v159, v1, v112
	v_fmac_f32_e32 v159, v2, v113
	s_waitcnt lgkmcnt(0)
	s_delay_alu instid0(VALU_DEP_1) | instskip(SKIP_1) | instid1(VALU_DEP_1)
	v_fmac_f32_e32 v159, v3, v114
	s_waitcnt vmcnt(0)
	v_fmac_f32_e32 v159, v167, v115
	s_delay_alu instid0(VALU_DEP_1)
	v_sub_f32_e32 v0, v111, v159
	scratch_store_b32 off, v0, off
	s_cbranch_vccz .LBB52_431
; %bb.326:
	v_dual_mov_b32 v0, s12 :: v_dual_mov_b32 v1, s13
	s_mov_b32 s0, exec_lo
	flat_load_b32 v0, v[0:1] offset:204
	s_waitcnt vmcnt(0) lgkmcnt(0)
	v_cmpx_ne_u32_e32 52, v0
	s_cbranch_execz .LBB52_328
; %bb.327:
	v_lshl_add_u32 v0, v0, 2, 0
	scratch_load_b32 v1, v0, off offset:-4
	s_waitcnt vmcnt(0)
	scratch_store_b32 off, v1, off offset:204
	scratch_store_b32 v0, v3, off offset:-4
.LBB52_328:
	s_or_b32 exec_lo, exec_lo, s0
	v_dual_mov_b32 v0, s12 :: v_dual_mov_b32 v1, s13
	s_mov_b32 s0, exec_lo
	flat_load_b32 v0, v[0:1] offset:200
	s_waitcnt vmcnt(0) lgkmcnt(0)
	v_cmpx_ne_u32_e32 51, v0
	s_cbranch_execz .LBB52_330
; %bb.329:
	v_lshl_add_u32 v0, v0, 2, 0
	scratch_load_b32 v1, v0, off offset:-4
	scratch_load_b32 v2, off, off offset:200
	s_waitcnt vmcnt(1)
	scratch_store_b32 off, v1, off offset:200
	s_waitcnt vmcnt(0)
	scratch_store_b32 v0, v2, off offset:-4
.LBB52_330:
	s_or_b32 exec_lo, exec_lo, s0
	v_dual_mov_b32 v0, s12 :: v_dual_mov_b32 v1, s13
	s_mov_b32 s0, exec_lo
	flat_load_b32 v0, v[0:1] offset:196
	s_waitcnt vmcnt(0) lgkmcnt(0)
	v_cmpx_ne_u32_e32 50, v0
	s_cbranch_execz .LBB52_332
; %bb.331:
	v_lshl_add_u32 v0, v0, 2, 0
	scratch_load_b32 v1, v0, off offset:-4
	scratch_load_b32 v2, off, off offset:196
	s_waitcnt vmcnt(1)
	scratch_store_b32 off, v1, off offset:196
	s_waitcnt vmcnt(0)
	scratch_store_b32 v0, v2, off offset:-4
.LBB52_332:
	;; [unrolled: 16-line block ×50, first 2 shown]
	s_or_b32 exec_lo, exec_lo, s0
	v_dual_mov_b32 v0, s12 :: v_dual_mov_b32 v1, s13
	s_mov_b32 s0, exec_lo
	flat_load_b32 v1, v[0:1]
	scratch_load_b32 v0, off, off
	s_waitcnt vmcnt(1) lgkmcnt(0)
	v_cmpx_ne_u32_e32 1, v1
	s_cbranch_execz .LBB52_430
; %bb.429:
	v_lshl_add_u32 v1, v1, 2, 0
	scratch_load_b32 v2, v1, off offset:-4
	s_waitcnt vmcnt(0)
	scratch_store_b32 off, v2, off
	scratch_store_b32 v1, v0, off offset:-4
	scratch_load_b32 v0, off, off
.LBB52_430:
	s_or_b32 exec_lo, exec_lo, s0
.LBB52_431:
	s_clause 0xc
	scratch_load_b128 v[110:113], off, off offset:4
	scratch_load_b128 v[114:117], off, off offset:20
	;; [unrolled: 1-line block ×13, first 2 shown]
	s_waitcnt vmcnt(13)
	global_store_b32 v[4:5], v0, off
	s_waitcnt vmcnt(12)
	s_clause 0x3
	global_store_b32 v[6:7], v110, off
	global_store_b32 v[8:9], v111, off
	global_store_b32 v[10:11], v112, off
	global_store_b32 v[12:13], v113, off
	s_waitcnt vmcnt(11)
	s_clause 0x3
	global_store_b32 v[14:15], v114, off
	global_store_b32 v[16:17], v115, off
	global_store_b32 v[18:19], v116, off
	;; [unrolled: 6-line block ×13, first 2 shown]
	global_store_b32 v[58:59], v161, off
	s_endpgm
	.section	.rodata,"a",@progbits
	.p2align	6, 0x0
	.amdhsa_kernel _ZN9rocsolver6v33100L18getri_kernel_smallILi53EfPfEEvT1_iilPiilS4_bb
		.amdhsa_group_segment_fixed_size 436
		.amdhsa_private_segment_fixed_size 224
		.amdhsa_kernarg_size 60
		.amdhsa_user_sgpr_count 15
		.amdhsa_user_sgpr_dispatch_ptr 0
		.amdhsa_user_sgpr_queue_ptr 0
		.amdhsa_user_sgpr_kernarg_segment_ptr 1
		.amdhsa_user_sgpr_dispatch_id 0
		.amdhsa_user_sgpr_private_segment_size 0
		.amdhsa_wavefront_size32 1
		.amdhsa_uses_dynamic_stack 0
		.amdhsa_enable_private_segment 1
		.amdhsa_system_sgpr_workgroup_id_x 1
		.amdhsa_system_sgpr_workgroup_id_y 0
		.amdhsa_system_sgpr_workgroup_id_z 0
		.amdhsa_system_sgpr_workgroup_info 0
		.amdhsa_system_vgpr_workitem_id 0
		.amdhsa_next_free_vgpr 171
		.amdhsa_next_free_sgpr 18
		.amdhsa_reserve_vcc 1
		.amdhsa_float_round_mode_32 0
		.amdhsa_float_round_mode_16_64 0
		.amdhsa_float_denorm_mode_32 3
		.amdhsa_float_denorm_mode_16_64 3
		.amdhsa_dx10_clamp 1
		.amdhsa_ieee_mode 1
		.amdhsa_fp16_overflow 0
		.amdhsa_workgroup_processor_mode 1
		.amdhsa_memory_ordered 1
		.amdhsa_forward_progress 0
		.amdhsa_shared_vgpr_count 0
		.amdhsa_exception_fp_ieee_invalid_op 0
		.amdhsa_exception_fp_denorm_src 0
		.amdhsa_exception_fp_ieee_div_zero 0
		.amdhsa_exception_fp_ieee_overflow 0
		.amdhsa_exception_fp_ieee_underflow 0
		.amdhsa_exception_fp_ieee_inexact 0
		.amdhsa_exception_int_div_zero 0
	.end_amdhsa_kernel
	.section	.text._ZN9rocsolver6v33100L18getri_kernel_smallILi53EfPfEEvT1_iilPiilS4_bb,"axG",@progbits,_ZN9rocsolver6v33100L18getri_kernel_smallILi53EfPfEEvT1_iilPiilS4_bb,comdat
.Lfunc_end52:
	.size	_ZN9rocsolver6v33100L18getri_kernel_smallILi53EfPfEEvT1_iilPiilS4_bb, .Lfunc_end52-_ZN9rocsolver6v33100L18getri_kernel_smallILi53EfPfEEvT1_iilPiilS4_bb
                                        ; -- End function
	.section	.AMDGPU.csdata,"",@progbits
; Kernel info:
; codeLenInByte = 40272
; NumSgprs: 20
; NumVgprs: 171
; ScratchSize: 224
; MemoryBound: 0
; FloatMode: 240
; IeeeMode: 1
; LDSByteSize: 436 bytes/workgroup (compile time only)
; SGPRBlocks: 2
; VGPRBlocks: 21
; NumSGPRsForWavesPerEU: 20
; NumVGPRsForWavesPerEU: 171
; Occupancy: 8
; WaveLimiterHint : 1
; COMPUTE_PGM_RSRC2:SCRATCH_EN: 1
; COMPUTE_PGM_RSRC2:USER_SGPR: 15
; COMPUTE_PGM_RSRC2:TRAP_HANDLER: 0
; COMPUTE_PGM_RSRC2:TGID_X_EN: 1
; COMPUTE_PGM_RSRC2:TGID_Y_EN: 0
; COMPUTE_PGM_RSRC2:TGID_Z_EN: 0
; COMPUTE_PGM_RSRC2:TIDIG_COMP_CNT: 0
	.section	.text._ZN9rocsolver6v33100L18getri_kernel_smallILi54EfPfEEvT1_iilPiilS4_bb,"axG",@progbits,_ZN9rocsolver6v33100L18getri_kernel_smallILi54EfPfEEvT1_iilPiilS4_bb,comdat
	.globl	_ZN9rocsolver6v33100L18getri_kernel_smallILi54EfPfEEvT1_iilPiilS4_bb ; -- Begin function _ZN9rocsolver6v33100L18getri_kernel_smallILi54EfPfEEvT1_iilPiilS4_bb
	.p2align	8
	.type	_ZN9rocsolver6v33100L18getri_kernel_smallILi54EfPfEEvT1_iilPiilS4_bb,@function
_ZN9rocsolver6v33100L18getri_kernel_smallILi54EfPfEEvT1_iilPiilS4_bb: ; @_ZN9rocsolver6v33100L18getri_kernel_smallILi54EfPfEEvT1_iilPiilS4_bb
; %bb.0:
	s_mov_b32 s2, exec_lo
	v_cmpx_gt_u32_e32 54, v0
	s_cbranch_execz .LBB53_224
; %bb.1:
	s_clause 0x2
	s_load_b32 s17, s[0:1], 0x38
	s_load_b128 s[8:11], s[0:1], 0x10
	s_load_b128 s[4:7], s[0:1], 0x28
	s_mov_b32 s14, s15
                                        ; implicit-def: $sgpr12_sgpr13
	s_waitcnt lgkmcnt(0)
	s_bitcmp1_b32 s17, 8
	s_cselect_b32 s16, -1, 0
	s_bfe_u32 s2, s17, 0x10008
	s_ashr_i32 s15, s15, 31
	s_cmp_eq_u32 s2, 0
	s_cbranch_scc1 .LBB53_3
; %bb.2:
	s_load_b32 s2, s[0:1], 0x20
	s_mul_i32 s3, s14, s5
	s_mul_hi_u32 s5, s14, s4
	s_mul_i32 s12, s15, s4
	s_add_i32 s3, s5, s3
	s_mul_i32 s4, s14, s4
	s_add_i32 s5, s3, s12
	s_delay_alu instid0(SALU_CYCLE_1)
	s_lshl_b64 s[4:5], s[4:5], 2
	s_waitcnt lgkmcnt(0)
	s_ashr_i32 s3, s2, 31
	s_add_u32 s4, s10, s4
	s_addc_u32 s5, s11, s5
	s_lshl_b64 s[2:3], s[2:3], 2
	s_delay_alu instid0(SALU_CYCLE_1)
	s_add_u32 s12, s4, s2
	s_addc_u32 s13, s5, s3
.LBB53_3:
	s_load_b128 s[0:3], s[0:1], 0x0
	s_mul_i32 s4, s14, s9
	s_mul_hi_u32 s5, s14, s8
	s_mul_i32 s9, s15, s8
	s_add_i32 s5, s5, s4
	s_mul_i32 s4, s14, s8
	s_add_i32 s5, s5, s9
	v_lshlrev_b32_e32 v109, 2, v0
	s_lshl_b64 s[4:5], s[4:5], 2
	s_waitcnt lgkmcnt(0)
	v_add3_u32 v3, s3, s3, v0
	s_ashr_i32 s9, s2, 31
	s_mov_b32 s8, s2
	s_add_u32 s2, s0, s4
	s_addc_u32 s4, s1, s5
	v_add_nc_u32_e32 v5, s3, v3
	s_lshl_b64 s[0:1], s[8:9], 2
	v_ashrrev_i32_e32 v4, 31, v3
	s_add_u32 s0, s2, s0
	s_addc_u32 s1, s4, s1
	v_add_nc_u32_e32 v7, s3, v5
	v_add_co_u32 v1, s2, s0, v109
	v_ashrrev_i32_e32 v6, 31, v5
	s_mov_b32 s10, s3
	s_delay_alu instid0(VALU_DEP_3) | instskip(SKIP_3) | instid1(VALU_DEP_3)
	v_add_nc_u32_e32 v9, s3, v7
	s_ashr_i32 s11, s3, 31
	v_add_co_ci_u32_e64 v2, null, s1, 0, s2
	v_lshlrev_b64 v[42:43], 2, v[3:4]
	v_add_nc_u32_e32 v11, s3, v9
	s_lshl_b64 s[4:5], s[10:11], 2
	v_lshlrev_b64 v[45:46], 2, v[5:6]
	v_add_co_u32 v3, vcc_lo, v1, s4
	s_delay_alu instid0(VALU_DEP_3) | instskip(SKIP_3) | instid1(VALU_DEP_4)
	v_add_nc_u32_e32 v13, s3, v11
	v_ashrrev_i32_e32 v8, 31, v7
	v_add_co_ci_u32_e32 v4, vcc_lo, s5, v2, vcc_lo
	v_add_co_u32 v5, vcc_lo, s0, v42
	v_add_nc_u32_e32 v15, s3, v13
	v_ashrrev_i32_e32 v10, 31, v9
	v_add_co_ci_u32_e32 v6, vcc_lo, s1, v43, vcc_lo
	v_lshlrev_b64 v[42:43], 2, v[7:8]
	s_delay_alu instid0(VALU_DEP_4) | instskip(SKIP_2) | instid1(VALU_DEP_3)
	v_add_nc_u32_e32 v17, s3, v15
	v_add_co_u32 v7, vcc_lo, s0, v45
	v_add_co_ci_u32_e32 v8, vcc_lo, s1, v46, vcc_lo
	v_add_nc_u32_e32 v19, s3, v17
	v_lshlrev_b64 v[45:46], 2, v[9:10]
	v_ashrrev_i32_e32 v12, 31, v11
	v_add_co_u32 v9, vcc_lo, s0, v42
	s_delay_alu instid0(VALU_DEP_4) | instskip(SKIP_3) | instid1(VALU_DEP_4)
	v_add_nc_u32_e32 v21, s3, v19
	v_ashrrev_i32_e32 v14, 31, v13
	v_add_co_ci_u32_e32 v10, vcc_lo, s1, v43, vcc_lo
	v_lshlrev_b64 v[42:43], 2, v[11:12]
	v_add_nc_u32_e32 v23, s3, v21
	v_add_co_u32 v11, vcc_lo, s0, v45
	v_add_co_ci_u32_e32 v12, vcc_lo, s1, v46, vcc_lo
	s_delay_alu instid0(VALU_DEP_3) | instskip(SKIP_3) | instid1(VALU_DEP_4)
	v_add_nc_u32_e32 v25, s3, v23
	v_lshlrev_b64 v[45:46], 2, v[13:14]
	v_ashrrev_i32_e32 v16, 31, v15
	v_add_co_u32 v13, vcc_lo, s0, v42
	v_add_nc_u32_e32 v27, s3, v25
	v_ashrrev_i32_e32 v18, 31, v17
	v_add_co_ci_u32_e32 v14, vcc_lo, s1, v43, vcc_lo
	v_lshlrev_b64 v[42:43], 2, v[15:16]
	s_delay_alu instid0(VALU_DEP_4) | instskip(SKIP_2) | instid1(VALU_DEP_3)
	v_add_nc_u32_e32 v29, s3, v27
	v_add_co_u32 v15, vcc_lo, s0, v45
	v_add_co_ci_u32_e32 v16, vcc_lo, s1, v46, vcc_lo
	v_add_nc_u32_e32 v31, s3, v29
	v_lshlrev_b64 v[45:46], 2, v[17:18]
	v_ashrrev_i32_e32 v20, 31, v19
	v_add_co_u32 v17, vcc_lo, s0, v42
	s_delay_alu instid0(VALU_DEP_4) | instskip(SKIP_3) | instid1(VALU_DEP_4)
	v_add_nc_u32_e32 v33, s3, v31
	v_ashrrev_i32_e32 v22, 31, v21
	v_add_co_ci_u32_e32 v18, vcc_lo, s1, v43, vcc_lo
	v_lshlrev_b64 v[42:43], 2, v[19:20]
	v_add_nc_u32_e32 v35, s3, v33
	v_add_co_u32 v19, vcc_lo, s0, v45
	v_add_co_ci_u32_e32 v20, vcc_lo, s1, v46, vcc_lo
	s_delay_alu instid0(VALU_DEP_3) | instskip(SKIP_3) | instid1(VALU_DEP_4)
	v_add_nc_u32_e32 v37, s3, v35
	v_lshlrev_b64 v[45:46], 2, v[21:22]
	v_ashrrev_i32_e32 v24, 31, v23
	v_add_co_u32 v21, vcc_lo, s0, v42
	v_add_nc_u32_e32 v39, s3, v37
	v_ashrrev_i32_e32 v26, 31, v25
	v_add_co_ci_u32_e32 v22, vcc_lo, s1, v43, vcc_lo
	v_lshlrev_b64 v[42:43], 2, v[23:24]
	s_delay_alu instid0(VALU_DEP_4) | instskip(SKIP_2) | instid1(VALU_DEP_3)
	v_add_nc_u32_e32 v41, s3, v39
	v_add_co_u32 v23, vcc_lo, s0, v45
	v_add_co_ci_u32_e32 v24, vcc_lo, s1, v46, vcc_lo
	v_add_nc_u32_e32 v44, s3, v41
	v_lshlrev_b64 v[45:46], 2, v[25:26]
	v_ashrrev_i32_e32 v28, 31, v27
	v_add_co_u32 v25, vcc_lo, s0, v42
	s_delay_alu instid0(VALU_DEP_4) | instskip(SKIP_3) | instid1(VALU_DEP_4)
	v_add_nc_u32_e32 v47, s3, v44
	v_ashrrev_i32_e32 v30, 31, v29
	v_add_co_ci_u32_e32 v26, vcc_lo, s1, v43, vcc_lo
	v_lshlrev_b64 v[42:43], 2, v[27:28]
	v_add_nc_u32_e32 v49, s3, v47
	v_add_co_u32 v27, vcc_lo, s0, v45
	v_add_co_ci_u32_e32 v28, vcc_lo, s1, v46, vcc_lo
	s_delay_alu instid0(VALU_DEP_3) | instskip(SKIP_3) | instid1(VALU_DEP_4)
	v_add_nc_u32_e32 v51, s3, v49
	v_lshlrev_b64 v[45:46], 2, v[29:30]
	v_ashrrev_i32_e32 v32, 31, v31
	v_add_co_u32 v29, vcc_lo, s0, v42
	v_add_nc_u32_e32 v53, s3, v51
	v_ashrrev_i32_e32 v34, 31, v33
	v_add_co_ci_u32_e32 v30, vcc_lo, s1, v43, vcc_lo
	v_lshlrev_b64 v[42:43], 2, v[31:32]
	s_delay_alu instid0(VALU_DEP_4) | instskip(SKIP_2) | instid1(VALU_DEP_3)
	v_add_nc_u32_e32 v55, s3, v53
	v_add_co_u32 v31, vcc_lo, s0, v45
	v_add_co_ci_u32_e32 v32, vcc_lo, s1, v46, vcc_lo
	v_add_nc_u32_e32 v57, s3, v55
	v_lshlrev_b64 v[45:46], 2, v[33:34]
	v_ashrrev_i32_e32 v36, 31, v35
	v_add_co_u32 v33, vcc_lo, s0, v42
	s_delay_alu instid0(VALU_DEP_4) | instskip(SKIP_3) | instid1(VALU_DEP_4)
	v_add_nc_u32_e32 v59, s3, v57
	v_ashrrev_i32_e32 v38, 31, v37
	v_add_co_ci_u32_e32 v34, vcc_lo, s1, v43, vcc_lo
	v_lshlrev_b64 v[42:43], 2, v[35:36]
	v_add_nc_u32_e32 v61, s3, v59
	v_add_co_u32 v35, vcc_lo, s0, v45
	v_add_co_ci_u32_e32 v36, vcc_lo, s1, v46, vcc_lo
	s_delay_alu instid0(VALU_DEP_3) | instskip(SKIP_3) | instid1(VALU_DEP_4)
	v_add_nc_u32_e32 v63, s3, v61
	v_lshlrev_b64 v[45:46], 2, v[37:38]
	v_ashrrev_i32_e32 v40, 31, v39
	v_add_co_u32 v37, vcc_lo, s0, v42
	v_add_nc_u32_e32 v65, s3, v63
	v_ashrrev_i32_e32 v42, 31, v41
	v_add_co_ci_u32_e32 v38, vcc_lo, s1, v43, vcc_lo
	v_lshlrev_b64 v[66:67], 2, v[39:40]
	s_delay_alu instid0(VALU_DEP_4) | instskip(SKIP_3) | instid1(VALU_DEP_4)
	v_add_nc_u32_e32 v69, s3, v65
	v_add_co_u32 v39, vcc_lo, s0, v45
	v_ashrrev_i32_e32 v45, 31, v44
	v_lshlrev_b64 v[88:89], 2, v[41:42]
	v_add_nc_u32_e32 v71, s3, v69
	v_ashrrev_i32_e32 v48, 31, v47
	v_add_co_ci_u32_e32 v40, vcc_lo, s1, v46, vcc_lo
	v_add_co_u32 v41, vcc_lo, s0, v66
	s_delay_alu instid0(VALU_DEP_4) | instskip(SKIP_3) | instid1(VALU_DEP_4)
	v_add_nc_u32_e32 v73, s3, v71
	v_lshlrev_b64 v[45:46], 2, v[44:45]
	v_ashrrev_i32_e32 v50, 31, v49
	v_add_co_ci_u32_e32 v42, vcc_lo, s1, v67, vcc_lo
	v_add_nc_u32_e32 v75, s3, v73
	v_add_co_u32 v43, vcc_lo, s0, v88
	v_lshlrev_b64 v[47:48], 2, v[47:48]
	v_ashrrev_i32_e32 v52, 31, v51
	s_delay_alu instid0(VALU_DEP_4) | instskip(SKIP_2) | instid1(VALU_DEP_3)
	v_add_nc_u32_e32 v77, s3, v75
	v_add_co_ci_u32_e32 v44, vcc_lo, s1, v89, vcc_lo
	v_add_co_u32 v45, vcc_lo, s0, v45
	v_add_nc_u32_e32 v79, s3, v77
	v_lshlrev_b64 v[49:50], 2, v[49:50]
	v_ashrrev_i32_e32 v54, 31, v53
	v_add_co_ci_u32_e32 v46, vcc_lo, s1, v46, vcc_lo
	s_delay_alu instid0(VALU_DEP_4) | instskip(SKIP_3) | instid1(VALU_DEP_4)
	v_add_nc_u32_e32 v81, s3, v79
	v_add_co_u32 v47, vcc_lo, s0, v47
	v_lshlrev_b64 v[51:52], 2, v[51:52]
	v_ashrrev_i32_e32 v56, 31, v55
	v_add_nc_u32_e32 v83, s3, v81
	v_add_co_ci_u32_e32 v48, vcc_lo, s1, v48, vcc_lo
	v_add_co_u32 v49, vcc_lo, s0, v49
	s_delay_alu instid0(VALU_DEP_3) | instskip(SKIP_3) | instid1(VALU_DEP_4)
	v_add_nc_u32_e32 v85, s3, v83
	v_lshlrev_b64 v[53:54], 2, v[53:54]
	v_ashrrev_i32_e32 v58, 31, v57
	v_add_co_ci_u32_e32 v50, vcc_lo, s1, v50, vcc_lo
	v_add_nc_u32_e32 v87, s3, v85
	v_add_co_u32 v51, vcc_lo, s0, v51
	v_lshlrev_b64 v[55:56], 2, v[55:56]
	v_add_co_ci_u32_e32 v52, vcc_lo, s1, v52, vcc_lo
	s_delay_alu instid0(VALU_DEP_4) | instskip(SKIP_3) | instid1(VALU_DEP_4)
	v_add_nc_u32_e32 v90, s3, v87
	v_add_co_u32 v53, vcc_lo, s0, v53
	v_lshlrev_b64 v[57:58], 2, v[57:58]
	v_ashrrev_i32_e32 v60, 31, v59
	v_add_nc_u32_e32 v92, s3, v90
	v_add_co_ci_u32_e32 v54, vcc_lo, s1, v54, vcc_lo
	v_add_co_u32 v55, vcc_lo, s0, v55
	s_delay_alu instid0(VALU_DEP_3) | instskip(SKIP_3) | instid1(VALU_DEP_4)
	v_add_nc_u32_e32 v94, s3, v92
	v_ashrrev_i32_e32 v62, 31, v61
	v_add_co_ci_u32_e32 v56, vcc_lo, s1, v56, vcc_lo
	v_lshlrev_b64 v[66:67], 2, v[59:60]
	v_add_nc_u32_e32 v96, s3, v94
	v_add_co_u32 v59, vcc_lo, s0, v57
	v_add_co_ci_u32_e32 v60, vcc_lo, s1, v58, vcc_lo
	s_delay_alu instid0(VALU_DEP_3) | instskip(SKIP_3) | instid1(VALU_DEP_4)
	v_add_nc_u32_e32 v98, s3, v96
	v_lshlrev_b64 v[57:58], 2, v[61:62]
	v_ashrrev_i32_e32 v64, 31, v63
	v_add_co_u32 v61, vcc_lo, s0, v66
	v_add_nc_u32_e32 v100, s3, v98
	v_add_co_ci_u32_e32 v62, vcc_lo, s1, v67, vcc_lo
	s_delay_alu instid0(VALU_DEP_4) | instskip(SKIP_1) | instid1(VALU_DEP_4)
	v_lshlrev_b64 v[67:68], 2, v[63:64]
	v_ashrrev_i32_e32 v66, 31, v65
	v_add_nc_u32_e32 v102, s3, v100
	v_add_co_u32 v63, vcc_lo, s0, v57
	v_add_co_ci_u32_e32 v64, vcc_lo, s1, v58, vcc_lo
	s_delay_alu instid0(VALU_DEP_3) | instskip(SKIP_3) | instid1(VALU_DEP_4)
	v_add_nc_u32_e32 v104, s3, v102
	v_ashrrev_i32_e32 v70, 31, v69
	v_lshlrev_b64 v[107:108], 2, v[65:66]
	v_add_co_u32 v65, vcc_lo, s0, v67
	v_add_nc_u32_e32 v106, s3, v104
	v_ashrrev_i32_e32 v72, 31, v71
	v_add_co_ci_u32_e32 v66, vcc_lo, s1, v68, vcc_lo
	v_lshlrev_b64 v[69:70], 2, v[69:70]
	s_delay_alu instid0(VALU_DEP_4)
	v_add_nc_u32_e32 v159, s3, v106
	v_ashrrev_i32_e32 v74, 31, v73
	v_lshlrev_b64 v[71:72], 2, v[71:72]
	v_ashrrev_i32_e32 v76, 31, v75
	v_ashrrev_i32_e32 v78, 31, v77
	v_add_nc_u32_e32 v88, s3, v159
	v_lshlrev_b64 v[73:74], 2, v[73:74]
	v_ashrrev_i32_e32 v80, 31, v79
	v_lshlrev_b64 v[75:76], 2, v[75:76]
	v_lshlrev_b64 v[77:78], 2, v[77:78]
	v_ashrrev_i32_e32 v89, 31, v88
	v_ashrrev_i32_e32 v82, 31, v81
	v_lshlrev_b64 v[79:80], 2, v[79:80]
	v_ashrrev_i32_e32 v84, 31, v83
	v_ashrrev_i32_e32 v86, 31, v85
	v_lshlrev_b64 v[57:58], 2, v[88:89]
	v_lshlrev_b64 v[81:82], 2, v[81:82]
	v_ashrrev_i32_e32 v88, 31, v87
	v_lshlrev_b64 v[83:84], 2, v[83:84]
	v_lshlrev_b64 v[85:86], 2, v[85:86]
	v_ashrrev_i32_e32 v91, 31, v90
	v_add_co_u32 v57, vcc_lo, s0, v57
	v_add_co_ci_u32_e32 v58, vcc_lo, s1, v58, vcc_lo
	v_add_co_u32 v67, vcc_lo, s0, v107
	v_add_co_ci_u32_e32 v68, vcc_lo, s1, v108, vcc_lo
	;; [unrolled: 2-line block ×9, first 2 shown]
	v_add_co_u32 v83, vcc_lo, s0, v83
	v_lshlrev_b64 v[87:88], 2, v[87:88]
	v_ashrrev_i32_e32 v93, 31, v92
	v_add_co_ci_u32_e32 v84, vcc_lo, s1, v84, vcc_lo
	v_add_co_u32 v85, vcc_lo, s0, v85
	v_lshlrev_b64 v[89:90], 2, v[90:91]
	v_ashrrev_i32_e32 v95, 31, v94
	v_add_co_ci_u32_e32 v86, vcc_lo, s1, v86, vcc_lo
	;; [unrolled: 4-line block ×9, first 2 shown]
	v_add_co_u32 v101, vcc_lo, s0, v101
	v_lshlrev_b64 v[105:106], 2, v[106:107]
	v_add_co_ci_u32_e32 v102, vcc_lo, s1, v102, vcc_lo
	v_add_co_u32 v103, vcc_lo, s0, v103
	v_lshlrev_b64 v[107:108], 2, v[159:160]
	v_add_co_ci_u32_e32 v104, vcc_lo, s1, v104, vcc_lo
	v_add_co_u32 v105, vcc_lo, s0, v105
	v_add_co_ci_u32_e32 v106, vcc_lo, s1, v106, vcc_lo
	s_delay_alu instid0(VALU_DEP_4)
	v_add_co_u32 v107, vcc_lo, s0, v107
	v_add_co_ci_u32_e32 v108, vcc_lo, s1, v108, vcc_lo
	s_clause 0x1f
	global_load_b32 v110, v109, s[0:1]
	global_load_b32 v111, v[3:4], off
	global_load_b32 v112, v[5:6], off
	;; [unrolled: 1-line block ×31, first 2 shown]
	s_clause 0x15
	global_load_b32 v142, v[67:68], off
	global_load_b32 v143, v[69:70], off
	;; [unrolled: 1-line block ×22, first 2 shown]
	s_bitcmp0_b32 s17, 0
	s_mov_b32 s1, -1
	s_waitcnt vmcnt(50)
	scratch_store_b128 off, v[110:113], off
	s_waitcnt vmcnt(46)
	scratch_store_b128 off, v[114:117], off offset:16
	s_waitcnt vmcnt(42)
	scratch_store_b128 off, v[118:121], off offset:32
	;; [unrolled: 2-line block ×12, first 2 shown]
	s_waitcnt vmcnt(0)
	scratch_store_b64 off, v[162:163], off offset:208
	s_cbranch_scc1 .LBB53_222
; %bb.4:
	v_cmp_eq_u32_e64 s0, 0, v0
	s_delay_alu instid0(VALU_DEP_1)
	s_and_saveexec_b32 s1, s0
	s_cbranch_execz .LBB53_6
; %bb.5:
	v_mov_b32_e32 v110, 0
	ds_store_b32 v110, v110 offset:216
.LBB53_6:
	s_or_b32 exec_lo, exec_lo, s1
	s_waitcnt lgkmcnt(0)
	s_waitcnt_vscnt null, 0x0
	s_barrier
	buffer_gl0_inv
	scratch_load_b32 v110, v109, off
	s_mov_b32 s2, exec_lo
	s_waitcnt vmcnt(0)
	v_cmpx_eq_f32_e32 0, v110
	s_cbranch_execz .LBB53_10
; %bb.7:
	v_mov_b32_e32 v110, 0
	s_mov_b32 s3, 0
	ds_load_b32 v111, v110 offset:216
	s_waitcnt lgkmcnt(0)
	v_readfirstlane_b32 s1, v111
	v_add_nc_u32_e32 v111, 1, v0
	s_delay_alu instid0(VALU_DEP_2) | instskip(NEXT) | instid1(VALU_DEP_1)
	s_cmp_eq_u32 s1, 0
	v_cmp_gt_i32_e32 vcc_lo, s1, v111
	s_cselect_b32 s4, -1, 0
	s_delay_alu instid0(SALU_CYCLE_1) | instskip(NEXT) | instid1(SALU_CYCLE_1)
	s_or_b32 s4, s4, vcc_lo
	s_and_b32 exec_lo, exec_lo, s4
	s_cbranch_execz .LBB53_10
; %bb.8:
	v_mov_b32_e32 v112, s1
.LBB53_9:                               ; =>This Inner Loop Header: Depth=1
	ds_cmpstore_rtn_b32 v112, v110, v111, v112 offset:216
	s_waitcnt lgkmcnt(0)
	v_cmp_ne_u32_e32 vcc_lo, 0, v112
	v_cmp_le_i32_e64 s1, v112, v111
	s_delay_alu instid0(VALU_DEP_1) | instskip(NEXT) | instid1(SALU_CYCLE_1)
	s_and_b32 s1, vcc_lo, s1
	s_and_b32 s1, exec_lo, s1
	s_delay_alu instid0(SALU_CYCLE_1) | instskip(NEXT) | instid1(SALU_CYCLE_1)
	s_or_b32 s3, s1, s3
	s_and_not1_b32 exec_lo, exec_lo, s3
	s_cbranch_execnz .LBB53_9
.LBB53_10:
	s_or_b32 exec_lo, exec_lo, s2
	v_mov_b32_e32 v110, 0
	s_barrier
	buffer_gl0_inv
	ds_load_b32 v111, v110 offset:216
	s_and_saveexec_b32 s1, s0
	s_cbranch_execz .LBB53_12
; %bb.11:
	s_lshl_b64 s[2:3], s[14:15], 2
	s_delay_alu instid0(SALU_CYCLE_1)
	s_add_u32 s2, s6, s2
	s_addc_u32 s3, s7, s3
	s_waitcnt lgkmcnt(0)
	global_store_b32 v110, v111, s[2:3]
.LBB53_12:
	s_or_b32 exec_lo, exec_lo, s1
	s_waitcnt lgkmcnt(0)
	v_cmp_ne_u32_e32 vcc_lo, 0, v111
	s_mov_b32 s1, 0
	s_cbranch_vccnz .LBB53_222
; %bb.13:
	v_add_nc_u32_e32 v110, 0, v109
	scratch_load_b32 v111, v110, off
	s_waitcnt vmcnt(0)
	v_div_scale_f32 v112, null, v111, v111, 1.0
	v_div_scale_f32 v115, vcc_lo, 1.0, v111, 1.0
	s_delay_alu instid0(VALU_DEP_2) | instskip(SKIP_2) | instid1(VALU_DEP_1)
	v_rcp_f32_e32 v113, v112
	s_waitcnt_depctr 0xfff
	v_fma_f32 v114, -v112, v113, 1.0
	v_fmac_f32_e32 v113, v114, v113
	s_delay_alu instid0(VALU_DEP_1) | instskip(NEXT) | instid1(VALU_DEP_1)
	v_mul_f32_e32 v114, v115, v113
	v_fma_f32 v116, -v112, v114, v115
	s_delay_alu instid0(VALU_DEP_1) | instskip(NEXT) | instid1(VALU_DEP_1)
	v_fmac_f32_e32 v114, v116, v113
	v_fma_f32 v112, -v112, v114, v115
	s_delay_alu instid0(VALU_DEP_1) | instskip(NEXT) | instid1(VALU_DEP_1)
	v_div_fmas_f32 v112, v112, v113, v114
	v_div_fixup_f32 v111, v112, v111, 1.0
	scratch_store_b32 v110, v111, off
	scratch_load_b32 v112, off, off offset:4
	v_xor_b32_e32 v113, 0x80000000, v111
	v_add_nc_u32_e32 v111, 0xe0, v109
	s_waitcnt vmcnt(0)
	ds_store_2addr_b32 v109, v113, v112 offset1:56
	s_waitcnt lgkmcnt(0)
	s_waitcnt_vscnt null, 0x0
	s_barrier
	buffer_gl0_inv
	s_and_saveexec_b32 s1, s0
	s_cbranch_execz .LBB53_15
; %bb.14:
	scratch_load_b32 v112, v110, off
	ds_load_b32 v113, v111
	v_mov_b32_e32 v114, 0
	ds_load_b32 v114, v114 offset:4
	s_waitcnt vmcnt(0) lgkmcnt(1)
	v_fma_f32 v112, v112, v113, 0
	s_waitcnt lgkmcnt(0)
	s_delay_alu instid0(VALU_DEP_1)
	v_mul_f32_e32 v112, v112, v114
	scratch_store_b32 off, v112, off offset:4
.LBB53_15:
	s_or_b32 exec_lo, exec_lo, s1
	s_waitcnt_vscnt null, 0x0
	s_barrier
	buffer_gl0_inv
	scratch_load_b32 v112, off, off offset:8
	s_mov_b32 s1, exec_lo
	s_waitcnt vmcnt(0)
	ds_store_b32 v111, v112
	s_waitcnt lgkmcnt(0)
	s_barrier
	buffer_gl0_inv
	v_cmpx_gt_u32_e32 2, v0
	s_cbranch_execz .LBB53_17
; %bb.16:
	scratch_load_b32 v114, v110, off
	scratch_load_b32 v115, off, off offset:4
	ds_load_b32 v116, v111
	v_mov_b32_e32 v112, 0
	ds_load_2addr_b32 v[112:113], v112 offset0:2 offset1:57
	s_waitcnt vmcnt(1) lgkmcnt(1)
	v_fma_f32 v114, v114, v116, 0
	s_waitcnt vmcnt(0) lgkmcnt(0)
	s_delay_alu instid0(VALU_DEP_1) | instskip(NEXT) | instid1(VALU_DEP_1)
	v_fma_f32 v113, v115, v113, v114
	v_cndmask_b32_e64 v113, v114, v113, s0
	s_delay_alu instid0(VALU_DEP_1)
	v_mul_f32_e32 v112, v113, v112
	scratch_store_b32 off, v112, off offset:8
.LBB53_17:
	s_or_b32 exec_lo, exec_lo, s1
	s_waitcnt_vscnt null, 0x0
	s_barrier
	buffer_gl0_inv
	scratch_load_b32 v113, off, off offset:12
	v_add_nc_u32_e32 v112, -1, v0
	s_mov_b32 s0, exec_lo
	s_waitcnt vmcnt(0)
	ds_store_b32 v111, v113
	s_waitcnt lgkmcnt(0)
	s_barrier
	buffer_gl0_inv
	v_cmpx_gt_u32_e32 3, v0
	s_cbranch_execz .LBB53_21
; %bb.18:
	v_dual_mov_b32 v113, 0 :: v_dual_add_nc_u32 v114, -1, v0
	v_add_nc_u32_e32 v115, 0xe0, v109
	v_add_nc_u32_e32 v116, 0, v109
	s_mov_b32 s1, 0
.LBB53_19:                              ; =>This Inner Loop Header: Depth=1
	scratch_load_b32 v117, v116, off
	ds_load_b32 v118, v115
	v_add_nc_u32_e32 v114, 1, v114
	v_add_nc_u32_e32 v115, 4, v115
	v_add_nc_u32_e32 v116, 4, v116
	s_delay_alu instid0(VALU_DEP_3)
	v_cmp_lt_u32_e32 vcc_lo, 1, v114
	s_or_b32 s1, vcc_lo, s1
	s_waitcnt vmcnt(0) lgkmcnt(0)
	v_fmac_f32_e32 v113, v117, v118
	s_and_not1_b32 exec_lo, exec_lo, s1
	s_cbranch_execnz .LBB53_19
; %bb.20:
	s_or_b32 exec_lo, exec_lo, s1
	v_mov_b32_e32 v114, 0
	ds_load_b32 v114, v114 offset:12
	s_waitcnt lgkmcnt(0)
	v_mul_f32_e32 v113, v113, v114
	scratch_store_b32 off, v113, off offset:12
.LBB53_21:
	s_or_b32 exec_lo, exec_lo, s0
	s_waitcnt_vscnt null, 0x0
	s_barrier
	buffer_gl0_inv
	scratch_load_b32 v113, off, off offset:16
	s_mov_b32 s0, exec_lo
	s_waitcnt vmcnt(0)
	ds_store_b32 v111, v113
	s_waitcnt lgkmcnt(0)
	s_barrier
	buffer_gl0_inv
	v_cmpx_gt_u32_e32 4, v0
	s_cbranch_execz .LBB53_25
; %bb.22:
	v_dual_mov_b32 v113, 0 :: v_dual_add_nc_u32 v114, -1, v0
	v_add_nc_u32_e32 v115, 0xe0, v109
	v_add_nc_u32_e32 v116, 0, v109
	s_mov_b32 s1, 0
.LBB53_23:                              ; =>This Inner Loop Header: Depth=1
	scratch_load_b32 v117, v116, off
	ds_load_b32 v118, v115
	v_add_nc_u32_e32 v114, 1, v114
	v_add_nc_u32_e32 v115, 4, v115
	v_add_nc_u32_e32 v116, 4, v116
	s_delay_alu instid0(VALU_DEP_3)
	v_cmp_lt_u32_e32 vcc_lo, 2, v114
	s_or_b32 s1, vcc_lo, s1
	s_waitcnt vmcnt(0) lgkmcnt(0)
	v_fmac_f32_e32 v113, v117, v118
	s_and_not1_b32 exec_lo, exec_lo, s1
	s_cbranch_execnz .LBB53_23
; %bb.24:
	s_or_b32 exec_lo, exec_lo, s1
	v_mov_b32_e32 v114, 0
	ds_load_b32 v114, v114 offset:16
	s_waitcnt lgkmcnt(0)
	v_mul_f32_e32 v113, v113, v114
	scratch_store_b32 off, v113, off offset:16
.LBB53_25:
	s_or_b32 exec_lo, exec_lo, s0
	s_waitcnt_vscnt null, 0x0
	s_barrier
	buffer_gl0_inv
	scratch_load_b32 v113, off, off offset:20
	s_mov_b32 s0, exec_lo
	s_waitcnt vmcnt(0)
	ds_store_b32 v111, v113
	s_waitcnt lgkmcnt(0)
	s_barrier
	buffer_gl0_inv
	v_cmpx_gt_u32_e32 5, v0
	s_cbranch_execz .LBB53_29
; %bb.26:
	v_dual_mov_b32 v113, 0 :: v_dual_add_nc_u32 v114, -1, v0
	v_add_nc_u32_e32 v115, 0xe0, v109
	v_add_nc_u32_e32 v116, 0, v109
	s_mov_b32 s1, 0
.LBB53_27:                              ; =>This Inner Loop Header: Depth=1
	scratch_load_b32 v117, v116, off
	ds_load_b32 v118, v115
	v_add_nc_u32_e32 v114, 1, v114
	v_add_nc_u32_e32 v115, 4, v115
	v_add_nc_u32_e32 v116, 4, v116
	s_delay_alu instid0(VALU_DEP_3)
	v_cmp_lt_u32_e32 vcc_lo, 3, v114
	s_or_b32 s1, vcc_lo, s1
	s_waitcnt vmcnt(0) lgkmcnt(0)
	v_fmac_f32_e32 v113, v117, v118
	s_and_not1_b32 exec_lo, exec_lo, s1
	s_cbranch_execnz .LBB53_27
; %bb.28:
	s_or_b32 exec_lo, exec_lo, s1
	v_mov_b32_e32 v114, 0
	ds_load_b32 v114, v114 offset:20
	s_waitcnt lgkmcnt(0)
	v_mul_f32_e32 v113, v113, v114
	scratch_store_b32 off, v113, off offset:20
.LBB53_29:
	s_or_b32 exec_lo, exec_lo, s0
	s_waitcnt_vscnt null, 0x0
	s_barrier
	buffer_gl0_inv
	scratch_load_b32 v113, off, off offset:24
	s_mov_b32 s0, exec_lo
	s_waitcnt vmcnt(0)
	ds_store_b32 v111, v113
	s_waitcnt lgkmcnt(0)
	s_barrier
	buffer_gl0_inv
	v_cmpx_gt_u32_e32 6, v0
	s_cbranch_execz .LBB53_33
; %bb.30:
	v_dual_mov_b32 v113, 0 :: v_dual_add_nc_u32 v114, -1, v0
	v_add_nc_u32_e32 v115, 0xe0, v109
	v_add_nc_u32_e32 v116, 0, v109
	s_mov_b32 s1, 0
.LBB53_31:                              ; =>This Inner Loop Header: Depth=1
	scratch_load_b32 v117, v116, off
	ds_load_b32 v118, v115
	v_add_nc_u32_e32 v114, 1, v114
	v_add_nc_u32_e32 v115, 4, v115
	v_add_nc_u32_e32 v116, 4, v116
	s_delay_alu instid0(VALU_DEP_3)
	v_cmp_lt_u32_e32 vcc_lo, 4, v114
	s_or_b32 s1, vcc_lo, s1
	s_waitcnt vmcnt(0) lgkmcnt(0)
	v_fmac_f32_e32 v113, v117, v118
	s_and_not1_b32 exec_lo, exec_lo, s1
	s_cbranch_execnz .LBB53_31
; %bb.32:
	s_or_b32 exec_lo, exec_lo, s1
	v_mov_b32_e32 v114, 0
	ds_load_b32 v114, v114 offset:24
	s_waitcnt lgkmcnt(0)
	v_mul_f32_e32 v113, v113, v114
	scratch_store_b32 off, v113, off offset:24
.LBB53_33:
	s_or_b32 exec_lo, exec_lo, s0
	s_waitcnt_vscnt null, 0x0
	s_barrier
	buffer_gl0_inv
	scratch_load_b32 v113, off, off offset:28
	s_mov_b32 s0, exec_lo
	s_waitcnt vmcnt(0)
	ds_store_b32 v111, v113
	s_waitcnt lgkmcnt(0)
	s_barrier
	buffer_gl0_inv
	v_cmpx_gt_u32_e32 7, v0
	s_cbranch_execz .LBB53_37
; %bb.34:
	v_dual_mov_b32 v113, 0 :: v_dual_add_nc_u32 v114, -1, v0
	v_add_nc_u32_e32 v115, 0xe0, v109
	v_add_nc_u32_e32 v116, 0, v109
	s_mov_b32 s1, 0
.LBB53_35:                              ; =>This Inner Loop Header: Depth=1
	scratch_load_b32 v117, v116, off
	ds_load_b32 v118, v115
	v_add_nc_u32_e32 v114, 1, v114
	v_add_nc_u32_e32 v115, 4, v115
	v_add_nc_u32_e32 v116, 4, v116
	s_delay_alu instid0(VALU_DEP_3)
	v_cmp_lt_u32_e32 vcc_lo, 5, v114
	s_or_b32 s1, vcc_lo, s1
	s_waitcnt vmcnt(0) lgkmcnt(0)
	v_fmac_f32_e32 v113, v117, v118
	s_and_not1_b32 exec_lo, exec_lo, s1
	s_cbranch_execnz .LBB53_35
; %bb.36:
	s_or_b32 exec_lo, exec_lo, s1
	v_mov_b32_e32 v114, 0
	ds_load_b32 v114, v114 offset:28
	s_waitcnt lgkmcnt(0)
	v_mul_f32_e32 v113, v113, v114
	scratch_store_b32 off, v113, off offset:28
.LBB53_37:
	s_or_b32 exec_lo, exec_lo, s0
	s_waitcnt_vscnt null, 0x0
	s_barrier
	buffer_gl0_inv
	scratch_load_b32 v113, off, off offset:32
	s_mov_b32 s0, exec_lo
	s_waitcnt vmcnt(0)
	ds_store_b32 v111, v113
	s_waitcnt lgkmcnt(0)
	s_barrier
	buffer_gl0_inv
	v_cmpx_gt_u32_e32 8, v0
	s_cbranch_execz .LBB53_41
; %bb.38:
	v_dual_mov_b32 v113, 0 :: v_dual_add_nc_u32 v114, -1, v0
	v_add_nc_u32_e32 v115, 0xe0, v109
	v_add_nc_u32_e32 v116, 0, v109
	s_mov_b32 s1, 0
.LBB53_39:                              ; =>This Inner Loop Header: Depth=1
	scratch_load_b32 v117, v116, off
	ds_load_b32 v118, v115
	v_add_nc_u32_e32 v114, 1, v114
	v_add_nc_u32_e32 v115, 4, v115
	v_add_nc_u32_e32 v116, 4, v116
	s_delay_alu instid0(VALU_DEP_3)
	v_cmp_lt_u32_e32 vcc_lo, 6, v114
	s_or_b32 s1, vcc_lo, s1
	s_waitcnt vmcnt(0) lgkmcnt(0)
	v_fmac_f32_e32 v113, v117, v118
	s_and_not1_b32 exec_lo, exec_lo, s1
	s_cbranch_execnz .LBB53_39
; %bb.40:
	s_or_b32 exec_lo, exec_lo, s1
	v_mov_b32_e32 v114, 0
	ds_load_b32 v114, v114 offset:32
	s_waitcnt lgkmcnt(0)
	v_mul_f32_e32 v113, v113, v114
	scratch_store_b32 off, v113, off offset:32
.LBB53_41:
	s_or_b32 exec_lo, exec_lo, s0
	s_waitcnt_vscnt null, 0x0
	s_barrier
	buffer_gl0_inv
	scratch_load_b32 v113, off, off offset:36
	s_mov_b32 s0, exec_lo
	s_waitcnt vmcnt(0)
	ds_store_b32 v111, v113
	s_waitcnt lgkmcnt(0)
	s_barrier
	buffer_gl0_inv
	v_cmpx_gt_u32_e32 9, v0
	s_cbranch_execz .LBB53_45
; %bb.42:
	v_dual_mov_b32 v113, 0 :: v_dual_add_nc_u32 v114, -1, v0
	v_add_nc_u32_e32 v115, 0xe0, v109
	v_add_nc_u32_e32 v116, 0, v109
	s_mov_b32 s1, 0
.LBB53_43:                              ; =>This Inner Loop Header: Depth=1
	scratch_load_b32 v117, v116, off
	ds_load_b32 v118, v115
	v_add_nc_u32_e32 v114, 1, v114
	v_add_nc_u32_e32 v115, 4, v115
	v_add_nc_u32_e32 v116, 4, v116
	s_delay_alu instid0(VALU_DEP_3)
	v_cmp_lt_u32_e32 vcc_lo, 7, v114
	s_or_b32 s1, vcc_lo, s1
	s_waitcnt vmcnt(0) lgkmcnt(0)
	v_fmac_f32_e32 v113, v117, v118
	s_and_not1_b32 exec_lo, exec_lo, s1
	s_cbranch_execnz .LBB53_43
; %bb.44:
	s_or_b32 exec_lo, exec_lo, s1
	v_mov_b32_e32 v114, 0
	ds_load_b32 v114, v114 offset:36
	s_waitcnt lgkmcnt(0)
	v_mul_f32_e32 v113, v113, v114
	scratch_store_b32 off, v113, off offset:36
.LBB53_45:
	s_or_b32 exec_lo, exec_lo, s0
	s_waitcnt_vscnt null, 0x0
	s_barrier
	buffer_gl0_inv
	scratch_load_b32 v113, off, off offset:40
	s_mov_b32 s0, exec_lo
	s_waitcnt vmcnt(0)
	ds_store_b32 v111, v113
	s_waitcnt lgkmcnt(0)
	s_barrier
	buffer_gl0_inv
	v_cmpx_gt_u32_e32 10, v0
	s_cbranch_execz .LBB53_49
; %bb.46:
	v_dual_mov_b32 v113, 0 :: v_dual_add_nc_u32 v114, -1, v0
	v_add_nc_u32_e32 v115, 0xe0, v109
	v_add_nc_u32_e32 v116, 0, v109
	s_mov_b32 s1, 0
.LBB53_47:                              ; =>This Inner Loop Header: Depth=1
	scratch_load_b32 v117, v116, off
	ds_load_b32 v118, v115
	v_add_nc_u32_e32 v114, 1, v114
	v_add_nc_u32_e32 v115, 4, v115
	v_add_nc_u32_e32 v116, 4, v116
	s_delay_alu instid0(VALU_DEP_3)
	v_cmp_lt_u32_e32 vcc_lo, 8, v114
	s_or_b32 s1, vcc_lo, s1
	s_waitcnt vmcnt(0) lgkmcnt(0)
	v_fmac_f32_e32 v113, v117, v118
	s_and_not1_b32 exec_lo, exec_lo, s1
	s_cbranch_execnz .LBB53_47
; %bb.48:
	s_or_b32 exec_lo, exec_lo, s1
	v_mov_b32_e32 v114, 0
	ds_load_b32 v114, v114 offset:40
	s_waitcnt lgkmcnt(0)
	v_mul_f32_e32 v113, v113, v114
	scratch_store_b32 off, v113, off offset:40
.LBB53_49:
	s_or_b32 exec_lo, exec_lo, s0
	s_waitcnt_vscnt null, 0x0
	s_barrier
	buffer_gl0_inv
	scratch_load_b32 v113, off, off offset:44
	s_mov_b32 s0, exec_lo
	s_waitcnt vmcnt(0)
	ds_store_b32 v111, v113
	s_waitcnt lgkmcnt(0)
	s_barrier
	buffer_gl0_inv
	v_cmpx_gt_u32_e32 11, v0
	s_cbranch_execz .LBB53_53
; %bb.50:
	v_dual_mov_b32 v113, 0 :: v_dual_add_nc_u32 v114, -1, v0
	v_add_nc_u32_e32 v115, 0xe0, v109
	v_add_nc_u32_e32 v116, 0, v109
	s_mov_b32 s1, 0
.LBB53_51:                              ; =>This Inner Loop Header: Depth=1
	scratch_load_b32 v117, v116, off
	ds_load_b32 v118, v115
	v_add_nc_u32_e32 v114, 1, v114
	v_add_nc_u32_e32 v115, 4, v115
	v_add_nc_u32_e32 v116, 4, v116
	s_delay_alu instid0(VALU_DEP_3)
	v_cmp_lt_u32_e32 vcc_lo, 9, v114
	s_or_b32 s1, vcc_lo, s1
	s_waitcnt vmcnt(0) lgkmcnt(0)
	v_fmac_f32_e32 v113, v117, v118
	s_and_not1_b32 exec_lo, exec_lo, s1
	s_cbranch_execnz .LBB53_51
; %bb.52:
	s_or_b32 exec_lo, exec_lo, s1
	v_mov_b32_e32 v114, 0
	ds_load_b32 v114, v114 offset:44
	s_waitcnt lgkmcnt(0)
	v_mul_f32_e32 v113, v113, v114
	scratch_store_b32 off, v113, off offset:44
.LBB53_53:
	s_or_b32 exec_lo, exec_lo, s0
	s_waitcnt_vscnt null, 0x0
	s_barrier
	buffer_gl0_inv
	scratch_load_b32 v113, off, off offset:48
	s_mov_b32 s0, exec_lo
	s_waitcnt vmcnt(0)
	ds_store_b32 v111, v113
	s_waitcnt lgkmcnt(0)
	s_barrier
	buffer_gl0_inv
	v_cmpx_gt_u32_e32 12, v0
	s_cbranch_execz .LBB53_57
; %bb.54:
	v_dual_mov_b32 v113, 0 :: v_dual_add_nc_u32 v114, -1, v0
	v_add_nc_u32_e32 v115, 0xe0, v109
	v_add_nc_u32_e32 v116, 0, v109
	s_mov_b32 s1, 0
.LBB53_55:                              ; =>This Inner Loop Header: Depth=1
	scratch_load_b32 v117, v116, off
	ds_load_b32 v118, v115
	v_add_nc_u32_e32 v114, 1, v114
	v_add_nc_u32_e32 v115, 4, v115
	v_add_nc_u32_e32 v116, 4, v116
	s_delay_alu instid0(VALU_DEP_3)
	v_cmp_lt_u32_e32 vcc_lo, 10, v114
	s_or_b32 s1, vcc_lo, s1
	s_waitcnt vmcnt(0) lgkmcnt(0)
	v_fmac_f32_e32 v113, v117, v118
	s_and_not1_b32 exec_lo, exec_lo, s1
	s_cbranch_execnz .LBB53_55
; %bb.56:
	s_or_b32 exec_lo, exec_lo, s1
	v_mov_b32_e32 v114, 0
	ds_load_b32 v114, v114 offset:48
	s_waitcnt lgkmcnt(0)
	v_mul_f32_e32 v113, v113, v114
	scratch_store_b32 off, v113, off offset:48
.LBB53_57:
	s_or_b32 exec_lo, exec_lo, s0
	s_waitcnt_vscnt null, 0x0
	s_barrier
	buffer_gl0_inv
	scratch_load_b32 v113, off, off offset:52
	s_mov_b32 s0, exec_lo
	s_waitcnt vmcnt(0)
	ds_store_b32 v111, v113
	s_waitcnt lgkmcnt(0)
	s_barrier
	buffer_gl0_inv
	v_cmpx_gt_u32_e32 13, v0
	s_cbranch_execz .LBB53_61
; %bb.58:
	v_dual_mov_b32 v113, 0 :: v_dual_add_nc_u32 v114, -1, v0
	v_add_nc_u32_e32 v115, 0xe0, v109
	v_add_nc_u32_e32 v116, 0, v109
	s_mov_b32 s1, 0
.LBB53_59:                              ; =>This Inner Loop Header: Depth=1
	scratch_load_b32 v117, v116, off
	ds_load_b32 v118, v115
	v_add_nc_u32_e32 v114, 1, v114
	v_add_nc_u32_e32 v115, 4, v115
	v_add_nc_u32_e32 v116, 4, v116
	s_delay_alu instid0(VALU_DEP_3)
	v_cmp_lt_u32_e32 vcc_lo, 11, v114
	s_or_b32 s1, vcc_lo, s1
	s_waitcnt vmcnt(0) lgkmcnt(0)
	v_fmac_f32_e32 v113, v117, v118
	s_and_not1_b32 exec_lo, exec_lo, s1
	s_cbranch_execnz .LBB53_59
; %bb.60:
	s_or_b32 exec_lo, exec_lo, s1
	v_mov_b32_e32 v114, 0
	ds_load_b32 v114, v114 offset:52
	s_waitcnt lgkmcnt(0)
	v_mul_f32_e32 v113, v113, v114
	scratch_store_b32 off, v113, off offset:52
.LBB53_61:
	s_or_b32 exec_lo, exec_lo, s0
	s_waitcnt_vscnt null, 0x0
	s_barrier
	buffer_gl0_inv
	scratch_load_b32 v113, off, off offset:56
	s_mov_b32 s0, exec_lo
	s_waitcnt vmcnt(0)
	ds_store_b32 v111, v113
	s_waitcnt lgkmcnt(0)
	s_barrier
	buffer_gl0_inv
	v_cmpx_gt_u32_e32 14, v0
	s_cbranch_execz .LBB53_65
; %bb.62:
	v_dual_mov_b32 v113, 0 :: v_dual_add_nc_u32 v114, -1, v0
	v_add_nc_u32_e32 v115, 0xe0, v109
	v_add_nc_u32_e32 v116, 0, v109
	s_mov_b32 s1, 0
.LBB53_63:                              ; =>This Inner Loop Header: Depth=1
	scratch_load_b32 v117, v116, off
	ds_load_b32 v118, v115
	v_add_nc_u32_e32 v114, 1, v114
	v_add_nc_u32_e32 v115, 4, v115
	v_add_nc_u32_e32 v116, 4, v116
	s_delay_alu instid0(VALU_DEP_3)
	v_cmp_lt_u32_e32 vcc_lo, 12, v114
	s_or_b32 s1, vcc_lo, s1
	s_waitcnt vmcnt(0) lgkmcnt(0)
	v_fmac_f32_e32 v113, v117, v118
	s_and_not1_b32 exec_lo, exec_lo, s1
	s_cbranch_execnz .LBB53_63
; %bb.64:
	s_or_b32 exec_lo, exec_lo, s1
	v_mov_b32_e32 v114, 0
	ds_load_b32 v114, v114 offset:56
	s_waitcnt lgkmcnt(0)
	v_mul_f32_e32 v113, v113, v114
	scratch_store_b32 off, v113, off offset:56
.LBB53_65:
	s_or_b32 exec_lo, exec_lo, s0
	s_waitcnt_vscnt null, 0x0
	s_barrier
	buffer_gl0_inv
	scratch_load_b32 v113, off, off offset:60
	s_mov_b32 s0, exec_lo
	s_waitcnt vmcnt(0)
	ds_store_b32 v111, v113
	s_waitcnt lgkmcnt(0)
	s_barrier
	buffer_gl0_inv
	v_cmpx_gt_u32_e32 15, v0
	s_cbranch_execz .LBB53_69
; %bb.66:
	v_dual_mov_b32 v113, 0 :: v_dual_add_nc_u32 v114, -1, v0
	v_add_nc_u32_e32 v115, 0xe0, v109
	v_add_nc_u32_e32 v116, 0, v109
	s_mov_b32 s1, 0
.LBB53_67:                              ; =>This Inner Loop Header: Depth=1
	scratch_load_b32 v117, v116, off
	ds_load_b32 v118, v115
	v_add_nc_u32_e32 v114, 1, v114
	v_add_nc_u32_e32 v115, 4, v115
	v_add_nc_u32_e32 v116, 4, v116
	s_delay_alu instid0(VALU_DEP_3)
	v_cmp_lt_u32_e32 vcc_lo, 13, v114
	s_or_b32 s1, vcc_lo, s1
	s_waitcnt vmcnt(0) lgkmcnt(0)
	v_fmac_f32_e32 v113, v117, v118
	s_and_not1_b32 exec_lo, exec_lo, s1
	s_cbranch_execnz .LBB53_67
; %bb.68:
	s_or_b32 exec_lo, exec_lo, s1
	v_mov_b32_e32 v114, 0
	ds_load_b32 v114, v114 offset:60
	s_waitcnt lgkmcnt(0)
	v_mul_f32_e32 v113, v113, v114
	scratch_store_b32 off, v113, off offset:60
.LBB53_69:
	s_or_b32 exec_lo, exec_lo, s0
	s_waitcnt_vscnt null, 0x0
	s_barrier
	buffer_gl0_inv
	scratch_load_b32 v113, off, off offset:64
	s_mov_b32 s0, exec_lo
	s_waitcnt vmcnt(0)
	ds_store_b32 v111, v113
	s_waitcnt lgkmcnt(0)
	s_barrier
	buffer_gl0_inv
	v_cmpx_gt_u32_e32 16, v0
	s_cbranch_execz .LBB53_73
; %bb.70:
	v_dual_mov_b32 v113, 0 :: v_dual_add_nc_u32 v114, -1, v0
	v_add_nc_u32_e32 v115, 0xe0, v109
	v_add_nc_u32_e32 v116, 0, v109
	s_mov_b32 s1, 0
.LBB53_71:                              ; =>This Inner Loop Header: Depth=1
	scratch_load_b32 v117, v116, off
	ds_load_b32 v118, v115
	v_add_nc_u32_e32 v114, 1, v114
	v_add_nc_u32_e32 v115, 4, v115
	v_add_nc_u32_e32 v116, 4, v116
	s_delay_alu instid0(VALU_DEP_3)
	v_cmp_lt_u32_e32 vcc_lo, 14, v114
	s_or_b32 s1, vcc_lo, s1
	s_waitcnt vmcnt(0) lgkmcnt(0)
	v_fmac_f32_e32 v113, v117, v118
	s_and_not1_b32 exec_lo, exec_lo, s1
	s_cbranch_execnz .LBB53_71
; %bb.72:
	s_or_b32 exec_lo, exec_lo, s1
	v_mov_b32_e32 v114, 0
	ds_load_b32 v114, v114 offset:64
	s_waitcnt lgkmcnt(0)
	v_mul_f32_e32 v113, v113, v114
	scratch_store_b32 off, v113, off offset:64
.LBB53_73:
	s_or_b32 exec_lo, exec_lo, s0
	s_waitcnt_vscnt null, 0x0
	s_barrier
	buffer_gl0_inv
	scratch_load_b32 v113, off, off offset:68
	s_mov_b32 s0, exec_lo
	s_waitcnt vmcnt(0)
	ds_store_b32 v111, v113
	s_waitcnt lgkmcnt(0)
	s_barrier
	buffer_gl0_inv
	v_cmpx_gt_u32_e32 17, v0
	s_cbranch_execz .LBB53_77
; %bb.74:
	v_dual_mov_b32 v113, 0 :: v_dual_add_nc_u32 v114, -1, v0
	v_add_nc_u32_e32 v115, 0xe0, v109
	v_add_nc_u32_e32 v116, 0, v109
	s_mov_b32 s1, 0
.LBB53_75:                              ; =>This Inner Loop Header: Depth=1
	scratch_load_b32 v117, v116, off
	ds_load_b32 v118, v115
	v_add_nc_u32_e32 v114, 1, v114
	v_add_nc_u32_e32 v115, 4, v115
	v_add_nc_u32_e32 v116, 4, v116
	s_delay_alu instid0(VALU_DEP_3)
	v_cmp_lt_u32_e32 vcc_lo, 15, v114
	s_or_b32 s1, vcc_lo, s1
	s_waitcnt vmcnt(0) lgkmcnt(0)
	v_fmac_f32_e32 v113, v117, v118
	s_and_not1_b32 exec_lo, exec_lo, s1
	s_cbranch_execnz .LBB53_75
; %bb.76:
	s_or_b32 exec_lo, exec_lo, s1
	v_mov_b32_e32 v114, 0
	ds_load_b32 v114, v114 offset:68
	s_waitcnt lgkmcnt(0)
	v_mul_f32_e32 v113, v113, v114
	scratch_store_b32 off, v113, off offset:68
.LBB53_77:
	s_or_b32 exec_lo, exec_lo, s0
	s_waitcnt_vscnt null, 0x0
	s_barrier
	buffer_gl0_inv
	scratch_load_b32 v113, off, off offset:72
	s_mov_b32 s0, exec_lo
	s_waitcnt vmcnt(0)
	ds_store_b32 v111, v113
	s_waitcnt lgkmcnt(0)
	s_barrier
	buffer_gl0_inv
	v_cmpx_gt_u32_e32 18, v0
	s_cbranch_execz .LBB53_81
; %bb.78:
	v_dual_mov_b32 v113, 0 :: v_dual_add_nc_u32 v114, -1, v0
	v_add_nc_u32_e32 v115, 0xe0, v109
	v_add_nc_u32_e32 v116, 0, v109
	s_mov_b32 s1, 0
.LBB53_79:                              ; =>This Inner Loop Header: Depth=1
	scratch_load_b32 v117, v116, off
	ds_load_b32 v118, v115
	v_add_nc_u32_e32 v114, 1, v114
	v_add_nc_u32_e32 v115, 4, v115
	v_add_nc_u32_e32 v116, 4, v116
	s_delay_alu instid0(VALU_DEP_3)
	v_cmp_lt_u32_e32 vcc_lo, 16, v114
	s_or_b32 s1, vcc_lo, s1
	s_waitcnt vmcnt(0) lgkmcnt(0)
	v_fmac_f32_e32 v113, v117, v118
	s_and_not1_b32 exec_lo, exec_lo, s1
	s_cbranch_execnz .LBB53_79
; %bb.80:
	s_or_b32 exec_lo, exec_lo, s1
	v_mov_b32_e32 v114, 0
	ds_load_b32 v114, v114 offset:72
	s_waitcnt lgkmcnt(0)
	v_mul_f32_e32 v113, v113, v114
	scratch_store_b32 off, v113, off offset:72
.LBB53_81:
	s_or_b32 exec_lo, exec_lo, s0
	s_waitcnt_vscnt null, 0x0
	s_barrier
	buffer_gl0_inv
	scratch_load_b32 v113, off, off offset:76
	s_mov_b32 s0, exec_lo
	s_waitcnt vmcnt(0)
	ds_store_b32 v111, v113
	s_waitcnt lgkmcnt(0)
	s_barrier
	buffer_gl0_inv
	v_cmpx_gt_u32_e32 19, v0
	s_cbranch_execz .LBB53_85
; %bb.82:
	v_dual_mov_b32 v113, 0 :: v_dual_add_nc_u32 v114, -1, v0
	v_add_nc_u32_e32 v115, 0xe0, v109
	v_add_nc_u32_e32 v116, 0, v109
	s_mov_b32 s1, 0
.LBB53_83:                              ; =>This Inner Loop Header: Depth=1
	scratch_load_b32 v117, v116, off
	ds_load_b32 v118, v115
	v_add_nc_u32_e32 v114, 1, v114
	v_add_nc_u32_e32 v115, 4, v115
	v_add_nc_u32_e32 v116, 4, v116
	s_delay_alu instid0(VALU_DEP_3)
	v_cmp_lt_u32_e32 vcc_lo, 17, v114
	s_or_b32 s1, vcc_lo, s1
	s_waitcnt vmcnt(0) lgkmcnt(0)
	v_fmac_f32_e32 v113, v117, v118
	s_and_not1_b32 exec_lo, exec_lo, s1
	s_cbranch_execnz .LBB53_83
; %bb.84:
	s_or_b32 exec_lo, exec_lo, s1
	v_mov_b32_e32 v114, 0
	ds_load_b32 v114, v114 offset:76
	s_waitcnt lgkmcnt(0)
	v_mul_f32_e32 v113, v113, v114
	scratch_store_b32 off, v113, off offset:76
.LBB53_85:
	s_or_b32 exec_lo, exec_lo, s0
	s_waitcnt_vscnt null, 0x0
	s_barrier
	buffer_gl0_inv
	scratch_load_b32 v113, off, off offset:80
	s_mov_b32 s0, exec_lo
	s_waitcnt vmcnt(0)
	ds_store_b32 v111, v113
	s_waitcnt lgkmcnt(0)
	s_barrier
	buffer_gl0_inv
	v_cmpx_gt_u32_e32 20, v0
	s_cbranch_execz .LBB53_89
; %bb.86:
	v_dual_mov_b32 v113, 0 :: v_dual_add_nc_u32 v114, -1, v0
	v_add_nc_u32_e32 v115, 0xe0, v109
	v_add_nc_u32_e32 v116, 0, v109
	s_mov_b32 s1, 0
.LBB53_87:                              ; =>This Inner Loop Header: Depth=1
	scratch_load_b32 v117, v116, off
	ds_load_b32 v118, v115
	v_add_nc_u32_e32 v114, 1, v114
	v_add_nc_u32_e32 v115, 4, v115
	v_add_nc_u32_e32 v116, 4, v116
	s_delay_alu instid0(VALU_DEP_3)
	v_cmp_lt_u32_e32 vcc_lo, 18, v114
	s_or_b32 s1, vcc_lo, s1
	s_waitcnt vmcnt(0) lgkmcnt(0)
	v_fmac_f32_e32 v113, v117, v118
	s_and_not1_b32 exec_lo, exec_lo, s1
	s_cbranch_execnz .LBB53_87
; %bb.88:
	s_or_b32 exec_lo, exec_lo, s1
	v_mov_b32_e32 v114, 0
	ds_load_b32 v114, v114 offset:80
	s_waitcnt lgkmcnt(0)
	v_mul_f32_e32 v113, v113, v114
	scratch_store_b32 off, v113, off offset:80
.LBB53_89:
	s_or_b32 exec_lo, exec_lo, s0
	s_waitcnt_vscnt null, 0x0
	s_barrier
	buffer_gl0_inv
	scratch_load_b32 v113, off, off offset:84
	s_mov_b32 s0, exec_lo
	s_waitcnt vmcnt(0)
	ds_store_b32 v111, v113
	s_waitcnt lgkmcnt(0)
	s_barrier
	buffer_gl0_inv
	v_cmpx_gt_u32_e32 21, v0
	s_cbranch_execz .LBB53_93
; %bb.90:
	v_dual_mov_b32 v113, 0 :: v_dual_add_nc_u32 v114, -1, v0
	v_add_nc_u32_e32 v115, 0xe0, v109
	v_add_nc_u32_e32 v116, 0, v109
	s_mov_b32 s1, 0
.LBB53_91:                              ; =>This Inner Loop Header: Depth=1
	scratch_load_b32 v117, v116, off
	ds_load_b32 v118, v115
	v_add_nc_u32_e32 v114, 1, v114
	v_add_nc_u32_e32 v115, 4, v115
	v_add_nc_u32_e32 v116, 4, v116
	s_delay_alu instid0(VALU_DEP_3)
	v_cmp_lt_u32_e32 vcc_lo, 19, v114
	s_or_b32 s1, vcc_lo, s1
	s_waitcnt vmcnt(0) lgkmcnt(0)
	v_fmac_f32_e32 v113, v117, v118
	s_and_not1_b32 exec_lo, exec_lo, s1
	s_cbranch_execnz .LBB53_91
; %bb.92:
	s_or_b32 exec_lo, exec_lo, s1
	v_mov_b32_e32 v114, 0
	ds_load_b32 v114, v114 offset:84
	s_waitcnt lgkmcnt(0)
	v_mul_f32_e32 v113, v113, v114
	scratch_store_b32 off, v113, off offset:84
.LBB53_93:
	s_or_b32 exec_lo, exec_lo, s0
	s_waitcnt_vscnt null, 0x0
	s_barrier
	buffer_gl0_inv
	scratch_load_b32 v113, off, off offset:88
	s_mov_b32 s0, exec_lo
	s_waitcnt vmcnt(0)
	ds_store_b32 v111, v113
	s_waitcnt lgkmcnt(0)
	s_barrier
	buffer_gl0_inv
	v_cmpx_gt_u32_e32 22, v0
	s_cbranch_execz .LBB53_97
; %bb.94:
	v_dual_mov_b32 v113, 0 :: v_dual_add_nc_u32 v114, -1, v0
	v_add_nc_u32_e32 v115, 0xe0, v109
	v_add_nc_u32_e32 v116, 0, v109
	s_mov_b32 s1, 0
.LBB53_95:                              ; =>This Inner Loop Header: Depth=1
	scratch_load_b32 v117, v116, off
	ds_load_b32 v118, v115
	v_add_nc_u32_e32 v114, 1, v114
	v_add_nc_u32_e32 v115, 4, v115
	v_add_nc_u32_e32 v116, 4, v116
	s_delay_alu instid0(VALU_DEP_3)
	v_cmp_lt_u32_e32 vcc_lo, 20, v114
	s_or_b32 s1, vcc_lo, s1
	s_waitcnt vmcnt(0) lgkmcnt(0)
	v_fmac_f32_e32 v113, v117, v118
	s_and_not1_b32 exec_lo, exec_lo, s1
	s_cbranch_execnz .LBB53_95
; %bb.96:
	s_or_b32 exec_lo, exec_lo, s1
	v_mov_b32_e32 v114, 0
	ds_load_b32 v114, v114 offset:88
	s_waitcnt lgkmcnt(0)
	v_mul_f32_e32 v113, v113, v114
	scratch_store_b32 off, v113, off offset:88
.LBB53_97:
	s_or_b32 exec_lo, exec_lo, s0
	s_waitcnt_vscnt null, 0x0
	s_barrier
	buffer_gl0_inv
	scratch_load_b32 v113, off, off offset:92
	s_mov_b32 s0, exec_lo
	s_waitcnt vmcnt(0)
	ds_store_b32 v111, v113
	s_waitcnt lgkmcnt(0)
	s_barrier
	buffer_gl0_inv
	v_cmpx_gt_u32_e32 23, v0
	s_cbranch_execz .LBB53_101
; %bb.98:
	v_dual_mov_b32 v113, 0 :: v_dual_add_nc_u32 v114, -1, v0
	v_add_nc_u32_e32 v115, 0xe0, v109
	v_add_nc_u32_e32 v116, 0, v109
	s_mov_b32 s1, 0
.LBB53_99:                              ; =>This Inner Loop Header: Depth=1
	scratch_load_b32 v117, v116, off
	ds_load_b32 v118, v115
	v_add_nc_u32_e32 v114, 1, v114
	v_add_nc_u32_e32 v115, 4, v115
	v_add_nc_u32_e32 v116, 4, v116
	s_delay_alu instid0(VALU_DEP_3)
	v_cmp_lt_u32_e32 vcc_lo, 21, v114
	s_or_b32 s1, vcc_lo, s1
	s_waitcnt vmcnt(0) lgkmcnt(0)
	v_fmac_f32_e32 v113, v117, v118
	s_and_not1_b32 exec_lo, exec_lo, s1
	s_cbranch_execnz .LBB53_99
; %bb.100:
	s_or_b32 exec_lo, exec_lo, s1
	v_mov_b32_e32 v114, 0
	ds_load_b32 v114, v114 offset:92
	s_waitcnt lgkmcnt(0)
	v_mul_f32_e32 v113, v113, v114
	scratch_store_b32 off, v113, off offset:92
.LBB53_101:
	s_or_b32 exec_lo, exec_lo, s0
	s_waitcnt_vscnt null, 0x0
	s_barrier
	buffer_gl0_inv
	scratch_load_b32 v113, off, off offset:96
	s_mov_b32 s0, exec_lo
	s_waitcnt vmcnt(0)
	ds_store_b32 v111, v113
	s_waitcnt lgkmcnt(0)
	s_barrier
	buffer_gl0_inv
	v_cmpx_gt_u32_e32 24, v0
	s_cbranch_execz .LBB53_105
; %bb.102:
	v_dual_mov_b32 v113, 0 :: v_dual_add_nc_u32 v114, -1, v0
	v_add_nc_u32_e32 v115, 0xe0, v109
	v_add_nc_u32_e32 v116, 0, v109
	s_mov_b32 s1, 0
.LBB53_103:                             ; =>This Inner Loop Header: Depth=1
	scratch_load_b32 v117, v116, off
	ds_load_b32 v118, v115
	v_add_nc_u32_e32 v114, 1, v114
	v_add_nc_u32_e32 v115, 4, v115
	v_add_nc_u32_e32 v116, 4, v116
	s_delay_alu instid0(VALU_DEP_3)
	v_cmp_lt_u32_e32 vcc_lo, 22, v114
	s_or_b32 s1, vcc_lo, s1
	s_waitcnt vmcnt(0) lgkmcnt(0)
	v_fmac_f32_e32 v113, v117, v118
	s_and_not1_b32 exec_lo, exec_lo, s1
	s_cbranch_execnz .LBB53_103
; %bb.104:
	s_or_b32 exec_lo, exec_lo, s1
	v_mov_b32_e32 v114, 0
	ds_load_b32 v114, v114 offset:96
	s_waitcnt lgkmcnt(0)
	v_mul_f32_e32 v113, v113, v114
	scratch_store_b32 off, v113, off offset:96
.LBB53_105:
	s_or_b32 exec_lo, exec_lo, s0
	s_waitcnt_vscnt null, 0x0
	s_barrier
	buffer_gl0_inv
	scratch_load_b32 v113, off, off offset:100
	s_mov_b32 s0, exec_lo
	s_waitcnt vmcnt(0)
	ds_store_b32 v111, v113
	s_waitcnt lgkmcnt(0)
	s_barrier
	buffer_gl0_inv
	v_cmpx_gt_u32_e32 25, v0
	s_cbranch_execz .LBB53_109
; %bb.106:
	v_dual_mov_b32 v113, 0 :: v_dual_add_nc_u32 v114, -1, v0
	v_add_nc_u32_e32 v115, 0xe0, v109
	v_add_nc_u32_e32 v116, 0, v109
	s_mov_b32 s1, 0
.LBB53_107:                             ; =>This Inner Loop Header: Depth=1
	scratch_load_b32 v117, v116, off
	ds_load_b32 v118, v115
	v_add_nc_u32_e32 v114, 1, v114
	v_add_nc_u32_e32 v115, 4, v115
	v_add_nc_u32_e32 v116, 4, v116
	s_delay_alu instid0(VALU_DEP_3)
	v_cmp_lt_u32_e32 vcc_lo, 23, v114
	s_or_b32 s1, vcc_lo, s1
	s_waitcnt vmcnt(0) lgkmcnt(0)
	v_fmac_f32_e32 v113, v117, v118
	s_and_not1_b32 exec_lo, exec_lo, s1
	s_cbranch_execnz .LBB53_107
; %bb.108:
	s_or_b32 exec_lo, exec_lo, s1
	v_mov_b32_e32 v114, 0
	ds_load_b32 v114, v114 offset:100
	s_waitcnt lgkmcnt(0)
	v_mul_f32_e32 v113, v113, v114
	scratch_store_b32 off, v113, off offset:100
.LBB53_109:
	s_or_b32 exec_lo, exec_lo, s0
	s_waitcnt_vscnt null, 0x0
	s_barrier
	buffer_gl0_inv
	scratch_load_b32 v113, off, off offset:104
	;; [unrolled: 39-line block ×28, first 2 shown]
	s_mov_b32 s0, exec_lo
	s_waitcnt vmcnt(0)
	ds_store_b32 v111, v113
	s_waitcnt lgkmcnt(0)
	s_barrier
	buffer_gl0_inv
	v_cmpx_gt_u32_e32 52, v0
	s_cbranch_execz .LBB53_217
; %bb.214:
	v_add_nc_u32_e32 v113, -1, v0
	v_add_nc_u32_e32 v114, 0xe0, v109
	v_add_nc_u32_e32 v115, 0, v109
	v_mov_b32_e32 v109, 0
	s_mov_b32 s1, 0
.LBB53_215:                             ; =>This Inner Loop Header: Depth=1
	scratch_load_b32 v116, v115, off
	ds_load_b32 v117, v114
	v_add_nc_u32_e32 v113, 1, v113
	v_add_nc_u32_e32 v114, 4, v114
	v_add_nc_u32_e32 v115, 4, v115
	s_delay_alu instid0(VALU_DEP_3)
	v_cmp_lt_u32_e32 vcc_lo, 50, v113
	s_or_b32 s1, vcc_lo, s1
	s_waitcnt vmcnt(0) lgkmcnt(0)
	v_fmac_f32_e32 v109, v116, v117
	s_and_not1_b32 exec_lo, exec_lo, s1
	s_cbranch_execnz .LBB53_215
; %bb.216:
	s_or_b32 exec_lo, exec_lo, s1
	v_mov_b32_e32 v113, 0
	ds_load_b32 v113, v113 offset:208
	s_waitcnt lgkmcnt(0)
	v_mul_f32_e32 v109, v109, v113
	scratch_store_b32 off, v109, off offset:208
.LBB53_217:
	s_or_b32 exec_lo, exec_lo, s0
	s_waitcnt_vscnt null, 0x0
	s_barrier
	buffer_gl0_inv
	scratch_load_b32 v109, off, off offset:212
	s_mov_b32 s0, exec_lo
	s_waitcnt vmcnt(0)
	ds_store_b32 v111, v109
	s_waitcnt lgkmcnt(0)
	s_barrier
	buffer_gl0_inv
	v_cmpx_ne_u32_e32 53, v0
	s_cbranch_execz .LBB53_221
; %bb.218:
	v_mov_b32_e32 v109, 0
	s_mov_b32 s1, 0
.LBB53_219:                             ; =>This Inner Loop Header: Depth=1
	scratch_load_b32 v113, v110, off
	ds_load_b32 v114, v111
	v_add_nc_u32_e32 v112, 1, v112
	v_add_nc_u32_e32 v111, 4, v111
	;; [unrolled: 1-line block ×3, first 2 shown]
	s_waitcnt vmcnt(0) lgkmcnt(0)
	v_fmac_f32_e32 v109, v113, v114
	v_cmp_lt_u32_e32 vcc_lo, 51, v112
	s_or_b32 s1, vcc_lo, s1
	s_delay_alu instid0(SALU_CYCLE_1)
	s_and_not1_b32 exec_lo, exec_lo, s1
	s_cbranch_execnz .LBB53_219
; %bb.220:
	s_or_b32 exec_lo, exec_lo, s1
	v_mov_b32_e32 v110, 0
	ds_load_b32 v110, v110 offset:212
	s_waitcnt lgkmcnt(0)
	v_mul_f32_e32 v109, v109, v110
	scratch_store_b32 off, v109, off offset:212
.LBB53_221:
	s_or_b32 exec_lo, exec_lo, s0
	s_mov_b32 s1, -1
	s_waitcnt_vscnt null, 0x0
	s_barrier
	buffer_gl0_inv
.LBB53_222:
	s_and_b32 vcc_lo, exec_lo, s1
	s_cbranch_vccz .LBB53_224
; %bb.223:
	s_lshl_b64 s[0:1], s[14:15], 2
	v_mov_b32_e32 v109, 0
	s_add_u32 s0, s6, s0
	s_addc_u32 s1, s7, s1
	global_load_b32 v109, v109, s[0:1]
	s_waitcnt vmcnt(0)
	v_cmp_ne_u32_e32 vcc_lo, 0, v109
	s_cbranch_vccz .LBB53_225
.LBB53_224:
	s_endpgm
.LBB53_225:
	v_lshl_add_u32 v109, v0, 2, 0xe0
	s_mov_b32 s0, exec_lo
	v_cmpx_eq_u32_e32 53, v0
	s_cbranch_execz .LBB53_227
; %bb.226:
	scratch_load_b32 v110, off, off offset:208
	v_mov_b32_e32 v111, 0
	scratch_store_b32 off, v111, off offset:208
	s_waitcnt vmcnt(0)
	ds_store_b32 v109, v110
.LBB53_227:
	s_or_b32 exec_lo, exec_lo, s0
	s_waitcnt lgkmcnt(0)
	s_waitcnt_vscnt null, 0x0
	s_barrier
	buffer_gl0_inv
	scratch_load_b64 v[111:112], off, off offset:208
	v_mov_b32_e32 v110, 0
	s_mov_b32 s0, exec_lo
	ds_load_b32 v113, v110 offset:436
	s_waitcnt vmcnt(0) lgkmcnt(0)
	v_fma_f32 v112, v112, v113, 0
	s_delay_alu instid0(VALU_DEP_1)
	v_sub_f32_e32 v111, v111, v112
	scratch_store_b32 off, v111, off offset:208
	v_cmpx_lt_u32_e32 51, v0
	s_cbranch_execz .LBB53_229
; %bb.228:
	scratch_load_b32 v111, off, off offset:204
	scratch_store_b32 off, v110, off offset:204
	s_waitcnt vmcnt(0)
	ds_store_b32 v109, v111
.LBB53_229:
	s_or_b32 exec_lo, exec_lo, s0
	s_waitcnt lgkmcnt(0)
	s_waitcnt_vscnt null, 0x0
	s_barrier
	buffer_gl0_inv
	scratch_load_b96 v[111:113], off, off offset:204
	ds_load_b64 v[114:115], v110 offset:432
	s_mov_b32 s0, exec_lo
	s_waitcnt vmcnt(0) lgkmcnt(0)
	v_fma_f32 v110, v112, v114, 0
	s_delay_alu instid0(VALU_DEP_1) | instskip(NEXT) | instid1(VALU_DEP_1)
	v_fmac_f32_e32 v110, v113, v115
	v_sub_f32_e32 v110, v111, v110
	scratch_store_b32 off, v110, off offset:204
	v_cmpx_lt_u32_e32 50, v0
	s_cbranch_execz .LBB53_231
; %bb.230:
	scratch_load_b32 v110, off, off offset:200
	v_mov_b32_e32 v111, 0
	scratch_store_b32 off, v111, off offset:200
	s_waitcnt vmcnt(0)
	ds_store_b32 v109, v110
.LBB53_231:
	s_or_b32 exec_lo, exec_lo, s0
	s_waitcnt lgkmcnt(0)
	s_waitcnt_vscnt null, 0x0
	s_barrier
	buffer_gl0_inv
	scratch_load_b128 v[111:114], off, off offset:200
	v_mov_b32_e32 v110, 0
	ds_load_2addr_b32 v[115:116], v110 offset0:107 offset1:108
	ds_load_b32 v117, v110 offset:436
	s_mov_b32 s0, exec_lo
	s_waitcnt vmcnt(0) lgkmcnt(1)
	v_fma_f32 v112, v112, v115, 0
	s_delay_alu instid0(VALU_DEP_1) | instskip(SKIP_1) | instid1(VALU_DEP_1)
	v_fmac_f32_e32 v112, v113, v116
	s_waitcnt lgkmcnt(0)
	v_fmac_f32_e32 v112, v114, v117
	s_delay_alu instid0(VALU_DEP_1)
	v_sub_f32_e32 v111, v111, v112
	scratch_store_b32 off, v111, off offset:200
	v_cmpx_lt_u32_e32 49, v0
	s_cbranch_execz .LBB53_233
; %bb.232:
	scratch_load_b32 v111, off, off offset:196
	scratch_store_b32 off, v110, off offset:196
	s_waitcnt vmcnt(0)
	ds_store_b32 v109, v111
.LBB53_233:
	s_or_b32 exec_lo, exec_lo, s0
	s_waitcnt lgkmcnt(0)
	s_waitcnt_vscnt null, 0x0
	s_barrier
	buffer_gl0_inv
	s_clause 0x1
	scratch_load_b128 v[111:114], off, off offset:196
	scratch_load_b32 v119, off, off offset:212
	ds_load_2addr_b64 v[115:118], v110 offset0:53 offset1:54
	s_mov_b32 s0, exec_lo
	s_waitcnt vmcnt(1) lgkmcnt(0)
	v_fma_f32 v110, v112, v115, 0
	s_delay_alu instid0(VALU_DEP_1) | instskip(NEXT) | instid1(VALU_DEP_1)
	v_fmac_f32_e32 v110, v113, v116
	v_fmac_f32_e32 v110, v114, v117
	s_waitcnt vmcnt(0)
	s_delay_alu instid0(VALU_DEP_1) | instskip(NEXT) | instid1(VALU_DEP_1)
	v_fmac_f32_e32 v110, v119, v118
	v_sub_f32_e32 v110, v111, v110
	scratch_store_b32 off, v110, off offset:196
	v_cmpx_lt_u32_e32 48, v0
	s_cbranch_execz .LBB53_235
; %bb.234:
	scratch_load_b32 v110, off, off offset:192
	v_mov_b32_e32 v111, 0
	scratch_store_b32 off, v111, off offset:192
	s_waitcnt vmcnt(0)
	ds_store_b32 v109, v110
.LBB53_235:
	s_or_b32 exec_lo, exec_lo, s0
	s_waitcnt lgkmcnt(0)
	s_waitcnt_vscnt null, 0x0
	s_barrier
	buffer_gl0_inv
	s_clause 0x1
	scratch_load_b128 v[111:114], off, off offset:192
	scratch_load_b64 v[115:116], off, off offset:208
	v_mov_b32_e32 v110, 0
	ds_load_2addr_b32 v[117:118], v110 offset0:105 offset1:106
	ds_load_2addr_b32 v[119:120], v110 offset0:107 offset1:108
	ds_load_b32 v121, v110 offset:436
	s_mov_b32 s0, exec_lo
	s_waitcnt vmcnt(1) lgkmcnt(2)
	v_fma_f32 v112, v112, v117, 0
	s_delay_alu instid0(VALU_DEP_1) | instskip(SKIP_1) | instid1(VALU_DEP_1)
	v_fmac_f32_e32 v112, v113, v118
	s_waitcnt lgkmcnt(1)
	v_fmac_f32_e32 v112, v114, v119
	s_waitcnt vmcnt(0)
	s_delay_alu instid0(VALU_DEP_1) | instskip(SKIP_1) | instid1(VALU_DEP_1)
	v_fmac_f32_e32 v112, v115, v120
	s_waitcnt lgkmcnt(0)
	v_fmac_f32_e32 v112, v116, v121
	s_delay_alu instid0(VALU_DEP_1)
	v_sub_f32_e32 v111, v111, v112
	scratch_store_b32 off, v111, off offset:192
	v_cmpx_lt_u32_e32 47, v0
	s_cbranch_execz .LBB53_237
; %bb.236:
	scratch_load_b32 v111, off, off offset:188
	scratch_store_b32 off, v110, off offset:188
	s_waitcnt vmcnt(0)
	ds_store_b32 v109, v111
.LBB53_237:
	s_or_b32 exec_lo, exec_lo, s0
	s_waitcnt lgkmcnt(0)
	s_waitcnt_vscnt null, 0x0
	s_barrier
	buffer_gl0_inv
	s_clause 0x1
	scratch_load_b128 v[111:114], off, off offset:188
	scratch_load_b96 v[119:121], off, off offset:204
	ds_load_b128 v[115:118], v110 offset:416
	ds_load_b64 v[122:123], v110 offset:432
	s_mov_b32 s0, exec_lo
	s_waitcnt vmcnt(1) lgkmcnt(1)
	v_fma_f32 v110, v112, v115, 0
	s_delay_alu instid0(VALU_DEP_1) | instskip(NEXT) | instid1(VALU_DEP_1)
	v_fmac_f32_e32 v110, v113, v116
	v_fmac_f32_e32 v110, v114, v117
	s_waitcnt vmcnt(0)
	s_delay_alu instid0(VALU_DEP_1) | instskip(SKIP_1) | instid1(VALU_DEP_1)
	v_fmac_f32_e32 v110, v119, v118
	s_waitcnt lgkmcnt(0)
	v_fmac_f32_e32 v110, v120, v122
	s_delay_alu instid0(VALU_DEP_1) | instskip(NEXT) | instid1(VALU_DEP_1)
	v_fmac_f32_e32 v110, v121, v123
	v_sub_f32_e32 v110, v111, v110
	scratch_store_b32 off, v110, off offset:188
	v_cmpx_lt_u32_e32 46, v0
	s_cbranch_execz .LBB53_239
; %bb.238:
	scratch_load_b32 v110, off, off offset:184
	v_mov_b32_e32 v111, 0
	scratch_store_b32 off, v111, off offset:184
	s_waitcnt vmcnt(0)
	ds_store_b32 v109, v110
.LBB53_239:
	s_or_b32 exec_lo, exec_lo, s0
	s_waitcnt lgkmcnt(0)
	s_waitcnt_vscnt null, 0x0
	s_barrier
	buffer_gl0_inv
	s_clause 0x1
	scratch_load_b128 v[111:114], off, off offset:184
	scratch_load_b128 v[115:118], off, off offset:200
	v_mov_b32_e32 v110, 0
	ds_load_2addr_b32 v[119:120], v110 offset0:103 offset1:104
	ds_load_2addr_b32 v[121:122], v110 offset0:105 offset1:106
	;; [unrolled: 1-line block ×3, first 2 shown]
	ds_load_b32 v125, v110 offset:436
	s_mov_b32 s0, exec_lo
	s_waitcnt vmcnt(1) lgkmcnt(3)
	v_fma_f32 v112, v112, v119, 0
	s_delay_alu instid0(VALU_DEP_1) | instskip(SKIP_1) | instid1(VALU_DEP_1)
	v_fmac_f32_e32 v112, v113, v120
	s_waitcnt lgkmcnt(2)
	v_fmac_f32_e32 v112, v114, v121
	s_waitcnt vmcnt(0)
	s_delay_alu instid0(VALU_DEP_1) | instskip(SKIP_1) | instid1(VALU_DEP_1)
	v_fmac_f32_e32 v112, v115, v122
	s_waitcnt lgkmcnt(1)
	v_fmac_f32_e32 v112, v116, v123
	s_delay_alu instid0(VALU_DEP_1) | instskip(SKIP_1) | instid1(VALU_DEP_1)
	v_fmac_f32_e32 v112, v117, v124
	s_waitcnt lgkmcnt(0)
	v_fmac_f32_e32 v112, v118, v125
	s_delay_alu instid0(VALU_DEP_1)
	v_sub_f32_e32 v111, v111, v112
	scratch_store_b32 off, v111, off offset:184
	v_cmpx_lt_u32_e32 45, v0
	s_cbranch_execz .LBB53_241
; %bb.240:
	scratch_load_b32 v111, off, off offset:180
	scratch_store_b32 off, v110, off offset:180
	s_waitcnt vmcnt(0)
	ds_store_b32 v109, v111
.LBB53_241:
	s_or_b32 exec_lo, exec_lo, s0
	s_waitcnt lgkmcnt(0)
	s_waitcnt_vscnt null, 0x0
	s_barrier
	buffer_gl0_inv
	s_clause 0x2
	scratch_load_b128 v[111:114], off, off offset:180
	scratch_load_b128 v[115:118], off, off offset:196
	scratch_load_b32 v127, off, off offset:212
	ds_load_2addr_b64 v[119:122], v110 offset0:51 offset1:52
	ds_load_2addr_b64 v[123:126], v110 offset0:53 offset1:54
	s_mov_b32 s0, exec_lo
	s_waitcnt vmcnt(2) lgkmcnt(1)
	v_fma_f32 v110, v112, v119, 0
	s_delay_alu instid0(VALU_DEP_1) | instskip(NEXT) | instid1(VALU_DEP_1)
	v_fmac_f32_e32 v110, v113, v120
	v_fmac_f32_e32 v110, v114, v121
	s_waitcnt vmcnt(1)
	s_delay_alu instid0(VALU_DEP_1) | instskip(SKIP_1) | instid1(VALU_DEP_1)
	v_fmac_f32_e32 v110, v115, v122
	s_waitcnt lgkmcnt(0)
	v_fmac_f32_e32 v110, v116, v123
	s_delay_alu instid0(VALU_DEP_1) | instskip(NEXT) | instid1(VALU_DEP_1)
	v_fmac_f32_e32 v110, v117, v124
	v_fmac_f32_e32 v110, v118, v125
	s_waitcnt vmcnt(0)
	s_delay_alu instid0(VALU_DEP_1) | instskip(NEXT) | instid1(VALU_DEP_1)
	v_fmac_f32_e32 v110, v127, v126
	v_sub_f32_e32 v110, v111, v110
	scratch_store_b32 off, v110, off offset:180
	v_cmpx_lt_u32_e32 44, v0
	s_cbranch_execz .LBB53_243
; %bb.242:
	scratch_load_b32 v110, off, off offset:176
	v_mov_b32_e32 v111, 0
	scratch_store_b32 off, v111, off offset:176
	s_waitcnt vmcnt(0)
	ds_store_b32 v109, v110
.LBB53_243:
	s_or_b32 exec_lo, exec_lo, s0
	s_waitcnt lgkmcnt(0)
	s_waitcnt_vscnt null, 0x0
	s_barrier
	buffer_gl0_inv
	s_clause 0x2
	scratch_load_b128 v[111:114], off, off offset:176
	scratch_load_b128 v[115:118], off, off offset:192
	scratch_load_b64 v[119:120], off, off offset:208
	v_mov_b32_e32 v110, 0
	ds_load_2addr_b32 v[121:122], v110 offset0:101 offset1:102
	ds_load_2addr_b32 v[123:124], v110 offset0:103 offset1:104
	;; [unrolled: 1-line block ×4, first 2 shown]
	s_mov_b32 s0, exec_lo
	s_waitcnt vmcnt(2) lgkmcnt(3)
	v_fma_f32 v112, v112, v121, 0
	s_delay_alu instid0(VALU_DEP_1) | instskip(SKIP_4) | instid1(VALU_DEP_1)
	v_fmac_f32_e32 v112, v113, v122
	ds_load_b32 v113, v110 offset:436
	s_waitcnt lgkmcnt(3)
	v_fmac_f32_e32 v112, v114, v123
	s_waitcnt vmcnt(1)
	v_fmac_f32_e32 v112, v115, v124
	s_waitcnt lgkmcnt(2)
	s_delay_alu instid0(VALU_DEP_1) | instskip(NEXT) | instid1(VALU_DEP_1)
	v_fmac_f32_e32 v112, v116, v125
	v_fmac_f32_e32 v112, v117, v126
	s_waitcnt lgkmcnt(1)
	s_delay_alu instid0(VALU_DEP_1) | instskip(SKIP_1) | instid1(VALU_DEP_1)
	v_fmac_f32_e32 v112, v118, v127
	s_waitcnt vmcnt(0)
	v_fmac_f32_e32 v112, v119, v128
	s_waitcnt lgkmcnt(0)
	s_delay_alu instid0(VALU_DEP_1) | instskip(NEXT) | instid1(VALU_DEP_1)
	v_fmac_f32_e32 v112, v120, v113
	v_sub_f32_e32 v111, v111, v112
	scratch_store_b32 off, v111, off offset:176
	v_cmpx_lt_u32_e32 43, v0
	s_cbranch_execz .LBB53_245
; %bb.244:
	scratch_load_b32 v111, off, off offset:172
	scratch_store_b32 off, v110, off offset:172
	s_waitcnt vmcnt(0)
	ds_store_b32 v109, v111
.LBB53_245:
	s_or_b32 exec_lo, exec_lo, s0
	s_waitcnt lgkmcnt(0)
	s_waitcnt_vscnt null, 0x0
	s_barrier
	buffer_gl0_inv
	s_clause 0x2
	scratch_load_b128 v[111:114], off, off offset:172
	scratch_load_b128 v[115:118], off, off offset:188
	scratch_load_b96 v[127:129], off, off offset:204
	ds_load_b128 v[119:122], v110 offset:400
	ds_load_b128 v[123:126], v110 offset:416
	s_mov_b32 s0, exec_lo
	s_waitcnt vmcnt(2) lgkmcnt(1)
	v_fma_f32 v119, v112, v119, 0
	s_delay_alu instid0(VALU_DEP_1) | instskip(SKIP_3) | instid1(VALU_DEP_1)
	v_fmac_f32_e32 v119, v113, v120
	ds_load_b64 v[112:113], v110 offset:432
	v_fmac_f32_e32 v119, v114, v121
	s_waitcnt vmcnt(1)
	v_fmac_f32_e32 v119, v115, v122
	s_waitcnt lgkmcnt(1)
	s_delay_alu instid0(VALU_DEP_1) | instskip(NEXT) | instid1(VALU_DEP_1)
	v_fmac_f32_e32 v119, v116, v123
	v_fmac_f32_e32 v119, v117, v124
	s_delay_alu instid0(VALU_DEP_1) | instskip(SKIP_1) | instid1(VALU_DEP_1)
	v_fmac_f32_e32 v119, v118, v125
	s_waitcnt vmcnt(0)
	v_fmac_f32_e32 v119, v127, v126
	s_waitcnt lgkmcnt(0)
	s_delay_alu instid0(VALU_DEP_1) | instskip(NEXT) | instid1(VALU_DEP_1)
	v_fmac_f32_e32 v119, v128, v112
	v_fmac_f32_e32 v119, v129, v113
	s_delay_alu instid0(VALU_DEP_1)
	v_sub_f32_e32 v110, v111, v119
	scratch_store_b32 off, v110, off offset:172
	v_cmpx_lt_u32_e32 42, v0
	s_cbranch_execz .LBB53_247
; %bb.246:
	scratch_load_b32 v110, off, off offset:168
	v_mov_b32_e32 v111, 0
	scratch_store_b32 off, v111, off offset:168
	s_waitcnt vmcnt(0)
	ds_store_b32 v109, v110
.LBB53_247:
	s_or_b32 exec_lo, exec_lo, s0
	s_waitcnt lgkmcnt(0)
	s_waitcnt_vscnt null, 0x0
	s_barrier
	buffer_gl0_inv
	s_clause 0x2
	scratch_load_b128 v[111:114], off, off offset:168
	scratch_load_b128 v[115:118], off, off offset:184
	;; [unrolled: 1-line block ×3, first 2 shown]
	v_mov_b32_e32 v110, 0
	ds_load_2addr_b32 v[123:124], v110 offset0:99 offset1:100
	ds_load_2addr_b32 v[125:126], v110 offset0:101 offset1:102
	;; [unrolled: 1-line block ×4, first 2 shown]
	s_mov_b32 s0, exec_lo
	s_waitcnt vmcnt(2) lgkmcnt(3)
	v_fma_f32 v123, v112, v123, 0
	s_delay_alu instid0(VALU_DEP_1)
	v_fmac_f32_e32 v123, v113, v124
	ds_load_2addr_b32 v[112:113], v110 offset0:107 offset1:108
	s_waitcnt lgkmcnt(3)
	v_fmac_f32_e32 v123, v114, v125
	ds_load_b32 v114, v110 offset:436
	s_waitcnt vmcnt(1)
	v_fmac_f32_e32 v123, v115, v126
	s_waitcnt lgkmcnt(3)
	s_delay_alu instid0(VALU_DEP_1) | instskip(NEXT) | instid1(VALU_DEP_1)
	v_fmac_f32_e32 v123, v116, v127
	v_fmac_f32_e32 v123, v117, v128
	s_waitcnt lgkmcnt(2)
	s_delay_alu instid0(VALU_DEP_1) | instskip(SKIP_1) | instid1(VALU_DEP_1)
	v_fmac_f32_e32 v123, v118, v129
	s_waitcnt vmcnt(0)
	v_fmac_f32_e32 v123, v119, v130
	s_waitcnt lgkmcnt(1)
	s_delay_alu instid0(VALU_DEP_1) | instskip(NEXT) | instid1(VALU_DEP_1)
	v_fmac_f32_e32 v123, v120, v112
	v_fmac_f32_e32 v123, v121, v113
	s_waitcnt lgkmcnt(0)
	s_delay_alu instid0(VALU_DEP_1) | instskip(NEXT) | instid1(VALU_DEP_1)
	v_fmac_f32_e32 v123, v122, v114
	v_sub_f32_e32 v111, v111, v123
	scratch_store_b32 off, v111, off offset:168
	v_cmpx_lt_u32_e32 41, v0
	s_cbranch_execz .LBB53_249
; %bb.248:
	scratch_load_b32 v111, off, off offset:164
	scratch_store_b32 off, v110, off offset:164
	s_waitcnt vmcnt(0)
	ds_store_b32 v109, v111
.LBB53_249:
	s_or_b32 exec_lo, exec_lo, s0
	s_waitcnt lgkmcnt(0)
	s_waitcnt_vscnt null, 0x0
	s_barrier
	buffer_gl0_inv
	s_clause 0x3
	scratch_load_b128 v[111:114], off, off offset:164
	scratch_load_b128 v[115:118], off, off offset:180
	;; [unrolled: 1-line block ×3, first 2 shown]
	scratch_load_b32 v131, off, off offset:212
	ds_load_2addr_b64 v[123:126], v110 offset0:49 offset1:50
	ds_load_2addr_b64 v[127:130], v110 offset0:51 offset1:52
	s_mov_b32 s0, exec_lo
	s_waitcnt vmcnt(3) lgkmcnt(1)
	v_fma_f32 v123, v112, v123, 0
	s_delay_alu instid0(VALU_DEP_1) | instskip(NEXT) | instid1(VALU_DEP_1)
	v_fmac_f32_e32 v123, v113, v124
	v_fmac_f32_e32 v123, v114, v125
	s_waitcnt vmcnt(2)
	s_delay_alu instid0(VALU_DEP_1) | instskip(SKIP_3) | instid1(VALU_DEP_1)
	v_fmac_f32_e32 v123, v115, v126
	ds_load_2addr_b64 v[112:115], v110 offset0:53 offset1:54
	s_waitcnt lgkmcnt(1)
	v_fmac_f32_e32 v123, v116, v127
	v_fmac_f32_e32 v123, v117, v128
	s_delay_alu instid0(VALU_DEP_1) | instskip(SKIP_1) | instid1(VALU_DEP_1)
	v_fmac_f32_e32 v123, v118, v129
	s_waitcnt vmcnt(1)
	v_fmac_f32_e32 v123, v119, v130
	s_waitcnt lgkmcnt(0)
	s_delay_alu instid0(VALU_DEP_1) | instskip(NEXT) | instid1(VALU_DEP_1)
	v_fmac_f32_e32 v123, v120, v112
	v_fmac_f32_e32 v123, v121, v113
	s_delay_alu instid0(VALU_DEP_1) | instskip(SKIP_1) | instid1(VALU_DEP_1)
	v_fmac_f32_e32 v123, v122, v114
	s_waitcnt vmcnt(0)
	v_fmac_f32_e32 v123, v131, v115
	s_delay_alu instid0(VALU_DEP_1)
	v_sub_f32_e32 v110, v111, v123
	scratch_store_b32 off, v110, off offset:164
	v_cmpx_lt_u32_e32 40, v0
	s_cbranch_execz .LBB53_251
; %bb.250:
	scratch_load_b32 v110, off, off offset:160
	v_mov_b32_e32 v111, 0
	scratch_store_b32 off, v111, off offset:160
	s_waitcnt vmcnt(0)
	ds_store_b32 v109, v110
.LBB53_251:
	s_or_b32 exec_lo, exec_lo, s0
	s_waitcnt lgkmcnt(0)
	s_waitcnt_vscnt null, 0x0
	s_barrier
	buffer_gl0_inv
	s_clause 0x3
	scratch_load_b128 v[111:114], off, off offset:160
	scratch_load_b128 v[115:118], off, off offset:176
	;; [unrolled: 1-line block ×3, first 2 shown]
	scratch_load_b64 v[123:124], off, off offset:208
	v_mov_b32_e32 v110, 0
	ds_load_2addr_b32 v[125:126], v110 offset0:97 offset1:98
	ds_load_2addr_b32 v[127:128], v110 offset0:99 offset1:100
	;; [unrolled: 1-line block ×4, first 2 shown]
	s_mov_b32 s0, exec_lo
	s_waitcnt vmcnt(3) lgkmcnt(3)
	v_fma_f32 v125, v112, v125, 0
	s_delay_alu instid0(VALU_DEP_1) | instskip(SKIP_4) | instid1(VALU_DEP_1)
	v_fmac_f32_e32 v125, v113, v126
	ds_load_2addr_b32 v[112:113], v110 offset0:105 offset1:106
	s_waitcnt lgkmcnt(3)
	v_fmac_f32_e32 v125, v114, v127
	s_waitcnt vmcnt(2)
	v_fmac_f32_e32 v125, v115, v128
	ds_load_2addr_b32 v[114:115], v110 offset0:107 offset1:108
	s_waitcnt lgkmcnt(3)
	v_fmac_f32_e32 v125, v116, v129
	ds_load_b32 v116, v110 offset:436
	v_fmac_f32_e32 v125, v117, v130
	s_waitcnt lgkmcnt(3)
	s_delay_alu instid0(VALU_DEP_1) | instskip(SKIP_1) | instid1(VALU_DEP_1)
	v_fmac_f32_e32 v125, v118, v131
	s_waitcnt vmcnt(1)
	v_fmac_f32_e32 v125, v119, v132
	s_waitcnt lgkmcnt(2)
	s_delay_alu instid0(VALU_DEP_1) | instskip(NEXT) | instid1(VALU_DEP_1)
	v_fmac_f32_e32 v125, v120, v112
	v_fmac_f32_e32 v125, v121, v113
	s_waitcnt lgkmcnt(1)
	s_delay_alu instid0(VALU_DEP_1) | instskip(SKIP_1) | instid1(VALU_DEP_1)
	v_fmac_f32_e32 v125, v122, v114
	s_waitcnt vmcnt(0)
	v_fmac_f32_e32 v125, v123, v115
	s_waitcnt lgkmcnt(0)
	s_delay_alu instid0(VALU_DEP_1) | instskip(NEXT) | instid1(VALU_DEP_1)
	v_fmac_f32_e32 v125, v124, v116
	v_sub_f32_e32 v111, v111, v125
	scratch_store_b32 off, v111, off offset:160
	v_cmpx_lt_u32_e32 39, v0
	s_cbranch_execz .LBB53_253
; %bb.252:
	scratch_load_b32 v111, off, off offset:156
	scratch_store_b32 off, v110, off offset:156
	s_waitcnt vmcnt(0)
	ds_store_b32 v109, v111
.LBB53_253:
	s_or_b32 exec_lo, exec_lo, s0
	s_waitcnt lgkmcnt(0)
	s_waitcnt_vscnt null, 0x0
	s_barrier
	buffer_gl0_inv
	s_clause 0x3
	scratch_load_b128 v[111:114], off, off offset:156
	scratch_load_b128 v[115:118], off, off offset:172
	;; [unrolled: 1-line block ×3, first 2 shown]
	scratch_load_b96 v[131:133], off, off offset:204
	ds_load_b128 v[123:126], v110 offset:384
	ds_load_b128 v[127:130], v110 offset:400
	s_mov_b32 s0, exec_lo
	s_waitcnt vmcnt(3) lgkmcnt(1)
	v_fma_f32 v123, v112, v123, 0
	s_delay_alu instid0(VALU_DEP_1) | instskip(NEXT) | instid1(VALU_DEP_1)
	v_fmac_f32_e32 v123, v113, v124
	v_fmac_f32_e32 v123, v114, v125
	s_waitcnt vmcnt(2)
	s_delay_alu instid0(VALU_DEP_1) | instskip(SKIP_3) | instid1(VALU_DEP_1)
	v_fmac_f32_e32 v123, v115, v126
	ds_load_b128 v[112:115], v110 offset:416
	s_waitcnt lgkmcnt(1)
	v_fmac_f32_e32 v123, v116, v127
	v_fmac_f32_e32 v123, v117, v128
	ds_load_b64 v[116:117], v110 offset:432
	v_fmac_f32_e32 v123, v118, v129
	s_waitcnt vmcnt(1)
	s_delay_alu instid0(VALU_DEP_1) | instskip(SKIP_1) | instid1(VALU_DEP_1)
	v_fmac_f32_e32 v123, v119, v130
	s_waitcnt lgkmcnt(1)
	v_fmac_f32_e32 v123, v120, v112
	s_delay_alu instid0(VALU_DEP_1) | instskip(NEXT) | instid1(VALU_DEP_1)
	v_fmac_f32_e32 v123, v121, v113
	v_fmac_f32_e32 v123, v122, v114
	s_waitcnt vmcnt(0)
	s_delay_alu instid0(VALU_DEP_1) | instskip(SKIP_1) | instid1(VALU_DEP_1)
	v_fmac_f32_e32 v123, v131, v115
	s_waitcnt lgkmcnt(0)
	v_fmac_f32_e32 v123, v132, v116
	s_delay_alu instid0(VALU_DEP_1) | instskip(NEXT) | instid1(VALU_DEP_1)
	v_fmac_f32_e32 v123, v133, v117
	v_sub_f32_e32 v110, v111, v123
	scratch_store_b32 off, v110, off offset:156
	v_cmpx_lt_u32_e32 38, v0
	s_cbranch_execz .LBB53_255
; %bb.254:
	scratch_load_b32 v110, off, off offset:152
	v_mov_b32_e32 v111, 0
	scratch_store_b32 off, v111, off offset:152
	s_waitcnt vmcnt(0)
	ds_store_b32 v109, v110
.LBB53_255:
	s_or_b32 exec_lo, exec_lo, s0
	s_waitcnt lgkmcnt(0)
	s_waitcnt_vscnt null, 0x0
	s_barrier
	buffer_gl0_inv
	s_clause 0x3
	scratch_load_b128 v[111:114], off, off offset:152
	scratch_load_b128 v[115:118], off, off offset:168
	;; [unrolled: 1-line block ×4, first 2 shown]
	v_mov_b32_e32 v110, 0
	ds_load_2addr_b32 v[127:128], v110 offset0:95 offset1:96
	ds_load_2addr_b32 v[129:130], v110 offset0:97 offset1:98
	;; [unrolled: 1-line block ×4, first 2 shown]
	s_mov_b32 s0, exec_lo
	s_waitcnt vmcnt(3) lgkmcnt(3)
	v_fma_f32 v127, v112, v127, 0
	s_delay_alu instid0(VALU_DEP_1) | instskip(SKIP_4) | instid1(VALU_DEP_1)
	v_fmac_f32_e32 v127, v113, v128
	ds_load_2addr_b32 v[112:113], v110 offset0:103 offset1:104
	s_waitcnt lgkmcnt(3)
	v_fmac_f32_e32 v127, v114, v129
	s_waitcnt vmcnt(2)
	v_fmac_f32_e32 v127, v115, v130
	ds_load_2addr_b32 v[114:115], v110 offset0:105 offset1:106
	s_waitcnt lgkmcnt(3)
	v_fmac_f32_e32 v127, v116, v131
	s_delay_alu instid0(VALU_DEP_1) | instskip(SKIP_1) | instid1(VALU_DEP_1)
	v_fmac_f32_e32 v127, v117, v132
	s_waitcnt lgkmcnt(2)
	v_fmac_f32_e32 v127, v118, v133
	ds_load_2addr_b32 v[116:117], v110 offset0:107 offset1:108
	ds_load_b32 v118, v110 offset:436
	s_waitcnt vmcnt(1)
	v_fmac_f32_e32 v127, v119, v134
	s_waitcnt lgkmcnt(3)
	s_delay_alu instid0(VALU_DEP_1) | instskip(NEXT) | instid1(VALU_DEP_1)
	v_fmac_f32_e32 v127, v120, v112
	v_fmac_f32_e32 v127, v121, v113
	s_waitcnt lgkmcnt(2)
	s_delay_alu instid0(VALU_DEP_1) | instskip(SKIP_1) | instid1(VALU_DEP_1)
	v_fmac_f32_e32 v127, v122, v114
	s_waitcnt vmcnt(0)
	v_fmac_f32_e32 v127, v123, v115
	s_waitcnt lgkmcnt(1)
	s_delay_alu instid0(VALU_DEP_1) | instskip(NEXT) | instid1(VALU_DEP_1)
	v_fmac_f32_e32 v127, v124, v116
	v_fmac_f32_e32 v127, v125, v117
	s_waitcnt lgkmcnt(0)
	s_delay_alu instid0(VALU_DEP_1) | instskip(NEXT) | instid1(VALU_DEP_1)
	v_fmac_f32_e32 v127, v126, v118
	v_sub_f32_e32 v111, v111, v127
	scratch_store_b32 off, v111, off offset:152
	v_cmpx_lt_u32_e32 37, v0
	s_cbranch_execz .LBB53_257
; %bb.256:
	scratch_load_b32 v111, off, off offset:148
	scratch_store_b32 off, v110, off offset:148
	s_waitcnt vmcnt(0)
	ds_store_b32 v109, v111
.LBB53_257:
	s_or_b32 exec_lo, exec_lo, s0
	s_waitcnt lgkmcnt(0)
	s_waitcnt_vscnt null, 0x0
	s_barrier
	buffer_gl0_inv
	s_clause 0x4
	scratch_load_b128 v[111:114], off, off offset:148
	scratch_load_b128 v[115:118], off, off offset:164
	;; [unrolled: 1-line block ×4, first 2 shown]
	scratch_load_b32 v135, off, off offset:212
	ds_load_2addr_b64 v[127:130], v110 offset0:47 offset1:48
	ds_load_2addr_b64 v[131:134], v110 offset0:49 offset1:50
	s_mov_b32 s0, exec_lo
	s_waitcnt vmcnt(4) lgkmcnt(1)
	v_fma_f32 v127, v112, v127, 0
	s_delay_alu instid0(VALU_DEP_1) | instskip(NEXT) | instid1(VALU_DEP_1)
	v_fmac_f32_e32 v127, v113, v128
	v_fmac_f32_e32 v127, v114, v129
	s_waitcnt vmcnt(3)
	s_delay_alu instid0(VALU_DEP_1) | instskip(SKIP_3) | instid1(VALU_DEP_1)
	v_fmac_f32_e32 v127, v115, v130
	ds_load_2addr_b64 v[112:115], v110 offset0:51 offset1:52
	s_waitcnt lgkmcnt(1)
	v_fmac_f32_e32 v127, v116, v131
	v_fmac_f32_e32 v127, v117, v132
	s_delay_alu instid0(VALU_DEP_1) | instskip(SKIP_1) | instid1(VALU_DEP_1)
	v_fmac_f32_e32 v127, v118, v133
	s_waitcnt vmcnt(2)
	v_fmac_f32_e32 v127, v119, v134
	ds_load_2addr_b64 v[116:119], v110 offset0:53 offset1:54
	s_waitcnt lgkmcnt(1)
	v_fmac_f32_e32 v127, v120, v112
	s_delay_alu instid0(VALU_DEP_1) | instskip(NEXT) | instid1(VALU_DEP_1)
	v_fmac_f32_e32 v127, v121, v113
	v_fmac_f32_e32 v127, v122, v114
	s_waitcnt vmcnt(1)
	s_delay_alu instid0(VALU_DEP_1) | instskip(SKIP_1) | instid1(VALU_DEP_1)
	v_fmac_f32_e32 v127, v123, v115
	s_waitcnt lgkmcnt(0)
	v_fmac_f32_e32 v127, v124, v116
	s_delay_alu instid0(VALU_DEP_1) | instskip(NEXT) | instid1(VALU_DEP_1)
	v_fmac_f32_e32 v127, v125, v117
	v_fmac_f32_e32 v127, v126, v118
	s_waitcnt vmcnt(0)
	s_delay_alu instid0(VALU_DEP_1) | instskip(NEXT) | instid1(VALU_DEP_1)
	v_fmac_f32_e32 v127, v135, v119
	v_sub_f32_e32 v110, v111, v127
	scratch_store_b32 off, v110, off offset:148
	v_cmpx_lt_u32_e32 36, v0
	s_cbranch_execz .LBB53_259
; %bb.258:
	scratch_load_b32 v110, off, off offset:144
	v_mov_b32_e32 v111, 0
	scratch_store_b32 off, v111, off offset:144
	s_waitcnt vmcnt(0)
	ds_store_b32 v109, v110
.LBB53_259:
	s_or_b32 exec_lo, exec_lo, s0
	s_waitcnt lgkmcnt(0)
	s_waitcnt_vscnt null, 0x0
	s_barrier
	buffer_gl0_inv
	s_clause 0x4
	scratch_load_b128 v[111:114], off, off offset:144
	scratch_load_b128 v[115:118], off, off offset:160
	;; [unrolled: 1-line block ×4, first 2 shown]
	scratch_load_b64 v[127:128], off, off offset:208
	v_mov_b32_e32 v110, 0
	ds_load_2addr_b32 v[129:130], v110 offset0:93 offset1:94
	ds_load_2addr_b32 v[131:132], v110 offset0:95 offset1:96
	ds_load_2addr_b32 v[133:134], v110 offset0:97 offset1:98
	ds_load_2addr_b32 v[135:136], v110 offset0:99 offset1:100
	s_mov_b32 s0, exec_lo
	s_waitcnt vmcnt(4) lgkmcnt(3)
	v_fma_f32 v129, v112, v129, 0
	s_delay_alu instid0(VALU_DEP_1) | instskip(SKIP_4) | instid1(VALU_DEP_1)
	v_fmac_f32_e32 v129, v113, v130
	ds_load_2addr_b32 v[112:113], v110 offset0:101 offset1:102
	s_waitcnt lgkmcnt(3)
	v_fmac_f32_e32 v129, v114, v131
	s_waitcnt vmcnt(3)
	v_fmac_f32_e32 v129, v115, v132
	ds_load_2addr_b32 v[114:115], v110 offset0:103 offset1:104
	s_waitcnt lgkmcnt(3)
	v_fmac_f32_e32 v129, v116, v133
	s_delay_alu instid0(VALU_DEP_1) | instskip(SKIP_1) | instid1(VALU_DEP_1)
	v_fmac_f32_e32 v129, v117, v134
	s_waitcnt lgkmcnt(2)
	v_fmac_f32_e32 v129, v118, v135
	s_waitcnt vmcnt(2)
	s_delay_alu instid0(VALU_DEP_1)
	v_fmac_f32_e32 v129, v119, v136
	ds_load_2addr_b32 v[116:117], v110 offset0:105 offset1:106
	ds_load_2addr_b32 v[118:119], v110 offset0:107 offset1:108
	s_waitcnt lgkmcnt(3)
	v_fmac_f32_e32 v129, v120, v112
	ds_load_b32 v112, v110 offset:436
	v_fmac_f32_e32 v129, v121, v113
	s_waitcnt lgkmcnt(3)
	s_delay_alu instid0(VALU_DEP_1) | instskip(SKIP_1) | instid1(VALU_DEP_1)
	v_fmac_f32_e32 v129, v122, v114
	s_waitcnt vmcnt(1)
	v_fmac_f32_e32 v129, v123, v115
	s_waitcnt lgkmcnt(2)
	s_delay_alu instid0(VALU_DEP_1) | instskip(NEXT) | instid1(VALU_DEP_1)
	v_fmac_f32_e32 v129, v124, v116
	v_fmac_f32_e32 v129, v125, v117
	s_waitcnt lgkmcnt(1)
	s_delay_alu instid0(VALU_DEP_1) | instskip(SKIP_1) | instid1(VALU_DEP_1)
	v_fmac_f32_e32 v129, v126, v118
	s_waitcnt vmcnt(0)
	v_fmac_f32_e32 v129, v127, v119
	s_waitcnt lgkmcnt(0)
	s_delay_alu instid0(VALU_DEP_1) | instskip(NEXT) | instid1(VALU_DEP_1)
	v_fmac_f32_e32 v129, v128, v112
	v_sub_f32_e32 v111, v111, v129
	scratch_store_b32 off, v111, off offset:144
	v_cmpx_lt_u32_e32 35, v0
	s_cbranch_execz .LBB53_261
; %bb.260:
	scratch_load_b32 v111, off, off offset:140
	scratch_store_b32 off, v110, off offset:140
	s_waitcnt vmcnt(0)
	ds_store_b32 v109, v111
.LBB53_261:
	s_or_b32 exec_lo, exec_lo, s0
	s_waitcnt lgkmcnt(0)
	s_waitcnt_vscnt null, 0x0
	s_barrier
	buffer_gl0_inv
	s_clause 0x4
	scratch_load_b128 v[111:114], off, off offset:140
	scratch_load_b128 v[115:118], off, off offset:156
	;; [unrolled: 1-line block ×4, first 2 shown]
	scratch_load_b96 v[135:137], off, off offset:204
	ds_load_b128 v[127:130], v110 offset:368
	ds_load_b128 v[131:134], v110 offset:384
	s_mov_b32 s0, exec_lo
	s_waitcnt vmcnt(4) lgkmcnt(1)
	v_fma_f32 v127, v112, v127, 0
	s_delay_alu instid0(VALU_DEP_1) | instskip(NEXT) | instid1(VALU_DEP_1)
	v_fmac_f32_e32 v127, v113, v128
	v_fmac_f32_e32 v127, v114, v129
	s_waitcnt vmcnt(3)
	s_delay_alu instid0(VALU_DEP_1) | instskip(SKIP_3) | instid1(VALU_DEP_1)
	v_fmac_f32_e32 v127, v115, v130
	ds_load_b128 v[112:115], v110 offset:400
	s_waitcnt lgkmcnt(1)
	v_fmac_f32_e32 v127, v116, v131
	v_fmac_f32_e32 v127, v117, v132
	s_delay_alu instid0(VALU_DEP_1) | instskip(SKIP_1) | instid1(VALU_DEP_1)
	v_fmac_f32_e32 v127, v118, v133
	s_waitcnt vmcnt(2)
	v_fmac_f32_e32 v127, v119, v134
	ds_load_b128 v[116:119], v110 offset:416
	s_waitcnt lgkmcnt(1)
	v_fmac_f32_e32 v127, v120, v112
	s_delay_alu instid0(VALU_DEP_1) | instskip(SKIP_3) | instid1(VALU_DEP_1)
	v_fmac_f32_e32 v127, v121, v113
	ds_load_b64 v[112:113], v110 offset:432
	v_fmac_f32_e32 v127, v122, v114
	s_waitcnt vmcnt(1)
	v_fmac_f32_e32 v127, v123, v115
	s_waitcnt lgkmcnt(1)
	s_delay_alu instid0(VALU_DEP_1) | instskip(NEXT) | instid1(VALU_DEP_1)
	v_fmac_f32_e32 v127, v124, v116
	v_fmac_f32_e32 v127, v125, v117
	s_delay_alu instid0(VALU_DEP_1) | instskip(SKIP_1) | instid1(VALU_DEP_1)
	v_fmac_f32_e32 v127, v126, v118
	s_waitcnt vmcnt(0)
	v_fmac_f32_e32 v127, v135, v119
	s_waitcnt lgkmcnt(0)
	s_delay_alu instid0(VALU_DEP_1) | instskip(NEXT) | instid1(VALU_DEP_1)
	v_fmac_f32_e32 v127, v136, v112
	v_fmac_f32_e32 v127, v137, v113
	s_delay_alu instid0(VALU_DEP_1)
	v_sub_f32_e32 v110, v111, v127
	scratch_store_b32 off, v110, off offset:140
	v_cmpx_lt_u32_e32 34, v0
	s_cbranch_execz .LBB53_263
; %bb.262:
	scratch_load_b32 v110, off, off offset:136
	v_mov_b32_e32 v111, 0
	scratch_store_b32 off, v111, off offset:136
	s_waitcnt vmcnt(0)
	ds_store_b32 v109, v110
.LBB53_263:
	s_or_b32 exec_lo, exec_lo, s0
	s_waitcnt lgkmcnt(0)
	s_waitcnt_vscnt null, 0x0
	s_barrier
	buffer_gl0_inv
	s_clause 0x4
	scratch_load_b128 v[111:114], off, off offset:136
	scratch_load_b128 v[115:118], off, off offset:152
	scratch_load_b128 v[119:122], off, off offset:168
	scratch_load_b128 v[123:126], off, off offset:184
	scratch_load_b128 v[127:130], off, off offset:200
	v_mov_b32_e32 v110, 0
	ds_load_2addr_b32 v[131:132], v110 offset0:91 offset1:92
	ds_load_2addr_b32 v[133:134], v110 offset0:93 offset1:94
	;; [unrolled: 1-line block ×4, first 2 shown]
	s_mov_b32 s0, exec_lo
	s_waitcnt vmcnt(4) lgkmcnt(3)
	v_fma_f32 v131, v112, v131, 0
	s_delay_alu instid0(VALU_DEP_1) | instskip(SKIP_4) | instid1(VALU_DEP_1)
	v_fmac_f32_e32 v131, v113, v132
	ds_load_2addr_b32 v[112:113], v110 offset0:99 offset1:100
	s_waitcnt lgkmcnt(3)
	v_fmac_f32_e32 v131, v114, v133
	s_waitcnt vmcnt(3)
	v_fmac_f32_e32 v131, v115, v134
	ds_load_2addr_b32 v[114:115], v110 offset0:101 offset1:102
	s_waitcnt lgkmcnt(3)
	v_fmac_f32_e32 v131, v116, v135
	s_delay_alu instid0(VALU_DEP_1) | instskip(SKIP_1) | instid1(VALU_DEP_1)
	v_fmac_f32_e32 v131, v117, v136
	s_waitcnt lgkmcnt(2)
	v_fmac_f32_e32 v131, v118, v137
	s_waitcnt vmcnt(2)
	s_delay_alu instid0(VALU_DEP_1) | instskip(SKIP_4) | instid1(VALU_DEP_1)
	v_fmac_f32_e32 v131, v119, v138
	ds_load_2addr_b32 v[116:117], v110 offset0:103 offset1:104
	ds_load_2addr_b32 v[118:119], v110 offset0:105 offset1:106
	s_waitcnt lgkmcnt(3)
	v_fmac_f32_e32 v131, v120, v112
	v_fmac_f32_e32 v131, v121, v113
	ds_load_2addr_b32 v[112:113], v110 offset0:107 offset1:108
	s_waitcnt lgkmcnt(3)
	v_fmac_f32_e32 v131, v122, v114
	ds_load_b32 v114, v110 offset:436
	s_waitcnt vmcnt(1)
	v_fmac_f32_e32 v131, v123, v115
	s_waitcnt lgkmcnt(3)
	s_delay_alu instid0(VALU_DEP_1) | instskip(NEXT) | instid1(VALU_DEP_1)
	v_fmac_f32_e32 v131, v124, v116
	v_fmac_f32_e32 v131, v125, v117
	s_waitcnt lgkmcnt(2)
	s_delay_alu instid0(VALU_DEP_1) | instskip(SKIP_1) | instid1(VALU_DEP_1)
	v_fmac_f32_e32 v131, v126, v118
	s_waitcnt vmcnt(0)
	v_fmac_f32_e32 v131, v127, v119
	s_waitcnt lgkmcnt(1)
	s_delay_alu instid0(VALU_DEP_1) | instskip(NEXT) | instid1(VALU_DEP_1)
	v_fmac_f32_e32 v131, v128, v112
	v_fmac_f32_e32 v131, v129, v113
	s_waitcnt lgkmcnt(0)
	s_delay_alu instid0(VALU_DEP_1) | instskip(NEXT) | instid1(VALU_DEP_1)
	v_fmac_f32_e32 v131, v130, v114
	v_sub_f32_e32 v111, v111, v131
	scratch_store_b32 off, v111, off offset:136
	v_cmpx_lt_u32_e32 33, v0
	s_cbranch_execz .LBB53_265
; %bb.264:
	scratch_load_b32 v111, off, off offset:132
	scratch_store_b32 off, v110, off offset:132
	s_waitcnt vmcnt(0)
	ds_store_b32 v109, v111
.LBB53_265:
	s_or_b32 exec_lo, exec_lo, s0
	s_waitcnt lgkmcnt(0)
	s_waitcnt_vscnt null, 0x0
	s_barrier
	buffer_gl0_inv
	s_clause 0x5
	scratch_load_b128 v[111:114], off, off offset:132
	scratch_load_b128 v[115:118], off, off offset:148
	;; [unrolled: 1-line block ×5, first 2 shown]
	scratch_load_b32 v139, off, off offset:212
	ds_load_2addr_b64 v[131:134], v110 offset0:45 offset1:46
	ds_load_2addr_b64 v[135:138], v110 offset0:47 offset1:48
	s_mov_b32 s0, exec_lo
	s_waitcnt vmcnt(5) lgkmcnt(1)
	v_fma_f32 v131, v112, v131, 0
	s_delay_alu instid0(VALU_DEP_1) | instskip(NEXT) | instid1(VALU_DEP_1)
	v_fmac_f32_e32 v131, v113, v132
	v_fmac_f32_e32 v131, v114, v133
	s_waitcnt vmcnt(4)
	s_delay_alu instid0(VALU_DEP_1) | instskip(SKIP_3) | instid1(VALU_DEP_1)
	v_fmac_f32_e32 v131, v115, v134
	ds_load_2addr_b64 v[112:115], v110 offset0:49 offset1:50
	s_waitcnt lgkmcnt(1)
	v_fmac_f32_e32 v131, v116, v135
	v_fmac_f32_e32 v131, v117, v136
	s_delay_alu instid0(VALU_DEP_1) | instskip(SKIP_1) | instid1(VALU_DEP_1)
	v_fmac_f32_e32 v131, v118, v137
	s_waitcnt vmcnt(3)
	v_fmac_f32_e32 v131, v119, v138
	ds_load_2addr_b64 v[116:119], v110 offset0:51 offset1:52
	s_waitcnt lgkmcnt(1)
	v_fmac_f32_e32 v131, v120, v112
	s_delay_alu instid0(VALU_DEP_1) | instskip(NEXT) | instid1(VALU_DEP_1)
	v_fmac_f32_e32 v131, v121, v113
	v_fmac_f32_e32 v131, v122, v114
	s_waitcnt vmcnt(2)
	s_delay_alu instid0(VALU_DEP_1) | instskip(SKIP_3) | instid1(VALU_DEP_1)
	v_fmac_f32_e32 v131, v123, v115
	ds_load_2addr_b64 v[112:115], v110 offset0:53 offset1:54
	s_waitcnt lgkmcnt(1)
	v_fmac_f32_e32 v131, v124, v116
	v_fmac_f32_e32 v131, v125, v117
	s_delay_alu instid0(VALU_DEP_1) | instskip(SKIP_1) | instid1(VALU_DEP_1)
	v_fmac_f32_e32 v131, v126, v118
	s_waitcnt vmcnt(1)
	v_fmac_f32_e32 v131, v127, v119
	s_waitcnt lgkmcnt(0)
	s_delay_alu instid0(VALU_DEP_1) | instskip(NEXT) | instid1(VALU_DEP_1)
	v_fmac_f32_e32 v131, v128, v112
	v_fmac_f32_e32 v131, v129, v113
	s_delay_alu instid0(VALU_DEP_1) | instskip(SKIP_1) | instid1(VALU_DEP_1)
	v_fmac_f32_e32 v131, v130, v114
	s_waitcnt vmcnt(0)
	v_fmac_f32_e32 v131, v139, v115
	s_delay_alu instid0(VALU_DEP_1)
	v_sub_f32_e32 v110, v111, v131
	scratch_store_b32 off, v110, off offset:132
	v_cmpx_lt_u32_e32 32, v0
	s_cbranch_execz .LBB53_267
; %bb.266:
	scratch_load_b32 v110, off, off offset:128
	v_mov_b32_e32 v111, 0
	scratch_store_b32 off, v111, off offset:128
	s_waitcnt vmcnt(0)
	ds_store_b32 v109, v110
.LBB53_267:
	s_or_b32 exec_lo, exec_lo, s0
	s_waitcnt lgkmcnt(0)
	s_waitcnt_vscnt null, 0x0
	s_barrier
	buffer_gl0_inv
	s_clause 0x5
	scratch_load_b128 v[111:114], off, off offset:128
	scratch_load_b128 v[115:118], off, off offset:144
	;; [unrolled: 1-line block ×5, first 2 shown]
	scratch_load_b64 v[131:132], off, off offset:208
	v_mov_b32_e32 v110, 0
	ds_load_2addr_b32 v[133:134], v110 offset0:89 offset1:90
	ds_load_2addr_b32 v[135:136], v110 offset0:91 offset1:92
	;; [unrolled: 1-line block ×4, first 2 shown]
	s_mov_b32 s0, exec_lo
	s_waitcnt vmcnt(5) lgkmcnt(3)
	v_fma_f32 v133, v112, v133, 0
	s_delay_alu instid0(VALU_DEP_1) | instskip(SKIP_4) | instid1(VALU_DEP_1)
	v_fmac_f32_e32 v133, v113, v134
	ds_load_2addr_b32 v[112:113], v110 offset0:97 offset1:98
	s_waitcnt lgkmcnt(3)
	v_fmac_f32_e32 v133, v114, v135
	s_waitcnt vmcnt(4)
	v_fmac_f32_e32 v133, v115, v136
	ds_load_2addr_b32 v[114:115], v110 offset0:99 offset1:100
	s_waitcnt lgkmcnt(3)
	v_fmac_f32_e32 v133, v116, v137
	s_delay_alu instid0(VALU_DEP_1) | instskip(SKIP_1) | instid1(VALU_DEP_1)
	v_fmac_f32_e32 v133, v117, v138
	s_waitcnt lgkmcnt(2)
	v_fmac_f32_e32 v133, v118, v139
	s_waitcnt vmcnt(3)
	s_delay_alu instid0(VALU_DEP_1) | instskip(SKIP_4) | instid1(VALU_DEP_1)
	v_fmac_f32_e32 v133, v119, v140
	ds_load_2addr_b32 v[116:117], v110 offset0:101 offset1:102
	ds_load_2addr_b32 v[118:119], v110 offset0:103 offset1:104
	s_waitcnt lgkmcnt(3)
	v_fmac_f32_e32 v133, v120, v112
	v_fmac_f32_e32 v133, v121, v113
	ds_load_2addr_b32 v[112:113], v110 offset0:105 offset1:106
	s_waitcnt lgkmcnt(3)
	v_fmac_f32_e32 v133, v122, v114
	s_waitcnt vmcnt(2)
	s_delay_alu instid0(VALU_DEP_1)
	v_fmac_f32_e32 v133, v123, v115
	ds_load_2addr_b32 v[114:115], v110 offset0:107 offset1:108
	s_waitcnt lgkmcnt(3)
	v_fmac_f32_e32 v133, v124, v116
	ds_load_b32 v116, v110 offset:436
	v_fmac_f32_e32 v133, v125, v117
	s_waitcnt lgkmcnt(3)
	s_delay_alu instid0(VALU_DEP_1) | instskip(SKIP_1) | instid1(VALU_DEP_1)
	v_fmac_f32_e32 v133, v126, v118
	s_waitcnt vmcnt(1)
	v_fmac_f32_e32 v133, v127, v119
	s_waitcnt lgkmcnt(2)
	s_delay_alu instid0(VALU_DEP_1) | instskip(NEXT) | instid1(VALU_DEP_1)
	v_fmac_f32_e32 v133, v128, v112
	v_fmac_f32_e32 v133, v129, v113
	s_waitcnt lgkmcnt(1)
	s_delay_alu instid0(VALU_DEP_1) | instskip(SKIP_1) | instid1(VALU_DEP_1)
	v_fmac_f32_e32 v133, v130, v114
	s_waitcnt vmcnt(0)
	v_fmac_f32_e32 v133, v131, v115
	s_waitcnt lgkmcnt(0)
	s_delay_alu instid0(VALU_DEP_1) | instskip(NEXT) | instid1(VALU_DEP_1)
	v_fmac_f32_e32 v133, v132, v116
	v_sub_f32_e32 v111, v111, v133
	scratch_store_b32 off, v111, off offset:128
	v_cmpx_lt_u32_e32 31, v0
	s_cbranch_execz .LBB53_269
; %bb.268:
	scratch_load_b32 v111, off, off offset:124
	scratch_store_b32 off, v110, off offset:124
	s_waitcnt vmcnt(0)
	ds_store_b32 v109, v111
.LBB53_269:
	s_or_b32 exec_lo, exec_lo, s0
	s_waitcnt lgkmcnt(0)
	s_waitcnt_vscnt null, 0x0
	s_barrier
	buffer_gl0_inv
	s_clause 0x5
	scratch_load_b128 v[111:114], off, off offset:124
	scratch_load_b128 v[115:118], off, off offset:140
	;; [unrolled: 1-line block ×5, first 2 shown]
	scratch_load_b96 v[139:141], off, off offset:204
	ds_load_b128 v[131:134], v110 offset:352
	ds_load_b128 v[135:138], v110 offset:368
	s_mov_b32 s0, exec_lo
	s_waitcnt vmcnt(5) lgkmcnt(1)
	v_fma_f32 v131, v112, v131, 0
	s_delay_alu instid0(VALU_DEP_1) | instskip(NEXT) | instid1(VALU_DEP_1)
	v_fmac_f32_e32 v131, v113, v132
	v_fmac_f32_e32 v131, v114, v133
	s_waitcnt vmcnt(4)
	s_delay_alu instid0(VALU_DEP_1) | instskip(SKIP_3) | instid1(VALU_DEP_1)
	v_fmac_f32_e32 v131, v115, v134
	ds_load_b128 v[112:115], v110 offset:384
	s_waitcnt lgkmcnt(1)
	v_fmac_f32_e32 v131, v116, v135
	v_fmac_f32_e32 v131, v117, v136
	s_delay_alu instid0(VALU_DEP_1) | instskip(SKIP_1) | instid1(VALU_DEP_1)
	v_fmac_f32_e32 v131, v118, v137
	s_waitcnt vmcnt(3)
	v_fmac_f32_e32 v131, v119, v138
	ds_load_b128 v[116:119], v110 offset:400
	s_waitcnt lgkmcnt(1)
	v_fmac_f32_e32 v131, v120, v112
	s_delay_alu instid0(VALU_DEP_1) | instskip(NEXT) | instid1(VALU_DEP_1)
	v_fmac_f32_e32 v131, v121, v113
	v_fmac_f32_e32 v131, v122, v114
	s_waitcnt vmcnt(2)
	s_delay_alu instid0(VALU_DEP_1) | instskip(SKIP_3) | instid1(VALU_DEP_1)
	v_fmac_f32_e32 v131, v123, v115
	ds_load_b128 v[112:115], v110 offset:416
	s_waitcnt lgkmcnt(1)
	v_fmac_f32_e32 v131, v124, v116
	v_fmac_f32_e32 v131, v125, v117
	ds_load_b64 v[116:117], v110 offset:432
	v_fmac_f32_e32 v131, v126, v118
	s_waitcnt vmcnt(1)
	s_delay_alu instid0(VALU_DEP_1) | instskip(SKIP_1) | instid1(VALU_DEP_1)
	v_fmac_f32_e32 v131, v127, v119
	s_waitcnt lgkmcnt(1)
	v_fmac_f32_e32 v131, v128, v112
	s_delay_alu instid0(VALU_DEP_1) | instskip(NEXT) | instid1(VALU_DEP_1)
	v_fmac_f32_e32 v131, v129, v113
	v_fmac_f32_e32 v131, v130, v114
	s_waitcnt vmcnt(0)
	s_delay_alu instid0(VALU_DEP_1) | instskip(SKIP_1) | instid1(VALU_DEP_1)
	v_fmac_f32_e32 v131, v139, v115
	s_waitcnt lgkmcnt(0)
	v_fmac_f32_e32 v131, v140, v116
	s_delay_alu instid0(VALU_DEP_1) | instskip(NEXT) | instid1(VALU_DEP_1)
	v_fmac_f32_e32 v131, v141, v117
	v_sub_f32_e32 v110, v111, v131
	scratch_store_b32 off, v110, off offset:124
	v_cmpx_lt_u32_e32 30, v0
	s_cbranch_execz .LBB53_271
; %bb.270:
	scratch_load_b32 v110, off, off offset:120
	v_mov_b32_e32 v111, 0
	scratch_store_b32 off, v111, off offset:120
	s_waitcnt vmcnt(0)
	ds_store_b32 v109, v110
.LBB53_271:
	s_or_b32 exec_lo, exec_lo, s0
	s_waitcnt lgkmcnt(0)
	s_waitcnt_vscnt null, 0x0
	s_barrier
	buffer_gl0_inv
	s_clause 0x5
	scratch_load_b128 v[111:114], off, off offset:120
	scratch_load_b128 v[115:118], off, off offset:136
	;; [unrolled: 1-line block ×6, first 2 shown]
	v_mov_b32_e32 v110, 0
	ds_load_2addr_b32 v[135:136], v110 offset0:87 offset1:88
	ds_load_2addr_b32 v[137:138], v110 offset0:89 offset1:90
	;; [unrolled: 1-line block ×4, first 2 shown]
	s_mov_b32 s0, exec_lo
	s_waitcnt vmcnt(5) lgkmcnt(3)
	v_fma_f32 v135, v112, v135, 0
	s_delay_alu instid0(VALU_DEP_1) | instskip(SKIP_4) | instid1(VALU_DEP_1)
	v_fmac_f32_e32 v135, v113, v136
	ds_load_2addr_b32 v[112:113], v110 offset0:95 offset1:96
	s_waitcnt lgkmcnt(3)
	v_fmac_f32_e32 v135, v114, v137
	s_waitcnt vmcnt(4)
	v_fmac_f32_e32 v135, v115, v138
	ds_load_2addr_b32 v[114:115], v110 offset0:97 offset1:98
	s_waitcnt lgkmcnt(3)
	v_fmac_f32_e32 v135, v116, v139
	s_delay_alu instid0(VALU_DEP_1) | instskip(SKIP_1) | instid1(VALU_DEP_1)
	v_fmac_f32_e32 v135, v117, v140
	s_waitcnt lgkmcnt(2)
	v_fmac_f32_e32 v135, v118, v141
	s_waitcnt vmcnt(3)
	s_delay_alu instid0(VALU_DEP_1) | instskip(SKIP_4) | instid1(VALU_DEP_1)
	v_fmac_f32_e32 v135, v119, v142
	ds_load_2addr_b32 v[116:117], v110 offset0:99 offset1:100
	ds_load_2addr_b32 v[118:119], v110 offset0:101 offset1:102
	s_waitcnt lgkmcnt(3)
	v_fmac_f32_e32 v135, v120, v112
	v_fmac_f32_e32 v135, v121, v113
	ds_load_2addr_b32 v[112:113], v110 offset0:103 offset1:104
	s_waitcnt lgkmcnt(3)
	v_fmac_f32_e32 v135, v122, v114
	s_waitcnt vmcnt(2)
	s_delay_alu instid0(VALU_DEP_1) | instskip(SKIP_3) | instid1(VALU_DEP_1)
	v_fmac_f32_e32 v135, v123, v115
	ds_load_2addr_b32 v[114:115], v110 offset0:105 offset1:106
	s_waitcnt lgkmcnt(3)
	v_fmac_f32_e32 v135, v124, v116
	v_fmac_f32_e32 v135, v125, v117
	s_waitcnt lgkmcnt(2)
	s_delay_alu instid0(VALU_DEP_1)
	v_fmac_f32_e32 v135, v126, v118
	ds_load_2addr_b32 v[116:117], v110 offset0:107 offset1:108
	ds_load_b32 v118, v110 offset:436
	s_waitcnt vmcnt(1)
	v_fmac_f32_e32 v135, v127, v119
	s_waitcnt lgkmcnt(3)
	s_delay_alu instid0(VALU_DEP_1) | instskip(NEXT) | instid1(VALU_DEP_1)
	v_fmac_f32_e32 v135, v128, v112
	v_fmac_f32_e32 v135, v129, v113
	s_waitcnt lgkmcnt(2)
	s_delay_alu instid0(VALU_DEP_1) | instskip(SKIP_1) | instid1(VALU_DEP_1)
	v_fmac_f32_e32 v135, v130, v114
	s_waitcnt vmcnt(0)
	v_fmac_f32_e32 v135, v131, v115
	s_waitcnt lgkmcnt(1)
	s_delay_alu instid0(VALU_DEP_1) | instskip(NEXT) | instid1(VALU_DEP_1)
	v_fmac_f32_e32 v135, v132, v116
	v_fmac_f32_e32 v135, v133, v117
	s_waitcnt lgkmcnt(0)
	s_delay_alu instid0(VALU_DEP_1) | instskip(NEXT) | instid1(VALU_DEP_1)
	v_fmac_f32_e32 v135, v134, v118
	v_sub_f32_e32 v111, v111, v135
	scratch_store_b32 off, v111, off offset:120
	v_cmpx_lt_u32_e32 29, v0
	s_cbranch_execz .LBB53_273
; %bb.272:
	scratch_load_b32 v111, off, off offset:116
	scratch_store_b32 off, v110, off offset:116
	s_waitcnt vmcnt(0)
	ds_store_b32 v109, v111
.LBB53_273:
	s_or_b32 exec_lo, exec_lo, s0
	s_waitcnt lgkmcnt(0)
	s_waitcnt_vscnt null, 0x0
	s_barrier
	buffer_gl0_inv
	s_clause 0x6
	scratch_load_b128 v[111:114], off, off offset:116
	scratch_load_b128 v[115:118], off, off offset:132
	;; [unrolled: 1-line block ×6, first 2 shown]
	scratch_load_b32 v143, off, off offset:212
	ds_load_2addr_b64 v[135:138], v110 offset0:43 offset1:44
	ds_load_2addr_b64 v[139:142], v110 offset0:45 offset1:46
	s_mov_b32 s0, exec_lo
	s_waitcnt vmcnt(6) lgkmcnt(1)
	v_fma_f32 v135, v112, v135, 0
	s_delay_alu instid0(VALU_DEP_1) | instskip(NEXT) | instid1(VALU_DEP_1)
	v_fmac_f32_e32 v135, v113, v136
	v_fmac_f32_e32 v135, v114, v137
	s_waitcnt vmcnt(5)
	s_delay_alu instid0(VALU_DEP_1) | instskip(SKIP_3) | instid1(VALU_DEP_1)
	v_fmac_f32_e32 v135, v115, v138
	ds_load_2addr_b64 v[112:115], v110 offset0:47 offset1:48
	s_waitcnt lgkmcnt(1)
	v_fmac_f32_e32 v135, v116, v139
	v_fmac_f32_e32 v135, v117, v140
	s_delay_alu instid0(VALU_DEP_1) | instskip(SKIP_1) | instid1(VALU_DEP_1)
	v_fmac_f32_e32 v135, v118, v141
	s_waitcnt vmcnt(4)
	v_fmac_f32_e32 v135, v119, v142
	ds_load_2addr_b64 v[116:119], v110 offset0:49 offset1:50
	s_waitcnt lgkmcnt(1)
	v_fmac_f32_e32 v135, v120, v112
	s_delay_alu instid0(VALU_DEP_1) | instskip(NEXT) | instid1(VALU_DEP_1)
	v_fmac_f32_e32 v135, v121, v113
	v_fmac_f32_e32 v135, v122, v114
	s_waitcnt vmcnt(3)
	s_delay_alu instid0(VALU_DEP_1) | instskip(SKIP_3) | instid1(VALU_DEP_1)
	v_fmac_f32_e32 v135, v123, v115
	ds_load_2addr_b64 v[112:115], v110 offset0:51 offset1:52
	s_waitcnt lgkmcnt(1)
	v_fmac_f32_e32 v135, v124, v116
	v_fmac_f32_e32 v135, v125, v117
	s_delay_alu instid0(VALU_DEP_1) | instskip(SKIP_1) | instid1(VALU_DEP_1)
	v_fmac_f32_e32 v135, v126, v118
	s_waitcnt vmcnt(2)
	v_fmac_f32_e32 v135, v127, v119
	ds_load_2addr_b64 v[116:119], v110 offset0:53 offset1:54
	s_waitcnt lgkmcnt(1)
	v_fmac_f32_e32 v135, v128, v112
	s_delay_alu instid0(VALU_DEP_1) | instskip(NEXT) | instid1(VALU_DEP_1)
	v_fmac_f32_e32 v135, v129, v113
	v_fmac_f32_e32 v135, v130, v114
	s_waitcnt vmcnt(1)
	s_delay_alu instid0(VALU_DEP_1) | instskip(SKIP_1) | instid1(VALU_DEP_1)
	v_fmac_f32_e32 v135, v131, v115
	s_waitcnt lgkmcnt(0)
	v_fmac_f32_e32 v135, v132, v116
	s_delay_alu instid0(VALU_DEP_1) | instskip(NEXT) | instid1(VALU_DEP_1)
	v_fmac_f32_e32 v135, v133, v117
	v_fmac_f32_e32 v135, v134, v118
	s_waitcnt vmcnt(0)
	s_delay_alu instid0(VALU_DEP_1) | instskip(NEXT) | instid1(VALU_DEP_1)
	v_fmac_f32_e32 v135, v143, v119
	v_sub_f32_e32 v110, v111, v135
	scratch_store_b32 off, v110, off offset:116
	v_cmpx_lt_u32_e32 28, v0
	s_cbranch_execz .LBB53_275
; %bb.274:
	scratch_load_b32 v110, off, off offset:112
	v_mov_b32_e32 v111, 0
	scratch_store_b32 off, v111, off offset:112
	s_waitcnt vmcnt(0)
	ds_store_b32 v109, v110
.LBB53_275:
	s_or_b32 exec_lo, exec_lo, s0
	s_waitcnt lgkmcnt(0)
	s_waitcnt_vscnt null, 0x0
	s_barrier
	buffer_gl0_inv
	s_clause 0x6
	scratch_load_b128 v[111:114], off, off offset:112
	scratch_load_b128 v[115:118], off, off offset:128
	;; [unrolled: 1-line block ×6, first 2 shown]
	scratch_load_b64 v[135:136], off, off offset:208
	v_mov_b32_e32 v110, 0
	ds_load_2addr_b32 v[137:138], v110 offset0:85 offset1:86
	ds_load_2addr_b32 v[139:140], v110 offset0:87 offset1:88
	;; [unrolled: 1-line block ×4, first 2 shown]
	s_mov_b32 s0, exec_lo
	s_waitcnt vmcnt(6) lgkmcnt(3)
	v_fma_f32 v137, v112, v137, 0
	s_delay_alu instid0(VALU_DEP_1) | instskip(SKIP_4) | instid1(VALU_DEP_1)
	v_fmac_f32_e32 v137, v113, v138
	ds_load_2addr_b32 v[112:113], v110 offset0:93 offset1:94
	s_waitcnt lgkmcnt(3)
	v_fmac_f32_e32 v137, v114, v139
	s_waitcnt vmcnt(5)
	v_fmac_f32_e32 v137, v115, v140
	ds_load_2addr_b32 v[114:115], v110 offset0:95 offset1:96
	s_waitcnt lgkmcnt(3)
	v_fmac_f32_e32 v137, v116, v141
	s_delay_alu instid0(VALU_DEP_1) | instskip(SKIP_1) | instid1(VALU_DEP_1)
	v_fmac_f32_e32 v137, v117, v142
	s_waitcnt lgkmcnt(2)
	v_fmac_f32_e32 v137, v118, v143
	s_waitcnt vmcnt(4)
	s_delay_alu instid0(VALU_DEP_1) | instskip(SKIP_4) | instid1(VALU_DEP_1)
	v_fmac_f32_e32 v137, v119, v144
	ds_load_2addr_b32 v[116:117], v110 offset0:97 offset1:98
	ds_load_2addr_b32 v[118:119], v110 offset0:99 offset1:100
	s_waitcnt lgkmcnt(3)
	v_fmac_f32_e32 v137, v120, v112
	v_fmac_f32_e32 v137, v121, v113
	ds_load_2addr_b32 v[112:113], v110 offset0:101 offset1:102
	s_waitcnt lgkmcnt(3)
	v_fmac_f32_e32 v137, v122, v114
	s_waitcnt vmcnt(3)
	s_delay_alu instid0(VALU_DEP_1) | instskip(SKIP_3) | instid1(VALU_DEP_1)
	v_fmac_f32_e32 v137, v123, v115
	ds_load_2addr_b32 v[114:115], v110 offset0:103 offset1:104
	s_waitcnt lgkmcnt(3)
	v_fmac_f32_e32 v137, v124, v116
	v_fmac_f32_e32 v137, v125, v117
	s_waitcnt lgkmcnt(2)
	s_delay_alu instid0(VALU_DEP_1) | instskip(SKIP_1) | instid1(VALU_DEP_1)
	v_fmac_f32_e32 v137, v126, v118
	s_waitcnt vmcnt(2)
	v_fmac_f32_e32 v137, v127, v119
	ds_load_2addr_b32 v[116:117], v110 offset0:105 offset1:106
	ds_load_2addr_b32 v[118:119], v110 offset0:107 offset1:108
	s_waitcnt lgkmcnt(3)
	v_fmac_f32_e32 v137, v128, v112
	ds_load_b32 v112, v110 offset:436
	v_fmac_f32_e32 v137, v129, v113
	s_waitcnt lgkmcnt(3)
	s_delay_alu instid0(VALU_DEP_1) | instskip(SKIP_1) | instid1(VALU_DEP_1)
	v_fmac_f32_e32 v137, v130, v114
	s_waitcnt vmcnt(1)
	v_fmac_f32_e32 v137, v131, v115
	s_waitcnt lgkmcnt(2)
	s_delay_alu instid0(VALU_DEP_1) | instskip(NEXT) | instid1(VALU_DEP_1)
	v_fmac_f32_e32 v137, v132, v116
	v_fmac_f32_e32 v137, v133, v117
	s_waitcnt lgkmcnt(1)
	s_delay_alu instid0(VALU_DEP_1) | instskip(SKIP_1) | instid1(VALU_DEP_1)
	v_fmac_f32_e32 v137, v134, v118
	s_waitcnt vmcnt(0)
	v_fmac_f32_e32 v137, v135, v119
	s_waitcnt lgkmcnt(0)
	s_delay_alu instid0(VALU_DEP_1) | instskip(NEXT) | instid1(VALU_DEP_1)
	v_fmac_f32_e32 v137, v136, v112
	v_sub_f32_e32 v111, v111, v137
	scratch_store_b32 off, v111, off offset:112
	v_cmpx_lt_u32_e32 27, v0
	s_cbranch_execz .LBB53_277
; %bb.276:
	scratch_load_b32 v111, off, off offset:108
	scratch_store_b32 off, v110, off offset:108
	s_waitcnt vmcnt(0)
	ds_store_b32 v109, v111
.LBB53_277:
	s_or_b32 exec_lo, exec_lo, s0
	s_waitcnt lgkmcnt(0)
	s_waitcnt_vscnt null, 0x0
	s_barrier
	buffer_gl0_inv
	s_clause 0x6
	scratch_load_b128 v[111:114], off, off offset:108
	scratch_load_b128 v[115:118], off, off offset:124
	;; [unrolled: 1-line block ×6, first 2 shown]
	scratch_load_b96 v[143:145], off, off offset:204
	ds_load_b128 v[135:138], v110 offset:336
	ds_load_b128 v[139:142], v110 offset:352
	s_mov_b32 s0, exec_lo
	s_waitcnt vmcnt(6) lgkmcnt(1)
	v_fma_f32 v135, v112, v135, 0
	s_delay_alu instid0(VALU_DEP_1) | instskip(NEXT) | instid1(VALU_DEP_1)
	v_fmac_f32_e32 v135, v113, v136
	v_fmac_f32_e32 v135, v114, v137
	s_waitcnt vmcnt(5)
	s_delay_alu instid0(VALU_DEP_1) | instskip(SKIP_3) | instid1(VALU_DEP_1)
	v_fmac_f32_e32 v135, v115, v138
	ds_load_b128 v[112:115], v110 offset:368
	s_waitcnt lgkmcnt(1)
	v_fmac_f32_e32 v135, v116, v139
	v_fmac_f32_e32 v135, v117, v140
	s_delay_alu instid0(VALU_DEP_1) | instskip(SKIP_1) | instid1(VALU_DEP_1)
	v_fmac_f32_e32 v135, v118, v141
	s_waitcnt vmcnt(4)
	v_fmac_f32_e32 v135, v119, v142
	ds_load_b128 v[116:119], v110 offset:384
	s_waitcnt lgkmcnt(1)
	v_fmac_f32_e32 v135, v120, v112
	s_delay_alu instid0(VALU_DEP_1) | instskip(NEXT) | instid1(VALU_DEP_1)
	v_fmac_f32_e32 v135, v121, v113
	v_fmac_f32_e32 v135, v122, v114
	s_waitcnt vmcnt(3)
	s_delay_alu instid0(VALU_DEP_1) | instskip(SKIP_3) | instid1(VALU_DEP_1)
	v_fmac_f32_e32 v135, v123, v115
	ds_load_b128 v[112:115], v110 offset:400
	s_waitcnt lgkmcnt(1)
	v_fmac_f32_e32 v135, v124, v116
	v_fmac_f32_e32 v135, v125, v117
	s_delay_alu instid0(VALU_DEP_1) | instskip(SKIP_1) | instid1(VALU_DEP_1)
	v_fmac_f32_e32 v135, v126, v118
	s_waitcnt vmcnt(2)
	v_fmac_f32_e32 v135, v127, v119
	ds_load_b128 v[116:119], v110 offset:416
	s_waitcnt lgkmcnt(1)
	v_fmac_f32_e32 v135, v128, v112
	s_delay_alu instid0(VALU_DEP_1) | instskip(SKIP_3) | instid1(VALU_DEP_1)
	v_fmac_f32_e32 v135, v129, v113
	ds_load_b64 v[112:113], v110 offset:432
	v_fmac_f32_e32 v135, v130, v114
	s_waitcnt vmcnt(1)
	v_fmac_f32_e32 v135, v131, v115
	s_waitcnt lgkmcnt(1)
	s_delay_alu instid0(VALU_DEP_1) | instskip(NEXT) | instid1(VALU_DEP_1)
	v_fmac_f32_e32 v135, v132, v116
	v_fmac_f32_e32 v135, v133, v117
	s_delay_alu instid0(VALU_DEP_1) | instskip(SKIP_1) | instid1(VALU_DEP_1)
	v_fmac_f32_e32 v135, v134, v118
	s_waitcnt vmcnt(0)
	v_fmac_f32_e32 v135, v143, v119
	s_waitcnt lgkmcnt(0)
	s_delay_alu instid0(VALU_DEP_1) | instskip(NEXT) | instid1(VALU_DEP_1)
	v_fmac_f32_e32 v135, v144, v112
	v_fmac_f32_e32 v135, v145, v113
	s_delay_alu instid0(VALU_DEP_1)
	v_sub_f32_e32 v110, v111, v135
	scratch_store_b32 off, v110, off offset:108
	v_cmpx_lt_u32_e32 26, v0
	s_cbranch_execz .LBB53_279
; %bb.278:
	scratch_load_b32 v110, off, off offset:104
	v_mov_b32_e32 v111, 0
	scratch_store_b32 off, v111, off offset:104
	s_waitcnt vmcnt(0)
	ds_store_b32 v109, v110
.LBB53_279:
	s_or_b32 exec_lo, exec_lo, s0
	s_waitcnt lgkmcnt(0)
	s_waitcnt_vscnt null, 0x0
	s_barrier
	buffer_gl0_inv
	s_clause 0x6
	scratch_load_b128 v[111:114], off, off offset:104
	scratch_load_b128 v[115:118], off, off offset:120
	;; [unrolled: 1-line block ×7, first 2 shown]
	v_mov_b32_e32 v110, 0
	ds_load_2addr_b32 v[139:140], v110 offset0:83 offset1:84
	ds_load_2addr_b32 v[141:142], v110 offset0:85 offset1:86
	;; [unrolled: 1-line block ×4, first 2 shown]
	s_mov_b32 s0, exec_lo
	s_waitcnt vmcnt(6) lgkmcnt(3)
	v_fma_f32 v139, v112, v139, 0
	s_delay_alu instid0(VALU_DEP_1) | instskip(SKIP_4) | instid1(VALU_DEP_1)
	v_fmac_f32_e32 v139, v113, v140
	ds_load_2addr_b32 v[112:113], v110 offset0:91 offset1:92
	s_waitcnt lgkmcnt(3)
	v_fmac_f32_e32 v139, v114, v141
	s_waitcnt vmcnt(5)
	v_fmac_f32_e32 v139, v115, v142
	ds_load_2addr_b32 v[114:115], v110 offset0:93 offset1:94
	s_waitcnt lgkmcnt(3)
	v_fmac_f32_e32 v139, v116, v143
	s_delay_alu instid0(VALU_DEP_1) | instskip(SKIP_1) | instid1(VALU_DEP_1)
	v_fmac_f32_e32 v139, v117, v144
	s_waitcnt lgkmcnt(2)
	v_fmac_f32_e32 v139, v118, v145
	s_waitcnt vmcnt(4)
	s_delay_alu instid0(VALU_DEP_1) | instskip(SKIP_4) | instid1(VALU_DEP_1)
	v_fmac_f32_e32 v139, v119, v146
	ds_load_2addr_b32 v[116:117], v110 offset0:95 offset1:96
	ds_load_2addr_b32 v[118:119], v110 offset0:97 offset1:98
	s_waitcnt lgkmcnt(3)
	v_fmac_f32_e32 v139, v120, v112
	v_fmac_f32_e32 v139, v121, v113
	ds_load_2addr_b32 v[112:113], v110 offset0:99 offset1:100
	s_waitcnt lgkmcnt(3)
	v_fmac_f32_e32 v139, v122, v114
	s_waitcnt vmcnt(3)
	s_delay_alu instid0(VALU_DEP_1) | instskip(SKIP_3) | instid1(VALU_DEP_1)
	v_fmac_f32_e32 v139, v123, v115
	ds_load_2addr_b32 v[114:115], v110 offset0:101 offset1:102
	s_waitcnt lgkmcnt(3)
	v_fmac_f32_e32 v139, v124, v116
	v_fmac_f32_e32 v139, v125, v117
	s_waitcnt lgkmcnt(2)
	s_delay_alu instid0(VALU_DEP_1) | instskip(SKIP_1) | instid1(VALU_DEP_1)
	v_fmac_f32_e32 v139, v126, v118
	s_waitcnt vmcnt(2)
	v_fmac_f32_e32 v139, v127, v119
	ds_load_2addr_b32 v[116:117], v110 offset0:103 offset1:104
	ds_load_2addr_b32 v[118:119], v110 offset0:105 offset1:106
	s_waitcnt lgkmcnt(3)
	v_fmac_f32_e32 v139, v128, v112
	s_delay_alu instid0(VALU_DEP_1)
	v_fmac_f32_e32 v139, v129, v113
	ds_load_2addr_b32 v[112:113], v110 offset0:107 offset1:108
	s_waitcnt lgkmcnt(3)
	v_fmac_f32_e32 v139, v130, v114
	ds_load_b32 v114, v110 offset:436
	s_waitcnt vmcnt(1)
	v_fmac_f32_e32 v139, v131, v115
	s_waitcnt lgkmcnt(3)
	s_delay_alu instid0(VALU_DEP_1) | instskip(NEXT) | instid1(VALU_DEP_1)
	v_fmac_f32_e32 v139, v132, v116
	v_fmac_f32_e32 v139, v133, v117
	s_waitcnt lgkmcnt(2)
	s_delay_alu instid0(VALU_DEP_1) | instskip(SKIP_1) | instid1(VALU_DEP_1)
	v_fmac_f32_e32 v139, v134, v118
	s_waitcnt vmcnt(0)
	v_fmac_f32_e32 v139, v135, v119
	s_waitcnt lgkmcnt(1)
	s_delay_alu instid0(VALU_DEP_1) | instskip(NEXT) | instid1(VALU_DEP_1)
	v_fmac_f32_e32 v139, v136, v112
	v_fmac_f32_e32 v139, v137, v113
	s_waitcnt lgkmcnt(0)
	s_delay_alu instid0(VALU_DEP_1) | instskip(NEXT) | instid1(VALU_DEP_1)
	v_fmac_f32_e32 v139, v138, v114
	v_sub_f32_e32 v111, v111, v139
	scratch_store_b32 off, v111, off offset:104
	v_cmpx_lt_u32_e32 25, v0
	s_cbranch_execz .LBB53_281
; %bb.280:
	scratch_load_b32 v111, off, off offset:100
	scratch_store_b32 off, v110, off offset:100
	s_waitcnt vmcnt(0)
	ds_store_b32 v109, v111
.LBB53_281:
	s_or_b32 exec_lo, exec_lo, s0
	s_waitcnt lgkmcnt(0)
	s_waitcnt_vscnt null, 0x0
	s_barrier
	buffer_gl0_inv
	s_clause 0x7
	scratch_load_b128 v[111:114], off, off offset:100
	scratch_load_b128 v[115:118], off, off offset:116
	;; [unrolled: 1-line block ×7, first 2 shown]
	scratch_load_b32 v147, off, off offset:212
	ds_load_2addr_b64 v[139:142], v110 offset0:41 offset1:42
	ds_load_2addr_b64 v[143:146], v110 offset0:43 offset1:44
	s_mov_b32 s0, exec_lo
	s_waitcnt vmcnt(7) lgkmcnt(1)
	v_fma_f32 v139, v112, v139, 0
	s_delay_alu instid0(VALU_DEP_1) | instskip(NEXT) | instid1(VALU_DEP_1)
	v_fmac_f32_e32 v139, v113, v140
	v_fmac_f32_e32 v139, v114, v141
	s_waitcnt vmcnt(6)
	s_delay_alu instid0(VALU_DEP_1) | instskip(SKIP_3) | instid1(VALU_DEP_1)
	v_fmac_f32_e32 v139, v115, v142
	ds_load_2addr_b64 v[112:115], v110 offset0:45 offset1:46
	s_waitcnt lgkmcnt(1)
	v_fmac_f32_e32 v139, v116, v143
	v_fmac_f32_e32 v139, v117, v144
	s_delay_alu instid0(VALU_DEP_1) | instskip(SKIP_1) | instid1(VALU_DEP_1)
	v_fmac_f32_e32 v139, v118, v145
	s_waitcnt vmcnt(5)
	v_fmac_f32_e32 v139, v119, v146
	ds_load_2addr_b64 v[116:119], v110 offset0:47 offset1:48
	s_waitcnt lgkmcnt(1)
	v_fmac_f32_e32 v139, v120, v112
	s_delay_alu instid0(VALU_DEP_1) | instskip(NEXT) | instid1(VALU_DEP_1)
	v_fmac_f32_e32 v139, v121, v113
	v_fmac_f32_e32 v139, v122, v114
	s_waitcnt vmcnt(4)
	s_delay_alu instid0(VALU_DEP_1) | instskip(SKIP_3) | instid1(VALU_DEP_1)
	v_fmac_f32_e32 v139, v123, v115
	ds_load_2addr_b64 v[112:115], v110 offset0:49 offset1:50
	s_waitcnt lgkmcnt(1)
	v_fmac_f32_e32 v139, v124, v116
	v_fmac_f32_e32 v139, v125, v117
	s_delay_alu instid0(VALU_DEP_1) | instskip(SKIP_1) | instid1(VALU_DEP_1)
	v_fmac_f32_e32 v139, v126, v118
	s_waitcnt vmcnt(3)
	v_fmac_f32_e32 v139, v127, v119
	ds_load_2addr_b64 v[116:119], v110 offset0:51 offset1:52
	s_waitcnt lgkmcnt(1)
	v_fmac_f32_e32 v139, v128, v112
	s_delay_alu instid0(VALU_DEP_1) | instskip(NEXT) | instid1(VALU_DEP_1)
	v_fmac_f32_e32 v139, v129, v113
	v_fmac_f32_e32 v139, v130, v114
	s_waitcnt vmcnt(2)
	s_delay_alu instid0(VALU_DEP_1) | instskip(SKIP_3) | instid1(VALU_DEP_1)
	v_fmac_f32_e32 v139, v131, v115
	ds_load_2addr_b64 v[112:115], v110 offset0:53 offset1:54
	s_waitcnt lgkmcnt(1)
	v_fmac_f32_e32 v139, v132, v116
	v_fmac_f32_e32 v139, v133, v117
	s_delay_alu instid0(VALU_DEP_1) | instskip(SKIP_1) | instid1(VALU_DEP_1)
	v_fmac_f32_e32 v139, v134, v118
	s_waitcnt vmcnt(1)
	v_fmac_f32_e32 v139, v135, v119
	s_waitcnt lgkmcnt(0)
	s_delay_alu instid0(VALU_DEP_1) | instskip(NEXT) | instid1(VALU_DEP_1)
	v_fmac_f32_e32 v139, v136, v112
	v_fmac_f32_e32 v139, v137, v113
	s_delay_alu instid0(VALU_DEP_1) | instskip(SKIP_1) | instid1(VALU_DEP_1)
	v_fmac_f32_e32 v139, v138, v114
	s_waitcnt vmcnt(0)
	v_fmac_f32_e32 v139, v147, v115
	s_delay_alu instid0(VALU_DEP_1)
	v_sub_f32_e32 v110, v111, v139
	scratch_store_b32 off, v110, off offset:100
	v_cmpx_lt_u32_e32 24, v0
	s_cbranch_execz .LBB53_283
; %bb.282:
	scratch_load_b32 v110, off, off offset:96
	v_mov_b32_e32 v111, 0
	scratch_store_b32 off, v111, off offset:96
	s_waitcnt vmcnt(0)
	ds_store_b32 v109, v110
.LBB53_283:
	s_or_b32 exec_lo, exec_lo, s0
	s_waitcnt lgkmcnt(0)
	s_waitcnt_vscnt null, 0x0
	s_barrier
	buffer_gl0_inv
	s_clause 0x7
	scratch_load_b128 v[111:114], off, off offset:96
	scratch_load_b128 v[115:118], off, off offset:112
	;; [unrolled: 1-line block ×7, first 2 shown]
	scratch_load_b64 v[139:140], off, off offset:208
	v_mov_b32_e32 v110, 0
	ds_load_2addr_b32 v[141:142], v110 offset0:81 offset1:82
	ds_load_2addr_b32 v[143:144], v110 offset0:83 offset1:84
	;; [unrolled: 1-line block ×4, first 2 shown]
	s_mov_b32 s0, exec_lo
	s_waitcnt vmcnt(7) lgkmcnt(3)
	v_fma_f32 v141, v112, v141, 0
	s_delay_alu instid0(VALU_DEP_1) | instskip(SKIP_4) | instid1(VALU_DEP_1)
	v_fmac_f32_e32 v141, v113, v142
	ds_load_2addr_b32 v[112:113], v110 offset0:89 offset1:90
	s_waitcnt lgkmcnt(3)
	v_fmac_f32_e32 v141, v114, v143
	s_waitcnt vmcnt(6)
	v_fmac_f32_e32 v141, v115, v144
	ds_load_2addr_b32 v[114:115], v110 offset0:91 offset1:92
	s_waitcnt lgkmcnt(3)
	v_fmac_f32_e32 v141, v116, v145
	s_delay_alu instid0(VALU_DEP_1) | instskip(SKIP_1) | instid1(VALU_DEP_1)
	v_fmac_f32_e32 v141, v117, v146
	s_waitcnt lgkmcnt(2)
	v_fmac_f32_e32 v141, v118, v147
	s_waitcnt vmcnt(5)
	s_delay_alu instid0(VALU_DEP_1) | instskip(SKIP_4) | instid1(VALU_DEP_1)
	v_fmac_f32_e32 v141, v119, v148
	ds_load_2addr_b32 v[116:117], v110 offset0:93 offset1:94
	ds_load_2addr_b32 v[118:119], v110 offset0:95 offset1:96
	s_waitcnt lgkmcnt(3)
	v_fmac_f32_e32 v141, v120, v112
	v_fmac_f32_e32 v141, v121, v113
	ds_load_2addr_b32 v[112:113], v110 offset0:97 offset1:98
	s_waitcnt lgkmcnt(3)
	v_fmac_f32_e32 v141, v122, v114
	s_waitcnt vmcnt(4)
	s_delay_alu instid0(VALU_DEP_1) | instskip(SKIP_3) | instid1(VALU_DEP_1)
	v_fmac_f32_e32 v141, v123, v115
	ds_load_2addr_b32 v[114:115], v110 offset0:99 offset1:100
	s_waitcnt lgkmcnt(3)
	v_fmac_f32_e32 v141, v124, v116
	v_fmac_f32_e32 v141, v125, v117
	s_waitcnt lgkmcnt(2)
	s_delay_alu instid0(VALU_DEP_1) | instskip(SKIP_1) | instid1(VALU_DEP_1)
	v_fmac_f32_e32 v141, v126, v118
	s_waitcnt vmcnt(3)
	v_fmac_f32_e32 v141, v127, v119
	ds_load_2addr_b32 v[116:117], v110 offset0:101 offset1:102
	ds_load_2addr_b32 v[118:119], v110 offset0:103 offset1:104
	s_waitcnt lgkmcnt(3)
	v_fmac_f32_e32 v141, v128, v112
	s_delay_alu instid0(VALU_DEP_1) | instskip(SKIP_4) | instid1(VALU_DEP_1)
	v_fmac_f32_e32 v141, v129, v113
	ds_load_2addr_b32 v[112:113], v110 offset0:105 offset1:106
	s_waitcnt lgkmcnt(3)
	v_fmac_f32_e32 v141, v130, v114
	s_waitcnt vmcnt(2)
	v_fmac_f32_e32 v141, v131, v115
	ds_load_2addr_b32 v[114:115], v110 offset0:107 offset1:108
	s_waitcnt lgkmcnt(3)
	v_fmac_f32_e32 v141, v132, v116
	ds_load_b32 v116, v110 offset:436
	v_fmac_f32_e32 v141, v133, v117
	s_waitcnt lgkmcnt(3)
	s_delay_alu instid0(VALU_DEP_1) | instskip(SKIP_1) | instid1(VALU_DEP_1)
	v_fmac_f32_e32 v141, v134, v118
	s_waitcnt vmcnt(1)
	v_fmac_f32_e32 v141, v135, v119
	s_waitcnt lgkmcnt(2)
	s_delay_alu instid0(VALU_DEP_1) | instskip(NEXT) | instid1(VALU_DEP_1)
	v_fmac_f32_e32 v141, v136, v112
	v_fmac_f32_e32 v141, v137, v113
	s_waitcnt lgkmcnt(1)
	s_delay_alu instid0(VALU_DEP_1) | instskip(SKIP_1) | instid1(VALU_DEP_1)
	v_fmac_f32_e32 v141, v138, v114
	s_waitcnt vmcnt(0)
	v_fmac_f32_e32 v141, v139, v115
	s_waitcnt lgkmcnt(0)
	s_delay_alu instid0(VALU_DEP_1) | instskip(NEXT) | instid1(VALU_DEP_1)
	v_fmac_f32_e32 v141, v140, v116
	v_sub_f32_e32 v111, v111, v141
	scratch_store_b32 off, v111, off offset:96
	v_cmpx_lt_u32_e32 23, v0
	s_cbranch_execz .LBB53_285
; %bb.284:
	scratch_load_b32 v111, off, off offset:92
	scratch_store_b32 off, v110, off offset:92
	s_waitcnt vmcnt(0)
	ds_store_b32 v109, v111
.LBB53_285:
	s_or_b32 exec_lo, exec_lo, s0
	s_waitcnt lgkmcnt(0)
	s_waitcnt_vscnt null, 0x0
	s_barrier
	buffer_gl0_inv
	s_clause 0x7
	scratch_load_b128 v[111:114], off, off offset:92
	scratch_load_b128 v[115:118], off, off offset:108
	;; [unrolled: 1-line block ×7, first 2 shown]
	scratch_load_b96 v[147:149], off, off offset:204
	ds_load_b128 v[139:142], v110 offset:320
	ds_load_b128 v[143:146], v110 offset:336
	s_mov_b32 s0, exec_lo
	s_waitcnt vmcnt(7) lgkmcnt(1)
	v_fma_f32 v139, v112, v139, 0
	s_delay_alu instid0(VALU_DEP_1) | instskip(NEXT) | instid1(VALU_DEP_1)
	v_fmac_f32_e32 v139, v113, v140
	v_fmac_f32_e32 v139, v114, v141
	s_waitcnt vmcnt(6)
	s_delay_alu instid0(VALU_DEP_1) | instskip(SKIP_3) | instid1(VALU_DEP_1)
	v_fmac_f32_e32 v139, v115, v142
	ds_load_b128 v[112:115], v110 offset:352
	s_waitcnt lgkmcnt(1)
	v_fmac_f32_e32 v139, v116, v143
	v_fmac_f32_e32 v139, v117, v144
	s_delay_alu instid0(VALU_DEP_1) | instskip(SKIP_1) | instid1(VALU_DEP_1)
	v_fmac_f32_e32 v139, v118, v145
	s_waitcnt vmcnt(5)
	v_fmac_f32_e32 v139, v119, v146
	ds_load_b128 v[116:119], v110 offset:368
	s_waitcnt lgkmcnt(1)
	v_fmac_f32_e32 v139, v120, v112
	s_delay_alu instid0(VALU_DEP_1) | instskip(NEXT) | instid1(VALU_DEP_1)
	v_fmac_f32_e32 v139, v121, v113
	v_fmac_f32_e32 v139, v122, v114
	s_waitcnt vmcnt(4)
	s_delay_alu instid0(VALU_DEP_1) | instskip(SKIP_3) | instid1(VALU_DEP_1)
	v_fmac_f32_e32 v139, v123, v115
	ds_load_b128 v[112:115], v110 offset:384
	s_waitcnt lgkmcnt(1)
	v_fmac_f32_e32 v139, v124, v116
	v_fmac_f32_e32 v139, v125, v117
	s_delay_alu instid0(VALU_DEP_1) | instskip(SKIP_1) | instid1(VALU_DEP_1)
	v_fmac_f32_e32 v139, v126, v118
	s_waitcnt vmcnt(3)
	v_fmac_f32_e32 v139, v127, v119
	ds_load_b128 v[116:119], v110 offset:400
	s_waitcnt lgkmcnt(1)
	v_fmac_f32_e32 v139, v128, v112
	s_delay_alu instid0(VALU_DEP_1) | instskip(NEXT) | instid1(VALU_DEP_1)
	v_fmac_f32_e32 v139, v129, v113
	v_fmac_f32_e32 v139, v130, v114
	s_waitcnt vmcnt(2)
	s_delay_alu instid0(VALU_DEP_1) | instskip(SKIP_3) | instid1(VALU_DEP_1)
	v_fmac_f32_e32 v139, v131, v115
	ds_load_b128 v[112:115], v110 offset:416
	s_waitcnt lgkmcnt(1)
	v_fmac_f32_e32 v139, v132, v116
	v_fmac_f32_e32 v139, v133, v117
	ds_load_b64 v[116:117], v110 offset:432
	v_fmac_f32_e32 v139, v134, v118
	s_waitcnt vmcnt(1)
	s_delay_alu instid0(VALU_DEP_1) | instskip(SKIP_1) | instid1(VALU_DEP_1)
	v_fmac_f32_e32 v139, v135, v119
	s_waitcnt lgkmcnt(1)
	v_fmac_f32_e32 v139, v136, v112
	s_delay_alu instid0(VALU_DEP_1) | instskip(NEXT) | instid1(VALU_DEP_1)
	v_fmac_f32_e32 v139, v137, v113
	v_fmac_f32_e32 v139, v138, v114
	s_waitcnt vmcnt(0)
	s_delay_alu instid0(VALU_DEP_1) | instskip(SKIP_1) | instid1(VALU_DEP_1)
	v_fmac_f32_e32 v139, v147, v115
	s_waitcnt lgkmcnt(0)
	v_fmac_f32_e32 v139, v148, v116
	s_delay_alu instid0(VALU_DEP_1) | instskip(NEXT) | instid1(VALU_DEP_1)
	v_fmac_f32_e32 v139, v149, v117
	v_sub_f32_e32 v110, v111, v139
	scratch_store_b32 off, v110, off offset:92
	v_cmpx_lt_u32_e32 22, v0
	s_cbranch_execz .LBB53_287
; %bb.286:
	scratch_load_b32 v110, off, off offset:88
	v_mov_b32_e32 v111, 0
	scratch_store_b32 off, v111, off offset:88
	s_waitcnt vmcnt(0)
	ds_store_b32 v109, v110
.LBB53_287:
	s_or_b32 exec_lo, exec_lo, s0
	s_waitcnt lgkmcnt(0)
	s_waitcnt_vscnt null, 0x0
	s_barrier
	buffer_gl0_inv
	s_clause 0x7
	scratch_load_b128 v[111:114], off, off offset:88
	scratch_load_b128 v[115:118], off, off offset:104
	;; [unrolled: 1-line block ×8, first 2 shown]
	v_mov_b32_e32 v110, 0
	ds_load_2addr_b32 v[143:144], v110 offset0:79 offset1:80
	ds_load_2addr_b32 v[145:146], v110 offset0:81 offset1:82
	;; [unrolled: 1-line block ×4, first 2 shown]
	s_mov_b32 s0, exec_lo
	s_waitcnt vmcnt(7) lgkmcnt(3)
	v_fma_f32 v143, v112, v143, 0
	s_delay_alu instid0(VALU_DEP_1) | instskip(SKIP_4) | instid1(VALU_DEP_1)
	v_fmac_f32_e32 v143, v113, v144
	ds_load_2addr_b32 v[112:113], v110 offset0:87 offset1:88
	s_waitcnt lgkmcnt(3)
	v_fmac_f32_e32 v143, v114, v145
	s_waitcnt vmcnt(6)
	v_fmac_f32_e32 v143, v115, v146
	ds_load_2addr_b32 v[114:115], v110 offset0:89 offset1:90
	s_waitcnt lgkmcnt(3)
	v_fmac_f32_e32 v143, v116, v147
	s_delay_alu instid0(VALU_DEP_1) | instskip(SKIP_1) | instid1(VALU_DEP_1)
	v_fmac_f32_e32 v143, v117, v148
	s_waitcnt lgkmcnt(2)
	v_fmac_f32_e32 v143, v118, v149
	s_waitcnt vmcnt(5)
	s_delay_alu instid0(VALU_DEP_1) | instskip(SKIP_4) | instid1(VALU_DEP_1)
	v_fmac_f32_e32 v143, v119, v150
	ds_load_2addr_b32 v[116:117], v110 offset0:91 offset1:92
	ds_load_2addr_b32 v[118:119], v110 offset0:93 offset1:94
	s_waitcnt lgkmcnt(3)
	v_fmac_f32_e32 v143, v120, v112
	v_fmac_f32_e32 v143, v121, v113
	ds_load_2addr_b32 v[112:113], v110 offset0:95 offset1:96
	s_waitcnt lgkmcnt(3)
	v_fmac_f32_e32 v143, v122, v114
	s_waitcnt vmcnt(4)
	s_delay_alu instid0(VALU_DEP_1) | instskip(SKIP_3) | instid1(VALU_DEP_1)
	v_fmac_f32_e32 v143, v123, v115
	ds_load_2addr_b32 v[114:115], v110 offset0:97 offset1:98
	s_waitcnt lgkmcnt(3)
	v_fmac_f32_e32 v143, v124, v116
	v_fmac_f32_e32 v143, v125, v117
	s_waitcnt lgkmcnt(2)
	s_delay_alu instid0(VALU_DEP_1) | instskip(SKIP_1) | instid1(VALU_DEP_1)
	v_fmac_f32_e32 v143, v126, v118
	s_waitcnt vmcnt(3)
	v_fmac_f32_e32 v143, v127, v119
	ds_load_2addr_b32 v[116:117], v110 offset0:99 offset1:100
	ds_load_2addr_b32 v[118:119], v110 offset0:101 offset1:102
	s_waitcnt lgkmcnt(3)
	v_fmac_f32_e32 v143, v128, v112
	s_delay_alu instid0(VALU_DEP_1) | instskip(SKIP_4) | instid1(VALU_DEP_1)
	v_fmac_f32_e32 v143, v129, v113
	ds_load_2addr_b32 v[112:113], v110 offset0:103 offset1:104
	s_waitcnt lgkmcnt(3)
	v_fmac_f32_e32 v143, v130, v114
	s_waitcnt vmcnt(2)
	v_fmac_f32_e32 v143, v131, v115
	ds_load_2addr_b32 v[114:115], v110 offset0:105 offset1:106
	s_waitcnt lgkmcnt(3)
	v_fmac_f32_e32 v143, v132, v116
	s_delay_alu instid0(VALU_DEP_1) | instskip(SKIP_1) | instid1(VALU_DEP_1)
	v_fmac_f32_e32 v143, v133, v117
	s_waitcnt lgkmcnt(2)
	v_fmac_f32_e32 v143, v134, v118
	ds_load_2addr_b32 v[116:117], v110 offset0:107 offset1:108
	ds_load_b32 v118, v110 offset:436
	s_waitcnt vmcnt(1)
	v_fmac_f32_e32 v143, v135, v119
	s_waitcnt lgkmcnt(3)
	s_delay_alu instid0(VALU_DEP_1) | instskip(NEXT) | instid1(VALU_DEP_1)
	v_fmac_f32_e32 v143, v136, v112
	v_fmac_f32_e32 v143, v137, v113
	s_waitcnt lgkmcnt(2)
	s_delay_alu instid0(VALU_DEP_1) | instskip(SKIP_1) | instid1(VALU_DEP_1)
	v_fmac_f32_e32 v143, v138, v114
	s_waitcnt vmcnt(0)
	v_fmac_f32_e32 v143, v139, v115
	s_waitcnt lgkmcnt(1)
	s_delay_alu instid0(VALU_DEP_1) | instskip(NEXT) | instid1(VALU_DEP_1)
	v_fmac_f32_e32 v143, v140, v116
	v_fmac_f32_e32 v143, v141, v117
	s_waitcnt lgkmcnt(0)
	s_delay_alu instid0(VALU_DEP_1) | instskip(NEXT) | instid1(VALU_DEP_1)
	v_fmac_f32_e32 v143, v142, v118
	v_sub_f32_e32 v111, v111, v143
	scratch_store_b32 off, v111, off offset:88
	v_cmpx_lt_u32_e32 21, v0
	s_cbranch_execz .LBB53_289
; %bb.288:
	scratch_load_b32 v111, off, off offset:84
	scratch_store_b32 off, v110, off offset:84
	s_waitcnt vmcnt(0)
	ds_store_b32 v109, v111
.LBB53_289:
	s_or_b32 exec_lo, exec_lo, s0
	s_waitcnt lgkmcnt(0)
	s_waitcnt_vscnt null, 0x0
	s_barrier
	buffer_gl0_inv
	s_clause 0x8
	scratch_load_b128 v[111:114], off, off offset:84
	scratch_load_b128 v[115:118], off, off offset:100
	;; [unrolled: 1-line block ×8, first 2 shown]
	scratch_load_b32 v151, off, off offset:212
	ds_load_2addr_b64 v[143:146], v110 offset0:39 offset1:40
	ds_load_2addr_b64 v[147:150], v110 offset0:41 offset1:42
	s_mov_b32 s0, exec_lo
	s_waitcnt vmcnt(8) lgkmcnt(1)
	v_fma_f32 v143, v112, v143, 0
	s_delay_alu instid0(VALU_DEP_1) | instskip(NEXT) | instid1(VALU_DEP_1)
	v_fmac_f32_e32 v143, v113, v144
	v_fmac_f32_e32 v143, v114, v145
	s_waitcnt vmcnt(7)
	s_delay_alu instid0(VALU_DEP_1) | instskip(SKIP_3) | instid1(VALU_DEP_1)
	v_fmac_f32_e32 v143, v115, v146
	ds_load_2addr_b64 v[112:115], v110 offset0:43 offset1:44
	s_waitcnt lgkmcnt(1)
	v_fmac_f32_e32 v143, v116, v147
	v_fmac_f32_e32 v143, v117, v148
	s_delay_alu instid0(VALU_DEP_1) | instskip(SKIP_1) | instid1(VALU_DEP_1)
	v_fmac_f32_e32 v143, v118, v149
	s_waitcnt vmcnt(6)
	v_fmac_f32_e32 v143, v119, v150
	ds_load_2addr_b64 v[116:119], v110 offset0:45 offset1:46
	s_waitcnt lgkmcnt(1)
	v_fmac_f32_e32 v143, v120, v112
	s_delay_alu instid0(VALU_DEP_1) | instskip(NEXT) | instid1(VALU_DEP_1)
	v_fmac_f32_e32 v143, v121, v113
	v_fmac_f32_e32 v143, v122, v114
	s_waitcnt vmcnt(5)
	s_delay_alu instid0(VALU_DEP_1) | instskip(SKIP_3) | instid1(VALU_DEP_1)
	v_fmac_f32_e32 v143, v123, v115
	ds_load_2addr_b64 v[112:115], v110 offset0:47 offset1:48
	s_waitcnt lgkmcnt(1)
	v_fmac_f32_e32 v143, v124, v116
	v_fmac_f32_e32 v143, v125, v117
	s_delay_alu instid0(VALU_DEP_1) | instskip(SKIP_1) | instid1(VALU_DEP_1)
	v_fmac_f32_e32 v143, v126, v118
	s_waitcnt vmcnt(4)
	v_fmac_f32_e32 v143, v127, v119
	ds_load_2addr_b64 v[116:119], v110 offset0:49 offset1:50
	s_waitcnt lgkmcnt(1)
	v_fmac_f32_e32 v143, v128, v112
	;; [unrolled: 17-line block ×3, first 2 shown]
	s_delay_alu instid0(VALU_DEP_1) | instskip(NEXT) | instid1(VALU_DEP_1)
	v_fmac_f32_e32 v143, v137, v113
	v_fmac_f32_e32 v143, v138, v114
	s_waitcnt vmcnt(1)
	s_delay_alu instid0(VALU_DEP_1) | instskip(SKIP_1) | instid1(VALU_DEP_1)
	v_fmac_f32_e32 v143, v139, v115
	s_waitcnt lgkmcnt(0)
	v_fmac_f32_e32 v143, v140, v116
	s_delay_alu instid0(VALU_DEP_1) | instskip(NEXT) | instid1(VALU_DEP_1)
	v_fmac_f32_e32 v143, v141, v117
	v_fmac_f32_e32 v143, v142, v118
	s_waitcnt vmcnt(0)
	s_delay_alu instid0(VALU_DEP_1) | instskip(NEXT) | instid1(VALU_DEP_1)
	v_fmac_f32_e32 v143, v151, v119
	v_sub_f32_e32 v110, v111, v143
	scratch_store_b32 off, v110, off offset:84
	v_cmpx_lt_u32_e32 20, v0
	s_cbranch_execz .LBB53_291
; %bb.290:
	scratch_load_b32 v110, off, off offset:80
	v_mov_b32_e32 v111, 0
	scratch_store_b32 off, v111, off offset:80
	s_waitcnt vmcnt(0)
	ds_store_b32 v109, v110
.LBB53_291:
	s_or_b32 exec_lo, exec_lo, s0
	s_waitcnt lgkmcnt(0)
	s_waitcnt_vscnt null, 0x0
	s_barrier
	buffer_gl0_inv
	s_clause 0x8
	scratch_load_b128 v[111:114], off, off offset:80
	scratch_load_b128 v[115:118], off, off offset:96
	scratch_load_b128 v[119:122], off, off offset:112
	scratch_load_b128 v[123:126], off, off offset:128
	scratch_load_b128 v[127:130], off, off offset:144
	scratch_load_b128 v[131:134], off, off offset:160
	scratch_load_b128 v[135:138], off, off offset:176
	scratch_load_b128 v[139:142], off, off offset:192
	scratch_load_b64 v[143:144], off, off offset:208
	v_mov_b32_e32 v110, 0
	ds_load_2addr_b32 v[145:146], v110 offset0:77 offset1:78
	ds_load_2addr_b32 v[147:148], v110 offset0:79 offset1:80
	;; [unrolled: 1-line block ×4, first 2 shown]
	s_mov_b32 s0, exec_lo
	s_waitcnt vmcnt(8) lgkmcnt(3)
	v_fma_f32 v145, v112, v145, 0
	s_delay_alu instid0(VALU_DEP_1) | instskip(SKIP_4) | instid1(VALU_DEP_1)
	v_fmac_f32_e32 v145, v113, v146
	ds_load_2addr_b32 v[112:113], v110 offset0:85 offset1:86
	s_waitcnt lgkmcnt(3)
	v_fmac_f32_e32 v145, v114, v147
	s_waitcnt vmcnt(7)
	v_fmac_f32_e32 v145, v115, v148
	ds_load_2addr_b32 v[114:115], v110 offset0:87 offset1:88
	s_waitcnt lgkmcnt(3)
	v_fmac_f32_e32 v145, v116, v149
	s_delay_alu instid0(VALU_DEP_1) | instskip(SKIP_1) | instid1(VALU_DEP_1)
	v_fmac_f32_e32 v145, v117, v150
	s_waitcnt lgkmcnt(2)
	v_fmac_f32_e32 v145, v118, v151
	s_waitcnt vmcnt(6)
	s_delay_alu instid0(VALU_DEP_1) | instskip(SKIP_4) | instid1(VALU_DEP_1)
	v_fmac_f32_e32 v145, v119, v152
	ds_load_2addr_b32 v[116:117], v110 offset0:89 offset1:90
	ds_load_2addr_b32 v[118:119], v110 offset0:91 offset1:92
	s_waitcnt lgkmcnt(3)
	v_fmac_f32_e32 v145, v120, v112
	v_fmac_f32_e32 v145, v121, v113
	ds_load_2addr_b32 v[112:113], v110 offset0:93 offset1:94
	s_waitcnt lgkmcnt(3)
	v_fmac_f32_e32 v145, v122, v114
	s_waitcnt vmcnt(5)
	s_delay_alu instid0(VALU_DEP_1) | instskip(SKIP_3) | instid1(VALU_DEP_1)
	v_fmac_f32_e32 v145, v123, v115
	ds_load_2addr_b32 v[114:115], v110 offset0:95 offset1:96
	s_waitcnt lgkmcnt(3)
	v_fmac_f32_e32 v145, v124, v116
	v_fmac_f32_e32 v145, v125, v117
	s_waitcnt lgkmcnt(2)
	s_delay_alu instid0(VALU_DEP_1) | instskip(SKIP_1) | instid1(VALU_DEP_1)
	v_fmac_f32_e32 v145, v126, v118
	s_waitcnt vmcnt(4)
	v_fmac_f32_e32 v145, v127, v119
	ds_load_2addr_b32 v[116:117], v110 offset0:97 offset1:98
	ds_load_2addr_b32 v[118:119], v110 offset0:99 offset1:100
	s_waitcnt lgkmcnt(3)
	v_fmac_f32_e32 v145, v128, v112
	s_delay_alu instid0(VALU_DEP_1) | instskip(SKIP_4) | instid1(VALU_DEP_1)
	v_fmac_f32_e32 v145, v129, v113
	ds_load_2addr_b32 v[112:113], v110 offset0:101 offset1:102
	s_waitcnt lgkmcnt(3)
	v_fmac_f32_e32 v145, v130, v114
	s_waitcnt vmcnt(3)
	v_fmac_f32_e32 v145, v131, v115
	ds_load_2addr_b32 v[114:115], v110 offset0:103 offset1:104
	s_waitcnt lgkmcnt(3)
	v_fmac_f32_e32 v145, v132, v116
	s_delay_alu instid0(VALU_DEP_1) | instskip(SKIP_1) | instid1(VALU_DEP_1)
	v_fmac_f32_e32 v145, v133, v117
	s_waitcnt lgkmcnt(2)
	v_fmac_f32_e32 v145, v134, v118
	s_waitcnt vmcnt(2)
	s_delay_alu instid0(VALU_DEP_1)
	v_fmac_f32_e32 v145, v135, v119
	ds_load_2addr_b32 v[116:117], v110 offset0:105 offset1:106
	ds_load_2addr_b32 v[118:119], v110 offset0:107 offset1:108
	s_waitcnt lgkmcnt(3)
	v_fmac_f32_e32 v145, v136, v112
	ds_load_b32 v112, v110 offset:436
	v_fmac_f32_e32 v145, v137, v113
	s_waitcnt lgkmcnt(3)
	s_delay_alu instid0(VALU_DEP_1) | instskip(SKIP_1) | instid1(VALU_DEP_1)
	v_fmac_f32_e32 v145, v138, v114
	s_waitcnt vmcnt(1)
	v_fmac_f32_e32 v145, v139, v115
	s_waitcnt lgkmcnt(2)
	s_delay_alu instid0(VALU_DEP_1) | instskip(NEXT) | instid1(VALU_DEP_1)
	v_fmac_f32_e32 v145, v140, v116
	v_fmac_f32_e32 v145, v141, v117
	s_waitcnt lgkmcnt(1)
	s_delay_alu instid0(VALU_DEP_1) | instskip(SKIP_1) | instid1(VALU_DEP_1)
	v_fmac_f32_e32 v145, v142, v118
	s_waitcnt vmcnt(0)
	v_fmac_f32_e32 v145, v143, v119
	s_waitcnt lgkmcnt(0)
	s_delay_alu instid0(VALU_DEP_1) | instskip(NEXT) | instid1(VALU_DEP_1)
	v_fmac_f32_e32 v145, v144, v112
	v_sub_f32_e32 v111, v111, v145
	scratch_store_b32 off, v111, off offset:80
	v_cmpx_lt_u32_e32 19, v0
	s_cbranch_execz .LBB53_293
; %bb.292:
	scratch_load_b32 v111, off, off offset:76
	scratch_store_b32 off, v110, off offset:76
	s_waitcnt vmcnt(0)
	ds_store_b32 v109, v111
.LBB53_293:
	s_or_b32 exec_lo, exec_lo, s0
	s_waitcnt lgkmcnt(0)
	s_waitcnt_vscnt null, 0x0
	s_barrier
	buffer_gl0_inv
	s_clause 0x8
	scratch_load_b128 v[111:114], off, off offset:76
	scratch_load_b128 v[115:118], off, off offset:92
	;; [unrolled: 1-line block ×8, first 2 shown]
	scratch_load_b96 v[151:153], off, off offset:204
	ds_load_b128 v[143:146], v110 offset:304
	ds_load_b128 v[147:150], v110 offset:320
	s_mov_b32 s0, exec_lo
	s_waitcnt vmcnt(8) lgkmcnt(1)
	v_fma_f32 v143, v112, v143, 0
	s_delay_alu instid0(VALU_DEP_1) | instskip(NEXT) | instid1(VALU_DEP_1)
	v_fmac_f32_e32 v143, v113, v144
	v_fmac_f32_e32 v143, v114, v145
	s_waitcnt vmcnt(7)
	s_delay_alu instid0(VALU_DEP_1) | instskip(SKIP_3) | instid1(VALU_DEP_1)
	v_fmac_f32_e32 v143, v115, v146
	ds_load_b128 v[112:115], v110 offset:336
	s_waitcnt lgkmcnt(1)
	v_fmac_f32_e32 v143, v116, v147
	v_fmac_f32_e32 v143, v117, v148
	s_delay_alu instid0(VALU_DEP_1) | instskip(SKIP_1) | instid1(VALU_DEP_1)
	v_fmac_f32_e32 v143, v118, v149
	s_waitcnt vmcnt(6)
	v_fmac_f32_e32 v143, v119, v150
	ds_load_b128 v[116:119], v110 offset:352
	s_waitcnt lgkmcnt(1)
	v_fmac_f32_e32 v143, v120, v112
	s_delay_alu instid0(VALU_DEP_1) | instskip(NEXT) | instid1(VALU_DEP_1)
	v_fmac_f32_e32 v143, v121, v113
	v_fmac_f32_e32 v143, v122, v114
	s_waitcnt vmcnt(5)
	s_delay_alu instid0(VALU_DEP_1) | instskip(SKIP_3) | instid1(VALU_DEP_1)
	v_fmac_f32_e32 v143, v123, v115
	ds_load_b128 v[112:115], v110 offset:368
	s_waitcnt lgkmcnt(1)
	v_fmac_f32_e32 v143, v124, v116
	v_fmac_f32_e32 v143, v125, v117
	s_delay_alu instid0(VALU_DEP_1) | instskip(SKIP_1) | instid1(VALU_DEP_1)
	v_fmac_f32_e32 v143, v126, v118
	s_waitcnt vmcnt(4)
	v_fmac_f32_e32 v143, v127, v119
	ds_load_b128 v[116:119], v110 offset:384
	s_waitcnt lgkmcnt(1)
	v_fmac_f32_e32 v143, v128, v112
	;; [unrolled: 17-line block ×3, first 2 shown]
	s_delay_alu instid0(VALU_DEP_1) | instskip(SKIP_3) | instid1(VALU_DEP_1)
	v_fmac_f32_e32 v143, v137, v113
	ds_load_b64 v[112:113], v110 offset:432
	v_fmac_f32_e32 v143, v138, v114
	s_waitcnt vmcnt(1)
	v_fmac_f32_e32 v143, v139, v115
	s_waitcnt lgkmcnt(1)
	s_delay_alu instid0(VALU_DEP_1) | instskip(NEXT) | instid1(VALU_DEP_1)
	v_fmac_f32_e32 v143, v140, v116
	v_fmac_f32_e32 v143, v141, v117
	s_delay_alu instid0(VALU_DEP_1) | instskip(SKIP_1) | instid1(VALU_DEP_1)
	v_fmac_f32_e32 v143, v142, v118
	s_waitcnt vmcnt(0)
	v_fmac_f32_e32 v143, v151, v119
	s_waitcnt lgkmcnt(0)
	s_delay_alu instid0(VALU_DEP_1) | instskip(NEXT) | instid1(VALU_DEP_1)
	v_fmac_f32_e32 v143, v152, v112
	v_fmac_f32_e32 v143, v153, v113
	s_delay_alu instid0(VALU_DEP_1)
	v_sub_f32_e32 v110, v111, v143
	scratch_store_b32 off, v110, off offset:76
	v_cmpx_lt_u32_e32 18, v0
	s_cbranch_execz .LBB53_295
; %bb.294:
	scratch_load_b32 v110, off, off offset:72
	v_mov_b32_e32 v111, 0
	scratch_store_b32 off, v111, off offset:72
	s_waitcnt vmcnt(0)
	ds_store_b32 v109, v110
.LBB53_295:
	s_or_b32 exec_lo, exec_lo, s0
	s_waitcnt lgkmcnt(0)
	s_waitcnt_vscnt null, 0x0
	s_barrier
	buffer_gl0_inv
	s_clause 0x8
	scratch_load_b128 v[111:114], off, off offset:72
	scratch_load_b128 v[115:118], off, off offset:88
	;; [unrolled: 1-line block ×9, first 2 shown]
	v_mov_b32_e32 v110, 0
	ds_load_2addr_b32 v[147:148], v110 offset0:75 offset1:76
	ds_load_2addr_b32 v[149:150], v110 offset0:77 offset1:78
	ds_load_2addr_b32 v[151:152], v110 offset0:79 offset1:80
	ds_load_2addr_b32 v[153:154], v110 offset0:81 offset1:82
	s_mov_b32 s0, exec_lo
	s_waitcnt vmcnt(8) lgkmcnt(3)
	v_fma_f32 v147, v112, v147, 0
	s_delay_alu instid0(VALU_DEP_1) | instskip(SKIP_4) | instid1(VALU_DEP_1)
	v_fmac_f32_e32 v147, v113, v148
	ds_load_2addr_b32 v[112:113], v110 offset0:83 offset1:84
	s_waitcnt lgkmcnt(3)
	v_fmac_f32_e32 v147, v114, v149
	s_waitcnt vmcnt(7)
	v_fmac_f32_e32 v147, v115, v150
	ds_load_2addr_b32 v[114:115], v110 offset0:85 offset1:86
	s_waitcnt lgkmcnt(3)
	v_fmac_f32_e32 v147, v116, v151
	s_delay_alu instid0(VALU_DEP_1) | instskip(SKIP_1) | instid1(VALU_DEP_1)
	v_fmac_f32_e32 v147, v117, v152
	s_waitcnt lgkmcnt(2)
	v_fmac_f32_e32 v147, v118, v153
	s_waitcnt vmcnt(6)
	s_delay_alu instid0(VALU_DEP_1) | instskip(SKIP_4) | instid1(VALU_DEP_1)
	v_fmac_f32_e32 v147, v119, v154
	ds_load_2addr_b32 v[116:117], v110 offset0:87 offset1:88
	ds_load_2addr_b32 v[118:119], v110 offset0:89 offset1:90
	s_waitcnt lgkmcnt(3)
	v_fmac_f32_e32 v147, v120, v112
	v_fmac_f32_e32 v147, v121, v113
	ds_load_2addr_b32 v[112:113], v110 offset0:91 offset1:92
	s_waitcnt lgkmcnt(3)
	v_fmac_f32_e32 v147, v122, v114
	s_waitcnt vmcnt(5)
	s_delay_alu instid0(VALU_DEP_1) | instskip(SKIP_3) | instid1(VALU_DEP_1)
	v_fmac_f32_e32 v147, v123, v115
	ds_load_2addr_b32 v[114:115], v110 offset0:93 offset1:94
	s_waitcnt lgkmcnt(3)
	v_fmac_f32_e32 v147, v124, v116
	v_fmac_f32_e32 v147, v125, v117
	s_waitcnt lgkmcnt(2)
	s_delay_alu instid0(VALU_DEP_1) | instskip(SKIP_1) | instid1(VALU_DEP_1)
	v_fmac_f32_e32 v147, v126, v118
	s_waitcnt vmcnt(4)
	v_fmac_f32_e32 v147, v127, v119
	ds_load_2addr_b32 v[116:117], v110 offset0:95 offset1:96
	ds_load_2addr_b32 v[118:119], v110 offset0:97 offset1:98
	s_waitcnt lgkmcnt(3)
	v_fmac_f32_e32 v147, v128, v112
	s_delay_alu instid0(VALU_DEP_1) | instskip(SKIP_4) | instid1(VALU_DEP_1)
	v_fmac_f32_e32 v147, v129, v113
	ds_load_2addr_b32 v[112:113], v110 offset0:99 offset1:100
	s_waitcnt lgkmcnt(3)
	v_fmac_f32_e32 v147, v130, v114
	s_waitcnt vmcnt(3)
	v_fmac_f32_e32 v147, v131, v115
	ds_load_2addr_b32 v[114:115], v110 offset0:101 offset1:102
	s_waitcnt lgkmcnt(3)
	v_fmac_f32_e32 v147, v132, v116
	s_delay_alu instid0(VALU_DEP_1) | instskip(SKIP_1) | instid1(VALU_DEP_1)
	v_fmac_f32_e32 v147, v133, v117
	s_waitcnt lgkmcnt(2)
	v_fmac_f32_e32 v147, v134, v118
	s_waitcnt vmcnt(2)
	s_delay_alu instid0(VALU_DEP_1) | instskip(SKIP_4) | instid1(VALU_DEP_1)
	v_fmac_f32_e32 v147, v135, v119
	ds_load_2addr_b32 v[116:117], v110 offset0:103 offset1:104
	ds_load_2addr_b32 v[118:119], v110 offset0:105 offset1:106
	s_waitcnt lgkmcnt(3)
	v_fmac_f32_e32 v147, v136, v112
	v_fmac_f32_e32 v147, v137, v113
	ds_load_2addr_b32 v[112:113], v110 offset0:107 offset1:108
	s_waitcnt lgkmcnt(3)
	v_fmac_f32_e32 v147, v138, v114
	ds_load_b32 v114, v110 offset:436
	s_waitcnt vmcnt(1)
	v_fmac_f32_e32 v147, v139, v115
	s_waitcnt lgkmcnt(3)
	s_delay_alu instid0(VALU_DEP_1) | instskip(NEXT) | instid1(VALU_DEP_1)
	v_fmac_f32_e32 v147, v140, v116
	v_fmac_f32_e32 v147, v141, v117
	s_waitcnt lgkmcnt(2)
	s_delay_alu instid0(VALU_DEP_1) | instskip(SKIP_1) | instid1(VALU_DEP_1)
	v_fmac_f32_e32 v147, v142, v118
	s_waitcnt vmcnt(0)
	v_fmac_f32_e32 v147, v143, v119
	s_waitcnt lgkmcnt(1)
	s_delay_alu instid0(VALU_DEP_1) | instskip(NEXT) | instid1(VALU_DEP_1)
	v_fmac_f32_e32 v147, v144, v112
	v_fmac_f32_e32 v147, v145, v113
	s_waitcnt lgkmcnt(0)
	s_delay_alu instid0(VALU_DEP_1) | instskip(NEXT) | instid1(VALU_DEP_1)
	v_fmac_f32_e32 v147, v146, v114
	v_sub_f32_e32 v111, v111, v147
	scratch_store_b32 off, v111, off offset:72
	v_cmpx_lt_u32_e32 17, v0
	s_cbranch_execz .LBB53_297
; %bb.296:
	scratch_load_b32 v111, off, off offset:68
	scratch_store_b32 off, v110, off offset:68
	s_waitcnt vmcnt(0)
	ds_store_b32 v109, v111
.LBB53_297:
	s_or_b32 exec_lo, exec_lo, s0
	s_waitcnt lgkmcnt(0)
	s_waitcnt_vscnt null, 0x0
	s_barrier
	buffer_gl0_inv
	s_clause 0x9
	scratch_load_b128 v[111:114], off, off offset:68
	scratch_load_b128 v[115:118], off, off offset:84
	;; [unrolled: 1-line block ×9, first 2 shown]
	scratch_load_b32 v155, off, off offset:212
	ds_load_2addr_b64 v[147:150], v110 offset0:37 offset1:38
	ds_load_2addr_b64 v[151:154], v110 offset0:39 offset1:40
	s_mov_b32 s0, exec_lo
	s_waitcnt vmcnt(9) lgkmcnt(1)
	v_fma_f32 v147, v112, v147, 0
	s_delay_alu instid0(VALU_DEP_1) | instskip(NEXT) | instid1(VALU_DEP_1)
	v_fmac_f32_e32 v147, v113, v148
	v_fmac_f32_e32 v147, v114, v149
	s_waitcnt vmcnt(8)
	s_delay_alu instid0(VALU_DEP_1) | instskip(SKIP_3) | instid1(VALU_DEP_1)
	v_fmac_f32_e32 v147, v115, v150
	ds_load_2addr_b64 v[112:115], v110 offset0:41 offset1:42
	s_waitcnt lgkmcnt(1)
	v_fmac_f32_e32 v147, v116, v151
	v_fmac_f32_e32 v147, v117, v152
	s_delay_alu instid0(VALU_DEP_1) | instskip(SKIP_1) | instid1(VALU_DEP_1)
	v_fmac_f32_e32 v147, v118, v153
	s_waitcnt vmcnt(7)
	v_fmac_f32_e32 v147, v119, v154
	ds_load_2addr_b64 v[116:119], v110 offset0:43 offset1:44
	s_waitcnt lgkmcnt(1)
	v_fmac_f32_e32 v147, v120, v112
	s_delay_alu instid0(VALU_DEP_1) | instskip(NEXT) | instid1(VALU_DEP_1)
	v_fmac_f32_e32 v147, v121, v113
	v_fmac_f32_e32 v147, v122, v114
	s_waitcnt vmcnt(6)
	s_delay_alu instid0(VALU_DEP_1) | instskip(SKIP_3) | instid1(VALU_DEP_1)
	v_fmac_f32_e32 v147, v123, v115
	ds_load_2addr_b64 v[112:115], v110 offset0:45 offset1:46
	s_waitcnt lgkmcnt(1)
	v_fmac_f32_e32 v147, v124, v116
	v_fmac_f32_e32 v147, v125, v117
	s_delay_alu instid0(VALU_DEP_1) | instskip(SKIP_1) | instid1(VALU_DEP_1)
	v_fmac_f32_e32 v147, v126, v118
	s_waitcnt vmcnt(5)
	v_fmac_f32_e32 v147, v127, v119
	ds_load_2addr_b64 v[116:119], v110 offset0:47 offset1:48
	s_waitcnt lgkmcnt(1)
	v_fmac_f32_e32 v147, v128, v112
	;; [unrolled: 17-line block ×3, first 2 shown]
	s_delay_alu instid0(VALU_DEP_1) | instskip(NEXT) | instid1(VALU_DEP_1)
	v_fmac_f32_e32 v147, v137, v113
	v_fmac_f32_e32 v147, v138, v114
	s_waitcnt vmcnt(2)
	s_delay_alu instid0(VALU_DEP_1) | instskip(SKIP_3) | instid1(VALU_DEP_1)
	v_fmac_f32_e32 v147, v139, v115
	ds_load_2addr_b64 v[112:115], v110 offset0:53 offset1:54
	s_waitcnt lgkmcnt(1)
	v_fmac_f32_e32 v147, v140, v116
	v_fmac_f32_e32 v147, v141, v117
	s_delay_alu instid0(VALU_DEP_1) | instskip(SKIP_1) | instid1(VALU_DEP_1)
	v_fmac_f32_e32 v147, v142, v118
	s_waitcnt vmcnt(1)
	v_fmac_f32_e32 v147, v143, v119
	s_waitcnt lgkmcnt(0)
	s_delay_alu instid0(VALU_DEP_1) | instskip(NEXT) | instid1(VALU_DEP_1)
	v_fmac_f32_e32 v147, v144, v112
	v_fmac_f32_e32 v147, v145, v113
	s_delay_alu instid0(VALU_DEP_1) | instskip(SKIP_1) | instid1(VALU_DEP_1)
	v_fmac_f32_e32 v147, v146, v114
	s_waitcnt vmcnt(0)
	v_fmac_f32_e32 v147, v155, v115
	s_delay_alu instid0(VALU_DEP_1)
	v_sub_f32_e32 v110, v111, v147
	scratch_store_b32 off, v110, off offset:68
	v_cmpx_lt_u32_e32 16, v0
	s_cbranch_execz .LBB53_299
; %bb.298:
	scratch_load_b32 v110, off, off offset:64
	v_mov_b32_e32 v111, 0
	scratch_store_b32 off, v111, off offset:64
	s_waitcnt vmcnt(0)
	ds_store_b32 v109, v110
.LBB53_299:
	s_or_b32 exec_lo, exec_lo, s0
	s_waitcnt lgkmcnt(0)
	s_waitcnt_vscnt null, 0x0
	s_barrier
	buffer_gl0_inv
	s_clause 0x9
	scratch_load_b128 v[111:114], off, off offset:64
	scratch_load_b128 v[115:118], off, off offset:80
	;; [unrolled: 1-line block ×9, first 2 shown]
	scratch_load_b64 v[147:148], off, off offset:208
	v_mov_b32_e32 v110, 0
	ds_load_2addr_b32 v[149:150], v110 offset0:73 offset1:74
	ds_load_2addr_b32 v[151:152], v110 offset0:75 offset1:76
	;; [unrolled: 1-line block ×4, first 2 shown]
	s_mov_b32 s0, exec_lo
	s_waitcnt vmcnt(9) lgkmcnt(3)
	v_fma_f32 v149, v112, v149, 0
	s_delay_alu instid0(VALU_DEP_1) | instskip(SKIP_4) | instid1(VALU_DEP_1)
	v_fmac_f32_e32 v149, v113, v150
	ds_load_2addr_b32 v[112:113], v110 offset0:81 offset1:82
	s_waitcnt lgkmcnt(3)
	v_fmac_f32_e32 v149, v114, v151
	s_waitcnt vmcnt(8)
	v_fmac_f32_e32 v149, v115, v152
	ds_load_2addr_b32 v[114:115], v110 offset0:83 offset1:84
	s_waitcnt lgkmcnt(3)
	v_fmac_f32_e32 v149, v116, v153
	s_delay_alu instid0(VALU_DEP_1) | instskip(SKIP_1) | instid1(VALU_DEP_1)
	v_fmac_f32_e32 v149, v117, v154
	s_waitcnt lgkmcnt(2)
	v_fmac_f32_e32 v149, v118, v155
	s_waitcnt vmcnt(7)
	s_delay_alu instid0(VALU_DEP_1) | instskip(SKIP_4) | instid1(VALU_DEP_1)
	v_fmac_f32_e32 v149, v119, v156
	ds_load_2addr_b32 v[116:117], v110 offset0:85 offset1:86
	ds_load_2addr_b32 v[118:119], v110 offset0:87 offset1:88
	s_waitcnt lgkmcnt(3)
	v_fmac_f32_e32 v149, v120, v112
	v_fmac_f32_e32 v149, v121, v113
	ds_load_2addr_b32 v[112:113], v110 offset0:89 offset1:90
	s_waitcnt lgkmcnt(3)
	v_fmac_f32_e32 v149, v122, v114
	s_waitcnt vmcnt(6)
	s_delay_alu instid0(VALU_DEP_1) | instskip(SKIP_3) | instid1(VALU_DEP_1)
	v_fmac_f32_e32 v149, v123, v115
	ds_load_2addr_b32 v[114:115], v110 offset0:91 offset1:92
	s_waitcnt lgkmcnt(3)
	v_fmac_f32_e32 v149, v124, v116
	v_fmac_f32_e32 v149, v125, v117
	s_waitcnt lgkmcnt(2)
	s_delay_alu instid0(VALU_DEP_1) | instskip(SKIP_1) | instid1(VALU_DEP_1)
	v_fmac_f32_e32 v149, v126, v118
	s_waitcnt vmcnt(5)
	v_fmac_f32_e32 v149, v127, v119
	ds_load_2addr_b32 v[116:117], v110 offset0:93 offset1:94
	ds_load_2addr_b32 v[118:119], v110 offset0:95 offset1:96
	s_waitcnt lgkmcnt(3)
	v_fmac_f32_e32 v149, v128, v112
	s_delay_alu instid0(VALU_DEP_1) | instskip(SKIP_4) | instid1(VALU_DEP_1)
	v_fmac_f32_e32 v149, v129, v113
	ds_load_2addr_b32 v[112:113], v110 offset0:97 offset1:98
	s_waitcnt lgkmcnt(3)
	v_fmac_f32_e32 v149, v130, v114
	s_waitcnt vmcnt(4)
	v_fmac_f32_e32 v149, v131, v115
	ds_load_2addr_b32 v[114:115], v110 offset0:99 offset1:100
	s_waitcnt lgkmcnt(3)
	v_fmac_f32_e32 v149, v132, v116
	s_delay_alu instid0(VALU_DEP_1) | instskip(SKIP_1) | instid1(VALU_DEP_1)
	v_fmac_f32_e32 v149, v133, v117
	s_waitcnt lgkmcnt(2)
	v_fmac_f32_e32 v149, v134, v118
	s_waitcnt vmcnt(3)
	s_delay_alu instid0(VALU_DEP_1) | instskip(SKIP_4) | instid1(VALU_DEP_1)
	v_fmac_f32_e32 v149, v135, v119
	ds_load_2addr_b32 v[116:117], v110 offset0:101 offset1:102
	ds_load_2addr_b32 v[118:119], v110 offset0:103 offset1:104
	s_waitcnt lgkmcnt(3)
	v_fmac_f32_e32 v149, v136, v112
	v_fmac_f32_e32 v149, v137, v113
	ds_load_2addr_b32 v[112:113], v110 offset0:105 offset1:106
	s_waitcnt lgkmcnt(3)
	v_fmac_f32_e32 v149, v138, v114
	s_waitcnt vmcnt(2)
	s_delay_alu instid0(VALU_DEP_1)
	v_fmac_f32_e32 v149, v139, v115
	ds_load_2addr_b32 v[114:115], v110 offset0:107 offset1:108
	s_waitcnt lgkmcnt(3)
	v_fmac_f32_e32 v149, v140, v116
	ds_load_b32 v116, v110 offset:436
	v_fmac_f32_e32 v149, v141, v117
	s_waitcnt lgkmcnt(3)
	s_delay_alu instid0(VALU_DEP_1) | instskip(SKIP_1) | instid1(VALU_DEP_1)
	v_fmac_f32_e32 v149, v142, v118
	s_waitcnt vmcnt(1)
	v_fmac_f32_e32 v149, v143, v119
	s_waitcnt lgkmcnt(2)
	s_delay_alu instid0(VALU_DEP_1) | instskip(NEXT) | instid1(VALU_DEP_1)
	v_fmac_f32_e32 v149, v144, v112
	v_fmac_f32_e32 v149, v145, v113
	s_waitcnt lgkmcnt(1)
	s_delay_alu instid0(VALU_DEP_1) | instskip(SKIP_1) | instid1(VALU_DEP_1)
	v_fmac_f32_e32 v149, v146, v114
	s_waitcnt vmcnt(0)
	v_fmac_f32_e32 v149, v147, v115
	s_waitcnt lgkmcnt(0)
	s_delay_alu instid0(VALU_DEP_1) | instskip(NEXT) | instid1(VALU_DEP_1)
	v_fmac_f32_e32 v149, v148, v116
	v_sub_f32_e32 v111, v111, v149
	scratch_store_b32 off, v111, off offset:64
	v_cmpx_lt_u32_e32 15, v0
	s_cbranch_execz .LBB53_301
; %bb.300:
	scratch_load_b32 v111, off, off offset:60
	scratch_store_b32 off, v110, off offset:60
	s_waitcnt vmcnt(0)
	ds_store_b32 v109, v111
.LBB53_301:
	s_or_b32 exec_lo, exec_lo, s0
	s_waitcnt lgkmcnt(0)
	s_waitcnt_vscnt null, 0x0
	s_barrier
	buffer_gl0_inv
	s_clause 0x9
	scratch_load_b128 v[111:114], off, off offset:60
	scratch_load_b128 v[115:118], off, off offset:76
	;; [unrolled: 1-line block ×9, first 2 shown]
	scratch_load_b96 v[155:157], off, off offset:204
	ds_load_b128 v[147:150], v110 offset:288
	ds_load_b128 v[151:154], v110 offset:304
	s_mov_b32 s0, exec_lo
	s_waitcnt vmcnt(9) lgkmcnt(1)
	v_fma_f32 v147, v112, v147, 0
	s_delay_alu instid0(VALU_DEP_1) | instskip(NEXT) | instid1(VALU_DEP_1)
	v_fmac_f32_e32 v147, v113, v148
	v_fmac_f32_e32 v147, v114, v149
	s_waitcnt vmcnt(8)
	s_delay_alu instid0(VALU_DEP_1) | instskip(SKIP_3) | instid1(VALU_DEP_1)
	v_fmac_f32_e32 v147, v115, v150
	ds_load_b128 v[112:115], v110 offset:320
	s_waitcnt lgkmcnt(1)
	v_fmac_f32_e32 v147, v116, v151
	v_fmac_f32_e32 v147, v117, v152
	s_delay_alu instid0(VALU_DEP_1) | instskip(SKIP_1) | instid1(VALU_DEP_1)
	v_fmac_f32_e32 v147, v118, v153
	s_waitcnt vmcnt(7)
	v_fmac_f32_e32 v147, v119, v154
	ds_load_b128 v[116:119], v110 offset:336
	s_waitcnt lgkmcnt(1)
	v_fmac_f32_e32 v147, v120, v112
	s_delay_alu instid0(VALU_DEP_1) | instskip(NEXT) | instid1(VALU_DEP_1)
	v_fmac_f32_e32 v147, v121, v113
	v_fmac_f32_e32 v147, v122, v114
	s_waitcnt vmcnt(6)
	s_delay_alu instid0(VALU_DEP_1) | instskip(SKIP_3) | instid1(VALU_DEP_1)
	v_fmac_f32_e32 v147, v123, v115
	ds_load_b128 v[112:115], v110 offset:352
	s_waitcnt lgkmcnt(1)
	v_fmac_f32_e32 v147, v124, v116
	v_fmac_f32_e32 v147, v125, v117
	s_delay_alu instid0(VALU_DEP_1) | instskip(SKIP_1) | instid1(VALU_DEP_1)
	v_fmac_f32_e32 v147, v126, v118
	s_waitcnt vmcnt(5)
	v_fmac_f32_e32 v147, v127, v119
	ds_load_b128 v[116:119], v110 offset:368
	s_waitcnt lgkmcnt(1)
	v_fmac_f32_e32 v147, v128, v112
	;; [unrolled: 17-line block ×3, first 2 shown]
	s_delay_alu instid0(VALU_DEP_1) | instskip(NEXT) | instid1(VALU_DEP_1)
	v_fmac_f32_e32 v147, v137, v113
	v_fmac_f32_e32 v147, v138, v114
	s_waitcnt vmcnt(2)
	s_delay_alu instid0(VALU_DEP_1) | instskip(SKIP_3) | instid1(VALU_DEP_1)
	v_fmac_f32_e32 v147, v139, v115
	ds_load_b128 v[112:115], v110 offset:416
	s_waitcnt lgkmcnt(1)
	v_fmac_f32_e32 v147, v140, v116
	v_fmac_f32_e32 v147, v141, v117
	ds_load_b64 v[116:117], v110 offset:432
	v_fmac_f32_e32 v147, v142, v118
	s_waitcnt vmcnt(1)
	s_delay_alu instid0(VALU_DEP_1) | instskip(SKIP_1) | instid1(VALU_DEP_1)
	v_fmac_f32_e32 v147, v143, v119
	s_waitcnt lgkmcnt(1)
	v_fmac_f32_e32 v147, v144, v112
	s_delay_alu instid0(VALU_DEP_1) | instskip(NEXT) | instid1(VALU_DEP_1)
	v_fmac_f32_e32 v147, v145, v113
	v_fmac_f32_e32 v147, v146, v114
	s_waitcnt vmcnt(0)
	s_delay_alu instid0(VALU_DEP_1) | instskip(SKIP_1) | instid1(VALU_DEP_1)
	v_fmac_f32_e32 v147, v155, v115
	s_waitcnt lgkmcnt(0)
	v_fmac_f32_e32 v147, v156, v116
	s_delay_alu instid0(VALU_DEP_1) | instskip(NEXT) | instid1(VALU_DEP_1)
	v_fmac_f32_e32 v147, v157, v117
	v_sub_f32_e32 v110, v111, v147
	scratch_store_b32 off, v110, off offset:60
	v_cmpx_lt_u32_e32 14, v0
	s_cbranch_execz .LBB53_303
; %bb.302:
	scratch_load_b32 v110, off, off offset:56
	v_mov_b32_e32 v111, 0
	scratch_store_b32 off, v111, off offset:56
	s_waitcnt vmcnt(0)
	ds_store_b32 v109, v110
.LBB53_303:
	s_or_b32 exec_lo, exec_lo, s0
	s_waitcnt lgkmcnt(0)
	s_waitcnt_vscnt null, 0x0
	s_barrier
	buffer_gl0_inv
	s_clause 0x9
	scratch_load_b128 v[111:114], off, off offset:56
	scratch_load_b128 v[115:118], off, off offset:72
	;; [unrolled: 1-line block ×10, first 2 shown]
	v_mov_b32_e32 v110, 0
	ds_load_2addr_b32 v[151:152], v110 offset0:71 offset1:72
	ds_load_2addr_b32 v[153:154], v110 offset0:73 offset1:74
	ds_load_2addr_b32 v[155:156], v110 offset0:75 offset1:76
	ds_load_2addr_b32 v[157:158], v110 offset0:77 offset1:78
	s_mov_b32 s0, exec_lo
	s_waitcnt vmcnt(9) lgkmcnt(3)
	v_fma_f32 v151, v112, v151, 0
	s_delay_alu instid0(VALU_DEP_1) | instskip(SKIP_4) | instid1(VALU_DEP_1)
	v_fmac_f32_e32 v151, v113, v152
	ds_load_2addr_b32 v[112:113], v110 offset0:79 offset1:80
	s_waitcnt lgkmcnt(3)
	v_fmac_f32_e32 v151, v114, v153
	s_waitcnt vmcnt(8)
	v_fmac_f32_e32 v151, v115, v154
	ds_load_2addr_b32 v[114:115], v110 offset0:81 offset1:82
	s_waitcnt lgkmcnt(3)
	v_fmac_f32_e32 v151, v116, v155
	s_delay_alu instid0(VALU_DEP_1) | instskip(SKIP_1) | instid1(VALU_DEP_1)
	v_fmac_f32_e32 v151, v117, v156
	s_waitcnt lgkmcnt(2)
	v_fmac_f32_e32 v151, v118, v157
	s_waitcnt vmcnt(7)
	s_delay_alu instid0(VALU_DEP_1) | instskip(SKIP_4) | instid1(VALU_DEP_1)
	v_fmac_f32_e32 v151, v119, v158
	ds_load_2addr_b32 v[116:117], v110 offset0:83 offset1:84
	ds_load_2addr_b32 v[118:119], v110 offset0:85 offset1:86
	s_waitcnt lgkmcnt(3)
	v_fmac_f32_e32 v151, v120, v112
	v_fmac_f32_e32 v151, v121, v113
	ds_load_2addr_b32 v[112:113], v110 offset0:87 offset1:88
	s_waitcnt lgkmcnt(3)
	v_fmac_f32_e32 v151, v122, v114
	s_waitcnt vmcnt(6)
	s_delay_alu instid0(VALU_DEP_1) | instskip(SKIP_3) | instid1(VALU_DEP_1)
	v_fmac_f32_e32 v151, v123, v115
	ds_load_2addr_b32 v[114:115], v110 offset0:89 offset1:90
	s_waitcnt lgkmcnt(3)
	v_fmac_f32_e32 v151, v124, v116
	v_fmac_f32_e32 v151, v125, v117
	s_waitcnt lgkmcnt(2)
	s_delay_alu instid0(VALU_DEP_1) | instskip(SKIP_1) | instid1(VALU_DEP_1)
	v_fmac_f32_e32 v151, v126, v118
	s_waitcnt vmcnt(5)
	v_fmac_f32_e32 v151, v127, v119
	ds_load_2addr_b32 v[116:117], v110 offset0:91 offset1:92
	ds_load_2addr_b32 v[118:119], v110 offset0:93 offset1:94
	s_waitcnt lgkmcnt(3)
	v_fmac_f32_e32 v151, v128, v112
	s_delay_alu instid0(VALU_DEP_1) | instskip(SKIP_4) | instid1(VALU_DEP_1)
	v_fmac_f32_e32 v151, v129, v113
	ds_load_2addr_b32 v[112:113], v110 offset0:95 offset1:96
	s_waitcnt lgkmcnt(3)
	v_fmac_f32_e32 v151, v130, v114
	s_waitcnt vmcnt(4)
	v_fmac_f32_e32 v151, v131, v115
	ds_load_2addr_b32 v[114:115], v110 offset0:97 offset1:98
	s_waitcnt lgkmcnt(3)
	v_fmac_f32_e32 v151, v132, v116
	s_delay_alu instid0(VALU_DEP_1) | instskip(SKIP_1) | instid1(VALU_DEP_1)
	v_fmac_f32_e32 v151, v133, v117
	s_waitcnt lgkmcnt(2)
	v_fmac_f32_e32 v151, v134, v118
	s_waitcnt vmcnt(3)
	s_delay_alu instid0(VALU_DEP_1) | instskip(SKIP_4) | instid1(VALU_DEP_1)
	v_fmac_f32_e32 v151, v135, v119
	ds_load_2addr_b32 v[116:117], v110 offset0:99 offset1:100
	ds_load_2addr_b32 v[118:119], v110 offset0:101 offset1:102
	s_waitcnt lgkmcnt(3)
	v_fmac_f32_e32 v151, v136, v112
	v_fmac_f32_e32 v151, v137, v113
	ds_load_2addr_b32 v[112:113], v110 offset0:103 offset1:104
	s_waitcnt lgkmcnt(3)
	v_fmac_f32_e32 v151, v138, v114
	s_waitcnt vmcnt(2)
	s_delay_alu instid0(VALU_DEP_1) | instskip(SKIP_3) | instid1(VALU_DEP_1)
	v_fmac_f32_e32 v151, v139, v115
	ds_load_2addr_b32 v[114:115], v110 offset0:105 offset1:106
	s_waitcnt lgkmcnt(3)
	v_fmac_f32_e32 v151, v140, v116
	v_fmac_f32_e32 v151, v141, v117
	s_waitcnt lgkmcnt(2)
	s_delay_alu instid0(VALU_DEP_1)
	v_fmac_f32_e32 v151, v142, v118
	ds_load_2addr_b32 v[116:117], v110 offset0:107 offset1:108
	ds_load_b32 v118, v110 offset:436
	s_waitcnt vmcnt(1)
	v_fmac_f32_e32 v151, v143, v119
	s_waitcnt lgkmcnt(3)
	s_delay_alu instid0(VALU_DEP_1) | instskip(NEXT) | instid1(VALU_DEP_1)
	v_fmac_f32_e32 v151, v144, v112
	v_fmac_f32_e32 v151, v145, v113
	s_waitcnt lgkmcnt(2)
	s_delay_alu instid0(VALU_DEP_1) | instskip(SKIP_1) | instid1(VALU_DEP_1)
	v_fmac_f32_e32 v151, v146, v114
	s_waitcnt vmcnt(0)
	v_fmac_f32_e32 v151, v147, v115
	s_waitcnt lgkmcnt(1)
	s_delay_alu instid0(VALU_DEP_1) | instskip(NEXT) | instid1(VALU_DEP_1)
	v_fmac_f32_e32 v151, v148, v116
	v_fmac_f32_e32 v151, v149, v117
	s_waitcnt lgkmcnt(0)
	s_delay_alu instid0(VALU_DEP_1) | instskip(NEXT) | instid1(VALU_DEP_1)
	v_fmac_f32_e32 v151, v150, v118
	v_sub_f32_e32 v111, v111, v151
	scratch_store_b32 off, v111, off offset:56
	v_cmpx_lt_u32_e32 13, v0
	s_cbranch_execz .LBB53_305
; %bb.304:
	scratch_load_b32 v111, off, off offset:52
	scratch_store_b32 off, v110, off offset:52
	s_waitcnt vmcnt(0)
	ds_store_b32 v109, v111
.LBB53_305:
	s_or_b32 exec_lo, exec_lo, s0
	s_waitcnt lgkmcnt(0)
	s_waitcnt_vscnt null, 0x0
	s_barrier
	buffer_gl0_inv
	s_clause 0xa
	scratch_load_b128 v[111:114], off, off offset:52
	scratch_load_b128 v[115:118], off, off offset:68
	;; [unrolled: 1-line block ×10, first 2 shown]
	scratch_load_b32 v159, off, off offset:212
	ds_load_2addr_b64 v[151:154], v110 offset0:35 offset1:36
	ds_load_2addr_b64 v[155:158], v110 offset0:37 offset1:38
	s_mov_b32 s0, exec_lo
	s_waitcnt vmcnt(10) lgkmcnt(1)
	v_fma_f32 v151, v112, v151, 0
	s_delay_alu instid0(VALU_DEP_1) | instskip(NEXT) | instid1(VALU_DEP_1)
	v_fmac_f32_e32 v151, v113, v152
	v_fmac_f32_e32 v151, v114, v153
	s_waitcnt vmcnt(9)
	s_delay_alu instid0(VALU_DEP_1) | instskip(SKIP_3) | instid1(VALU_DEP_1)
	v_fmac_f32_e32 v151, v115, v154
	ds_load_2addr_b64 v[112:115], v110 offset0:39 offset1:40
	s_waitcnt lgkmcnt(1)
	v_fmac_f32_e32 v151, v116, v155
	v_fmac_f32_e32 v151, v117, v156
	s_delay_alu instid0(VALU_DEP_1) | instskip(SKIP_1) | instid1(VALU_DEP_1)
	v_fmac_f32_e32 v151, v118, v157
	s_waitcnt vmcnt(8)
	v_fmac_f32_e32 v151, v119, v158
	ds_load_2addr_b64 v[116:119], v110 offset0:41 offset1:42
	s_waitcnt lgkmcnt(1)
	v_fmac_f32_e32 v151, v120, v112
	s_delay_alu instid0(VALU_DEP_1) | instskip(NEXT) | instid1(VALU_DEP_1)
	v_fmac_f32_e32 v151, v121, v113
	v_fmac_f32_e32 v151, v122, v114
	s_waitcnt vmcnt(7)
	s_delay_alu instid0(VALU_DEP_1) | instskip(SKIP_3) | instid1(VALU_DEP_1)
	v_fmac_f32_e32 v151, v123, v115
	ds_load_2addr_b64 v[112:115], v110 offset0:43 offset1:44
	s_waitcnt lgkmcnt(1)
	v_fmac_f32_e32 v151, v124, v116
	v_fmac_f32_e32 v151, v125, v117
	s_delay_alu instid0(VALU_DEP_1) | instskip(SKIP_1) | instid1(VALU_DEP_1)
	v_fmac_f32_e32 v151, v126, v118
	s_waitcnt vmcnt(6)
	v_fmac_f32_e32 v151, v127, v119
	ds_load_2addr_b64 v[116:119], v110 offset0:45 offset1:46
	s_waitcnt lgkmcnt(1)
	v_fmac_f32_e32 v151, v128, v112
	;; [unrolled: 17-line block ×4, first 2 shown]
	s_delay_alu instid0(VALU_DEP_1) | instskip(NEXT) | instid1(VALU_DEP_1)
	v_fmac_f32_e32 v151, v145, v113
	v_fmac_f32_e32 v151, v146, v114
	s_waitcnt vmcnt(1)
	s_delay_alu instid0(VALU_DEP_1) | instskip(SKIP_1) | instid1(VALU_DEP_1)
	v_fmac_f32_e32 v151, v147, v115
	s_waitcnt lgkmcnt(0)
	v_fmac_f32_e32 v151, v148, v116
	s_delay_alu instid0(VALU_DEP_1) | instskip(NEXT) | instid1(VALU_DEP_1)
	v_fmac_f32_e32 v151, v149, v117
	v_fmac_f32_e32 v151, v150, v118
	s_waitcnt vmcnt(0)
	s_delay_alu instid0(VALU_DEP_1) | instskip(NEXT) | instid1(VALU_DEP_1)
	v_fmac_f32_e32 v151, v159, v119
	v_sub_f32_e32 v110, v111, v151
	scratch_store_b32 off, v110, off offset:52
	v_cmpx_lt_u32_e32 12, v0
	s_cbranch_execz .LBB53_307
; %bb.306:
	scratch_load_b32 v110, off, off offset:48
	v_mov_b32_e32 v111, 0
	scratch_store_b32 off, v111, off offset:48
	s_waitcnt vmcnt(0)
	ds_store_b32 v109, v110
.LBB53_307:
	s_or_b32 exec_lo, exec_lo, s0
	s_waitcnt lgkmcnt(0)
	s_waitcnt_vscnt null, 0x0
	s_barrier
	buffer_gl0_inv
	s_clause 0xa
	scratch_load_b128 v[111:114], off, off offset:48
	scratch_load_b128 v[115:118], off, off offset:64
	;; [unrolled: 1-line block ×10, first 2 shown]
	scratch_load_b64 v[151:152], off, off offset:208
	v_mov_b32_e32 v110, 0
	ds_load_2addr_b32 v[153:154], v110 offset0:69 offset1:70
	ds_load_2addr_b32 v[155:156], v110 offset0:71 offset1:72
	;; [unrolled: 1-line block ×4, first 2 shown]
	s_mov_b32 s0, exec_lo
	s_waitcnt vmcnt(10) lgkmcnt(3)
	v_fma_f32 v153, v112, v153, 0
	s_delay_alu instid0(VALU_DEP_1) | instskip(SKIP_4) | instid1(VALU_DEP_1)
	v_fmac_f32_e32 v153, v113, v154
	ds_load_2addr_b32 v[112:113], v110 offset0:77 offset1:78
	s_waitcnt lgkmcnt(3)
	v_fmac_f32_e32 v153, v114, v155
	s_waitcnt vmcnt(9)
	v_fmac_f32_e32 v153, v115, v156
	ds_load_2addr_b32 v[114:115], v110 offset0:79 offset1:80
	s_waitcnt lgkmcnt(3)
	v_fmac_f32_e32 v153, v116, v157
	s_delay_alu instid0(VALU_DEP_1) | instskip(SKIP_1) | instid1(VALU_DEP_1)
	v_fmac_f32_e32 v153, v117, v158
	s_waitcnt lgkmcnt(2)
	v_fmac_f32_e32 v153, v118, v159
	s_waitcnt vmcnt(8)
	s_delay_alu instid0(VALU_DEP_1) | instskip(SKIP_4) | instid1(VALU_DEP_1)
	v_fmac_f32_e32 v153, v119, v160
	ds_load_2addr_b32 v[116:117], v110 offset0:81 offset1:82
	ds_load_2addr_b32 v[118:119], v110 offset0:83 offset1:84
	s_waitcnt lgkmcnt(3)
	v_fmac_f32_e32 v153, v120, v112
	v_fmac_f32_e32 v153, v121, v113
	ds_load_2addr_b32 v[112:113], v110 offset0:85 offset1:86
	s_waitcnt lgkmcnt(3)
	v_fmac_f32_e32 v153, v122, v114
	s_waitcnt vmcnt(7)
	s_delay_alu instid0(VALU_DEP_1) | instskip(SKIP_3) | instid1(VALU_DEP_1)
	v_fmac_f32_e32 v153, v123, v115
	ds_load_2addr_b32 v[114:115], v110 offset0:87 offset1:88
	s_waitcnt lgkmcnt(3)
	v_fmac_f32_e32 v153, v124, v116
	v_fmac_f32_e32 v153, v125, v117
	s_waitcnt lgkmcnt(2)
	s_delay_alu instid0(VALU_DEP_1) | instskip(SKIP_1) | instid1(VALU_DEP_1)
	v_fmac_f32_e32 v153, v126, v118
	s_waitcnt vmcnt(6)
	v_fmac_f32_e32 v153, v127, v119
	ds_load_2addr_b32 v[116:117], v110 offset0:89 offset1:90
	ds_load_2addr_b32 v[118:119], v110 offset0:91 offset1:92
	s_waitcnt lgkmcnt(3)
	v_fmac_f32_e32 v153, v128, v112
	s_delay_alu instid0(VALU_DEP_1) | instskip(SKIP_4) | instid1(VALU_DEP_1)
	v_fmac_f32_e32 v153, v129, v113
	ds_load_2addr_b32 v[112:113], v110 offset0:93 offset1:94
	s_waitcnt lgkmcnt(3)
	v_fmac_f32_e32 v153, v130, v114
	s_waitcnt vmcnt(5)
	v_fmac_f32_e32 v153, v131, v115
	ds_load_2addr_b32 v[114:115], v110 offset0:95 offset1:96
	s_waitcnt lgkmcnt(3)
	v_fmac_f32_e32 v153, v132, v116
	s_delay_alu instid0(VALU_DEP_1) | instskip(SKIP_1) | instid1(VALU_DEP_1)
	v_fmac_f32_e32 v153, v133, v117
	s_waitcnt lgkmcnt(2)
	v_fmac_f32_e32 v153, v134, v118
	s_waitcnt vmcnt(4)
	s_delay_alu instid0(VALU_DEP_1) | instskip(SKIP_4) | instid1(VALU_DEP_1)
	v_fmac_f32_e32 v153, v135, v119
	ds_load_2addr_b32 v[116:117], v110 offset0:97 offset1:98
	ds_load_2addr_b32 v[118:119], v110 offset0:99 offset1:100
	s_waitcnt lgkmcnt(3)
	v_fmac_f32_e32 v153, v136, v112
	v_fmac_f32_e32 v153, v137, v113
	ds_load_2addr_b32 v[112:113], v110 offset0:101 offset1:102
	s_waitcnt lgkmcnt(3)
	v_fmac_f32_e32 v153, v138, v114
	s_waitcnt vmcnt(3)
	s_delay_alu instid0(VALU_DEP_1) | instskip(SKIP_3) | instid1(VALU_DEP_1)
	v_fmac_f32_e32 v153, v139, v115
	ds_load_2addr_b32 v[114:115], v110 offset0:103 offset1:104
	s_waitcnt lgkmcnt(3)
	v_fmac_f32_e32 v153, v140, v116
	v_fmac_f32_e32 v153, v141, v117
	s_waitcnt lgkmcnt(2)
	s_delay_alu instid0(VALU_DEP_1) | instskip(SKIP_1) | instid1(VALU_DEP_1)
	v_fmac_f32_e32 v153, v142, v118
	s_waitcnt vmcnt(2)
	v_fmac_f32_e32 v153, v143, v119
	ds_load_2addr_b32 v[116:117], v110 offset0:105 offset1:106
	ds_load_2addr_b32 v[118:119], v110 offset0:107 offset1:108
	s_waitcnt lgkmcnt(3)
	v_fmac_f32_e32 v153, v144, v112
	ds_load_b32 v112, v110 offset:436
	v_fmac_f32_e32 v153, v145, v113
	s_waitcnt lgkmcnt(3)
	s_delay_alu instid0(VALU_DEP_1) | instskip(SKIP_1) | instid1(VALU_DEP_1)
	v_fmac_f32_e32 v153, v146, v114
	s_waitcnt vmcnt(1)
	v_fmac_f32_e32 v153, v147, v115
	s_waitcnt lgkmcnt(2)
	s_delay_alu instid0(VALU_DEP_1) | instskip(NEXT) | instid1(VALU_DEP_1)
	v_fmac_f32_e32 v153, v148, v116
	v_fmac_f32_e32 v153, v149, v117
	s_waitcnt lgkmcnt(1)
	s_delay_alu instid0(VALU_DEP_1) | instskip(SKIP_1) | instid1(VALU_DEP_1)
	v_fmac_f32_e32 v153, v150, v118
	s_waitcnt vmcnt(0)
	v_fmac_f32_e32 v153, v151, v119
	s_waitcnt lgkmcnt(0)
	s_delay_alu instid0(VALU_DEP_1) | instskip(NEXT) | instid1(VALU_DEP_1)
	v_fmac_f32_e32 v153, v152, v112
	v_sub_f32_e32 v111, v111, v153
	scratch_store_b32 off, v111, off offset:48
	v_cmpx_lt_u32_e32 11, v0
	s_cbranch_execz .LBB53_309
; %bb.308:
	scratch_load_b32 v111, off, off offset:44
	scratch_store_b32 off, v110, off offset:44
	s_waitcnt vmcnt(0)
	ds_store_b32 v109, v111
.LBB53_309:
	s_or_b32 exec_lo, exec_lo, s0
	s_waitcnt lgkmcnt(0)
	s_waitcnt_vscnt null, 0x0
	s_barrier
	buffer_gl0_inv
	s_clause 0xa
	scratch_load_b128 v[111:114], off, off offset:44
	scratch_load_b128 v[115:118], off, off offset:60
	;; [unrolled: 1-line block ×10, first 2 shown]
	scratch_load_b96 v[159:161], off, off offset:204
	ds_load_b128 v[151:154], v110 offset:272
	ds_load_b128 v[155:158], v110 offset:288
	s_mov_b32 s0, exec_lo
	s_waitcnt vmcnt(10) lgkmcnt(1)
	v_fma_f32 v151, v112, v151, 0
	s_delay_alu instid0(VALU_DEP_1) | instskip(NEXT) | instid1(VALU_DEP_1)
	v_fmac_f32_e32 v151, v113, v152
	v_fmac_f32_e32 v151, v114, v153
	s_waitcnt vmcnt(9)
	s_delay_alu instid0(VALU_DEP_1) | instskip(SKIP_3) | instid1(VALU_DEP_1)
	v_fmac_f32_e32 v151, v115, v154
	ds_load_b128 v[112:115], v110 offset:304
	s_waitcnt lgkmcnt(1)
	v_fmac_f32_e32 v151, v116, v155
	v_fmac_f32_e32 v151, v117, v156
	s_delay_alu instid0(VALU_DEP_1) | instskip(SKIP_1) | instid1(VALU_DEP_1)
	v_fmac_f32_e32 v151, v118, v157
	s_waitcnt vmcnt(8)
	v_fmac_f32_e32 v151, v119, v158
	ds_load_b128 v[116:119], v110 offset:320
	s_waitcnt lgkmcnt(1)
	v_fmac_f32_e32 v151, v120, v112
	s_delay_alu instid0(VALU_DEP_1) | instskip(NEXT) | instid1(VALU_DEP_1)
	v_fmac_f32_e32 v151, v121, v113
	v_fmac_f32_e32 v151, v122, v114
	s_waitcnt vmcnt(7)
	s_delay_alu instid0(VALU_DEP_1) | instskip(SKIP_3) | instid1(VALU_DEP_1)
	v_fmac_f32_e32 v151, v123, v115
	ds_load_b128 v[112:115], v110 offset:336
	s_waitcnt lgkmcnt(1)
	v_fmac_f32_e32 v151, v124, v116
	v_fmac_f32_e32 v151, v125, v117
	s_delay_alu instid0(VALU_DEP_1) | instskip(SKIP_1) | instid1(VALU_DEP_1)
	v_fmac_f32_e32 v151, v126, v118
	s_waitcnt vmcnt(6)
	v_fmac_f32_e32 v151, v127, v119
	ds_load_b128 v[116:119], v110 offset:352
	s_waitcnt lgkmcnt(1)
	v_fmac_f32_e32 v151, v128, v112
	;; [unrolled: 17-line block ×4, first 2 shown]
	s_delay_alu instid0(VALU_DEP_1) | instskip(SKIP_3) | instid1(VALU_DEP_1)
	v_fmac_f32_e32 v151, v145, v113
	ds_load_b64 v[112:113], v110 offset:432
	v_fmac_f32_e32 v151, v146, v114
	s_waitcnt vmcnt(1)
	v_fmac_f32_e32 v151, v147, v115
	s_waitcnt lgkmcnt(1)
	s_delay_alu instid0(VALU_DEP_1) | instskip(NEXT) | instid1(VALU_DEP_1)
	v_fmac_f32_e32 v151, v148, v116
	v_fmac_f32_e32 v151, v149, v117
	s_delay_alu instid0(VALU_DEP_1) | instskip(SKIP_1) | instid1(VALU_DEP_1)
	v_fmac_f32_e32 v151, v150, v118
	s_waitcnt vmcnt(0)
	v_fmac_f32_e32 v151, v159, v119
	s_waitcnt lgkmcnt(0)
	s_delay_alu instid0(VALU_DEP_1) | instskip(NEXT) | instid1(VALU_DEP_1)
	v_fmac_f32_e32 v151, v160, v112
	v_fmac_f32_e32 v151, v161, v113
	s_delay_alu instid0(VALU_DEP_1)
	v_sub_f32_e32 v110, v111, v151
	scratch_store_b32 off, v110, off offset:44
	v_cmpx_lt_u32_e32 10, v0
	s_cbranch_execz .LBB53_311
; %bb.310:
	scratch_load_b32 v110, off, off offset:40
	v_mov_b32_e32 v111, 0
	scratch_store_b32 off, v111, off offset:40
	s_waitcnt vmcnt(0)
	ds_store_b32 v109, v110
.LBB53_311:
	s_or_b32 exec_lo, exec_lo, s0
	s_waitcnt lgkmcnt(0)
	s_waitcnt_vscnt null, 0x0
	s_barrier
	buffer_gl0_inv
	s_clause 0xa
	scratch_load_b128 v[111:114], off, off offset:40
	scratch_load_b128 v[115:118], off, off offset:56
	;; [unrolled: 1-line block ×11, first 2 shown]
	v_mov_b32_e32 v110, 0
	ds_load_2addr_b32 v[155:156], v110 offset0:67 offset1:68
	ds_load_2addr_b32 v[157:158], v110 offset0:69 offset1:70
	;; [unrolled: 1-line block ×4, first 2 shown]
	s_mov_b32 s0, exec_lo
	s_waitcnt vmcnt(10) lgkmcnt(3)
	v_fma_f32 v155, v112, v155, 0
	s_delay_alu instid0(VALU_DEP_1) | instskip(SKIP_4) | instid1(VALU_DEP_1)
	v_fmac_f32_e32 v155, v113, v156
	ds_load_2addr_b32 v[112:113], v110 offset0:75 offset1:76
	s_waitcnt lgkmcnt(3)
	v_fmac_f32_e32 v155, v114, v157
	s_waitcnt vmcnt(9)
	v_fmac_f32_e32 v155, v115, v158
	ds_load_2addr_b32 v[114:115], v110 offset0:77 offset1:78
	s_waitcnt lgkmcnt(3)
	v_fmac_f32_e32 v155, v116, v159
	s_delay_alu instid0(VALU_DEP_1) | instskip(SKIP_1) | instid1(VALU_DEP_1)
	v_fmac_f32_e32 v155, v117, v160
	s_waitcnt lgkmcnt(2)
	v_fmac_f32_e32 v155, v118, v161
	s_waitcnt vmcnt(8)
	s_delay_alu instid0(VALU_DEP_1) | instskip(SKIP_4) | instid1(VALU_DEP_1)
	v_fmac_f32_e32 v155, v119, v162
	ds_load_2addr_b32 v[116:117], v110 offset0:79 offset1:80
	ds_load_2addr_b32 v[118:119], v110 offset0:81 offset1:82
	s_waitcnt lgkmcnt(3)
	v_fmac_f32_e32 v155, v120, v112
	v_fmac_f32_e32 v155, v121, v113
	ds_load_2addr_b32 v[112:113], v110 offset0:83 offset1:84
	s_waitcnt lgkmcnt(3)
	v_fmac_f32_e32 v155, v122, v114
	s_waitcnt vmcnt(7)
	s_delay_alu instid0(VALU_DEP_1) | instskip(SKIP_3) | instid1(VALU_DEP_1)
	v_fmac_f32_e32 v155, v123, v115
	ds_load_2addr_b32 v[114:115], v110 offset0:85 offset1:86
	s_waitcnt lgkmcnt(3)
	v_fmac_f32_e32 v155, v124, v116
	v_fmac_f32_e32 v155, v125, v117
	s_waitcnt lgkmcnt(2)
	s_delay_alu instid0(VALU_DEP_1) | instskip(SKIP_1) | instid1(VALU_DEP_1)
	v_fmac_f32_e32 v155, v126, v118
	s_waitcnt vmcnt(6)
	v_fmac_f32_e32 v155, v127, v119
	ds_load_2addr_b32 v[116:117], v110 offset0:87 offset1:88
	ds_load_2addr_b32 v[118:119], v110 offset0:89 offset1:90
	s_waitcnt lgkmcnt(3)
	v_fmac_f32_e32 v155, v128, v112
	s_delay_alu instid0(VALU_DEP_1) | instskip(SKIP_4) | instid1(VALU_DEP_1)
	v_fmac_f32_e32 v155, v129, v113
	ds_load_2addr_b32 v[112:113], v110 offset0:91 offset1:92
	s_waitcnt lgkmcnt(3)
	v_fmac_f32_e32 v155, v130, v114
	s_waitcnt vmcnt(5)
	v_fmac_f32_e32 v155, v131, v115
	ds_load_2addr_b32 v[114:115], v110 offset0:93 offset1:94
	s_waitcnt lgkmcnt(3)
	v_fmac_f32_e32 v155, v132, v116
	s_delay_alu instid0(VALU_DEP_1) | instskip(SKIP_1) | instid1(VALU_DEP_1)
	v_fmac_f32_e32 v155, v133, v117
	s_waitcnt lgkmcnt(2)
	v_fmac_f32_e32 v155, v134, v118
	s_waitcnt vmcnt(4)
	s_delay_alu instid0(VALU_DEP_1) | instskip(SKIP_4) | instid1(VALU_DEP_1)
	v_fmac_f32_e32 v155, v135, v119
	ds_load_2addr_b32 v[116:117], v110 offset0:95 offset1:96
	ds_load_2addr_b32 v[118:119], v110 offset0:97 offset1:98
	s_waitcnt lgkmcnt(3)
	v_fmac_f32_e32 v155, v136, v112
	v_fmac_f32_e32 v155, v137, v113
	ds_load_2addr_b32 v[112:113], v110 offset0:99 offset1:100
	s_waitcnt lgkmcnt(3)
	v_fmac_f32_e32 v155, v138, v114
	s_waitcnt vmcnt(3)
	s_delay_alu instid0(VALU_DEP_1) | instskip(SKIP_3) | instid1(VALU_DEP_1)
	v_fmac_f32_e32 v155, v139, v115
	ds_load_2addr_b32 v[114:115], v110 offset0:101 offset1:102
	s_waitcnt lgkmcnt(3)
	v_fmac_f32_e32 v155, v140, v116
	v_fmac_f32_e32 v155, v141, v117
	s_waitcnt lgkmcnt(2)
	s_delay_alu instid0(VALU_DEP_1) | instskip(SKIP_1) | instid1(VALU_DEP_1)
	v_fmac_f32_e32 v155, v142, v118
	s_waitcnt vmcnt(2)
	v_fmac_f32_e32 v155, v143, v119
	ds_load_2addr_b32 v[116:117], v110 offset0:103 offset1:104
	ds_load_2addr_b32 v[118:119], v110 offset0:105 offset1:106
	s_waitcnt lgkmcnt(3)
	v_fmac_f32_e32 v155, v144, v112
	s_delay_alu instid0(VALU_DEP_1)
	v_fmac_f32_e32 v155, v145, v113
	ds_load_2addr_b32 v[112:113], v110 offset0:107 offset1:108
	s_waitcnt lgkmcnt(3)
	v_fmac_f32_e32 v155, v146, v114
	ds_load_b32 v114, v110 offset:436
	s_waitcnt vmcnt(1)
	v_fmac_f32_e32 v155, v147, v115
	s_waitcnt lgkmcnt(3)
	s_delay_alu instid0(VALU_DEP_1) | instskip(NEXT) | instid1(VALU_DEP_1)
	v_fmac_f32_e32 v155, v148, v116
	v_fmac_f32_e32 v155, v149, v117
	s_waitcnt lgkmcnt(2)
	s_delay_alu instid0(VALU_DEP_1) | instskip(SKIP_1) | instid1(VALU_DEP_1)
	v_fmac_f32_e32 v155, v150, v118
	s_waitcnt vmcnt(0)
	v_fmac_f32_e32 v155, v151, v119
	s_waitcnt lgkmcnt(1)
	s_delay_alu instid0(VALU_DEP_1) | instskip(NEXT) | instid1(VALU_DEP_1)
	v_fmac_f32_e32 v155, v152, v112
	v_fmac_f32_e32 v155, v153, v113
	s_waitcnt lgkmcnt(0)
	s_delay_alu instid0(VALU_DEP_1) | instskip(NEXT) | instid1(VALU_DEP_1)
	v_fmac_f32_e32 v155, v154, v114
	v_sub_f32_e32 v111, v111, v155
	scratch_store_b32 off, v111, off offset:40
	v_cmpx_lt_u32_e32 9, v0
	s_cbranch_execz .LBB53_313
; %bb.312:
	scratch_load_b32 v111, off, off offset:36
	scratch_store_b32 off, v110, off offset:36
	s_waitcnt vmcnt(0)
	ds_store_b32 v109, v111
.LBB53_313:
	s_or_b32 exec_lo, exec_lo, s0
	s_waitcnt lgkmcnt(0)
	s_waitcnt_vscnt null, 0x0
	s_barrier
	buffer_gl0_inv
	s_clause 0xb
	scratch_load_b128 v[111:114], off, off offset:36
	scratch_load_b128 v[115:118], off, off offset:52
	;; [unrolled: 1-line block ×11, first 2 shown]
	scratch_load_b32 v163, off, off offset:212
	ds_load_2addr_b64 v[155:158], v110 offset0:33 offset1:34
	ds_load_2addr_b64 v[159:162], v110 offset0:35 offset1:36
	s_mov_b32 s0, exec_lo
	s_waitcnt vmcnt(11) lgkmcnt(1)
	v_fma_f32 v155, v112, v155, 0
	s_delay_alu instid0(VALU_DEP_1) | instskip(NEXT) | instid1(VALU_DEP_1)
	v_fmac_f32_e32 v155, v113, v156
	v_fmac_f32_e32 v155, v114, v157
	s_waitcnt vmcnt(10)
	s_delay_alu instid0(VALU_DEP_1) | instskip(SKIP_3) | instid1(VALU_DEP_1)
	v_fmac_f32_e32 v155, v115, v158
	ds_load_2addr_b64 v[112:115], v110 offset0:37 offset1:38
	s_waitcnt lgkmcnt(1)
	v_fmac_f32_e32 v155, v116, v159
	v_fmac_f32_e32 v155, v117, v160
	s_delay_alu instid0(VALU_DEP_1) | instskip(SKIP_1) | instid1(VALU_DEP_1)
	v_fmac_f32_e32 v155, v118, v161
	s_waitcnt vmcnt(9)
	v_fmac_f32_e32 v155, v119, v162
	ds_load_2addr_b64 v[116:119], v110 offset0:39 offset1:40
	s_waitcnt lgkmcnt(1)
	v_fmac_f32_e32 v155, v120, v112
	s_delay_alu instid0(VALU_DEP_1) | instskip(NEXT) | instid1(VALU_DEP_1)
	v_fmac_f32_e32 v155, v121, v113
	v_fmac_f32_e32 v155, v122, v114
	s_waitcnt vmcnt(8)
	s_delay_alu instid0(VALU_DEP_1) | instskip(SKIP_3) | instid1(VALU_DEP_1)
	v_fmac_f32_e32 v155, v123, v115
	ds_load_2addr_b64 v[112:115], v110 offset0:41 offset1:42
	s_waitcnt lgkmcnt(1)
	v_fmac_f32_e32 v155, v124, v116
	v_fmac_f32_e32 v155, v125, v117
	s_delay_alu instid0(VALU_DEP_1) | instskip(SKIP_1) | instid1(VALU_DEP_1)
	v_fmac_f32_e32 v155, v126, v118
	s_waitcnt vmcnt(7)
	v_fmac_f32_e32 v155, v127, v119
	ds_load_2addr_b64 v[116:119], v110 offset0:43 offset1:44
	s_waitcnt lgkmcnt(1)
	v_fmac_f32_e32 v155, v128, v112
	;; [unrolled: 17-line block ×4, first 2 shown]
	s_delay_alu instid0(VALU_DEP_1) | instskip(NEXT) | instid1(VALU_DEP_1)
	v_fmac_f32_e32 v155, v145, v113
	v_fmac_f32_e32 v155, v146, v114
	s_waitcnt vmcnt(2)
	s_delay_alu instid0(VALU_DEP_1) | instskip(SKIP_3) | instid1(VALU_DEP_1)
	v_fmac_f32_e32 v155, v147, v115
	ds_load_2addr_b64 v[112:115], v110 offset0:53 offset1:54
	s_waitcnt lgkmcnt(1)
	v_fmac_f32_e32 v155, v148, v116
	v_fmac_f32_e32 v155, v149, v117
	s_delay_alu instid0(VALU_DEP_1) | instskip(SKIP_1) | instid1(VALU_DEP_1)
	v_fmac_f32_e32 v155, v150, v118
	s_waitcnt vmcnt(1)
	v_fmac_f32_e32 v155, v151, v119
	s_waitcnt lgkmcnt(0)
	s_delay_alu instid0(VALU_DEP_1) | instskip(NEXT) | instid1(VALU_DEP_1)
	v_fmac_f32_e32 v155, v152, v112
	v_fmac_f32_e32 v155, v153, v113
	s_delay_alu instid0(VALU_DEP_1) | instskip(SKIP_1) | instid1(VALU_DEP_1)
	v_fmac_f32_e32 v155, v154, v114
	s_waitcnt vmcnt(0)
	v_fmac_f32_e32 v155, v163, v115
	s_delay_alu instid0(VALU_DEP_1)
	v_sub_f32_e32 v110, v111, v155
	scratch_store_b32 off, v110, off offset:36
	v_cmpx_lt_u32_e32 8, v0
	s_cbranch_execz .LBB53_315
; %bb.314:
	scratch_load_b32 v110, off, off offset:32
	v_mov_b32_e32 v111, 0
	scratch_store_b32 off, v111, off offset:32
	s_waitcnt vmcnt(0)
	ds_store_b32 v109, v110
.LBB53_315:
	s_or_b32 exec_lo, exec_lo, s0
	s_waitcnt lgkmcnt(0)
	s_waitcnt_vscnt null, 0x0
	s_barrier
	buffer_gl0_inv
	s_clause 0xb
	scratch_load_b128 v[111:114], off, off offset:32
	scratch_load_b128 v[115:118], off, off offset:48
	;; [unrolled: 1-line block ×11, first 2 shown]
	scratch_load_b64 v[155:156], off, off offset:208
	v_mov_b32_e32 v110, 0
	ds_load_2addr_b32 v[157:158], v110 offset0:65 offset1:66
	ds_load_2addr_b32 v[159:160], v110 offset0:67 offset1:68
	;; [unrolled: 1-line block ×4, first 2 shown]
	s_mov_b32 s0, exec_lo
	s_waitcnt vmcnt(11) lgkmcnt(3)
	v_fma_f32 v157, v112, v157, 0
	s_delay_alu instid0(VALU_DEP_1) | instskip(SKIP_4) | instid1(VALU_DEP_1)
	v_fmac_f32_e32 v157, v113, v158
	ds_load_2addr_b32 v[112:113], v110 offset0:73 offset1:74
	s_waitcnt lgkmcnt(3)
	v_fmac_f32_e32 v157, v114, v159
	s_waitcnt vmcnt(10)
	v_fmac_f32_e32 v157, v115, v160
	ds_load_2addr_b32 v[114:115], v110 offset0:75 offset1:76
	s_waitcnt lgkmcnt(3)
	v_fmac_f32_e32 v157, v116, v161
	s_delay_alu instid0(VALU_DEP_1) | instskip(SKIP_1) | instid1(VALU_DEP_1)
	v_fmac_f32_e32 v157, v117, v162
	s_waitcnt lgkmcnt(2)
	v_fmac_f32_e32 v157, v118, v163
	s_waitcnt vmcnt(9)
	s_delay_alu instid0(VALU_DEP_1) | instskip(SKIP_4) | instid1(VALU_DEP_1)
	v_fmac_f32_e32 v157, v119, v164
	ds_load_2addr_b32 v[116:117], v110 offset0:77 offset1:78
	ds_load_2addr_b32 v[118:119], v110 offset0:79 offset1:80
	s_waitcnt lgkmcnt(3)
	v_fmac_f32_e32 v157, v120, v112
	v_fmac_f32_e32 v157, v121, v113
	ds_load_2addr_b32 v[112:113], v110 offset0:81 offset1:82
	s_waitcnt lgkmcnt(3)
	v_fmac_f32_e32 v157, v122, v114
	s_waitcnt vmcnt(8)
	s_delay_alu instid0(VALU_DEP_1) | instskip(SKIP_3) | instid1(VALU_DEP_1)
	v_fmac_f32_e32 v157, v123, v115
	ds_load_2addr_b32 v[114:115], v110 offset0:83 offset1:84
	s_waitcnt lgkmcnt(3)
	v_fmac_f32_e32 v157, v124, v116
	v_fmac_f32_e32 v157, v125, v117
	s_waitcnt lgkmcnt(2)
	s_delay_alu instid0(VALU_DEP_1) | instskip(SKIP_1) | instid1(VALU_DEP_1)
	v_fmac_f32_e32 v157, v126, v118
	s_waitcnt vmcnt(7)
	v_fmac_f32_e32 v157, v127, v119
	ds_load_2addr_b32 v[116:117], v110 offset0:85 offset1:86
	ds_load_2addr_b32 v[118:119], v110 offset0:87 offset1:88
	s_waitcnt lgkmcnt(3)
	v_fmac_f32_e32 v157, v128, v112
	s_delay_alu instid0(VALU_DEP_1) | instskip(SKIP_4) | instid1(VALU_DEP_1)
	v_fmac_f32_e32 v157, v129, v113
	ds_load_2addr_b32 v[112:113], v110 offset0:89 offset1:90
	s_waitcnt lgkmcnt(3)
	v_fmac_f32_e32 v157, v130, v114
	s_waitcnt vmcnt(6)
	v_fmac_f32_e32 v157, v131, v115
	ds_load_2addr_b32 v[114:115], v110 offset0:91 offset1:92
	s_waitcnt lgkmcnt(3)
	v_fmac_f32_e32 v157, v132, v116
	s_delay_alu instid0(VALU_DEP_1) | instskip(SKIP_1) | instid1(VALU_DEP_1)
	v_fmac_f32_e32 v157, v133, v117
	s_waitcnt lgkmcnt(2)
	v_fmac_f32_e32 v157, v134, v118
	s_waitcnt vmcnt(5)
	s_delay_alu instid0(VALU_DEP_1) | instskip(SKIP_4) | instid1(VALU_DEP_1)
	v_fmac_f32_e32 v157, v135, v119
	ds_load_2addr_b32 v[116:117], v110 offset0:93 offset1:94
	ds_load_2addr_b32 v[118:119], v110 offset0:95 offset1:96
	s_waitcnt lgkmcnt(3)
	v_fmac_f32_e32 v157, v136, v112
	v_fmac_f32_e32 v157, v137, v113
	ds_load_2addr_b32 v[112:113], v110 offset0:97 offset1:98
	s_waitcnt lgkmcnt(3)
	v_fmac_f32_e32 v157, v138, v114
	s_waitcnt vmcnt(4)
	s_delay_alu instid0(VALU_DEP_1) | instskip(SKIP_3) | instid1(VALU_DEP_1)
	v_fmac_f32_e32 v157, v139, v115
	ds_load_2addr_b32 v[114:115], v110 offset0:99 offset1:100
	s_waitcnt lgkmcnt(3)
	v_fmac_f32_e32 v157, v140, v116
	v_fmac_f32_e32 v157, v141, v117
	s_waitcnt lgkmcnt(2)
	s_delay_alu instid0(VALU_DEP_1) | instskip(SKIP_1) | instid1(VALU_DEP_1)
	v_fmac_f32_e32 v157, v142, v118
	s_waitcnt vmcnt(3)
	v_fmac_f32_e32 v157, v143, v119
	ds_load_2addr_b32 v[116:117], v110 offset0:101 offset1:102
	ds_load_2addr_b32 v[118:119], v110 offset0:103 offset1:104
	s_waitcnt lgkmcnt(3)
	v_fmac_f32_e32 v157, v144, v112
	s_delay_alu instid0(VALU_DEP_1) | instskip(SKIP_4) | instid1(VALU_DEP_1)
	v_fmac_f32_e32 v157, v145, v113
	ds_load_2addr_b32 v[112:113], v110 offset0:105 offset1:106
	s_waitcnt lgkmcnt(3)
	v_fmac_f32_e32 v157, v146, v114
	s_waitcnt vmcnt(2)
	v_fmac_f32_e32 v157, v147, v115
	ds_load_2addr_b32 v[114:115], v110 offset0:107 offset1:108
	s_waitcnt lgkmcnt(3)
	v_fmac_f32_e32 v157, v148, v116
	ds_load_b32 v116, v110 offset:436
	v_fmac_f32_e32 v157, v149, v117
	s_waitcnt lgkmcnt(3)
	s_delay_alu instid0(VALU_DEP_1) | instskip(SKIP_1) | instid1(VALU_DEP_1)
	v_fmac_f32_e32 v157, v150, v118
	s_waitcnt vmcnt(1)
	v_fmac_f32_e32 v157, v151, v119
	s_waitcnt lgkmcnt(2)
	s_delay_alu instid0(VALU_DEP_1) | instskip(NEXT) | instid1(VALU_DEP_1)
	v_fmac_f32_e32 v157, v152, v112
	v_fmac_f32_e32 v157, v153, v113
	s_waitcnt lgkmcnt(1)
	s_delay_alu instid0(VALU_DEP_1) | instskip(SKIP_1) | instid1(VALU_DEP_1)
	v_fmac_f32_e32 v157, v154, v114
	s_waitcnt vmcnt(0)
	v_fmac_f32_e32 v157, v155, v115
	s_waitcnt lgkmcnt(0)
	s_delay_alu instid0(VALU_DEP_1) | instskip(NEXT) | instid1(VALU_DEP_1)
	v_fmac_f32_e32 v157, v156, v116
	v_sub_f32_e32 v111, v111, v157
	scratch_store_b32 off, v111, off offset:32
	v_cmpx_lt_u32_e32 7, v0
	s_cbranch_execz .LBB53_317
; %bb.316:
	scratch_load_b32 v111, off, off offset:28
	scratch_store_b32 off, v110, off offset:28
	s_waitcnt vmcnt(0)
	ds_store_b32 v109, v111
.LBB53_317:
	s_or_b32 exec_lo, exec_lo, s0
	s_waitcnt lgkmcnt(0)
	s_waitcnt_vscnt null, 0x0
	s_barrier
	buffer_gl0_inv
	s_clause 0xb
	scratch_load_b128 v[111:114], off, off offset:28
	scratch_load_b128 v[115:118], off, off offset:44
	;; [unrolled: 1-line block ×11, first 2 shown]
	scratch_load_b96 v[163:165], off, off offset:204
	ds_load_b128 v[155:158], v110 offset:256
	ds_load_b128 v[159:162], v110 offset:272
	s_mov_b32 s0, exec_lo
	s_waitcnt vmcnt(11) lgkmcnt(1)
	v_fma_f32 v155, v112, v155, 0
	s_delay_alu instid0(VALU_DEP_1) | instskip(NEXT) | instid1(VALU_DEP_1)
	v_fmac_f32_e32 v155, v113, v156
	v_fmac_f32_e32 v155, v114, v157
	s_waitcnt vmcnt(10)
	s_delay_alu instid0(VALU_DEP_1) | instskip(SKIP_3) | instid1(VALU_DEP_1)
	v_fmac_f32_e32 v155, v115, v158
	ds_load_b128 v[112:115], v110 offset:288
	s_waitcnt lgkmcnt(1)
	v_fmac_f32_e32 v155, v116, v159
	v_fmac_f32_e32 v155, v117, v160
	s_delay_alu instid0(VALU_DEP_1) | instskip(SKIP_1) | instid1(VALU_DEP_1)
	v_fmac_f32_e32 v155, v118, v161
	s_waitcnt vmcnt(9)
	v_fmac_f32_e32 v155, v119, v162
	ds_load_b128 v[116:119], v110 offset:304
	s_waitcnt lgkmcnt(1)
	v_fmac_f32_e32 v155, v120, v112
	s_delay_alu instid0(VALU_DEP_1) | instskip(NEXT) | instid1(VALU_DEP_1)
	v_fmac_f32_e32 v155, v121, v113
	v_fmac_f32_e32 v155, v122, v114
	s_waitcnt vmcnt(8)
	s_delay_alu instid0(VALU_DEP_1) | instskip(SKIP_3) | instid1(VALU_DEP_1)
	v_fmac_f32_e32 v155, v123, v115
	ds_load_b128 v[112:115], v110 offset:320
	s_waitcnt lgkmcnt(1)
	v_fmac_f32_e32 v155, v124, v116
	v_fmac_f32_e32 v155, v125, v117
	s_delay_alu instid0(VALU_DEP_1) | instskip(SKIP_1) | instid1(VALU_DEP_1)
	v_fmac_f32_e32 v155, v126, v118
	s_waitcnt vmcnt(7)
	v_fmac_f32_e32 v155, v127, v119
	ds_load_b128 v[116:119], v110 offset:336
	s_waitcnt lgkmcnt(1)
	v_fmac_f32_e32 v155, v128, v112
	;; [unrolled: 17-line block ×4, first 2 shown]
	s_delay_alu instid0(VALU_DEP_1) | instskip(NEXT) | instid1(VALU_DEP_1)
	v_fmac_f32_e32 v155, v145, v113
	v_fmac_f32_e32 v155, v146, v114
	s_waitcnt vmcnt(2)
	s_delay_alu instid0(VALU_DEP_1) | instskip(SKIP_3) | instid1(VALU_DEP_1)
	v_fmac_f32_e32 v155, v147, v115
	ds_load_b128 v[112:115], v110 offset:416
	s_waitcnt lgkmcnt(1)
	v_fmac_f32_e32 v155, v148, v116
	v_fmac_f32_e32 v155, v149, v117
	ds_load_b64 v[116:117], v110 offset:432
	v_fmac_f32_e32 v155, v150, v118
	s_waitcnt vmcnt(1)
	s_delay_alu instid0(VALU_DEP_1) | instskip(SKIP_1) | instid1(VALU_DEP_1)
	v_fmac_f32_e32 v155, v151, v119
	s_waitcnt lgkmcnt(1)
	v_fmac_f32_e32 v155, v152, v112
	s_delay_alu instid0(VALU_DEP_1) | instskip(NEXT) | instid1(VALU_DEP_1)
	v_fmac_f32_e32 v155, v153, v113
	v_fmac_f32_e32 v155, v154, v114
	s_waitcnt vmcnt(0)
	s_delay_alu instid0(VALU_DEP_1) | instskip(SKIP_1) | instid1(VALU_DEP_1)
	v_fmac_f32_e32 v155, v163, v115
	s_waitcnt lgkmcnt(0)
	v_fmac_f32_e32 v155, v164, v116
	s_delay_alu instid0(VALU_DEP_1) | instskip(NEXT) | instid1(VALU_DEP_1)
	v_fmac_f32_e32 v155, v165, v117
	v_sub_f32_e32 v110, v111, v155
	scratch_store_b32 off, v110, off offset:28
	v_cmpx_lt_u32_e32 6, v0
	s_cbranch_execz .LBB53_319
; %bb.318:
	scratch_load_b32 v110, off, off offset:24
	v_mov_b32_e32 v111, 0
	scratch_store_b32 off, v111, off offset:24
	s_waitcnt vmcnt(0)
	ds_store_b32 v109, v110
.LBB53_319:
	s_or_b32 exec_lo, exec_lo, s0
	s_waitcnt lgkmcnt(0)
	s_waitcnt_vscnt null, 0x0
	s_barrier
	buffer_gl0_inv
	s_clause 0xb
	scratch_load_b128 v[111:114], off, off offset:24
	scratch_load_b128 v[115:118], off, off offset:40
	;; [unrolled: 1-line block ×12, first 2 shown]
	v_mov_b32_e32 v110, 0
	ds_load_2addr_b32 v[159:160], v110 offset0:63 offset1:64
	ds_load_2addr_b32 v[161:162], v110 offset0:65 offset1:66
	;; [unrolled: 1-line block ×4, first 2 shown]
	s_mov_b32 s0, exec_lo
	s_waitcnt vmcnt(11) lgkmcnt(3)
	v_fma_f32 v159, v112, v159, 0
	s_delay_alu instid0(VALU_DEP_1) | instskip(SKIP_4) | instid1(VALU_DEP_1)
	v_fmac_f32_e32 v159, v113, v160
	ds_load_2addr_b32 v[112:113], v110 offset0:71 offset1:72
	s_waitcnt lgkmcnt(3)
	v_fmac_f32_e32 v159, v114, v161
	s_waitcnt vmcnt(10)
	v_fmac_f32_e32 v159, v115, v162
	ds_load_2addr_b32 v[114:115], v110 offset0:73 offset1:74
	s_waitcnt lgkmcnt(3)
	v_fmac_f32_e32 v159, v116, v163
	s_delay_alu instid0(VALU_DEP_1) | instskip(SKIP_1) | instid1(VALU_DEP_1)
	v_fmac_f32_e32 v159, v117, v164
	s_waitcnt lgkmcnt(2)
	v_fmac_f32_e32 v159, v118, v165
	s_waitcnt vmcnt(9)
	s_delay_alu instid0(VALU_DEP_1) | instskip(SKIP_4) | instid1(VALU_DEP_1)
	v_fmac_f32_e32 v159, v119, v166
	ds_load_2addr_b32 v[116:117], v110 offset0:75 offset1:76
	ds_load_2addr_b32 v[118:119], v110 offset0:77 offset1:78
	s_waitcnt lgkmcnt(3)
	v_fmac_f32_e32 v159, v120, v112
	v_fmac_f32_e32 v159, v121, v113
	ds_load_2addr_b32 v[112:113], v110 offset0:79 offset1:80
	s_waitcnt lgkmcnt(3)
	v_fmac_f32_e32 v159, v122, v114
	s_waitcnt vmcnt(8)
	s_delay_alu instid0(VALU_DEP_1) | instskip(SKIP_3) | instid1(VALU_DEP_1)
	v_fmac_f32_e32 v159, v123, v115
	ds_load_2addr_b32 v[114:115], v110 offset0:81 offset1:82
	s_waitcnt lgkmcnt(3)
	v_fmac_f32_e32 v159, v124, v116
	v_fmac_f32_e32 v159, v125, v117
	s_waitcnt lgkmcnt(2)
	s_delay_alu instid0(VALU_DEP_1) | instskip(SKIP_1) | instid1(VALU_DEP_1)
	v_fmac_f32_e32 v159, v126, v118
	s_waitcnt vmcnt(7)
	v_fmac_f32_e32 v159, v127, v119
	ds_load_2addr_b32 v[116:117], v110 offset0:83 offset1:84
	ds_load_2addr_b32 v[118:119], v110 offset0:85 offset1:86
	s_waitcnt lgkmcnt(3)
	v_fmac_f32_e32 v159, v128, v112
	s_delay_alu instid0(VALU_DEP_1) | instskip(SKIP_4) | instid1(VALU_DEP_1)
	v_fmac_f32_e32 v159, v129, v113
	ds_load_2addr_b32 v[112:113], v110 offset0:87 offset1:88
	s_waitcnt lgkmcnt(3)
	v_fmac_f32_e32 v159, v130, v114
	s_waitcnt vmcnt(6)
	v_fmac_f32_e32 v159, v131, v115
	ds_load_2addr_b32 v[114:115], v110 offset0:89 offset1:90
	s_waitcnt lgkmcnt(3)
	v_fmac_f32_e32 v159, v132, v116
	s_delay_alu instid0(VALU_DEP_1) | instskip(SKIP_1) | instid1(VALU_DEP_1)
	v_fmac_f32_e32 v159, v133, v117
	s_waitcnt lgkmcnt(2)
	v_fmac_f32_e32 v159, v134, v118
	s_waitcnt vmcnt(5)
	s_delay_alu instid0(VALU_DEP_1) | instskip(SKIP_4) | instid1(VALU_DEP_1)
	v_fmac_f32_e32 v159, v135, v119
	ds_load_2addr_b32 v[116:117], v110 offset0:91 offset1:92
	ds_load_2addr_b32 v[118:119], v110 offset0:93 offset1:94
	s_waitcnt lgkmcnt(3)
	v_fmac_f32_e32 v159, v136, v112
	v_fmac_f32_e32 v159, v137, v113
	ds_load_2addr_b32 v[112:113], v110 offset0:95 offset1:96
	s_waitcnt lgkmcnt(3)
	v_fmac_f32_e32 v159, v138, v114
	s_waitcnt vmcnt(4)
	s_delay_alu instid0(VALU_DEP_1) | instskip(SKIP_3) | instid1(VALU_DEP_1)
	v_fmac_f32_e32 v159, v139, v115
	ds_load_2addr_b32 v[114:115], v110 offset0:97 offset1:98
	s_waitcnt lgkmcnt(3)
	v_fmac_f32_e32 v159, v140, v116
	v_fmac_f32_e32 v159, v141, v117
	s_waitcnt lgkmcnt(2)
	s_delay_alu instid0(VALU_DEP_1) | instskip(SKIP_1) | instid1(VALU_DEP_1)
	v_fmac_f32_e32 v159, v142, v118
	s_waitcnt vmcnt(3)
	v_fmac_f32_e32 v159, v143, v119
	ds_load_2addr_b32 v[116:117], v110 offset0:99 offset1:100
	ds_load_2addr_b32 v[118:119], v110 offset0:101 offset1:102
	s_waitcnt lgkmcnt(3)
	v_fmac_f32_e32 v159, v144, v112
	s_delay_alu instid0(VALU_DEP_1) | instskip(SKIP_4) | instid1(VALU_DEP_1)
	v_fmac_f32_e32 v159, v145, v113
	ds_load_2addr_b32 v[112:113], v110 offset0:103 offset1:104
	s_waitcnt lgkmcnt(3)
	v_fmac_f32_e32 v159, v146, v114
	s_waitcnt vmcnt(2)
	v_fmac_f32_e32 v159, v147, v115
	ds_load_2addr_b32 v[114:115], v110 offset0:105 offset1:106
	s_waitcnt lgkmcnt(3)
	v_fmac_f32_e32 v159, v148, v116
	s_delay_alu instid0(VALU_DEP_1) | instskip(SKIP_1) | instid1(VALU_DEP_1)
	v_fmac_f32_e32 v159, v149, v117
	s_waitcnt lgkmcnt(2)
	v_fmac_f32_e32 v159, v150, v118
	ds_load_2addr_b32 v[116:117], v110 offset0:107 offset1:108
	ds_load_b32 v118, v110 offset:436
	s_waitcnt vmcnt(1)
	v_fmac_f32_e32 v159, v151, v119
	s_waitcnt lgkmcnt(3)
	s_delay_alu instid0(VALU_DEP_1) | instskip(NEXT) | instid1(VALU_DEP_1)
	v_fmac_f32_e32 v159, v152, v112
	v_fmac_f32_e32 v159, v153, v113
	s_waitcnt lgkmcnt(2)
	s_delay_alu instid0(VALU_DEP_1) | instskip(SKIP_1) | instid1(VALU_DEP_1)
	v_fmac_f32_e32 v159, v154, v114
	s_waitcnt vmcnt(0)
	v_fmac_f32_e32 v159, v155, v115
	s_waitcnt lgkmcnt(1)
	s_delay_alu instid0(VALU_DEP_1) | instskip(NEXT) | instid1(VALU_DEP_1)
	v_fmac_f32_e32 v159, v156, v116
	v_fmac_f32_e32 v159, v157, v117
	s_waitcnt lgkmcnt(0)
	s_delay_alu instid0(VALU_DEP_1) | instskip(NEXT) | instid1(VALU_DEP_1)
	v_fmac_f32_e32 v159, v158, v118
	v_sub_f32_e32 v111, v111, v159
	scratch_store_b32 off, v111, off offset:24
	v_cmpx_lt_u32_e32 5, v0
	s_cbranch_execz .LBB53_321
; %bb.320:
	scratch_load_b32 v111, off, off offset:20
	scratch_store_b32 off, v110, off offset:20
	s_waitcnt vmcnt(0)
	ds_store_b32 v109, v111
.LBB53_321:
	s_or_b32 exec_lo, exec_lo, s0
	s_waitcnt lgkmcnt(0)
	s_waitcnt_vscnt null, 0x0
	s_barrier
	buffer_gl0_inv
	s_clause 0xc
	scratch_load_b128 v[111:114], off, off offset:20
	scratch_load_b128 v[115:118], off, off offset:36
	scratch_load_b128 v[119:122], off, off offset:52
	scratch_load_b128 v[123:126], off, off offset:68
	scratch_load_b128 v[127:130], off, off offset:84
	scratch_load_b128 v[131:134], off, off offset:100
	scratch_load_b128 v[135:138], off, off offset:116
	scratch_load_b128 v[139:142], off, off offset:132
	scratch_load_b128 v[143:146], off, off offset:148
	scratch_load_b128 v[147:150], off, off offset:164
	scratch_load_b128 v[151:154], off, off offset:180
	scratch_load_b128 v[155:158], off, off offset:196
	scratch_load_b32 v167, off, off offset:212
	ds_load_2addr_b64 v[159:162], v110 offset0:31 offset1:32
	ds_load_2addr_b64 v[163:166], v110 offset0:33 offset1:34
	s_mov_b32 s0, exec_lo
	s_waitcnt vmcnt(12) lgkmcnt(1)
	v_fma_f32 v159, v112, v159, 0
	s_delay_alu instid0(VALU_DEP_1) | instskip(NEXT) | instid1(VALU_DEP_1)
	v_fmac_f32_e32 v159, v113, v160
	v_fmac_f32_e32 v159, v114, v161
	s_waitcnt vmcnt(11)
	s_delay_alu instid0(VALU_DEP_1) | instskip(SKIP_3) | instid1(VALU_DEP_1)
	v_fmac_f32_e32 v159, v115, v162
	ds_load_2addr_b64 v[112:115], v110 offset0:35 offset1:36
	s_waitcnt lgkmcnt(1)
	v_fmac_f32_e32 v159, v116, v163
	v_fmac_f32_e32 v159, v117, v164
	s_delay_alu instid0(VALU_DEP_1) | instskip(SKIP_1) | instid1(VALU_DEP_1)
	v_fmac_f32_e32 v159, v118, v165
	s_waitcnt vmcnt(10)
	v_fmac_f32_e32 v159, v119, v166
	ds_load_2addr_b64 v[116:119], v110 offset0:37 offset1:38
	s_waitcnt lgkmcnt(1)
	v_fmac_f32_e32 v159, v120, v112
	s_delay_alu instid0(VALU_DEP_1) | instskip(NEXT) | instid1(VALU_DEP_1)
	v_fmac_f32_e32 v159, v121, v113
	v_fmac_f32_e32 v159, v122, v114
	s_waitcnt vmcnt(9)
	s_delay_alu instid0(VALU_DEP_1) | instskip(SKIP_3) | instid1(VALU_DEP_1)
	v_fmac_f32_e32 v159, v123, v115
	ds_load_2addr_b64 v[112:115], v110 offset0:39 offset1:40
	s_waitcnt lgkmcnt(1)
	v_fmac_f32_e32 v159, v124, v116
	v_fmac_f32_e32 v159, v125, v117
	s_delay_alu instid0(VALU_DEP_1) | instskip(SKIP_1) | instid1(VALU_DEP_1)
	v_fmac_f32_e32 v159, v126, v118
	s_waitcnt vmcnt(8)
	v_fmac_f32_e32 v159, v127, v119
	ds_load_2addr_b64 v[116:119], v110 offset0:41 offset1:42
	s_waitcnt lgkmcnt(1)
	v_fmac_f32_e32 v159, v128, v112
	;; [unrolled: 17-line block ×5, first 2 shown]
	s_delay_alu instid0(VALU_DEP_1) | instskip(NEXT) | instid1(VALU_DEP_1)
	v_fmac_f32_e32 v159, v153, v113
	v_fmac_f32_e32 v159, v154, v114
	s_waitcnt vmcnt(1)
	s_delay_alu instid0(VALU_DEP_1) | instskip(SKIP_1) | instid1(VALU_DEP_1)
	v_fmac_f32_e32 v159, v155, v115
	s_waitcnt lgkmcnt(0)
	v_fmac_f32_e32 v159, v156, v116
	s_delay_alu instid0(VALU_DEP_1) | instskip(NEXT) | instid1(VALU_DEP_1)
	v_fmac_f32_e32 v159, v157, v117
	v_fmac_f32_e32 v159, v158, v118
	s_waitcnt vmcnt(0)
	s_delay_alu instid0(VALU_DEP_1) | instskip(NEXT) | instid1(VALU_DEP_1)
	v_fmac_f32_e32 v159, v167, v119
	v_sub_f32_e32 v110, v111, v159
	scratch_store_b32 off, v110, off offset:20
	v_cmpx_lt_u32_e32 4, v0
	s_cbranch_execz .LBB53_323
; %bb.322:
	scratch_load_b32 v110, off, off offset:16
	v_mov_b32_e32 v111, 0
	scratch_store_b32 off, v111, off offset:16
	s_waitcnt vmcnt(0)
	ds_store_b32 v109, v110
.LBB53_323:
	s_or_b32 exec_lo, exec_lo, s0
	s_waitcnt lgkmcnt(0)
	s_waitcnt_vscnt null, 0x0
	s_barrier
	buffer_gl0_inv
	s_clause 0xc
	scratch_load_b128 v[111:114], off, off offset:16
	scratch_load_b128 v[115:118], off, off offset:32
	;; [unrolled: 1-line block ×12, first 2 shown]
	scratch_load_b64 v[159:160], off, off offset:208
	v_mov_b32_e32 v110, 0
	ds_load_2addr_b32 v[161:162], v110 offset0:61 offset1:62
	ds_load_2addr_b32 v[163:164], v110 offset0:63 offset1:64
	;; [unrolled: 1-line block ×4, first 2 shown]
	s_mov_b32 s0, exec_lo
	s_waitcnt vmcnt(12) lgkmcnt(3)
	v_fma_f32 v161, v112, v161, 0
	s_delay_alu instid0(VALU_DEP_1) | instskip(SKIP_4) | instid1(VALU_DEP_1)
	v_fmac_f32_e32 v161, v113, v162
	ds_load_2addr_b32 v[112:113], v110 offset0:69 offset1:70
	s_waitcnt lgkmcnt(3)
	v_fmac_f32_e32 v161, v114, v163
	s_waitcnt vmcnt(11)
	v_fmac_f32_e32 v161, v115, v164
	ds_load_2addr_b32 v[114:115], v110 offset0:71 offset1:72
	s_waitcnt lgkmcnt(3)
	v_fmac_f32_e32 v161, v116, v165
	s_delay_alu instid0(VALU_DEP_1) | instskip(SKIP_1) | instid1(VALU_DEP_1)
	v_fmac_f32_e32 v161, v117, v166
	s_waitcnt lgkmcnt(2)
	v_fmac_f32_e32 v161, v118, v167
	s_waitcnt vmcnt(10)
	s_delay_alu instid0(VALU_DEP_1) | instskip(SKIP_4) | instid1(VALU_DEP_1)
	v_fmac_f32_e32 v161, v119, v168
	ds_load_2addr_b32 v[116:117], v110 offset0:73 offset1:74
	ds_load_2addr_b32 v[118:119], v110 offset0:75 offset1:76
	s_waitcnt lgkmcnt(3)
	v_fmac_f32_e32 v161, v120, v112
	v_fmac_f32_e32 v161, v121, v113
	ds_load_2addr_b32 v[112:113], v110 offset0:77 offset1:78
	s_waitcnt lgkmcnt(3)
	v_fmac_f32_e32 v161, v122, v114
	s_waitcnt vmcnt(9)
	s_delay_alu instid0(VALU_DEP_1) | instskip(SKIP_3) | instid1(VALU_DEP_1)
	v_fmac_f32_e32 v161, v123, v115
	ds_load_2addr_b32 v[114:115], v110 offset0:79 offset1:80
	s_waitcnt lgkmcnt(3)
	v_fmac_f32_e32 v161, v124, v116
	v_fmac_f32_e32 v161, v125, v117
	s_waitcnt lgkmcnt(2)
	s_delay_alu instid0(VALU_DEP_1) | instskip(SKIP_1) | instid1(VALU_DEP_1)
	v_fmac_f32_e32 v161, v126, v118
	s_waitcnt vmcnt(8)
	v_fmac_f32_e32 v161, v127, v119
	ds_load_2addr_b32 v[116:117], v110 offset0:81 offset1:82
	ds_load_2addr_b32 v[118:119], v110 offset0:83 offset1:84
	s_waitcnt lgkmcnt(3)
	v_fmac_f32_e32 v161, v128, v112
	s_delay_alu instid0(VALU_DEP_1) | instskip(SKIP_4) | instid1(VALU_DEP_1)
	v_fmac_f32_e32 v161, v129, v113
	ds_load_2addr_b32 v[112:113], v110 offset0:85 offset1:86
	s_waitcnt lgkmcnt(3)
	v_fmac_f32_e32 v161, v130, v114
	s_waitcnt vmcnt(7)
	v_fmac_f32_e32 v161, v131, v115
	ds_load_2addr_b32 v[114:115], v110 offset0:87 offset1:88
	s_waitcnt lgkmcnt(3)
	v_fmac_f32_e32 v161, v132, v116
	s_delay_alu instid0(VALU_DEP_1) | instskip(SKIP_1) | instid1(VALU_DEP_1)
	v_fmac_f32_e32 v161, v133, v117
	s_waitcnt lgkmcnt(2)
	v_fmac_f32_e32 v161, v134, v118
	s_waitcnt vmcnt(6)
	s_delay_alu instid0(VALU_DEP_1) | instskip(SKIP_4) | instid1(VALU_DEP_1)
	v_fmac_f32_e32 v161, v135, v119
	ds_load_2addr_b32 v[116:117], v110 offset0:89 offset1:90
	ds_load_2addr_b32 v[118:119], v110 offset0:91 offset1:92
	s_waitcnt lgkmcnt(3)
	v_fmac_f32_e32 v161, v136, v112
	v_fmac_f32_e32 v161, v137, v113
	ds_load_2addr_b32 v[112:113], v110 offset0:93 offset1:94
	s_waitcnt lgkmcnt(3)
	v_fmac_f32_e32 v161, v138, v114
	s_waitcnt vmcnt(5)
	s_delay_alu instid0(VALU_DEP_1) | instskip(SKIP_3) | instid1(VALU_DEP_1)
	v_fmac_f32_e32 v161, v139, v115
	ds_load_2addr_b32 v[114:115], v110 offset0:95 offset1:96
	s_waitcnt lgkmcnt(3)
	v_fmac_f32_e32 v161, v140, v116
	v_fmac_f32_e32 v161, v141, v117
	s_waitcnt lgkmcnt(2)
	s_delay_alu instid0(VALU_DEP_1) | instskip(SKIP_1) | instid1(VALU_DEP_1)
	v_fmac_f32_e32 v161, v142, v118
	s_waitcnt vmcnt(4)
	v_fmac_f32_e32 v161, v143, v119
	ds_load_2addr_b32 v[116:117], v110 offset0:97 offset1:98
	ds_load_2addr_b32 v[118:119], v110 offset0:99 offset1:100
	s_waitcnt lgkmcnt(3)
	v_fmac_f32_e32 v161, v144, v112
	s_delay_alu instid0(VALU_DEP_1) | instskip(SKIP_4) | instid1(VALU_DEP_1)
	v_fmac_f32_e32 v161, v145, v113
	ds_load_2addr_b32 v[112:113], v110 offset0:101 offset1:102
	s_waitcnt lgkmcnt(3)
	v_fmac_f32_e32 v161, v146, v114
	s_waitcnt vmcnt(3)
	v_fmac_f32_e32 v161, v147, v115
	ds_load_2addr_b32 v[114:115], v110 offset0:103 offset1:104
	s_waitcnt lgkmcnt(3)
	v_fmac_f32_e32 v161, v148, v116
	s_delay_alu instid0(VALU_DEP_1) | instskip(SKIP_1) | instid1(VALU_DEP_1)
	v_fmac_f32_e32 v161, v149, v117
	s_waitcnt lgkmcnt(2)
	v_fmac_f32_e32 v161, v150, v118
	s_waitcnt vmcnt(2)
	s_delay_alu instid0(VALU_DEP_1)
	v_fmac_f32_e32 v161, v151, v119
	ds_load_2addr_b32 v[116:117], v110 offset0:105 offset1:106
	ds_load_2addr_b32 v[118:119], v110 offset0:107 offset1:108
	s_waitcnt lgkmcnt(3)
	v_fmac_f32_e32 v161, v152, v112
	ds_load_b32 v112, v110 offset:436
	v_fmac_f32_e32 v161, v153, v113
	s_waitcnt lgkmcnt(3)
	s_delay_alu instid0(VALU_DEP_1) | instskip(SKIP_1) | instid1(VALU_DEP_1)
	v_fmac_f32_e32 v161, v154, v114
	s_waitcnt vmcnt(1)
	v_fmac_f32_e32 v161, v155, v115
	s_waitcnt lgkmcnt(2)
	s_delay_alu instid0(VALU_DEP_1) | instskip(NEXT) | instid1(VALU_DEP_1)
	v_fmac_f32_e32 v161, v156, v116
	v_fmac_f32_e32 v161, v157, v117
	s_waitcnt lgkmcnt(1)
	s_delay_alu instid0(VALU_DEP_1) | instskip(SKIP_1) | instid1(VALU_DEP_1)
	v_fmac_f32_e32 v161, v158, v118
	s_waitcnt vmcnt(0)
	v_fmac_f32_e32 v161, v159, v119
	s_waitcnt lgkmcnt(0)
	s_delay_alu instid0(VALU_DEP_1) | instskip(NEXT) | instid1(VALU_DEP_1)
	v_fmac_f32_e32 v161, v160, v112
	v_sub_f32_e32 v111, v111, v161
	scratch_store_b32 off, v111, off offset:16
	v_cmpx_lt_u32_e32 3, v0
	s_cbranch_execz .LBB53_325
; %bb.324:
	scratch_load_b32 v111, off, off offset:12
	scratch_store_b32 off, v110, off offset:12
	s_waitcnt vmcnt(0)
	ds_store_b32 v109, v111
.LBB53_325:
	s_or_b32 exec_lo, exec_lo, s0
	s_waitcnt lgkmcnt(0)
	s_waitcnt_vscnt null, 0x0
	s_barrier
	buffer_gl0_inv
	s_clause 0xc
	scratch_load_b128 v[111:114], off, off offset:12
	scratch_load_b128 v[115:118], off, off offset:28
	;; [unrolled: 1-line block ×12, first 2 shown]
	scratch_load_b96 v[167:169], off, off offset:204
	ds_load_b128 v[159:162], v110 offset:240
	ds_load_b128 v[163:166], v110 offset:256
	s_mov_b32 s0, exec_lo
	s_waitcnt vmcnt(12) lgkmcnt(1)
	v_fma_f32 v159, v112, v159, 0
	s_delay_alu instid0(VALU_DEP_1) | instskip(NEXT) | instid1(VALU_DEP_1)
	v_fmac_f32_e32 v159, v113, v160
	v_fmac_f32_e32 v159, v114, v161
	s_waitcnt vmcnt(11)
	s_delay_alu instid0(VALU_DEP_1) | instskip(SKIP_3) | instid1(VALU_DEP_1)
	v_fmac_f32_e32 v159, v115, v162
	ds_load_b128 v[112:115], v110 offset:272
	s_waitcnt lgkmcnt(1)
	v_fmac_f32_e32 v159, v116, v163
	v_fmac_f32_e32 v159, v117, v164
	s_delay_alu instid0(VALU_DEP_1) | instskip(SKIP_1) | instid1(VALU_DEP_1)
	v_fmac_f32_e32 v159, v118, v165
	s_waitcnt vmcnt(10)
	v_fmac_f32_e32 v159, v119, v166
	ds_load_b128 v[116:119], v110 offset:288
	s_waitcnt lgkmcnt(1)
	v_fmac_f32_e32 v159, v120, v112
	s_delay_alu instid0(VALU_DEP_1) | instskip(NEXT) | instid1(VALU_DEP_1)
	v_fmac_f32_e32 v159, v121, v113
	v_fmac_f32_e32 v159, v122, v114
	s_waitcnt vmcnt(9)
	s_delay_alu instid0(VALU_DEP_1) | instskip(SKIP_3) | instid1(VALU_DEP_1)
	v_fmac_f32_e32 v159, v123, v115
	ds_load_b128 v[112:115], v110 offset:304
	s_waitcnt lgkmcnt(1)
	v_fmac_f32_e32 v159, v124, v116
	v_fmac_f32_e32 v159, v125, v117
	s_delay_alu instid0(VALU_DEP_1) | instskip(SKIP_1) | instid1(VALU_DEP_1)
	v_fmac_f32_e32 v159, v126, v118
	s_waitcnt vmcnt(8)
	v_fmac_f32_e32 v159, v127, v119
	ds_load_b128 v[116:119], v110 offset:320
	s_waitcnt lgkmcnt(1)
	v_fmac_f32_e32 v159, v128, v112
	;; [unrolled: 17-line block ×5, first 2 shown]
	s_delay_alu instid0(VALU_DEP_1) | instskip(SKIP_3) | instid1(VALU_DEP_1)
	v_fmac_f32_e32 v159, v153, v113
	ds_load_b64 v[112:113], v110 offset:432
	v_fmac_f32_e32 v159, v154, v114
	s_waitcnt vmcnt(1)
	v_fmac_f32_e32 v159, v155, v115
	s_waitcnt lgkmcnt(1)
	s_delay_alu instid0(VALU_DEP_1) | instskip(NEXT) | instid1(VALU_DEP_1)
	v_fmac_f32_e32 v159, v156, v116
	v_fmac_f32_e32 v159, v157, v117
	s_delay_alu instid0(VALU_DEP_1) | instskip(SKIP_1) | instid1(VALU_DEP_1)
	v_fmac_f32_e32 v159, v158, v118
	s_waitcnt vmcnt(0)
	v_fmac_f32_e32 v159, v167, v119
	s_waitcnt lgkmcnt(0)
	s_delay_alu instid0(VALU_DEP_1) | instskip(NEXT) | instid1(VALU_DEP_1)
	v_fmac_f32_e32 v159, v168, v112
	v_fmac_f32_e32 v159, v169, v113
	s_delay_alu instid0(VALU_DEP_1)
	v_sub_f32_e32 v110, v111, v159
	scratch_store_b32 off, v110, off offset:12
	v_cmpx_lt_u32_e32 2, v0
	s_cbranch_execz .LBB53_327
; %bb.326:
	scratch_load_b32 v110, off, off offset:8
	v_mov_b32_e32 v111, 0
	scratch_store_b32 off, v111, off offset:8
	s_waitcnt vmcnt(0)
	ds_store_b32 v109, v110
.LBB53_327:
	s_or_b32 exec_lo, exec_lo, s0
	s_waitcnt lgkmcnt(0)
	s_waitcnt_vscnt null, 0x0
	s_barrier
	buffer_gl0_inv
	s_clause 0xc
	scratch_load_b128 v[111:114], off, off offset:8
	scratch_load_b128 v[115:118], off, off offset:24
	;; [unrolled: 1-line block ×13, first 2 shown]
	v_mov_b32_e32 v110, 0
	ds_load_2addr_b32 v[163:164], v110 offset0:59 offset1:60
	ds_load_2addr_b32 v[165:166], v110 offset0:61 offset1:62
	;; [unrolled: 1-line block ×4, first 2 shown]
	s_mov_b32 s0, exec_lo
	s_waitcnt vmcnt(12) lgkmcnt(3)
	v_fma_f32 v163, v112, v163, 0
	s_delay_alu instid0(VALU_DEP_1) | instskip(SKIP_4) | instid1(VALU_DEP_1)
	v_fmac_f32_e32 v163, v113, v164
	ds_load_2addr_b32 v[112:113], v110 offset0:67 offset1:68
	s_waitcnt lgkmcnt(3)
	v_fmac_f32_e32 v163, v114, v165
	s_waitcnt vmcnt(11)
	v_fmac_f32_e32 v163, v115, v166
	ds_load_2addr_b32 v[114:115], v110 offset0:69 offset1:70
	s_waitcnt lgkmcnt(3)
	v_fmac_f32_e32 v163, v116, v167
	s_delay_alu instid0(VALU_DEP_1) | instskip(SKIP_1) | instid1(VALU_DEP_1)
	v_fmac_f32_e32 v163, v117, v168
	s_waitcnt lgkmcnt(2)
	v_fmac_f32_e32 v163, v118, v169
	s_waitcnt vmcnt(10)
	s_delay_alu instid0(VALU_DEP_1) | instskip(SKIP_4) | instid1(VALU_DEP_1)
	v_fmac_f32_e32 v163, v119, v170
	ds_load_2addr_b32 v[116:117], v110 offset0:71 offset1:72
	ds_load_2addr_b32 v[118:119], v110 offset0:73 offset1:74
	s_waitcnt lgkmcnt(3)
	v_fmac_f32_e32 v163, v120, v112
	v_fmac_f32_e32 v163, v121, v113
	ds_load_2addr_b32 v[112:113], v110 offset0:75 offset1:76
	s_waitcnt lgkmcnt(3)
	v_fmac_f32_e32 v163, v122, v114
	s_waitcnt vmcnt(9)
	s_delay_alu instid0(VALU_DEP_1) | instskip(SKIP_3) | instid1(VALU_DEP_1)
	v_fmac_f32_e32 v163, v123, v115
	ds_load_2addr_b32 v[114:115], v110 offset0:77 offset1:78
	s_waitcnt lgkmcnt(3)
	v_fmac_f32_e32 v163, v124, v116
	v_fmac_f32_e32 v163, v125, v117
	s_waitcnt lgkmcnt(2)
	s_delay_alu instid0(VALU_DEP_1) | instskip(SKIP_1) | instid1(VALU_DEP_1)
	v_fmac_f32_e32 v163, v126, v118
	s_waitcnt vmcnt(8)
	v_fmac_f32_e32 v163, v127, v119
	ds_load_2addr_b32 v[116:117], v110 offset0:79 offset1:80
	ds_load_2addr_b32 v[118:119], v110 offset0:81 offset1:82
	s_waitcnt lgkmcnt(3)
	v_fmac_f32_e32 v163, v128, v112
	s_delay_alu instid0(VALU_DEP_1) | instskip(SKIP_4) | instid1(VALU_DEP_1)
	v_fmac_f32_e32 v163, v129, v113
	ds_load_2addr_b32 v[112:113], v110 offset0:83 offset1:84
	s_waitcnt lgkmcnt(3)
	v_fmac_f32_e32 v163, v130, v114
	s_waitcnt vmcnt(7)
	v_fmac_f32_e32 v163, v131, v115
	ds_load_2addr_b32 v[114:115], v110 offset0:85 offset1:86
	s_waitcnt lgkmcnt(3)
	v_fmac_f32_e32 v163, v132, v116
	s_delay_alu instid0(VALU_DEP_1) | instskip(SKIP_1) | instid1(VALU_DEP_1)
	v_fmac_f32_e32 v163, v133, v117
	s_waitcnt lgkmcnt(2)
	v_fmac_f32_e32 v163, v134, v118
	s_waitcnt vmcnt(6)
	s_delay_alu instid0(VALU_DEP_1) | instskip(SKIP_4) | instid1(VALU_DEP_1)
	v_fmac_f32_e32 v163, v135, v119
	ds_load_2addr_b32 v[116:117], v110 offset0:87 offset1:88
	ds_load_2addr_b32 v[118:119], v110 offset0:89 offset1:90
	s_waitcnt lgkmcnt(3)
	v_fmac_f32_e32 v163, v136, v112
	v_fmac_f32_e32 v163, v137, v113
	ds_load_2addr_b32 v[112:113], v110 offset0:91 offset1:92
	s_waitcnt lgkmcnt(3)
	v_fmac_f32_e32 v163, v138, v114
	s_waitcnt vmcnt(5)
	s_delay_alu instid0(VALU_DEP_1) | instskip(SKIP_3) | instid1(VALU_DEP_1)
	v_fmac_f32_e32 v163, v139, v115
	ds_load_2addr_b32 v[114:115], v110 offset0:93 offset1:94
	s_waitcnt lgkmcnt(3)
	v_fmac_f32_e32 v163, v140, v116
	v_fmac_f32_e32 v163, v141, v117
	s_waitcnt lgkmcnt(2)
	s_delay_alu instid0(VALU_DEP_1) | instskip(SKIP_1) | instid1(VALU_DEP_1)
	v_fmac_f32_e32 v163, v142, v118
	s_waitcnt vmcnt(4)
	v_fmac_f32_e32 v163, v143, v119
	ds_load_2addr_b32 v[116:117], v110 offset0:95 offset1:96
	ds_load_2addr_b32 v[118:119], v110 offset0:97 offset1:98
	s_waitcnt lgkmcnt(3)
	v_fmac_f32_e32 v163, v144, v112
	s_delay_alu instid0(VALU_DEP_1) | instskip(SKIP_4) | instid1(VALU_DEP_1)
	v_fmac_f32_e32 v163, v145, v113
	ds_load_2addr_b32 v[112:113], v110 offset0:99 offset1:100
	s_waitcnt lgkmcnt(3)
	v_fmac_f32_e32 v163, v146, v114
	s_waitcnt vmcnt(3)
	v_fmac_f32_e32 v163, v147, v115
	ds_load_2addr_b32 v[114:115], v110 offset0:101 offset1:102
	s_waitcnt lgkmcnt(3)
	v_fmac_f32_e32 v163, v148, v116
	s_delay_alu instid0(VALU_DEP_1) | instskip(SKIP_1) | instid1(VALU_DEP_1)
	v_fmac_f32_e32 v163, v149, v117
	s_waitcnt lgkmcnt(2)
	v_fmac_f32_e32 v163, v150, v118
	s_waitcnt vmcnt(2)
	s_delay_alu instid0(VALU_DEP_1) | instskip(SKIP_4) | instid1(VALU_DEP_1)
	v_fmac_f32_e32 v163, v151, v119
	ds_load_2addr_b32 v[116:117], v110 offset0:103 offset1:104
	ds_load_2addr_b32 v[118:119], v110 offset0:105 offset1:106
	s_waitcnt lgkmcnt(3)
	v_fmac_f32_e32 v163, v152, v112
	v_fmac_f32_e32 v163, v153, v113
	ds_load_2addr_b32 v[112:113], v110 offset0:107 offset1:108
	s_waitcnt lgkmcnt(3)
	v_fmac_f32_e32 v163, v154, v114
	ds_load_b32 v114, v110 offset:436
	s_waitcnt vmcnt(1)
	v_fmac_f32_e32 v163, v155, v115
	s_waitcnt lgkmcnt(3)
	s_delay_alu instid0(VALU_DEP_1) | instskip(NEXT) | instid1(VALU_DEP_1)
	v_fmac_f32_e32 v163, v156, v116
	v_fmac_f32_e32 v163, v157, v117
	s_waitcnt lgkmcnt(2)
	s_delay_alu instid0(VALU_DEP_1) | instskip(SKIP_1) | instid1(VALU_DEP_1)
	v_fmac_f32_e32 v163, v158, v118
	s_waitcnt vmcnt(0)
	v_fmac_f32_e32 v163, v159, v119
	s_waitcnt lgkmcnt(1)
	s_delay_alu instid0(VALU_DEP_1) | instskip(NEXT) | instid1(VALU_DEP_1)
	v_fmac_f32_e32 v163, v160, v112
	v_fmac_f32_e32 v163, v161, v113
	s_waitcnt lgkmcnt(0)
	s_delay_alu instid0(VALU_DEP_1) | instskip(NEXT) | instid1(VALU_DEP_1)
	v_fmac_f32_e32 v163, v162, v114
	v_sub_f32_e32 v111, v111, v163
	scratch_store_b32 off, v111, off offset:8
	v_cmpx_lt_u32_e32 1, v0
	s_cbranch_execz .LBB53_329
; %bb.328:
	scratch_load_b32 v111, off, off offset:4
	scratch_store_b32 off, v110, off offset:4
	s_waitcnt vmcnt(0)
	ds_store_b32 v109, v111
.LBB53_329:
	s_or_b32 exec_lo, exec_lo, s0
	s_waitcnt lgkmcnt(0)
	s_waitcnt_vscnt null, 0x0
	s_barrier
	buffer_gl0_inv
	s_clause 0xd
	scratch_load_b128 v[111:114], off, off offset:4
	scratch_load_b128 v[115:118], off, off offset:20
	;; [unrolled: 1-line block ×13, first 2 shown]
	scratch_load_b32 v171, off, off offset:212
	ds_load_2addr_b64 v[163:166], v110 offset0:29 offset1:30
	ds_load_2addr_b64 v[167:170], v110 offset0:31 offset1:32
	s_mov_b32 s0, exec_lo
	s_waitcnt vmcnt(13) lgkmcnt(1)
	v_fma_f32 v163, v112, v163, 0
	s_delay_alu instid0(VALU_DEP_1) | instskip(NEXT) | instid1(VALU_DEP_1)
	v_fmac_f32_e32 v163, v113, v164
	v_fmac_f32_e32 v163, v114, v165
	s_waitcnt vmcnt(12)
	s_delay_alu instid0(VALU_DEP_1) | instskip(SKIP_3) | instid1(VALU_DEP_1)
	v_fmac_f32_e32 v163, v115, v166
	ds_load_2addr_b64 v[112:115], v110 offset0:33 offset1:34
	s_waitcnt lgkmcnt(1)
	v_fmac_f32_e32 v163, v116, v167
	v_fmac_f32_e32 v163, v117, v168
	s_delay_alu instid0(VALU_DEP_1) | instskip(SKIP_1) | instid1(VALU_DEP_1)
	v_fmac_f32_e32 v163, v118, v169
	s_waitcnt vmcnt(11)
	v_fmac_f32_e32 v163, v119, v170
	ds_load_2addr_b64 v[116:119], v110 offset0:35 offset1:36
	s_waitcnt lgkmcnt(1)
	v_fmac_f32_e32 v163, v120, v112
	s_delay_alu instid0(VALU_DEP_1) | instskip(NEXT) | instid1(VALU_DEP_1)
	v_fmac_f32_e32 v163, v121, v113
	v_fmac_f32_e32 v163, v122, v114
	s_waitcnt vmcnt(10)
	s_delay_alu instid0(VALU_DEP_1) | instskip(SKIP_3) | instid1(VALU_DEP_1)
	v_fmac_f32_e32 v163, v123, v115
	ds_load_2addr_b64 v[112:115], v110 offset0:37 offset1:38
	s_waitcnt lgkmcnt(1)
	v_fmac_f32_e32 v163, v124, v116
	v_fmac_f32_e32 v163, v125, v117
	s_delay_alu instid0(VALU_DEP_1) | instskip(SKIP_1) | instid1(VALU_DEP_1)
	v_fmac_f32_e32 v163, v126, v118
	s_waitcnt vmcnt(9)
	v_fmac_f32_e32 v163, v127, v119
	ds_load_2addr_b64 v[116:119], v110 offset0:39 offset1:40
	s_waitcnt lgkmcnt(1)
	v_fmac_f32_e32 v163, v128, v112
	;; [unrolled: 17-line block ×5, first 2 shown]
	s_delay_alu instid0(VALU_DEP_1) | instskip(NEXT) | instid1(VALU_DEP_1)
	v_fmac_f32_e32 v163, v153, v113
	v_fmac_f32_e32 v163, v154, v114
	s_waitcnt vmcnt(2)
	s_delay_alu instid0(VALU_DEP_1) | instskip(SKIP_3) | instid1(VALU_DEP_1)
	v_fmac_f32_e32 v163, v155, v115
	ds_load_2addr_b64 v[112:115], v110 offset0:53 offset1:54
	s_waitcnt lgkmcnt(1)
	v_fmac_f32_e32 v163, v156, v116
	v_fmac_f32_e32 v163, v157, v117
	s_delay_alu instid0(VALU_DEP_1) | instskip(SKIP_1) | instid1(VALU_DEP_1)
	v_fmac_f32_e32 v163, v158, v118
	s_waitcnt vmcnt(1)
	v_fmac_f32_e32 v163, v159, v119
	s_waitcnt lgkmcnt(0)
	s_delay_alu instid0(VALU_DEP_1) | instskip(NEXT) | instid1(VALU_DEP_1)
	v_fmac_f32_e32 v163, v160, v112
	v_fmac_f32_e32 v163, v161, v113
	s_delay_alu instid0(VALU_DEP_1) | instskip(SKIP_1) | instid1(VALU_DEP_1)
	v_fmac_f32_e32 v163, v162, v114
	s_waitcnt vmcnt(0)
	v_fmac_f32_e32 v163, v171, v115
	s_delay_alu instid0(VALU_DEP_1)
	v_sub_f32_e32 v110, v111, v163
	scratch_store_b32 off, v110, off offset:4
	v_cmpx_ne_u32_e32 0, v0
	s_cbranch_execz .LBB53_331
; %bb.330:
	scratch_load_b32 v0, off, off
	v_mov_b32_e32 v110, 0
	scratch_store_b32 off, v110, off
	s_waitcnt vmcnt(0)
	ds_store_b32 v109, v0
.LBB53_331:
	s_or_b32 exec_lo, exec_lo, s0
	s_waitcnt lgkmcnt(0)
	s_waitcnt_vscnt null, 0x0
	s_barrier
	buffer_gl0_inv
	s_clause 0xd
	scratch_load_b128 v[111:114], off, off
	scratch_load_b128 v[115:118], off, off offset:16
	scratch_load_b128 v[119:122], off, off offset:32
	;; [unrolled: 1-line block ×12, first 2 shown]
	scratch_load_b64 v[109:110], off, off offset:208
	v_mov_b32_e32 v0, 0
	ds_load_2addr_b32 v[163:164], v0 offset0:57 offset1:58
	ds_load_2addr_b32 v[165:166], v0 offset0:59 offset1:60
	;; [unrolled: 1-line block ×4, first 2 shown]
	s_and_b32 vcc_lo, exec_lo, s16
	s_waitcnt vmcnt(13) lgkmcnt(3)
	v_fma_f32 v163, v112, v163, 0
	s_delay_alu instid0(VALU_DEP_1) | instskip(SKIP_4) | instid1(VALU_DEP_1)
	v_fmac_f32_e32 v163, v113, v164
	ds_load_2addr_b32 v[112:113], v0 offset0:65 offset1:66
	s_waitcnt lgkmcnt(3)
	v_fmac_f32_e32 v163, v114, v165
	s_waitcnt vmcnt(12)
	v_fmac_f32_e32 v163, v115, v166
	ds_load_2addr_b32 v[114:115], v0 offset0:67 offset1:68
	s_waitcnt lgkmcnt(3)
	v_fmac_f32_e32 v163, v116, v167
	s_delay_alu instid0(VALU_DEP_1) | instskip(SKIP_1) | instid1(VALU_DEP_1)
	v_fmac_f32_e32 v163, v117, v168
	s_waitcnt lgkmcnt(2)
	v_fmac_f32_e32 v163, v118, v169
	s_waitcnt vmcnt(11)
	s_delay_alu instid0(VALU_DEP_1) | instskip(SKIP_4) | instid1(VALU_DEP_1)
	v_fmac_f32_e32 v163, v119, v170
	ds_load_2addr_b32 v[116:117], v0 offset0:69 offset1:70
	ds_load_2addr_b32 v[118:119], v0 offset0:71 offset1:72
	s_waitcnt lgkmcnt(3)
	v_fmac_f32_e32 v163, v120, v112
	v_fmac_f32_e32 v163, v121, v113
	ds_load_2addr_b32 v[112:113], v0 offset0:73 offset1:74
	s_waitcnt lgkmcnt(3)
	v_fmac_f32_e32 v163, v122, v114
	s_waitcnt vmcnt(10)
	s_delay_alu instid0(VALU_DEP_1) | instskip(SKIP_3) | instid1(VALU_DEP_1)
	v_fmac_f32_e32 v163, v123, v115
	ds_load_2addr_b32 v[114:115], v0 offset0:75 offset1:76
	s_waitcnt lgkmcnt(3)
	v_fmac_f32_e32 v163, v124, v116
	v_fmac_f32_e32 v163, v125, v117
	s_waitcnt lgkmcnt(2)
	s_delay_alu instid0(VALU_DEP_1) | instskip(SKIP_1) | instid1(VALU_DEP_1)
	v_fmac_f32_e32 v163, v126, v118
	s_waitcnt vmcnt(9)
	v_fmac_f32_e32 v163, v127, v119
	ds_load_2addr_b32 v[116:117], v0 offset0:77 offset1:78
	ds_load_2addr_b32 v[118:119], v0 offset0:79 offset1:80
	s_waitcnt lgkmcnt(3)
	v_fmac_f32_e32 v163, v128, v112
	s_delay_alu instid0(VALU_DEP_1) | instskip(SKIP_4) | instid1(VALU_DEP_1)
	v_fmac_f32_e32 v163, v129, v113
	ds_load_2addr_b32 v[112:113], v0 offset0:81 offset1:82
	s_waitcnt lgkmcnt(3)
	v_fmac_f32_e32 v163, v130, v114
	s_waitcnt vmcnt(8)
	v_fmac_f32_e32 v163, v131, v115
	ds_load_2addr_b32 v[114:115], v0 offset0:83 offset1:84
	s_waitcnt lgkmcnt(3)
	v_fmac_f32_e32 v163, v132, v116
	s_delay_alu instid0(VALU_DEP_1) | instskip(SKIP_1) | instid1(VALU_DEP_1)
	v_fmac_f32_e32 v163, v133, v117
	s_waitcnt lgkmcnt(2)
	v_fmac_f32_e32 v163, v134, v118
	s_waitcnt vmcnt(7)
	s_delay_alu instid0(VALU_DEP_1) | instskip(SKIP_4) | instid1(VALU_DEP_1)
	v_fmac_f32_e32 v163, v135, v119
	ds_load_2addr_b32 v[116:117], v0 offset0:85 offset1:86
	ds_load_2addr_b32 v[118:119], v0 offset0:87 offset1:88
	s_waitcnt lgkmcnt(3)
	v_fmac_f32_e32 v163, v136, v112
	v_fmac_f32_e32 v163, v137, v113
	ds_load_2addr_b32 v[112:113], v0 offset0:89 offset1:90
	s_waitcnt lgkmcnt(3)
	v_fmac_f32_e32 v163, v138, v114
	s_waitcnt vmcnt(6)
	s_delay_alu instid0(VALU_DEP_1) | instskip(SKIP_3) | instid1(VALU_DEP_1)
	v_fmac_f32_e32 v163, v139, v115
	ds_load_2addr_b32 v[114:115], v0 offset0:91 offset1:92
	s_waitcnt lgkmcnt(3)
	v_fmac_f32_e32 v163, v140, v116
	v_fmac_f32_e32 v163, v141, v117
	s_waitcnt lgkmcnt(2)
	s_delay_alu instid0(VALU_DEP_1) | instskip(SKIP_1) | instid1(VALU_DEP_1)
	v_fmac_f32_e32 v163, v142, v118
	s_waitcnt vmcnt(5)
	v_fmac_f32_e32 v163, v143, v119
	ds_load_2addr_b32 v[116:117], v0 offset0:93 offset1:94
	ds_load_2addr_b32 v[118:119], v0 offset0:95 offset1:96
	s_waitcnt lgkmcnt(3)
	v_fmac_f32_e32 v163, v144, v112
	s_delay_alu instid0(VALU_DEP_1) | instskip(SKIP_4) | instid1(VALU_DEP_1)
	v_fmac_f32_e32 v163, v145, v113
	ds_load_2addr_b32 v[112:113], v0 offset0:97 offset1:98
	s_waitcnt lgkmcnt(3)
	v_fmac_f32_e32 v163, v146, v114
	s_waitcnt vmcnt(4)
	v_fmac_f32_e32 v163, v147, v115
	ds_load_2addr_b32 v[114:115], v0 offset0:99 offset1:100
	s_waitcnt lgkmcnt(3)
	v_fmac_f32_e32 v163, v148, v116
	s_delay_alu instid0(VALU_DEP_1) | instskip(SKIP_1) | instid1(VALU_DEP_1)
	v_fmac_f32_e32 v163, v149, v117
	s_waitcnt lgkmcnt(2)
	v_fmac_f32_e32 v163, v150, v118
	s_waitcnt vmcnt(3)
	s_delay_alu instid0(VALU_DEP_1) | instskip(SKIP_4) | instid1(VALU_DEP_1)
	v_fmac_f32_e32 v163, v151, v119
	ds_load_2addr_b32 v[116:117], v0 offset0:101 offset1:102
	ds_load_2addr_b32 v[118:119], v0 offset0:103 offset1:104
	s_waitcnt lgkmcnt(3)
	v_fmac_f32_e32 v163, v152, v112
	v_fmac_f32_e32 v163, v153, v113
	ds_load_2addr_b32 v[112:113], v0 offset0:105 offset1:106
	s_waitcnt lgkmcnt(3)
	v_fmac_f32_e32 v163, v154, v114
	s_waitcnt vmcnt(2)
	s_delay_alu instid0(VALU_DEP_1) | instskip(SKIP_4) | instid1(VALU_DEP_1)
	v_fmac_f32_e32 v163, v155, v115
	ds_load_2addr_b32 v[114:115], v0 offset0:107 offset1:108
	ds_load_b32 v0, v0 offset:436
	s_waitcnt lgkmcnt(4)
	v_fmac_f32_e32 v163, v156, v116
	v_fmac_f32_e32 v163, v157, v117
	s_waitcnt lgkmcnt(3)
	s_delay_alu instid0(VALU_DEP_1) | instskip(SKIP_1) | instid1(VALU_DEP_1)
	v_fmac_f32_e32 v163, v158, v118
	s_waitcnt vmcnt(1)
	v_fmac_f32_e32 v163, v159, v119
	s_waitcnt lgkmcnt(2)
	s_delay_alu instid0(VALU_DEP_1) | instskip(NEXT) | instid1(VALU_DEP_1)
	v_fmac_f32_e32 v163, v160, v112
	v_fmac_f32_e32 v163, v161, v113
	s_waitcnt lgkmcnt(1)
	s_delay_alu instid0(VALU_DEP_1) | instskip(SKIP_1) | instid1(VALU_DEP_1)
	v_fmac_f32_e32 v163, v162, v114
	s_waitcnt vmcnt(0)
	v_fmac_f32_e32 v163, v109, v115
	s_waitcnt lgkmcnt(0)
	s_delay_alu instid0(VALU_DEP_1) | instskip(NEXT) | instid1(VALU_DEP_1)
	v_fmac_f32_e32 v163, v110, v0
	v_sub_f32_e32 v0, v111, v163
	scratch_store_b32 off, v0, off
	s_cbranch_vccz .LBB53_439
; %bb.332:
	v_dual_mov_b32 v111, s13 :: v_dual_mov_b32 v110, s12
	s_mov_b32 s0, exec_lo
	flat_load_b32 v0, v[110:111] offset:208
	s_waitcnt vmcnt(0) lgkmcnt(0)
	v_cmpx_ne_u32_e32 53, v0
	s_cbranch_execz .LBB53_334
; %bb.333:
	v_lshl_add_u32 v0, v0, 2, 0
	scratch_load_b32 v110, v0, off offset:-4
	s_waitcnt vmcnt(0)
	scratch_store_b32 off, v110, off offset:208
	scratch_store_b32 v0, v109, off offset:-4
.LBB53_334:
	s_or_b32 exec_lo, exec_lo, s0
	v_dual_mov_b32 v110, s13 :: v_dual_mov_b32 v109, s12
	s_mov_b32 s0, exec_lo
	flat_load_b32 v0, v[109:110] offset:204
	s_waitcnt vmcnt(0) lgkmcnt(0)
	v_cmpx_ne_u32_e32 52, v0
	s_cbranch_execz .LBB53_336
; %bb.335:
	v_lshl_add_u32 v0, v0, 2, 0
	scratch_load_b32 v109, v0, off offset:-4
	scratch_load_b32 v110, off, off offset:204
	s_waitcnt vmcnt(1)
	scratch_store_b32 off, v109, off offset:204
	s_waitcnt vmcnt(0)
	scratch_store_b32 v0, v110, off offset:-4
.LBB53_336:
	s_or_b32 exec_lo, exec_lo, s0
	v_dual_mov_b32 v110, s13 :: v_dual_mov_b32 v109, s12
	s_mov_b32 s0, exec_lo
	flat_load_b32 v0, v[109:110] offset:200
	s_waitcnt vmcnt(0) lgkmcnt(0)
	v_cmpx_ne_u32_e32 51, v0
	s_cbranch_execz .LBB53_338
; %bb.337:
	v_lshl_add_u32 v0, v0, 2, 0
	scratch_load_b32 v109, v0, off offset:-4
	scratch_load_b32 v110, off, off offset:200
	s_waitcnt vmcnt(1)
	scratch_store_b32 off, v109, off offset:200
	s_waitcnt vmcnt(0)
	scratch_store_b32 v0, v110, off offset:-4
.LBB53_338:
	;; [unrolled: 16-line block ×51, first 2 shown]
	s_or_b32 exec_lo, exec_lo, s0
	v_dual_mov_b32 v110, s13 :: v_dual_mov_b32 v109, s12
	s_mov_b32 s0, exec_lo
	flat_load_b32 v109, v[109:110]
	scratch_load_b32 v0, off, off
	s_waitcnt vmcnt(1) lgkmcnt(0)
	v_cmpx_ne_u32_e32 1, v109
	s_cbranch_execz .LBB53_438
; %bb.437:
	v_lshl_add_u32 v109, v109, 2, 0
	scratch_load_b32 v110, v109, off offset:-4
	s_waitcnt vmcnt(0)
	scratch_store_b32 off, v110, off
	scratch_store_b32 v109, v0, off offset:-4
	scratch_load_b32 v0, off, off
.LBB53_438:
	s_or_b32 exec_lo, exec_lo, s0
.LBB53_439:
	s_clause 0xd
	scratch_load_b128 v[109:112], off, off offset:4
	scratch_load_b128 v[113:116], off, off offset:20
	;; [unrolled: 1-line block ×13, first 2 shown]
	scratch_load_b32 v161, off, off offset:212
	s_waitcnt vmcnt(14)
	global_store_b32 v[1:2], v0, off
	s_waitcnt vmcnt(13)
	s_clause 0x3
	global_store_b32 v[3:4], v109, off
	global_store_b32 v[5:6], v110, off
	global_store_b32 v[7:8], v111, off
	global_store_b32 v[9:10], v112, off
	s_waitcnt vmcnt(12)
	s_clause 0x3
	global_store_b32 v[11:12], v113, off
	global_store_b32 v[13:14], v114, off
	global_store_b32 v[15:16], v115, off
	;; [unrolled: 6-line block ×13, first 2 shown]
	global_store_b32 v[107:108], v160, off
	s_waitcnt vmcnt(0)
	global_store_b32 v[57:58], v161, off
	s_endpgm
	.section	.rodata,"a",@progbits
	.p2align	6, 0x0
	.amdhsa_kernel _ZN9rocsolver6v33100L18getri_kernel_smallILi54EfPfEEvT1_iilPiilS4_bb
		.amdhsa_group_segment_fixed_size 440
		.amdhsa_private_segment_fixed_size 224
		.amdhsa_kernarg_size 60
		.amdhsa_user_sgpr_count 15
		.amdhsa_user_sgpr_dispatch_ptr 0
		.amdhsa_user_sgpr_queue_ptr 0
		.amdhsa_user_sgpr_kernarg_segment_ptr 1
		.amdhsa_user_sgpr_dispatch_id 0
		.amdhsa_user_sgpr_private_segment_size 0
		.amdhsa_wavefront_size32 1
		.amdhsa_uses_dynamic_stack 0
		.amdhsa_enable_private_segment 1
		.amdhsa_system_sgpr_workgroup_id_x 1
		.amdhsa_system_sgpr_workgroup_id_y 0
		.amdhsa_system_sgpr_workgroup_id_z 0
		.amdhsa_system_sgpr_workgroup_info 0
		.amdhsa_system_vgpr_workitem_id 0
		.amdhsa_next_free_vgpr 172
		.amdhsa_next_free_sgpr 18
		.amdhsa_reserve_vcc 1
		.amdhsa_float_round_mode_32 0
		.amdhsa_float_round_mode_16_64 0
		.amdhsa_float_denorm_mode_32 3
		.amdhsa_float_denorm_mode_16_64 3
		.amdhsa_dx10_clamp 1
		.amdhsa_ieee_mode 1
		.amdhsa_fp16_overflow 0
		.amdhsa_workgroup_processor_mode 1
		.amdhsa_memory_ordered 1
		.amdhsa_forward_progress 0
		.amdhsa_shared_vgpr_count 0
		.amdhsa_exception_fp_ieee_invalid_op 0
		.amdhsa_exception_fp_denorm_src 0
		.amdhsa_exception_fp_ieee_div_zero 0
		.amdhsa_exception_fp_ieee_overflow 0
		.amdhsa_exception_fp_ieee_underflow 0
		.amdhsa_exception_fp_ieee_inexact 0
		.amdhsa_exception_int_div_zero 0
	.end_amdhsa_kernel
	.section	.text._ZN9rocsolver6v33100L18getri_kernel_smallILi54EfPfEEvT1_iilPiilS4_bb,"axG",@progbits,_ZN9rocsolver6v33100L18getri_kernel_smallILi54EfPfEEvT1_iilPiilS4_bb,comdat
.Lfunc_end53:
	.size	_ZN9rocsolver6v33100L18getri_kernel_smallILi54EfPfEEvT1_iilPiilS4_bb, .Lfunc_end53-_ZN9rocsolver6v33100L18getri_kernel_smallILi54EfPfEEvT1_iilPiilS4_bb
                                        ; -- End function
	.section	.AMDGPU.csdata,"",@progbits
; Kernel info:
; codeLenInByte = 41288
; NumSgprs: 20
; NumVgprs: 172
; ScratchSize: 224
; MemoryBound: 0
; FloatMode: 240
; IeeeMode: 1
; LDSByteSize: 440 bytes/workgroup (compile time only)
; SGPRBlocks: 2
; VGPRBlocks: 21
; NumSGPRsForWavesPerEU: 20
; NumVGPRsForWavesPerEU: 172
; Occupancy: 8
; WaveLimiterHint : 1
; COMPUTE_PGM_RSRC2:SCRATCH_EN: 1
; COMPUTE_PGM_RSRC2:USER_SGPR: 15
; COMPUTE_PGM_RSRC2:TRAP_HANDLER: 0
; COMPUTE_PGM_RSRC2:TGID_X_EN: 1
; COMPUTE_PGM_RSRC2:TGID_Y_EN: 0
; COMPUTE_PGM_RSRC2:TGID_Z_EN: 0
; COMPUTE_PGM_RSRC2:TIDIG_COMP_CNT: 0
	.section	.text._ZN9rocsolver6v33100L18getri_kernel_smallILi55EfPfEEvT1_iilPiilS4_bb,"axG",@progbits,_ZN9rocsolver6v33100L18getri_kernel_smallILi55EfPfEEvT1_iilPiilS4_bb,comdat
	.globl	_ZN9rocsolver6v33100L18getri_kernel_smallILi55EfPfEEvT1_iilPiilS4_bb ; -- Begin function _ZN9rocsolver6v33100L18getri_kernel_smallILi55EfPfEEvT1_iilPiilS4_bb
	.p2align	8
	.type	_ZN9rocsolver6v33100L18getri_kernel_smallILi55EfPfEEvT1_iilPiilS4_bb,@function
_ZN9rocsolver6v33100L18getri_kernel_smallILi55EfPfEEvT1_iilPiilS4_bb: ; @_ZN9rocsolver6v33100L18getri_kernel_smallILi55EfPfEEvT1_iilPiilS4_bb
; %bb.0:
	s_mov_b32 s2, exec_lo
	v_cmpx_gt_u32_e32 55, v0
	s_cbranch_execz .LBB54_228
; %bb.1:
	s_clause 0x2
	s_load_b32 s17, s[0:1], 0x38
	s_load_b128 s[8:11], s[0:1], 0x10
	s_load_b128 s[4:7], s[0:1], 0x28
	s_mov_b32 s14, s15
                                        ; implicit-def: $sgpr12_sgpr13
	s_waitcnt lgkmcnt(0)
	s_bitcmp1_b32 s17, 8
	s_cselect_b32 s16, -1, 0
	s_bfe_u32 s2, s17, 0x10008
	s_ashr_i32 s15, s15, 31
	s_cmp_eq_u32 s2, 0
	s_cbranch_scc1 .LBB54_3
; %bb.2:
	s_load_b32 s2, s[0:1], 0x20
	s_mul_i32 s3, s14, s5
	s_mul_hi_u32 s5, s14, s4
	s_mul_i32 s12, s15, s4
	s_add_i32 s3, s5, s3
	s_mul_i32 s4, s14, s4
	s_add_i32 s5, s3, s12
	s_delay_alu instid0(SALU_CYCLE_1)
	s_lshl_b64 s[4:5], s[4:5], 2
	s_waitcnt lgkmcnt(0)
	s_ashr_i32 s3, s2, 31
	s_add_u32 s4, s10, s4
	s_addc_u32 s5, s11, s5
	s_lshl_b64 s[2:3], s[2:3], 2
	s_delay_alu instid0(SALU_CYCLE_1)
	s_add_u32 s12, s4, s2
	s_addc_u32 s13, s5, s3
.LBB54_3:
	s_load_b128 s[0:3], s[0:1], 0x0
	s_mul_i32 s4, s14, s9
	s_mul_hi_u32 s5, s14, s8
	s_mul_i32 s9, s15, s8
	s_add_i32 s5, s5, s4
	s_mul_i32 s4, s14, s8
	s_add_i32 s5, s5, s9
	v_lshlrev_b32_e32 v113, 2, v0
	s_lshl_b64 s[4:5], s[4:5], 2
	s_waitcnt lgkmcnt(0)
	v_add3_u32 v1, s3, s3, v0
	s_ashr_i32 s9, s2, 31
	s_mov_b32 s8, s2
	s_add_u32 s2, s0, s4
	s_addc_u32 s4, s1, s5
	v_add_nc_u32_e32 v7, s3, v1
	s_lshl_b64 s[0:1], s[8:9], 2
	v_ashrrev_i32_e32 v2, 31, v1
	s_add_u32 s0, s2, s0
	s_addc_u32 s1, s4, s1
	v_add_nc_u32_e32 v9, s3, v7
	v_add_co_u32 v3, s2, s0, v113
	s_mov_b32 s10, s3
	s_ashr_i32 s11, s3, 31
	s_delay_alu instid0(VALU_DEP_2) | instskip(SKIP_3) | instid1(VALU_DEP_4)
	v_add_nc_u32_e32 v11, s3, v9
	v_add_co_ci_u32_e64 v4, null, s1, 0, s2
	v_ashrrev_i32_e32 v8, 31, v7
	v_lshlrev_b64 v[1:2], 2, v[1:2]
	v_add_nc_u32_e32 v13, s3, v11
	s_lshl_b64 s[4:5], s[10:11], 2
	v_ashrrev_i32_e32 v10, 31, v9
	v_add_co_u32 v5, vcc_lo, v3, s4
	s_delay_alu instid0(VALU_DEP_3) | instskip(SKIP_3) | instid1(VALU_DEP_4)
	v_add_nc_u32_e32 v15, s3, v13
	v_add_co_ci_u32_e32 v6, vcc_lo, s5, v4, vcc_lo
	v_lshlrev_b64 v[48:49], 2, v[7:8]
	v_add_co_u32 v7, vcc_lo, s0, v1
	v_add_nc_u32_e32 v17, s3, v15
	v_add_co_ci_u32_e32 v8, vcc_lo, s1, v2, vcc_lo
	v_lshlrev_b64 v[1:2], 2, v[9:10]
	v_ashrrev_i32_e32 v12, 31, v11
	s_delay_alu instid0(VALU_DEP_4) | instskip(SKIP_3) | instid1(VALU_DEP_4)
	v_add_nc_u32_e32 v19, s3, v17
	v_add_co_u32 v9, vcc_lo, s0, v48
	v_ashrrev_i32_e32 v14, 31, v13
	v_add_co_ci_u32_e32 v10, vcc_lo, s1, v49, vcc_lo
	v_add_nc_u32_e32 v21, s3, v19
	v_lshlrev_b64 v[48:49], 2, v[11:12]
	v_add_co_u32 v11, vcc_lo, s0, v1
	v_add_co_ci_u32_e32 v12, vcc_lo, s1, v2, vcc_lo
	s_delay_alu instid0(VALU_DEP_4) | instskip(SKIP_3) | instid1(VALU_DEP_4)
	v_add_nc_u32_e32 v23, s3, v21
	v_lshlrev_b64 v[1:2], 2, v[13:14]
	v_ashrrev_i32_e32 v16, 31, v15
	v_add_co_u32 v13, vcc_lo, s0, v48
	v_add_nc_u32_e32 v25, s3, v23
	v_ashrrev_i32_e32 v18, 31, v17
	v_add_co_ci_u32_e32 v14, vcc_lo, s1, v49, vcc_lo
	v_lshlrev_b64 v[48:49], 2, v[15:16]
	s_delay_alu instid0(VALU_DEP_4) | instskip(SKIP_2) | instid1(VALU_DEP_3)
	v_add_nc_u32_e32 v27, s3, v25
	v_add_co_u32 v15, vcc_lo, s0, v1
	v_add_co_ci_u32_e32 v16, vcc_lo, s1, v2, vcc_lo
	v_add_nc_u32_e32 v29, s3, v27
	v_lshlrev_b64 v[1:2], 2, v[17:18]
	v_ashrrev_i32_e32 v20, 31, v19
	v_add_co_u32 v17, vcc_lo, s0, v48
	s_delay_alu instid0(VALU_DEP_4) | instskip(SKIP_3) | instid1(VALU_DEP_4)
	v_add_nc_u32_e32 v31, s3, v29
	v_ashrrev_i32_e32 v22, 31, v21
	v_add_co_ci_u32_e32 v18, vcc_lo, s1, v49, vcc_lo
	v_lshlrev_b64 v[48:49], 2, v[19:20]
	v_add_nc_u32_e32 v33, s3, v31
	v_add_co_u32 v19, vcc_lo, s0, v1
	v_add_co_ci_u32_e32 v20, vcc_lo, s1, v2, vcc_lo
	s_delay_alu instid0(VALU_DEP_3) | instskip(SKIP_3) | instid1(VALU_DEP_4)
	v_add_nc_u32_e32 v35, s3, v33
	v_lshlrev_b64 v[1:2], 2, v[21:22]
	v_ashrrev_i32_e32 v24, 31, v23
	v_add_co_u32 v21, vcc_lo, s0, v48
	v_add_nc_u32_e32 v37, s3, v35
	v_ashrrev_i32_e32 v26, 31, v25
	v_add_co_ci_u32_e32 v22, vcc_lo, s1, v49, vcc_lo
	v_lshlrev_b64 v[48:49], 2, v[23:24]
	s_delay_alu instid0(VALU_DEP_4) | instskip(SKIP_2) | instid1(VALU_DEP_3)
	v_add_nc_u32_e32 v39, s3, v37
	v_add_co_u32 v23, vcc_lo, s0, v1
	v_add_co_ci_u32_e32 v24, vcc_lo, s1, v2, vcc_lo
	v_add_nc_u32_e32 v41, s3, v39
	v_lshlrev_b64 v[1:2], 2, v[25:26]
	v_ashrrev_i32_e32 v28, 31, v27
	v_add_co_u32 v25, vcc_lo, s0, v48
	s_delay_alu instid0(VALU_DEP_4) | instskip(SKIP_3) | instid1(VALU_DEP_4)
	v_add_nc_u32_e32 v43, s3, v41
	v_ashrrev_i32_e32 v30, 31, v29
	v_add_co_ci_u32_e32 v26, vcc_lo, s1, v49, vcc_lo
	v_lshlrev_b64 v[48:49], 2, v[27:28]
	v_add_nc_u32_e32 v45, s3, v43
	v_add_co_u32 v27, vcc_lo, s0, v1
	v_add_co_ci_u32_e32 v28, vcc_lo, s1, v2, vcc_lo
	s_delay_alu instid0(VALU_DEP_3) | instskip(SKIP_3) | instid1(VALU_DEP_4)
	;; [unrolled: 25-line block ×6, first 2 shown]
	v_add_nc_u32_e32 v99, s3, v97
	v_lshlrev_b64 v[1:2], 2, v[62:63]
	v_ashrrev_i32_e32 v65, 31, v64
	v_add_co_u32 v61, vcc_lo, s0, v68
	v_add_nc_u32_e32 v101, s3, v99
	v_add_co_ci_u32_e32 v62, vcc_lo, s1, v69, vcc_lo
	s_delay_alu instid0(VALU_DEP_4) | instskip(SKIP_1) | instid1(VALU_DEP_4)
	v_lshlrev_b64 v[69:70], 2, v[64:65]
	v_ashrrev_i32_e32 v68, 31, v67
	v_add_nc_u32_e32 v103, s3, v101
	v_add_co_u32 v65, vcc_lo, s0, v1
	v_add_co_ci_u32_e32 v66, vcc_lo, s1, v2, vcc_lo
	s_delay_alu instid0(VALU_DEP_3) | instskip(SKIP_3) | instid1(VALU_DEP_4)
	v_add_nc_u32_e32 v105, s3, v103
	v_lshlrev_b64 v[1:2], 2, v[67:68]
	v_add_co_u32 v67, vcc_lo, s0, v69
	v_add_co_ci_u32_e32 v68, vcc_lo, s1, v70, vcc_lo
	v_add_nc_u32_e32 v107, s3, v105
	v_ashrrev_i32_e32 v72, 31, v71
	v_ashrrev_i32_e32 v74, 31, v73
	;; [unrolled: 1-line block ×4, first 2 shown]
	v_add_nc_u32_e32 v109, s3, v107
	v_ashrrev_i32_e32 v80, 31, v79
	v_lshlrev_b64 v[73:74], 2, v[73:74]
	v_ashrrev_i32_e32 v82, 31, v81
	v_lshlrev_b64 v[77:78], 2, v[77:78]
	v_add_nc_u32_e32 v111, s3, v109
	v_ashrrev_i32_e32 v84, 31, v83
	v_ashrrev_i32_e32 v86, 31, v85
	v_lshlrev_b64 v[81:82], 2, v[81:82]
	v_ashrrev_i32_e32 v88, 31, v87
	v_add_nc_u32_e32 v63, s3, v111
	v_ashrrev_i32_e32 v90, 31, v89
	v_lshlrev_b64 v[85:86], 2, v[85:86]
	v_ashrrev_i32_e32 v92, 31, v91
	v_ashrrev_i32_e32 v94, 31, v93
	;; [unrolled: 1-line block ×3, first 2 shown]
	v_lshlrev_b64 v[89:90], 2, v[89:90]
	v_ashrrev_i32_e32 v96, 31, v95
	v_ashrrev_i32_e32 v98, 31, v97
	v_lshlrev_b64 v[93:94], 2, v[93:94]
	v_lshlrev_b64 v[63:64], 2, v[63:64]
	v_ashrrev_i32_e32 v100, 31, v99
	v_ashrrev_i32_e32 v102, 31, v101
	v_lshlrev_b64 v[97:98], 2, v[97:98]
	v_ashrrev_i32_e32 v104, 31, v103
	v_ashrrev_i32_e32 v106, 31, v105
	v_add_co_u32 v63, vcc_lo, s0, v63
	v_add_co_ci_u32_e32 v64, vcc_lo, s1, v64, vcc_lo
	v_add_co_u32 v69, vcc_lo, s0, v1
	v_add_co_ci_u32_e32 v70, vcc_lo, s1, v2, vcc_lo
	v_lshlrev_b64 v[1:2], 2, v[71:72]
	v_lshlrev_b64 v[101:102], 2, v[101:102]
	v_ashrrev_i32_e32 v108, 31, v107
	v_lshlrev_b64 v[105:106], 2, v[105:106]
	v_ashrrev_i32_e32 v110, 31, v109
	v_ashrrev_i32_e32 v112, 31, v111
	v_add_co_u32 v71, vcc_lo, s0, v1
	v_add_co_ci_u32_e32 v72, vcc_lo, s1, v2, vcc_lo
	v_lshlrev_b64 v[1:2], 2, v[75:76]
	v_add_co_u32 v73, vcc_lo, s0, v73
	v_add_co_ci_u32_e32 v74, vcc_lo, s1, v74, vcc_lo
	v_lshlrev_b64 v[109:110], 2, v[109:110]
	s_delay_alu instid0(VALU_DEP_4)
	v_add_co_u32 v75, vcc_lo, s0, v1
	v_add_co_ci_u32_e32 v76, vcc_lo, s1, v2, vcc_lo
	v_lshlrev_b64 v[1:2], 2, v[79:80]
	v_add_co_u32 v77, vcc_lo, s0, v77
	v_add_co_ci_u32_e32 v78, vcc_lo, s1, v78, vcc_lo
	global_load_b32 v114, v113, s[0:1]
	v_add_co_u32 v79, vcc_lo, s0, v1
	v_add_co_ci_u32_e32 v80, vcc_lo, s1, v2, vcc_lo
	v_lshlrev_b64 v[1:2], 2, v[83:84]
	v_add_co_u32 v81, vcc_lo, s0, v81
	v_add_co_ci_u32_e32 v82, vcc_lo, s1, v82, vcc_lo
	s_clause 0x7
	global_load_b32 v115, v[5:6], off
	global_load_b32 v116, v[7:8], off
	global_load_b32 v117, v[9:10], off
	global_load_b32 v118, v[11:12], off
	global_load_b32 v119, v[13:14], off
	global_load_b32 v120, v[15:16], off
	global_load_b32 v121, v[17:18], off
	global_load_b32 v122, v[19:20], off
	v_add_co_u32 v83, vcc_lo, s0, v1
	v_add_co_ci_u32_e32 v84, vcc_lo, s1, v2, vcc_lo
	v_lshlrev_b64 v[1:2], 2, v[87:88]
	v_add_co_u32 v85, vcc_lo, s0, v85
	v_add_co_ci_u32_e32 v86, vcc_lo, s1, v86, vcc_lo
	s_clause 0x7
	global_load_b32 v123, v[21:22], off
	global_load_b32 v124, v[23:24], off
	global_load_b32 v125, v[25:26], off
	global_load_b32 v126, v[27:28], off
	global_load_b32 v127, v[29:30], off
	global_load_b32 v128, v[31:32], off
	global_load_b32 v129, v[33:34], off
	global_load_b32 v130, v[35:36], off
	;; [unrolled: 14-line block ×6, first 2 shown]
	v_add_co_u32 v103, vcc_lo, s0, v1
	v_add_co_ci_u32_e32 v104, vcc_lo, s1, v2, vcc_lo
	v_lshlrev_b64 v[1:2], 2, v[107:108]
	v_add_co_u32 v105, vcc_lo, s0, v105
	v_add_co_ci_u32_e32 v106, vcc_lo, s1, v106, vcc_lo
	s_bitcmp0_b32 s17, 0
	s_delay_alu instid0(VALU_DEP_3) | instskip(NEXT) | instid1(VALU_DEP_4)
	v_add_co_u32 v107, vcc_lo, s0, v1
	v_add_co_ci_u32_e32 v108, vcc_lo, s1, v2, vcc_lo
	v_lshlrev_b64 v[1:2], 2, v[111:112]
	v_add_co_u32 v109, vcc_lo, s0, v109
	v_add_co_ci_u32_e32 v110, vcc_lo, s1, v110, vcc_lo
	s_delay_alu instid0(VALU_DEP_3) | instskip(NEXT) | instid1(VALU_DEP_4)
	v_add_co_u32 v111, vcc_lo, s0, v1
	v_add_co_ci_u32_e32 v112, vcc_lo, s1, v2, vcc_lo
	s_clause 0x5
	global_load_b32 v163, v[103:104], off
	global_load_b32 v164, v[105:106], off
	;; [unrolled: 1-line block ×6, first 2 shown]
	s_mov_b32 s1, -1
	s_waitcnt vmcnt(51)
	scratch_store_b128 off, v[114:117], off
	s_waitcnt vmcnt(47)
	scratch_store_b128 off, v[118:121], off offset:16
	s_waitcnt vmcnt(43)
	scratch_store_b128 off, v[122:125], off offset:32
	;; [unrolled: 2-line block ×12, first 2 shown]
	s_waitcnt vmcnt(0)
	scratch_store_b96 off, v[166:168], off offset:208
	s_cbranch_scc1 .LBB54_226
; %bb.4:
	v_cmp_eq_u32_e64 s0, 0, v0
	s_delay_alu instid0(VALU_DEP_1)
	s_and_saveexec_b32 s1, s0
	s_cbranch_execz .LBB54_6
; %bb.5:
	v_mov_b32_e32 v1, 0
	ds_store_b32 v1, v1 offset:220
.LBB54_6:
	s_or_b32 exec_lo, exec_lo, s1
	s_waitcnt lgkmcnt(0)
	s_waitcnt_vscnt null, 0x0
	s_barrier
	buffer_gl0_inv
	scratch_load_b32 v1, v113, off
	s_mov_b32 s2, exec_lo
	s_waitcnt vmcnt(0)
	v_cmpx_eq_f32_e32 0, v1
	s_cbranch_execz .LBB54_10
; %bb.7:
	v_mov_b32_e32 v1, 0
	s_mov_b32 s3, 0
	ds_load_b32 v2, v1 offset:220
	s_waitcnt lgkmcnt(0)
	v_readfirstlane_b32 s1, v2
	v_add_nc_u32_e32 v2, 1, v0
	s_delay_alu instid0(VALU_DEP_2) | instskip(NEXT) | instid1(VALU_DEP_1)
	s_cmp_eq_u32 s1, 0
	v_cmp_gt_i32_e32 vcc_lo, s1, v2
	s_cselect_b32 s4, -1, 0
	s_delay_alu instid0(SALU_CYCLE_1) | instskip(NEXT) | instid1(SALU_CYCLE_1)
	s_or_b32 s4, s4, vcc_lo
	s_and_b32 exec_lo, exec_lo, s4
	s_cbranch_execz .LBB54_10
; %bb.8:
	v_mov_b32_e32 v114, s1
.LBB54_9:                               ; =>This Inner Loop Header: Depth=1
	ds_cmpstore_rtn_b32 v114, v1, v2, v114 offset:220
	s_waitcnt lgkmcnt(0)
	v_cmp_ne_u32_e32 vcc_lo, 0, v114
	v_cmp_le_i32_e64 s1, v114, v2
	s_delay_alu instid0(VALU_DEP_1) | instskip(NEXT) | instid1(SALU_CYCLE_1)
	s_and_b32 s1, vcc_lo, s1
	s_and_b32 s1, exec_lo, s1
	s_delay_alu instid0(SALU_CYCLE_1) | instskip(NEXT) | instid1(SALU_CYCLE_1)
	s_or_b32 s3, s1, s3
	s_and_not1_b32 exec_lo, exec_lo, s3
	s_cbranch_execnz .LBB54_9
.LBB54_10:
	s_or_b32 exec_lo, exec_lo, s2
	v_mov_b32_e32 v1, 0
	s_barrier
	buffer_gl0_inv
	ds_load_b32 v2, v1 offset:220
	s_and_saveexec_b32 s1, s0
	s_cbranch_execz .LBB54_12
; %bb.11:
	s_lshl_b64 s[2:3], s[14:15], 2
	s_delay_alu instid0(SALU_CYCLE_1)
	s_add_u32 s2, s6, s2
	s_addc_u32 s3, s7, s3
	s_waitcnt lgkmcnt(0)
	global_store_b32 v1, v2, s[2:3]
.LBB54_12:
	s_or_b32 exec_lo, exec_lo, s1
	s_waitcnt lgkmcnt(0)
	v_cmp_ne_u32_e32 vcc_lo, 0, v2
	s_mov_b32 s1, 0
	s_cbranch_vccnz .LBB54_226
; %bb.13:
	v_add_nc_u32_e32 v1, 0, v113
	scratch_load_b32 v2, v1, off
	s_waitcnt vmcnt(0)
	v_div_scale_f32 v114, null, v2, v2, 1.0
	v_div_scale_f32 v117, vcc_lo, 1.0, v2, 1.0
	s_delay_alu instid0(VALU_DEP_2) | instskip(SKIP_2) | instid1(VALU_DEP_1)
	v_rcp_f32_e32 v115, v114
	s_waitcnt_depctr 0xfff
	v_fma_f32 v116, -v114, v115, 1.0
	v_fmac_f32_e32 v115, v116, v115
	s_delay_alu instid0(VALU_DEP_1) | instskip(NEXT) | instid1(VALU_DEP_1)
	v_mul_f32_e32 v116, v117, v115
	v_fma_f32 v118, -v114, v116, v117
	s_delay_alu instid0(VALU_DEP_1) | instskip(NEXT) | instid1(VALU_DEP_1)
	v_fmac_f32_e32 v116, v118, v115
	v_fma_f32 v114, -v114, v116, v117
	s_delay_alu instid0(VALU_DEP_1) | instskip(NEXT) | instid1(VALU_DEP_1)
	v_div_fmas_f32 v114, v114, v115, v116
	v_div_fixup_f32 v2, v114, v2, 1.0
	scratch_store_b32 v1, v2, off
	scratch_load_b32 v114, off, off offset:4
	v_xor_b32_e32 v115, 0x80000000, v2
	v_add_nc_u32_e32 v2, 0xe0, v113
	s_waitcnt vmcnt(0)
	ds_store_2addr_b32 v113, v115, v114 offset1:56
	s_waitcnt lgkmcnt(0)
	s_waitcnt_vscnt null, 0x0
	s_barrier
	buffer_gl0_inv
	s_and_saveexec_b32 s1, s0
	s_cbranch_execz .LBB54_15
; %bb.14:
	scratch_load_b32 v114, v1, off
	ds_load_b32 v115, v2
	v_mov_b32_e32 v116, 0
	ds_load_b32 v116, v116 offset:4
	s_waitcnt vmcnt(0) lgkmcnt(1)
	v_fma_f32 v114, v114, v115, 0
	s_waitcnt lgkmcnt(0)
	s_delay_alu instid0(VALU_DEP_1)
	v_mul_f32_e32 v114, v114, v116
	scratch_store_b32 off, v114, off offset:4
.LBB54_15:
	s_or_b32 exec_lo, exec_lo, s1
	s_waitcnt_vscnt null, 0x0
	s_barrier
	buffer_gl0_inv
	scratch_load_b32 v114, off, off offset:8
	s_mov_b32 s1, exec_lo
	s_waitcnt vmcnt(0)
	ds_store_b32 v2, v114
	s_waitcnt lgkmcnt(0)
	s_barrier
	buffer_gl0_inv
	v_cmpx_gt_u32_e32 2, v0
	s_cbranch_execz .LBB54_17
; %bb.16:
	scratch_load_b32 v116, v1, off
	scratch_load_b32 v117, off, off offset:4
	ds_load_b32 v118, v2
	v_mov_b32_e32 v114, 0
	ds_load_2addr_b32 v[114:115], v114 offset0:2 offset1:57
	s_waitcnt vmcnt(1) lgkmcnt(1)
	v_fma_f32 v116, v116, v118, 0
	s_waitcnt vmcnt(0) lgkmcnt(0)
	s_delay_alu instid0(VALU_DEP_1) | instskip(NEXT) | instid1(VALU_DEP_1)
	v_fma_f32 v115, v117, v115, v116
	v_cndmask_b32_e64 v115, v116, v115, s0
	s_delay_alu instid0(VALU_DEP_1)
	v_mul_f32_e32 v114, v115, v114
	scratch_store_b32 off, v114, off offset:8
.LBB54_17:
	s_or_b32 exec_lo, exec_lo, s1
	s_waitcnt_vscnt null, 0x0
	s_barrier
	buffer_gl0_inv
	scratch_load_b32 v115, off, off offset:12
	v_add_nc_u32_e32 v114, -1, v0
	s_mov_b32 s0, exec_lo
	s_waitcnt vmcnt(0)
	ds_store_b32 v2, v115
	s_waitcnt lgkmcnt(0)
	s_barrier
	buffer_gl0_inv
	v_cmpx_gt_u32_e32 3, v0
	s_cbranch_execz .LBB54_21
; %bb.18:
	v_dual_mov_b32 v115, 0 :: v_dual_add_nc_u32 v116, -1, v0
	v_add_nc_u32_e32 v117, 0xe0, v113
	v_add_nc_u32_e32 v118, 0, v113
	s_mov_b32 s1, 0
.LBB54_19:                              ; =>This Inner Loop Header: Depth=1
	scratch_load_b32 v119, v118, off
	ds_load_b32 v120, v117
	v_add_nc_u32_e32 v116, 1, v116
	v_add_nc_u32_e32 v117, 4, v117
	v_add_nc_u32_e32 v118, 4, v118
	s_delay_alu instid0(VALU_DEP_3)
	v_cmp_lt_u32_e32 vcc_lo, 1, v116
	s_or_b32 s1, vcc_lo, s1
	s_waitcnt vmcnt(0) lgkmcnt(0)
	v_fmac_f32_e32 v115, v119, v120
	s_and_not1_b32 exec_lo, exec_lo, s1
	s_cbranch_execnz .LBB54_19
; %bb.20:
	s_or_b32 exec_lo, exec_lo, s1
	v_mov_b32_e32 v116, 0
	ds_load_b32 v116, v116 offset:12
	s_waitcnt lgkmcnt(0)
	v_mul_f32_e32 v115, v115, v116
	scratch_store_b32 off, v115, off offset:12
.LBB54_21:
	s_or_b32 exec_lo, exec_lo, s0
	s_waitcnt_vscnt null, 0x0
	s_barrier
	buffer_gl0_inv
	scratch_load_b32 v115, off, off offset:16
	s_mov_b32 s0, exec_lo
	s_waitcnt vmcnt(0)
	ds_store_b32 v2, v115
	s_waitcnt lgkmcnt(0)
	s_barrier
	buffer_gl0_inv
	v_cmpx_gt_u32_e32 4, v0
	s_cbranch_execz .LBB54_25
; %bb.22:
	v_dual_mov_b32 v115, 0 :: v_dual_add_nc_u32 v116, -1, v0
	v_add_nc_u32_e32 v117, 0xe0, v113
	v_add_nc_u32_e32 v118, 0, v113
	s_mov_b32 s1, 0
.LBB54_23:                              ; =>This Inner Loop Header: Depth=1
	scratch_load_b32 v119, v118, off
	ds_load_b32 v120, v117
	v_add_nc_u32_e32 v116, 1, v116
	v_add_nc_u32_e32 v117, 4, v117
	v_add_nc_u32_e32 v118, 4, v118
	s_delay_alu instid0(VALU_DEP_3)
	v_cmp_lt_u32_e32 vcc_lo, 2, v116
	s_or_b32 s1, vcc_lo, s1
	s_waitcnt vmcnt(0) lgkmcnt(0)
	v_fmac_f32_e32 v115, v119, v120
	s_and_not1_b32 exec_lo, exec_lo, s1
	s_cbranch_execnz .LBB54_23
; %bb.24:
	s_or_b32 exec_lo, exec_lo, s1
	v_mov_b32_e32 v116, 0
	ds_load_b32 v116, v116 offset:16
	s_waitcnt lgkmcnt(0)
	v_mul_f32_e32 v115, v115, v116
	scratch_store_b32 off, v115, off offset:16
.LBB54_25:
	s_or_b32 exec_lo, exec_lo, s0
	s_waitcnt_vscnt null, 0x0
	s_barrier
	buffer_gl0_inv
	scratch_load_b32 v115, off, off offset:20
	;; [unrolled: 39-line block ×21, first 2 shown]
	s_mov_b32 s0, exec_lo
	s_waitcnt vmcnt(0)
	ds_store_b32 v2, v115
	s_waitcnt lgkmcnt(0)
	s_barrier
	buffer_gl0_inv
	v_cmpx_gt_u32_e32 24, v0
	s_cbranch_execz .LBB54_105
; %bb.102:
	v_dual_mov_b32 v115, 0 :: v_dual_add_nc_u32 v116, -1, v0
	v_add_nc_u32_e32 v117, 0xe0, v113
	v_add_nc_u32_e32 v118, 0, v113
	s_mov_b32 s1, 0
.LBB54_103:                             ; =>This Inner Loop Header: Depth=1
	scratch_load_b32 v119, v118, off
	ds_load_b32 v120, v117
	v_add_nc_u32_e32 v116, 1, v116
	v_add_nc_u32_e32 v117, 4, v117
	v_add_nc_u32_e32 v118, 4, v118
	s_delay_alu instid0(VALU_DEP_3)
	v_cmp_lt_u32_e32 vcc_lo, 22, v116
	s_or_b32 s1, vcc_lo, s1
	s_waitcnt vmcnt(0) lgkmcnt(0)
	v_fmac_f32_e32 v115, v119, v120
	s_and_not1_b32 exec_lo, exec_lo, s1
	s_cbranch_execnz .LBB54_103
; %bb.104:
	s_or_b32 exec_lo, exec_lo, s1
	v_mov_b32_e32 v116, 0
	ds_load_b32 v116, v116 offset:96
	s_waitcnt lgkmcnt(0)
	v_mul_f32_e32 v115, v115, v116
	scratch_store_b32 off, v115, off offset:96
.LBB54_105:
	s_or_b32 exec_lo, exec_lo, s0
	s_waitcnt_vscnt null, 0x0
	s_barrier
	buffer_gl0_inv
	scratch_load_b32 v115, off, off offset:100
	s_mov_b32 s0, exec_lo
	s_waitcnt vmcnt(0)
	ds_store_b32 v2, v115
	s_waitcnt lgkmcnt(0)
	s_barrier
	buffer_gl0_inv
	v_cmpx_gt_u32_e32 25, v0
	s_cbranch_execz .LBB54_109
; %bb.106:
	v_dual_mov_b32 v115, 0 :: v_dual_add_nc_u32 v116, -1, v0
	v_add_nc_u32_e32 v117, 0xe0, v113
	v_add_nc_u32_e32 v118, 0, v113
	s_mov_b32 s1, 0
.LBB54_107:                             ; =>This Inner Loop Header: Depth=1
	scratch_load_b32 v119, v118, off
	ds_load_b32 v120, v117
	v_add_nc_u32_e32 v116, 1, v116
	v_add_nc_u32_e32 v117, 4, v117
	v_add_nc_u32_e32 v118, 4, v118
	s_delay_alu instid0(VALU_DEP_3)
	v_cmp_lt_u32_e32 vcc_lo, 23, v116
	s_or_b32 s1, vcc_lo, s1
	s_waitcnt vmcnt(0) lgkmcnt(0)
	v_fmac_f32_e32 v115, v119, v120
	s_and_not1_b32 exec_lo, exec_lo, s1
	s_cbranch_execnz .LBB54_107
; %bb.108:
	s_or_b32 exec_lo, exec_lo, s1
	v_mov_b32_e32 v116, 0
	ds_load_b32 v116, v116 offset:100
	s_waitcnt lgkmcnt(0)
	v_mul_f32_e32 v115, v115, v116
	scratch_store_b32 off, v115, off offset:100
.LBB54_109:
	s_or_b32 exec_lo, exec_lo, s0
	s_waitcnt_vscnt null, 0x0
	s_barrier
	buffer_gl0_inv
	scratch_load_b32 v115, off, off offset:104
	;; [unrolled: 39-line block ×29, first 2 shown]
	s_mov_b32 s0, exec_lo
	s_waitcnt vmcnt(0)
	ds_store_b32 v2, v115
	s_waitcnt lgkmcnt(0)
	s_barrier
	buffer_gl0_inv
	v_cmpx_gt_u32_e32 53, v0
	s_cbranch_execz .LBB54_221
; %bb.218:
	v_add_nc_u32_e32 v115, -1, v0
	v_add_nc_u32_e32 v116, 0xe0, v113
	v_add_nc_u32_e32 v117, 0, v113
	v_mov_b32_e32 v113, 0
	s_mov_b32 s1, 0
.LBB54_219:                             ; =>This Inner Loop Header: Depth=1
	scratch_load_b32 v118, v117, off
	ds_load_b32 v119, v116
	v_add_nc_u32_e32 v115, 1, v115
	v_add_nc_u32_e32 v116, 4, v116
	;; [unrolled: 1-line block ×3, first 2 shown]
	s_delay_alu instid0(VALU_DEP_3)
	v_cmp_lt_u32_e32 vcc_lo, 51, v115
	s_or_b32 s1, vcc_lo, s1
	s_waitcnt vmcnt(0) lgkmcnt(0)
	v_fmac_f32_e32 v113, v118, v119
	s_and_not1_b32 exec_lo, exec_lo, s1
	s_cbranch_execnz .LBB54_219
; %bb.220:
	s_or_b32 exec_lo, exec_lo, s1
	v_mov_b32_e32 v115, 0
	ds_load_b32 v115, v115 offset:212
	s_waitcnt lgkmcnt(0)
	v_mul_f32_e32 v113, v113, v115
	scratch_store_b32 off, v113, off offset:212
.LBB54_221:
	s_or_b32 exec_lo, exec_lo, s0
	s_waitcnt_vscnt null, 0x0
	s_barrier
	buffer_gl0_inv
	scratch_load_b32 v113, off, off offset:216
	s_mov_b32 s0, exec_lo
	s_waitcnt vmcnt(0)
	ds_store_b32 v2, v113
	s_waitcnt lgkmcnt(0)
	s_barrier
	buffer_gl0_inv
	v_cmpx_ne_u32_e32 54, v0
	s_cbranch_execz .LBB54_225
; %bb.222:
	v_mov_b32_e32 v113, 0
	s_mov_b32 s1, 0
.LBB54_223:                             ; =>This Inner Loop Header: Depth=1
	scratch_load_b32 v115, v1, off
	ds_load_b32 v116, v2
	v_add_nc_u32_e32 v114, 1, v114
	v_add_nc_u32_e32 v2, 4, v2
	;; [unrolled: 1-line block ×3, first 2 shown]
	s_waitcnt vmcnt(0) lgkmcnt(0)
	v_fmac_f32_e32 v113, v115, v116
	v_cmp_lt_u32_e32 vcc_lo, 52, v114
	s_or_b32 s1, vcc_lo, s1
	s_delay_alu instid0(SALU_CYCLE_1)
	s_and_not1_b32 exec_lo, exec_lo, s1
	s_cbranch_execnz .LBB54_223
; %bb.224:
	s_or_b32 exec_lo, exec_lo, s1
	v_mov_b32_e32 v1, 0
	ds_load_b32 v1, v1 offset:216
	s_waitcnt lgkmcnt(0)
	v_mul_f32_e32 v1, v113, v1
	scratch_store_b32 off, v1, off offset:216
.LBB54_225:
	s_or_b32 exec_lo, exec_lo, s0
	s_mov_b32 s1, -1
	s_waitcnt_vscnt null, 0x0
	s_barrier
	buffer_gl0_inv
.LBB54_226:
	s_and_b32 vcc_lo, exec_lo, s1
	s_cbranch_vccz .LBB54_228
; %bb.227:
	s_lshl_b64 s[0:1], s[14:15], 2
	v_mov_b32_e32 v1, 0
	s_add_u32 s0, s6, s0
	s_addc_u32 s1, s7, s1
	global_load_b32 v1, v1, s[0:1]
	s_waitcnt vmcnt(0)
	v_cmp_ne_u32_e32 vcc_lo, 0, v1
	s_cbranch_vccz .LBB54_229
.LBB54_228:
	s_endpgm
.LBB54_229:
	v_lshl_add_u32 v1, v0, 2, 0xe0
	s_mov_b32 s0, exec_lo
	v_cmpx_eq_u32_e32 54, v0
	s_cbranch_execz .LBB54_231
; %bb.230:
	scratch_load_b32 v2, off, off offset:212
	v_mov_b32_e32 v113, 0
	scratch_store_b32 off, v113, off offset:212
	s_waitcnt vmcnt(0)
	ds_store_b32 v1, v2
.LBB54_231:
	s_or_b32 exec_lo, exec_lo, s0
	s_waitcnt lgkmcnt(0)
	s_waitcnt_vscnt null, 0x0
	s_barrier
	buffer_gl0_inv
	scratch_load_b64 v[113:114], off, off offset:212
	v_mov_b32_e32 v2, 0
	s_mov_b32 s0, exec_lo
	ds_load_b32 v115, v2 offset:440
	s_waitcnt vmcnt(0) lgkmcnt(0)
	v_fma_f32 v114, v114, v115, 0
	s_delay_alu instid0(VALU_DEP_1)
	v_sub_f32_e32 v113, v113, v114
	scratch_store_b32 off, v113, off offset:212
	v_cmpx_lt_u32_e32 52, v0
	s_cbranch_execz .LBB54_233
; %bb.232:
	scratch_load_b32 v113, off, off offset:208
	scratch_store_b32 off, v2, off offset:208
	s_waitcnt vmcnt(0)
	ds_store_b32 v1, v113
.LBB54_233:
	s_or_b32 exec_lo, exec_lo, s0
	s_waitcnt lgkmcnt(0)
	s_waitcnt_vscnt null, 0x0
	s_barrier
	buffer_gl0_inv
	scratch_load_b96 v[113:115], off, off offset:208
	ds_load_2addr_b32 v[116:117], v2 offset0:109 offset1:110
	s_mov_b32 s0, exec_lo
	s_waitcnt vmcnt(0) lgkmcnt(0)
	v_fma_f32 v2, v114, v116, 0
	s_delay_alu instid0(VALU_DEP_1) | instskip(NEXT) | instid1(VALU_DEP_1)
	v_fmac_f32_e32 v2, v115, v117
	v_sub_f32_e32 v2, v113, v2
	scratch_store_b32 off, v2, off offset:208
	v_cmpx_lt_u32_e32 51, v0
	s_cbranch_execz .LBB54_235
; %bb.234:
	scratch_load_b32 v2, off, off offset:204
	v_mov_b32_e32 v113, 0
	scratch_store_b32 off, v113, off offset:204
	s_waitcnt vmcnt(0)
	ds_store_b32 v1, v2
.LBB54_235:
	s_or_b32 exec_lo, exec_lo, s0
	s_waitcnt lgkmcnt(0)
	s_waitcnt_vscnt null, 0x0
	s_barrier
	buffer_gl0_inv
	scratch_load_b128 v[113:116], off, off offset:204
	v_mov_b32_e32 v2, 0
	s_mov_b32 s0, exec_lo
	ds_load_b96 v[117:119], v2 offset:432
	s_waitcnt vmcnt(0) lgkmcnt(0)
	v_fma_f32 v114, v114, v117, 0
	s_delay_alu instid0(VALU_DEP_1) | instskip(NEXT) | instid1(VALU_DEP_1)
	v_fmac_f32_e32 v114, v115, v118
	v_fmac_f32_e32 v114, v116, v119
	s_delay_alu instid0(VALU_DEP_1)
	v_sub_f32_e32 v113, v113, v114
	scratch_store_b32 off, v113, off offset:204
	v_cmpx_lt_u32_e32 50, v0
	s_cbranch_execz .LBB54_237
; %bb.236:
	scratch_load_b32 v113, off, off offset:200
	scratch_store_b32 off, v2, off offset:200
	s_waitcnt vmcnt(0)
	ds_store_b32 v1, v113
.LBB54_237:
	s_or_b32 exec_lo, exec_lo, s0
	s_waitcnt lgkmcnt(0)
	s_waitcnt_vscnt null, 0x0
	s_barrier
	buffer_gl0_inv
	s_clause 0x1
	scratch_load_b128 v[113:116], off, off offset:200
	scratch_load_b32 v121, off, off offset:216
	ds_load_2addr_b32 v[117:118], v2 offset0:107 offset1:108
	ds_load_2addr_b32 v[119:120], v2 offset0:109 offset1:110
	s_mov_b32 s0, exec_lo
	s_waitcnt vmcnt(1) lgkmcnt(1)
	v_fma_f32 v2, v114, v117, 0
	s_delay_alu instid0(VALU_DEP_1) | instskip(SKIP_1) | instid1(VALU_DEP_1)
	v_fmac_f32_e32 v2, v115, v118
	s_waitcnt lgkmcnt(0)
	v_fmac_f32_e32 v2, v116, v119
	s_waitcnt vmcnt(0)
	s_delay_alu instid0(VALU_DEP_1) | instskip(NEXT) | instid1(VALU_DEP_1)
	v_fmac_f32_e32 v2, v121, v120
	v_sub_f32_e32 v2, v113, v2
	scratch_store_b32 off, v2, off offset:200
	v_cmpx_lt_u32_e32 49, v0
	s_cbranch_execz .LBB54_239
; %bb.238:
	scratch_load_b32 v2, off, off offset:196
	v_mov_b32_e32 v113, 0
	scratch_store_b32 off, v113, off offset:196
	s_waitcnt vmcnt(0)
	ds_store_b32 v1, v2
.LBB54_239:
	s_or_b32 exec_lo, exec_lo, s0
	s_waitcnt lgkmcnt(0)
	s_waitcnt_vscnt null, 0x0
	s_barrier
	buffer_gl0_inv
	s_clause 0x1
	scratch_load_b128 v[113:116], off, off offset:196
	scratch_load_b64 v[121:122], off, off offset:212
	v_mov_b32_e32 v2, 0
	ds_load_2addr_b64 v[117:120], v2 offset0:53 offset1:54
	ds_load_b32 v123, v2 offset:440
	s_mov_b32 s0, exec_lo
	s_waitcnt vmcnt(1) lgkmcnt(1)
	v_fma_f32 v114, v114, v117, 0
	s_delay_alu instid0(VALU_DEP_1) | instskip(NEXT) | instid1(VALU_DEP_1)
	v_fmac_f32_e32 v114, v115, v118
	v_fmac_f32_e32 v114, v116, v119
	s_waitcnt vmcnt(0)
	s_delay_alu instid0(VALU_DEP_1) | instskip(SKIP_1) | instid1(VALU_DEP_1)
	v_fmac_f32_e32 v114, v121, v120
	s_waitcnt lgkmcnt(0)
	v_fmac_f32_e32 v114, v122, v123
	s_delay_alu instid0(VALU_DEP_1)
	v_sub_f32_e32 v113, v113, v114
	scratch_store_b32 off, v113, off offset:196
	v_cmpx_lt_u32_e32 48, v0
	s_cbranch_execz .LBB54_241
; %bb.240:
	scratch_load_b32 v113, off, off offset:192
	scratch_store_b32 off, v2, off offset:192
	s_waitcnt vmcnt(0)
	ds_store_b32 v1, v113
.LBB54_241:
	s_or_b32 exec_lo, exec_lo, s0
	s_waitcnt lgkmcnt(0)
	s_waitcnt_vscnt null, 0x0
	s_barrier
	buffer_gl0_inv
	s_clause 0x1
	scratch_load_b128 v[113:116], off, off offset:192
	scratch_load_b96 v[117:119], off, off offset:208
	ds_load_2addr_b32 v[120:121], v2 offset0:105 offset1:106
	ds_load_2addr_b32 v[122:123], v2 offset0:107 offset1:108
	;; [unrolled: 1-line block ×3, first 2 shown]
	s_mov_b32 s0, exec_lo
	s_waitcnt vmcnt(1) lgkmcnt(2)
	v_fma_f32 v2, v114, v120, 0
	s_delay_alu instid0(VALU_DEP_1) | instskip(SKIP_1) | instid1(VALU_DEP_1)
	v_fmac_f32_e32 v2, v115, v121
	s_waitcnt lgkmcnt(1)
	v_fmac_f32_e32 v2, v116, v122
	s_waitcnt vmcnt(0)
	s_delay_alu instid0(VALU_DEP_1) | instskip(SKIP_1) | instid1(VALU_DEP_1)
	v_fmac_f32_e32 v2, v117, v123
	s_waitcnt lgkmcnt(0)
	v_fmac_f32_e32 v2, v118, v124
	s_delay_alu instid0(VALU_DEP_1) | instskip(NEXT) | instid1(VALU_DEP_1)
	v_fmac_f32_e32 v2, v119, v125
	v_sub_f32_e32 v2, v113, v2
	scratch_store_b32 off, v2, off offset:192
	v_cmpx_lt_u32_e32 47, v0
	s_cbranch_execz .LBB54_243
; %bb.242:
	scratch_load_b32 v2, off, off offset:188
	v_mov_b32_e32 v113, 0
	scratch_store_b32 off, v113, off offset:188
	s_waitcnt vmcnt(0)
	ds_store_b32 v1, v2
.LBB54_243:
	s_or_b32 exec_lo, exec_lo, s0
	s_waitcnt lgkmcnt(0)
	s_waitcnt_vscnt null, 0x0
	s_barrier
	buffer_gl0_inv
	s_clause 0x1
	scratch_load_b128 v[113:116], off, off offset:188
	scratch_load_b128 v[117:120], off, off offset:204
	v_mov_b32_e32 v2, 0
	ds_load_b128 v[121:124], v2 offset:416
	ds_load_b96 v[125:127], v2 offset:432
	s_mov_b32 s0, exec_lo
	s_waitcnt vmcnt(1) lgkmcnt(1)
	v_fma_f32 v114, v114, v121, 0
	s_delay_alu instid0(VALU_DEP_1) | instskip(NEXT) | instid1(VALU_DEP_1)
	v_fmac_f32_e32 v114, v115, v122
	v_fmac_f32_e32 v114, v116, v123
	s_waitcnt vmcnt(0)
	s_delay_alu instid0(VALU_DEP_1) | instskip(SKIP_1) | instid1(VALU_DEP_1)
	v_fmac_f32_e32 v114, v117, v124
	s_waitcnt lgkmcnt(0)
	v_fmac_f32_e32 v114, v118, v125
	s_delay_alu instid0(VALU_DEP_1) | instskip(NEXT) | instid1(VALU_DEP_1)
	v_fmac_f32_e32 v114, v119, v126
	v_fmac_f32_e32 v114, v120, v127
	s_delay_alu instid0(VALU_DEP_1)
	v_sub_f32_e32 v113, v113, v114
	scratch_store_b32 off, v113, off offset:188
	v_cmpx_lt_u32_e32 46, v0
	s_cbranch_execz .LBB54_245
; %bb.244:
	scratch_load_b32 v113, off, off offset:184
	scratch_store_b32 off, v2, off offset:184
	s_waitcnt vmcnt(0)
	ds_store_b32 v1, v113
.LBB54_245:
	s_or_b32 exec_lo, exec_lo, s0
	s_waitcnt lgkmcnt(0)
	s_waitcnt_vscnt null, 0x0
	s_barrier
	buffer_gl0_inv
	s_clause 0x2
	scratch_load_b128 v[113:116], off, off offset:184
	scratch_load_b128 v[117:120], off, off offset:200
	scratch_load_b32 v129, off, off offset:216
	ds_load_2addr_b32 v[121:122], v2 offset0:103 offset1:104
	ds_load_2addr_b32 v[123:124], v2 offset0:105 offset1:106
	;; [unrolled: 1-line block ×4, first 2 shown]
	s_mov_b32 s0, exec_lo
	s_waitcnt vmcnt(2) lgkmcnt(3)
	v_fma_f32 v2, v114, v121, 0
	s_delay_alu instid0(VALU_DEP_1) | instskip(SKIP_1) | instid1(VALU_DEP_1)
	v_fmac_f32_e32 v2, v115, v122
	s_waitcnt lgkmcnt(2)
	v_fmac_f32_e32 v2, v116, v123
	s_waitcnt vmcnt(1)
	s_delay_alu instid0(VALU_DEP_1) | instskip(SKIP_1) | instid1(VALU_DEP_1)
	v_fmac_f32_e32 v2, v117, v124
	s_waitcnt lgkmcnt(1)
	v_fmac_f32_e32 v2, v118, v125
	s_delay_alu instid0(VALU_DEP_1) | instskip(SKIP_1) | instid1(VALU_DEP_1)
	v_fmac_f32_e32 v2, v119, v126
	s_waitcnt lgkmcnt(0)
	v_fmac_f32_e32 v2, v120, v127
	s_waitcnt vmcnt(0)
	s_delay_alu instid0(VALU_DEP_1) | instskip(NEXT) | instid1(VALU_DEP_1)
	v_fmac_f32_e32 v2, v129, v128
	v_sub_f32_e32 v2, v113, v2
	scratch_store_b32 off, v2, off offset:184
	v_cmpx_lt_u32_e32 45, v0
	s_cbranch_execz .LBB54_247
; %bb.246:
	scratch_load_b32 v2, off, off offset:180
	v_mov_b32_e32 v113, 0
	scratch_store_b32 off, v113, off offset:180
	s_waitcnt vmcnt(0)
	ds_store_b32 v1, v2
.LBB54_247:
	s_or_b32 exec_lo, exec_lo, s0
	s_waitcnt lgkmcnt(0)
	s_waitcnt_vscnt null, 0x0
	s_barrier
	buffer_gl0_inv
	s_clause 0x2
	scratch_load_b128 v[113:116], off, off offset:180
	scratch_load_b128 v[117:120], off, off offset:196
	scratch_load_b64 v[129:130], off, off offset:212
	v_mov_b32_e32 v2, 0
	ds_load_2addr_b64 v[121:124], v2 offset0:51 offset1:52
	ds_load_2addr_b64 v[125:128], v2 offset0:53 offset1:54
	s_mov_b32 s0, exec_lo
	s_waitcnt vmcnt(2) lgkmcnt(1)
	v_fma_f32 v114, v114, v121, 0
	s_delay_alu instid0(VALU_DEP_1) | instskip(SKIP_3) | instid1(VALU_DEP_1)
	v_fmac_f32_e32 v114, v115, v122
	ds_load_b32 v115, v2 offset:440
	v_fmac_f32_e32 v114, v116, v123
	s_waitcnt vmcnt(1)
	v_fmac_f32_e32 v114, v117, v124
	s_waitcnt lgkmcnt(1)
	s_delay_alu instid0(VALU_DEP_1) | instskip(NEXT) | instid1(VALU_DEP_1)
	v_fmac_f32_e32 v114, v118, v125
	v_fmac_f32_e32 v114, v119, v126
	s_delay_alu instid0(VALU_DEP_1) | instskip(SKIP_1) | instid1(VALU_DEP_1)
	v_fmac_f32_e32 v114, v120, v127
	s_waitcnt vmcnt(0)
	v_fmac_f32_e32 v114, v129, v128
	s_waitcnt lgkmcnt(0)
	s_delay_alu instid0(VALU_DEP_1) | instskip(NEXT) | instid1(VALU_DEP_1)
	v_fmac_f32_e32 v114, v130, v115
	v_sub_f32_e32 v113, v113, v114
	scratch_store_b32 off, v113, off offset:180
	v_cmpx_lt_u32_e32 44, v0
	s_cbranch_execz .LBB54_249
; %bb.248:
	scratch_load_b32 v113, off, off offset:176
	scratch_store_b32 off, v2, off offset:176
	s_waitcnt vmcnt(0)
	ds_store_b32 v1, v113
.LBB54_249:
	s_or_b32 exec_lo, exec_lo, s0
	s_waitcnt lgkmcnt(0)
	s_waitcnt_vscnt null, 0x0
	s_barrier
	buffer_gl0_inv
	s_clause 0x2
	scratch_load_b128 v[113:116], off, off offset:176
	scratch_load_b128 v[117:120], off, off offset:192
	scratch_load_b96 v[121:123], off, off offset:208
	ds_load_2addr_b32 v[124:125], v2 offset0:101 offset1:102
	ds_load_2addr_b32 v[126:127], v2 offset0:103 offset1:104
	ds_load_2addr_b32 v[128:129], v2 offset0:105 offset1:106
	ds_load_2addr_b32 v[130:131], v2 offset0:107 offset1:108
	s_mov_b32 s0, exec_lo
	s_waitcnt vmcnt(2) lgkmcnt(3)
	v_fma_f32 v124, v114, v124, 0
	s_delay_alu instid0(VALU_DEP_1) | instskip(SKIP_4) | instid1(VALU_DEP_1)
	v_fmac_f32_e32 v124, v115, v125
	ds_load_2addr_b32 v[114:115], v2 offset0:109 offset1:110
	s_waitcnt lgkmcnt(3)
	v_fmac_f32_e32 v124, v116, v126
	s_waitcnt vmcnt(1)
	v_fmac_f32_e32 v124, v117, v127
	s_waitcnt lgkmcnt(2)
	s_delay_alu instid0(VALU_DEP_1) | instskip(NEXT) | instid1(VALU_DEP_1)
	v_fmac_f32_e32 v124, v118, v128
	v_fmac_f32_e32 v124, v119, v129
	s_waitcnt lgkmcnt(1)
	s_delay_alu instid0(VALU_DEP_1) | instskip(SKIP_1) | instid1(VALU_DEP_1)
	v_fmac_f32_e32 v124, v120, v130
	s_waitcnt vmcnt(0)
	v_fmac_f32_e32 v124, v121, v131
	s_waitcnt lgkmcnt(0)
	s_delay_alu instid0(VALU_DEP_1) | instskip(NEXT) | instid1(VALU_DEP_1)
	v_fmac_f32_e32 v124, v122, v114
	v_fmac_f32_e32 v124, v123, v115
	s_delay_alu instid0(VALU_DEP_1)
	v_sub_f32_e32 v2, v113, v124
	scratch_store_b32 off, v2, off offset:176
	v_cmpx_lt_u32_e32 43, v0
	s_cbranch_execz .LBB54_251
; %bb.250:
	scratch_load_b32 v2, off, off offset:172
	v_mov_b32_e32 v113, 0
	scratch_store_b32 off, v113, off offset:172
	s_waitcnt vmcnt(0)
	ds_store_b32 v1, v2
.LBB54_251:
	s_or_b32 exec_lo, exec_lo, s0
	s_waitcnt lgkmcnt(0)
	s_waitcnt_vscnt null, 0x0
	s_barrier
	buffer_gl0_inv
	s_clause 0x2
	scratch_load_b128 v[113:116], off, off offset:172
	scratch_load_b128 v[117:120], off, off offset:188
	;; [unrolled: 1-line block ×3, first 2 shown]
	v_mov_b32_e32 v2, 0
	ds_load_b128 v[125:128], v2 offset:400
	ds_load_b128 v[129:132], v2 offset:416
	s_mov_b32 s0, exec_lo
	s_waitcnt vmcnt(2) lgkmcnt(1)
	v_fma_f32 v125, v114, v125, 0
	s_delay_alu instid0(VALU_DEP_1) | instskip(NEXT) | instid1(VALU_DEP_1)
	v_fmac_f32_e32 v125, v115, v126
	v_fmac_f32_e32 v125, v116, v127
	ds_load_b96 v[114:116], v2 offset:432
	s_waitcnt vmcnt(1)
	v_fmac_f32_e32 v125, v117, v128
	s_waitcnt lgkmcnt(1)
	s_delay_alu instid0(VALU_DEP_1) | instskip(NEXT) | instid1(VALU_DEP_1)
	v_fmac_f32_e32 v125, v118, v129
	v_fmac_f32_e32 v125, v119, v130
	s_delay_alu instid0(VALU_DEP_1) | instskip(SKIP_1) | instid1(VALU_DEP_1)
	v_fmac_f32_e32 v125, v120, v131
	s_waitcnt vmcnt(0)
	v_fmac_f32_e32 v125, v121, v132
	s_waitcnt lgkmcnt(0)
	s_delay_alu instid0(VALU_DEP_1) | instskip(NEXT) | instid1(VALU_DEP_1)
	v_fmac_f32_e32 v125, v122, v114
	v_fmac_f32_e32 v125, v123, v115
	s_delay_alu instid0(VALU_DEP_1) | instskip(NEXT) | instid1(VALU_DEP_1)
	v_fmac_f32_e32 v125, v124, v116
	v_sub_f32_e32 v113, v113, v125
	scratch_store_b32 off, v113, off offset:172
	v_cmpx_lt_u32_e32 42, v0
	s_cbranch_execz .LBB54_253
; %bb.252:
	scratch_load_b32 v113, off, off offset:168
	scratch_store_b32 off, v2, off offset:168
	s_waitcnt vmcnt(0)
	ds_store_b32 v1, v113
.LBB54_253:
	s_or_b32 exec_lo, exec_lo, s0
	s_waitcnt lgkmcnt(0)
	s_waitcnt_vscnt null, 0x0
	s_barrier
	buffer_gl0_inv
	s_clause 0x3
	scratch_load_b128 v[113:116], off, off offset:168
	scratch_load_b128 v[117:120], off, off offset:184
	;; [unrolled: 1-line block ×3, first 2 shown]
	scratch_load_b32 v133, off, off offset:216
	ds_load_2addr_b32 v[125:126], v2 offset0:99 offset1:100
	ds_load_2addr_b32 v[127:128], v2 offset0:101 offset1:102
	;; [unrolled: 1-line block ×4, first 2 shown]
	s_mov_b32 s0, exec_lo
	s_waitcnt vmcnt(3) lgkmcnt(3)
	v_fma_f32 v125, v114, v125, 0
	s_delay_alu instid0(VALU_DEP_1) | instskip(SKIP_4) | instid1(VALU_DEP_1)
	v_fmac_f32_e32 v125, v115, v126
	ds_load_2addr_b32 v[114:115], v2 offset0:107 offset1:108
	s_waitcnt lgkmcnt(3)
	v_fmac_f32_e32 v125, v116, v127
	s_waitcnt vmcnt(2)
	v_fmac_f32_e32 v125, v117, v128
	ds_load_2addr_b32 v[116:117], v2 offset0:109 offset1:110
	s_waitcnt lgkmcnt(3)
	v_fmac_f32_e32 v125, v118, v129
	s_delay_alu instid0(VALU_DEP_1) | instskip(SKIP_1) | instid1(VALU_DEP_1)
	v_fmac_f32_e32 v125, v119, v130
	s_waitcnt lgkmcnt(2)
	v_fmac_f32_e32 v125, v120, v131
	s_waitcnt vmcnt(1)
	s_delay_alu instid0(VALU_DEP_1) | instskip(SKIP_1) | instid1(VALU_DEP_1)
	v_fmac_f32_e32 v125, v121, v132
	s_waitcnt lgkmcnt(1)
	v_fmac_f32_e32 v125, v122, v114
	s_delay_alu instid0(VALU_DEP_1) | instskip(SKIP_1) | instid1(VALU_DEP_1)
	v_fmac_f32_e32 v125, v123, v115
	s_waitcnt lgkmcnt(0)
	v_fmac_f32_e32 v125, v124, v116
	s_waitcnt vmcnt(0)
	s_delay_alu instid0(VALU_DEP_1) | instskip(NEXT) | instid1(VALU_DEP_1)
	v_fmac_f32_e32 v125, v133, v117
	v_sub_f32_e32 v2, v113, v125
	scratch_store_b32 off, v2, off offset:168
	v_cmpx_lt_u32_e32 41, v0
	s_cbranch_execz .LBB54_255
; %bb.254:
	scratch_load_b32 v2, off, off offset:164
	v_mov_b32_e32 v113, 0
	scratch_store_b32 off, v113, off offset:164
	s_waitcnt vmcnt(0)
	ds_store_b32 v1, v2
.LBB54_255:
	s_or_b32 exec_lo, exec_lo, s0
	s_waitcnt lgkmcnt(0)
	s_waitcnt_vscnt null, 0x0
	s_barrier
	buffer_gl0_inv
	s_clause 0x3
	scratch_load_b128 v[113:116], off, off offset:164
	scratch_load_b128 v[117:120], off, off offset:180
	;; [unrolled: 1-line block ×3, first 2 shown]
	scratch_load_b64 v[133:134], off, off offset:212
	v_mov_b32_e32 v2, 0
	ds_load_2addr_b64 v[125:128], v2 offset0:49 offset1:50
	ds_load_2addr_b64 v[129:132], v2 offset0:51 offset1:52
	s_mov_b32 s0, exec_lo
	s_waitcnt vmcnt(3) lgkmcnt(1)
	v_fma_f32 v125, v114, v125, 0
	s_delay_alu instid0(VALU_DEP_1) | instskip(NEXT) | instid1(VALU_DEP_1)
	v_fmac_f32_e32 v125, v115, v126
	v_fmac_f32_e32 v125, v116, v127
	s_waitcnt vmcnt(2)
	s_delay_alu instid0(VALU_DEP_1)
	v_fmac_f32_e32 v125, v117, v128
	ds_load_2addr_b64 v[114:117], v2 offset0:53 offset1:54
	s_waitcnt lgkmcnt(1)
	v_fmac_f32_e32 v125, v118, v129
	ds_load_b32 v118, v2 offset:440
	v_fmac_f32_e32 v125, v119, v130
	s_delay_alu instid0(VALU_DEP_1) | instskip(SKIP_1) | instid1(VALU_DEP_1)
	v_fmac_f32_e32 v125, v120, v131
	s_waitcnt vmcnt(1)
	v_fmac_f32_e32 v125, v121, v132
	s_waitcnt lgkmcnt(1)
	s_delay_alu instid0(VALU_DEP_1) | instskip(NEXT) | instid1(VALU_DEP_1)
	v_fmac_f32_e32 v125, v122, v114
	v_fmac_f32_e32 v125, v123, v115
	s_delay_alu instid0(VALU_DEP_1) | instskip(SKIP_1) | instid1(VALU_DEP_1)
	v_fmac_f32_e32 v125, v124, v116
	s_waitcnt vmcnt(0)
	v_fmac_f32_e32 v125, v133, v117
	s_waitcnt lgkmcnt(0)
	s_delay_alu instid0(VALU_DEP_1) | instskip(NEXT) | instid1(VALU_DEP_1)
	v_fmac_f32_e32 v125, v134, v118
	v_sub_f32_e32 v113, v113, v125
	scratch_store_b32 off, v113, off offset:164
	v_cmpx_lt_u32_e32 40, v0
	s_cbranch_execz .LBB54_257
; %bb.256:
	scratch_load_b32 v113, off, off offset:160
	scratch_store_b32 off, v2, off offset:160
	s_waitcnt vmcnt(0)
	ds_store_b32 v1, v113
.LBB54_257:
	s_or_b32 exec_lo, exec_lo, s0
	s_waitcnt lgkmcnt(0)
	s_waitcnt_vscnt null, 0x0
	s_barrier
	buffer_gl0_inv
	s_clause 0x3
	scratch_load_b128 v[113:116], off, off offset:160
	scratch_load_b128 v[117:120], off, off offset:176
	scratch_load_b128 v[121:124], off, off offset:192
	scratch_load_b96 v[125:127], off, off offset:208
	ds_load_2addr_b32 v[128:129], v2 offset0:97 offset1:98
	ds_load_2addr_b32 v[130:131], v2 offset0:99 offset1:100
	;; [unrolled: 1-line block ×4, first 2 shown]
	s_mov_b32 s0, exec_lo
	s_waitcnt vmcnt(3) lgkmcnt(3)
	v_fma_f32 v128, v114, v128, 0
	s_delay_alu instid0(VALU_DEP_1) | instskip(SKIP_4) | instid1(VALU_DEP_1)
	v_fmac_f32_e32 v128, v115, v129
	ds_load_2addr_b32 v[114:115], v2 offset0:105 offset1:106
	s_waitcnt lgkmcnt(3)
	v_fmac_f32_e32 v128, v116, v130
	s_waitcnt vmcnt(2)
	v_fmac_f32_e32 v128, v117, v131
	ds_load_2addr_b32 v[116:117], v2 offset0:107 offset1:108
	s_waitcnt lgkmcnt(3)
	v_fmac_f32_e32 v128, v118, v132
	s_delay_alu instid0(VALU_DEP_1) | instskip(SKIP_4) | instid1(VALU_DEP_1)
	v_fmac_f32_e32 v128, v119, v133
	ds_load_2addr_b32 v[118:119], v2 offset0:109 offset1:110
	s_waitcnt lgkmcnt(3)
	v_fmac_f32_e32 v128, v120, v134
	s_waitcnt vmcnt(1)
	v_fmac_f32_e32 v128, v121, v135
	s_waitcnt lgkmcnt(2)
	s_delay_alu instid0(VALU_DEP_1) | instskip(NEXT) | instid1(VALU_DEP_1)
	v_fmac_f32_e32 v128, v122, v114
	v_fmac_f32_e32 v128, v123, v115
	s_waitcnt lgkmcnt(1)
	s_delay_alu instid0(VALU_DEP_1) | instskip(SKIP_1) | instid1(VALU_DEP_1)
	v_fmac_f32_e32 v128, v124, v116
	s_waitcnt vmcnt(0)
	v_fmac_f32_e32 v128, v125, v117
	s_waitcnt lgkmcnt(0)
	s_delay_alu instid0(VALU_DEP_1) | instskip(NEXT) | instid1(VALU_DEP_1)
	v_fmac_f32_e32 v128, v126, v118
	v_fmac_f32_e32 v128, v127, v119
	s_delay_alu instid0(VALU_DEP_1)
	v_sub_f32_e32 v2, v113, v128
	scratch_store_b32 off, v2, off offset:160
	v_cmpx_lt_u32_e32 39, v0
	s_cbranch_execz .LBB54_259
; %bb.258:
	scratch_load_b32 v2, off, off offset:156
	v_mov_b32_e32 v113, 0
	scratch_store_b32 off, v113, off offset:156
	s_waitcnt vmcnt(0)
	ds_store_b32 v1, v2
.LBB54_259:
	s_or_b32 exec_lo, exec_lo, s0
	s_waitcnt lgkmcnt(0)
	s_waitcnt_vscnt null, 0x0
	s_barrier
	buffer_gl0_inv
	s_clause 0x3
	scratch_load_b128 v[113:116], off, off offset:156
	scratch_load_b128 v[117:120], off, off offset:172
	;; [unrolled: 1-line block ×4, first 2 shown]
	v_mov_b32_e32 v2, 0
	ds_load_b128 v[129:132], v2 offset:384
	ds_load_b128 v[133:136], v2 offset:400
	s_mov_b32 s0, exec_lo
	s_waitcnt vmcnt(3) lgkmcnt(1)
	v_fma_f32 v129, v114, v129, 0
	s_delay_alu instid0(VALU_DEP_1) | instskip(NEXT) | instid1(VALU_DEP_1)
	v_fmac_f32_e32 v129, v115, v130
	v_fmac_f32_e32 v129, v116, v131
	s_waitcnt vmcnt(2)
	s_delay_alu instid0(VALU_DEP_1) | instskip(SKIP_3) | instid1(VALU_DEP_1)
	v_fmac_f32_e32 v129, v117, v132
	ds_load_b128 v[114:117], v2 offset:416
	s_waitcnt lgkmcnt(1)
	v_fmac_f32_e32 v129, v118, v133
	v_fmac_f32_e32 v129, v119, v134
	s_delay_alu instid0(VALU_DEP_1) | instskip(SKIP_4) | instid1(VALU_DEP_1)
	v_fmac_f32_e32 v129, v120, v135
	ds_load_b96 v[118:120], v2 offset:432
	s_waitcnt vmcnt(1)
	v_fmac_f32_e32 v129, v121, v136
	s_waitcnt lgkmcnt(1)
	v_fmac_f32_e32 v129, v122, v114
	s_delay_alu instid0(VALU_DEP_1) | instskip(NEXT) | instid1(VALU_DEP_1)
	v_fmac_f32_e32 v129, v123, v115
	v_fmac_f32_e32 v129, v124, v116
	s_waitcnt vmcnt(0)
	s_delay_alu instid0(VALU_DEP_1) | instskip(SKIP_1) | instid1(VALU_DEP_1)
	v_fmac_f32_e32 v129, v125, v117
	s_waitcnt lgkmcnt(0)
	v_fmac_f32_e32 v129, v126, v118
	s_delay_alu instid0(VALU_DEP_1) | instskip(NEXT) | instid1(VALU_DEP_1)
	v_fmac_f32_e32 v129, v127, v119
	v_fmac_f32_e32 v129, v128, v120
	s_delay_alu instid0(VALU_DEP_1)
	v_sub_f32_e32 v113, v113, v129
	scratch_store_b32 off, v113, off offset:156
	v_cmpx_lt_u32_e32 38, v0
	s_cbranch_execz .LBB54_261
; %bb.260:
	scratch_load_b32 v113, off, off offset:152
	scratch_store_b32 off, v2, off offset:152
	s_waitcnt vmcnt(0)
	ds_store_b32 v1, v113
.LBB54_261:
	s_or_b32 exec_lo, exec_lo, s0
	s_waitcnt lgkmcnt(0)
	s_waitcnt_vscnt null, 0x0
	s_barrier
	buffer_gl0_inv
	s_clause 0x4
	scratch_load_b128 v[113:116], off, off offset:152
	scratch_load_b128 v[117:120], off, off offset:168
	;; [unrolled: 1-line block ×4, first 2 shown]
	scratch_load_b32 v137, off, off offset:216
	ds_load_2addr_b32 v[129:130], v2 offset0:95 offset1:96
	ds_load_2addr_b32 v[131:132], v2 offset0:97 offset1:98
	;; [unrolled: 1-line block ×4, first 2 shown]
	s_mov_b32 s0, exec_lo
	s_waitcnt vmcnt(4) lgkmcnt(3)
	v_fma_f32 v129, v114, v129, 0
	s_delay_alu instid0(VALU_DEP_1) | instskip(SKIP_4) | instid1(VALU_DEP_1)
	v_fmac_f32_e32 v129, v115, v130
	ds_load_2addr_b32 v[114:115], v2 offset0:103 offset1:104
	s_waitcnt lgkmcnt(3)
	v_fmac_f32_e32 v129, v116, v131
	s_waitcnt vmcnt(3)
	v_fmac_f32_e32 v129, v117, v132
	ds_load_2addr_b32 v[116:117], v2 offset0:105 offset1:106
	s_waitcnt lgkmcnt(3)
	v_fmac_f32_e32 v129, v118, v133
	s_delay_alu instid0(VALU_DEP_1) | instskip(SKIP_1) | instid1(VALU_DEP_1)
	v_fmac_f32_e32 v129, v119, v134
	s_waitcnt lgkmcnt(2)
	v_fmac_f32_e32 v129, v120, v135
	s_waitcnt vmcnt(2)
	s_delay_alu instid0(VALU_DEP_1) | instskip(SKIP_4) | instid1(VALU_DEP_1)
	v_fmac_f32_e32 v129, v121, v136
	ds_load_2addr_b32 v[118:119], v2 offset0:107 offset1:108
	ds_load_2addr_b32 v[120:121], v2 offset0:109 offset1:110
	s_waitcnt lgkmcnt(3)
	v_fmac_f32_e32 v129, v122, v114
	v_fmac_f32_e32 v129, v123, v115
	s_waitcnt lgkmcnt(2)
	s_delay_alu instid0(VALU_DEP_1) | instskip(SKIP_1) | instid1(VALU_DEP_1)
	v_fmac_f32_e32 v129, v124, v116
	s_waitcnt vmcnt(1)
	v_fmac_f32_e32 v129, v125, v117
	s_waitcnt lgkmcnt(1)
	s_delay_alu instid0(VALU_DEP_1) | instskip(NEXT) | instid1(VALU_DEP_1)
	v_fmac_f32_e32 v129, v126, v118
	v_fmac_f32_e32 v129, v127, v119
	s_waitcnt lgkmcnt(0)
	s_delay_alu instid0(VALU_DEP_1) | instskip(SKIP_1) | instid1(VALU_DEP_1)
	v_fmac_f32_e32 v129, v128, v120
	s_waitcnt vmcnt(0)
	v_fmac_f32_e32 v129, v137, v121
	s_delay_alu instid0(VALU_DEP_1)
	v_sub_f32_e32 v2, v113, v129
	scratch_store_b32 off, v2, off offset:152
	v_cmpx_lt_u32_e32 37, v0
	s_cbranch_execz .LBB54_263
; %bb.262:
	scratch_load_b32 v2, off, off offset:148
	v_mov_b32_e32 v113, 0
	scratch_store_b32 off, v113, off offset:148
	s_waitcnt vmcnt(0)
	ds_store_b32 v1, v2
.LBB54_263:
	s_or_b32 exec_lo, exec_lo, s0
	s_waitcnt lgkmcnt(0)
	s_waitcnt_vscnt null, 0x0
	s_barrier
	buffer_gl0_inv
	s_clause 0x4
	scratch_load_b128 v[113:116], off, off offset:148
	scratch_load_b128 v[117:120], off, off offset:164
	;; [unrolled: 1-line block ×4, first 2 shown]
	scratch_load_b64 v[137:138], off, off offset:212
	v_mov_b32_e32 v2, 0
	ds_load_2addr_b64 v[129:132], v2 offset0:47 offset1:48
	ds_load_2addr_b64 v[133:136], v2 offset0:49 offset1:50
	s_mov_b32 s0, exec_lo
	s_waitcnt vmcnt(4) lgkmcnt(1)
	v_fma_f32 v129, v114, v129, 0
	s_delay_alu instid0(VALU_DEP_1) | instskip(NEXT) | instid1(VALU_DEP_1)
	v_fmac_f32_e32 v129, v115, v130
	v_fmac_f32_e32 v129, v116, v131
	s_waitcnt vmcnt(3)
	s_delay_alu instid0(VALU_DEP_1) | instskip(SKIP_3) | instid1(VALU_DEP_1)
	v_fmac_f32_e32 v129, v117, v132
	ds_load_2addr_b64 v[114:117], v2 offset0:51 offset1:52
	s_waitcnt lgkmcnt(1)
	v_fmac_f32_e32 v129, v118, v133
	v_fmac_f32_e32 v129, v119, v134
	s_delay_alu instid0(VALU_DEP_1) | instskip(SKIP_1) | instid1(VALU_DEP_1)
	v_fmac_f32_e32 v129, v120, v135
	s_waitcnt vmcnt(2)
	v_fmac_f32_e32 v129, v121, v136
	ds_load_2addr_b64 v[118:121], v2 offset0:53 offset1:54
	s_waitcnt lgkmcnt(1)
	v_fmac_f32_e32 v129, v122, v114
	ds_load_b32 v114, v2 offset:440
	v_fmac_f32_e32 v129, v123, v115
	s_delay_alu instid0(VALU_DEP_1) | instskip(SKIP_1) | instid1(VALU_DEP_1)
	v_fmac_f32_e32 v129, v124, v116
	s_waitcnt vmcnt(1)
	v_fmac_f32_e32 v129, v125, v117
	s_waitcnt lgkmcnt(1)
	s_delay_alu instid0(VALU_DEP_1) | instskip(NEXT) | instid1(VALU_DEP_1)
	v_fmac_f32_e32 v129, v126, v118
	v_fmac_f32_e32 v129, v127, v119
	s_delay_alu instid0(VALU_DEP_1) | instskip(SKIP_1) | instid1(VALU_DEP_1)
	v_fmac_f32_e32 v129, v128, v120
	s_waitcnt vmcnt(0)
	v_fmac_f32_e32 v129, v137, v121
	s_waitcnt lgkmcnt(0)
	s_delay_alu instid0(VALU_DEP_1) | instskip(NEXT) | instid1(VALU_DEP_1)
	v_fmac_f32_e32 v129, v138, v114
	v_sub_f32_e32 v113, v113, v129
	scratch_store_b32 off, v113, off offset:148
	v_cmpx_lt_u32_e32 36, v0
	s_cbranch_execz .LBB54_265
; %bb.264:
	scratch_load_b32 v113, off, off offset:144
	scratch_store_b32 off, v2, off offset:144
	s_waitcnt vmcnt(0)
	ds_store_b32 v1, v113
.LBB54_265:
	s_or_b32 exec_lo, exec_lo, s0
	s_waitcnt lgkmcnt(0)
	s_waitcnt_vscnt null, 0x0
	s_barrier
	buffer_gl0_inv
	s_clause 0x4
	scratch_load_b128 v[113:116], off, off offset:144
	scratch_load_b128 v[117:120], off, off offset:160
	;; [unrolled: 1-line block ×4, first 2 shown]
	scratch_load_b96 v[129:131], off, off offset:208
	ds_load_2addr_b32 v[132:133], v2 offset0:93 offset1:94
	ds_load_2addr_b32 v[134:135], v2 offset0:95 offset1:96
	;; [unrolled: 1-line block ×4, first 2 shown]
	s_mov_b32 s0, exec_lo
	s_waitcnt vmcnt(4) lgkmcnt(3)
	v_fma_f32 v132, v114, v132, 0
	s_delay_alu instid0(VALU_DEP_1) | instskip(SKIP_4) | instid1(VALU_DEP_1)
	v_fmac_f32_e32 v132, v115, v133
	ds_load_2addr_b32 v[114:115], v2 offset0:101 offset1:102
	s_waitcnt lgkmcnt(3)
	v_fmac_f32_e32 v132, v116, v134
	s_waitcnt vmcnt(3)
	v_fmac_f32_e32 v132, v117, v135
	ds_load_2addr_b32 v[116:117], v2 offset0:103 offset1:104
	s_waitcnt lgkmcnt(3)
	v_fmac_f32_e32 v132, v118, v136
	s_delay_alu instid0(VALU_DEP_1) | instskip(SKIP_1) | instid1(VALU_DEP_1)
	v_fmac_f32_e32 v132, v119, v137
	s_waitcnt lgkmcnt(2)
	v_fmac_f32_e32 v132, v120, v138
	s_waitcnt vmcnt(2)
	s_delay_alu instid0(VALU_DEP_1) | instskip(SKIP_4) | instid1(VALU_DEP_1)
	v_fmac_f32_e32 v132, v121, v139
	ds_load_2addr_b32 v[118:119], v2 offset0:105 offset1:106
	ds_load_2addr_b32 v[120:121], v2 offset0:107 offset1:108
	s_waitcnt lgkmcnt(3)
	v_fmac_f32_e32 v132, v122, v114
	v_fmac_f32_e32 v132, v123, v115
	ds_load_2addr_b32 v[114:115], v2 offset0:109 offset1:110
	s_waitcnt lgkmcnt(3)
	v_fmac_f32_e32 v132, v124, v116
	s_waitcnt vmcnt(1)
	s_delay_alu instid0(VALU_DEP_1) | instskip(SKIP_1) | instid1(VALU_DEP_1)
	v_fmac_f32_e32 v132, v125, v117
	s_waitcnt lgkmcnt(2)
	v_fmac_f32_e32 v132, v126, v118
	s_delay_alu instid0(VALU_DEP_1) | instskip(SKIP_1) | instid1(VALU_DEP_1)
	v_fmac_f32_e32 v132, v127, v119
	s_waitcnt lgkmcnt(1)
	v_fmac_f32_e32 v132, v128, v120
	s_waitcnt vmcnt(0)
	s_delay_alu instid0(VALU_DEP_1) | instskip(SKIP_1) | instid1(VALU_DEP_1)
	v_fmac_f32_e32 v132, v129, v121
	s_waitcnt lgkmcnt(0)
	v_fmac_f32_e32 v132, v130, v114
	s_delay_alu instid0(VALU_DEP_1) | instskip(NEXT) | instid1(VALU_DEP_1)
	v_fmac_f32_e32 v132, v131, v115
	v_sub_f32_e32 v2, v113, v132
	scratch_store_b32 off, v2, off offset:144
	v_cmpx_lt_u32_e32 35, v0
	s_cbranch_execz .LBB54_267
; %bb.266:
	scratch_load_b32 v2, off, off offset:140
	v_mov_b32_e32 v113, 0
	scratch_store_b32 off, v113, off offset:140
	s_waitcnt vmcnt(0)
	ds_store_b32 v1, v2
.LBB54_267:
	s_or_b32 exec_lo, exec_lo, s0
	s_waitcnt lgkmcnt(0)
	s_waitcnt_vscnt null, 0x0
	s_barrier
	buffer_gl0_inv
	s_clause 0x4
	scratch_load_b128 v[113:116], off, off offset:140
	scratch_load_b128 v[117:120], off, off offset:156
	;; [unrolled: 1-line block ×5, first 2 shown]
	v_mov_b32_e32 v2, 0
	ds_load_b128 v[133:136], v2 offset:368
	ds_load_b128 v[137:140], v2 offset:384
	s_mov_b32 s0, exec_lo
	s_waitcnt vmcnt(4) lgkmcnt(1)
	v_fma_f32 v133, v114, v133, 0
	s_delay_alu instid0(VALU_DEP_1) | instskip(NEXT) | instid1(VALU_DEP_1)
	v_fmac_f32_e32 v133, v115, v134
	v_fmac_f32_e32 v133, v116, v135
	s_waitcnt vmcnt(3)
	s_delay_alu instid0(VALU_DEP_1) | instskip(SKIP_3) | instid1(VALU_DEP_1)
	v_fmac_f32_e32 v133, v117, v136
	ds_load_b128 v[114:117], v2 offset:400
	s_waitcnt lgkmcnt(1)
	v_fmac_f32_e32 v133, v118, v137
	v_fmac_f32_e32 v133, v119, v138
	s_delay_alu instid0(VALU_DEP_1) | instskip(SKIP_1) | instid1(VALU_DEP_1)
	v_fmac_f32_e32 v133, v120, v139
	s_waitcnt vmcnt(2)
	v_fmac_f32_e32 v133, v121, v140
	ds_load_b128 v[118:121], v2 offset:416
	s_waitcnt lgkmcnt(1)
	v_fmac_f32_e32 v133, v122, v114
	s_delay_alu instid0(VALU_DEP_1) | instskip(NEXT) | instid1(VALU_DEP_1)
	v_fmac_f32_e32 v133, v123, v115
	v_fmac_f32_e32 v133, v124, v116
	ds_load_b96 v[114:116], v2 offset:432
	s_waitcnt vmcnt(1)
	v_fmac_f32_e32 v133, v125, v117
	s_waitcnt lgkmcnt(1)
	s_delay_alu instid0(VALU_DEP_1) | instskip(NEXT) | instid1(VALU_DEP_1)
	v_fmac_f32_e32 v133, v126, v118
	v_fmac_f32_e32 v133, v127, v119
	s_delay_alu instid0(VALU_DEP_1) | instskip(SKIP_1) | instid1(VALU_DEP_1)
	v_fmac_f32_e32 v133, v128, v120
	s_waitcnt vmcnt(0)
	v_fmac_f32_e32 v133, v129, v121
	s_waitcnt lgkmcnt(0)
	s_delay_alu instid0(VALU_DEP_1) | instskip(NEXT) | instid1(VALU_DEP_1)
	v_fmac_f32_e32 v133, v130, v114
	v_fmac_f32_e32 v133, v131, v115
	s_delay_alu instid0(VALU_DEP_1) | instskip(NEXT) | instid1(VALU_DEP_1)
	v_fmac_f32_e32 v133, v132, v116
	v_sub_f32_e32 v113, v113, v133
	scratch_store_b32 off, v113, off offset:140
	v_cmpx_lt_u32_e32 34, v0
	s_cbranch_execz .LBB54_269
; %bb.268:
	scratch_load_b32 v113, off, off offset:136
	scratch_store_b32 off, v2, off offset:136
	s_waitcnt vmcnt(0)
	ds_store_b32 v1, v113
.LBB54_269:
	s_or_b32 exec_lo, exec_lo, s0
	s_waitcnt lgkmcnt(0)
	s_waitcnt_vscnt null, 0x0
	s_barrier
	buffer_gl0_inv
	s_clause 0x5
	scratch_load_b128 v[113:116], off, off offset:136
	scratch_load_b128 v[117:120], off, off offset:152
	;; [unrolled: 1-line block ×5, first 2 shown]
	scratch_load_b32 v141, off, off offset:216
	ds_load_2addr_b32 v[133:134], v2 offset0:91 offset1:92
	ds_load_2addr_b32 v[135:136], v2 offset0:93 offset1:94
	;; [unrolled: 1-line block ×4, first 2 shown]
	s_mov_b32 s0, exec_lo
	s_waitcnt vmcnt(5) lgkmcnt(3)
	v_fma_f32 v133, v114, v133, 0
	s_delay_alu instid0(VALU_DEP_1) | instskip(SKIP_4) | instid1(VALU_DEP_1)
	v_fmac_f32_e32 v133, v115, v134
	ds_load_2addr_b32 v[114:115], v2 offset0:99 offset1:100
	s_waitcnt lgkmcnt(3)
	v_fmac_f32_e32 v133, v116, v135
	s_waitcnt vmcnt(4)
	v_fmac_f32_e32 v133, v117, v136
	ds_load_2addr_b32 v[116:117], v2 offset0:101 offset1:102
	s_waitcnt lgkmcnt(3)
	v_fmac_f32_e32 v133, v118, v137
	s_delay_alu instid0(VALU_DEP_1) | instskip(SKIP_1) | instid1(VALU_DEP_1)
	v_fmac_f32_e32 v133, v119, v138
	s_waitcnt lgkmcnt(2)
	v_fmac_f32_e32 v133, v120, v139
	s_waitcnt vmcnt(3)
	s_delay_alu instid0(VALU_DEP_1) | instskip(SKIP_4) | instid1(VALU_DEP_1)
	v_fmac_f32_e32 v133, v121, v140
	ds_load_2addr_b32 v[118:119], v2 offset0:103 offset1:104
	ds_load_2addr_b32 v[120:121], v2 offset0:105 offset1:106
	s_waitcnt lgkmcnt(3)
	v_fmac_f32_e32 v133, v122, v114
	v_fmac_f32_e32 v133, v123, v115
	ds_load_2addr_b32 v[114:115], v2 offset0:107 offset1:108
	s_waitcnt lgkmcnt(3)
	v_fmac_f32_e32 v133, v124, v116
	s_waitcnt vmcnt(2)
	s_delay_alu instid0(VALU_DEP_1) | instskip(SKIP_3) | instid1(VALU_DEP_1)
	v_fmac_f32_e32 v133, v125, v117
	ds_load_2addr_b32 v[116:117], v2 offset0:109 offset1:110
	s_waitcnt lgkmcnt(3)
	v_fmac_f32_e32 v133, v126, v118
	v_fmac_f32_e32 v133, v127, v119
	s_waitcnt lgkmcnt(2)
	s_delay_alu instid0(VALU_DEP_1) | instskip(SKIP_1) | instid1(VALU_DEP_1)
	v_fmac_f32_e32 v133, v128, v120
	s_waitcnt vmcnt(1)
	v_fmac_f32_e32 v133, v129, v121
	s_waitcnt lgkmcnt(1)
	s_delay_alu instid0(VALU_DEP_1) | instskip(NEXT) | instid1(VALU_DEP_1)
	v_fmac_f32_e32 v133, v130, v114
	v_fmac_f32_e32 v133, v131, v115
	s_waitcnt lgkmcnt(0)
	s_delay_alu instid0(VALU_DEP_1) | instskip(SKIP_1) | instid1(VALU_DEP_1)
	v_fmac_f32_e32 v133, v132, v116
	s_waitcnt vmcnt(0)
	v_fmac_f32_e32 v133, v141, v117
	s_delay_alu instid0(VALU_DEP_1)
	v_sub_f32_e32 v2, v113, v133
	scratch_store_b32 off, v2, off offset:136
	v_cmpx_lt_u32_e32 33, v0
	s_cbranch_execz .LBB54_271
; %bb.270:
	scratch_load_b32 v2, off, off offset:132
	v_mov_b32_e32 v113, 0
	scratch_store_b32 off, v113, off offset:132
	s_waitcnt vmcnt(0)
	ds_store_b32 v1, v2
.LBB54_271:
	s_or_b32 exec_lo, exec_lo, s0
	s_waitcnt lgkmcnt(0)
	s_waitcnt_vscnt null, 0x0
	s_barrier
	buffer_gl0_inv
	s_clause 0x5
	scratch_load_b128 v[113:116], off, off offset:132
	scratch_load_b128 v[117:120], off, off offset:148
	;; [unrolled: 1-line block ×5, first 2 shown]
	scratch_load_b64 v[141:142], off, off offset:212
	v_mov_b32_e32 v2, 0
	ds_load_2addr_b64 v[133:136], v2 offset0:45 offset1:46
	ds_load_2addr_b64 v[137:140], v2 offset0:47 offset1:48
	s_mov_b32 s0, exec_lo
	s_waitcnt vmcnt(5) lgkmcnt(1)
	v_fma_f32 v133, v114, v133, 0
	s_delay_alu instid0(VALU_DEP_1) | instskip(NEXT) | instid1(VALU_DEP_1)
	v_fmac_f32_e32 v133, v115, v134
	v_fmac_f32_e32 v133, v116, v135
	s_waitcnt vmcnt(4)
	s_delay_alu instid0(VALU_DEP_1) | instskip(SKIP_3) | instid1(VALU_DEP_1)
	v_fmac_f32_e32 v133, v117, v136
	ds_load_2addr_b64 v[114:117], v2 offset0:49 offset1:50
	s_waitcnt lgkmcnt(1)
	v_fmac_f32_e32 v133, v118, v137
	v_fmac_f32_e32 v133, v119, v138
	s_delay_alu instid0(VALU_DEP_1) | instskip(SKIP_1) | instid1(VALU_DEP_1)
	v_fmac_f32_e32 v133, v120, v139
	s_waitcnt vmcnt(3)
	v_fmac_f32_e32 v133, v121, v140
	ds_load_2addr_b64 v[118:121], v2 offset0:51 offset1:52
	s_waitcnt lgkmcnt(1)
	v_fmac_f32_e32 v133, v122, v114
	s_delay_alu instid0(VALU_DEP_1) | instskip(NEXT) | instid1(VALU_DEP_1)
	v_fmac_f32_e32 v133, v123, v115
	v_fmac_f32_e32 v133, v124, v116
	s_waitcnt vmcnt(2)
	s_delay_alu instid0(VALU_DEP_1)
	v_fmac_f32_e32 v133, v125, v117
	ds_load_2addr_b64 v[114:117], v2 offset0:53 offset1:54
	s_waitcnt lgkmcnt(1)
	v_fmac_f32_e32 v133, v126, v118
	ds_load_b32 v118, v2 offset:440
	v_fmac_f32_e32 v133, v127, v119
	s_delay_alu instid0(VALU_DEP_1) | instskip(SKIP_1) | instid1(VALU_DEP_1)
	v_fmac_f32_e32 v133, v128, v120
	s_waitcnt vmcnt(1)
	v_fmac_f32_e32 v133, v129, v121
	s_waitcnt lgkmcnt(1)
	s_delay_alu instid0(VALU_DEP_1) | instskip(NEXT) | instid1(VALU_DEP_1)
	v_fmac_f32_e32 v133, v130, v114
	v_fmac_f32_e32 v133, v131, v115
	s_delay_alu instid0(VALU_DEP_1) | instskip(SKIP_1) | instid1(VALU_DEP_1)
	v_fmac_f32_e32 v133, v132, v116
	s_waitcnt vmcnt(0)
	v_fmac_f32_e32 v133, v141, v117
	s_waitcnt lgkmcnt(0)
	s_delay_alu instid0(VALU_DEP_1) | instskip(NEXT) | instid1(VALU_DEP_1)
	v_fmac_f32_e32 v133, v142, v118
	v_sub_f32_e32 v113, v113, v133
	scratch_store_b32 off, v113, off offset:132
	v_cmpx_lt_u32_e32 32, v0
	s_cbranch_execz .LBB54_273
; %bb.272:
	scratch_load_b32 v113, off, off offset:128
	scratch_store_b32 off, v2, off offset:128
	s_waitcnt vmcnt(0)
	ds_store_b32 v1, v113
.LBB54_273:
	s_or_b32 exec_lo, exec_lo, s0
	s_waitcnt lgkmcnt(0)
	s_waitcnt_vscnt null, 0x0
	s_barrier
	buffer_gl0_inv
	s_clause 0x5
	scratch_load_b128 v[113:116], off, off offset:128
	scratch_load_b128 v[117:120], off, off offset:144
	;; [unrolled: 1-line block ×5, first 2 shown]
	scratch_load_b96 v[133:135], off, off offset:208
	ds_load_2addr_b32 v[136:137], v2 offset0:89 offset1:90
	ds_load_2addr_b32 v[138:139], v2 offset0:91 offset1:92
	;; [unrolled: 1-line block ×4, first 2 shown]
	s_mov_b32 s0, exec_lo
	s_waitcnt vmcnt(5) lgkmcnt(3)
	v_fma_f32 v136, v114, v136, 0
	s_delay_alu instid0(VALU_DEP_1) | instskip(SKIP_4) | instid1(VALU_DEP_1)
	v_fmac_f32_e32 v136, v115, v137
	ds_load_2addr_b32 v[114:115], v2 offset0:97 offset1:98
	s_waitcnt lgkmcnt(3)
	v_fmac_f32_e32 v136, v116, v138
	s_waitcnt vmcnt(4)
	v_fmac_f32_e32 v136, v117, v139
	ds_load_2addr_b32 v[116:117], v2 offset0:99 offset1:100
	s_waitcnt lgkmcnt(3)
	v_fmac_f32_e32 v136, v118, v140
	s_delay_alu instid0(VALU_DEP_1) | instskip(SKIP_1) | instid1(VALU_DEP_1)
	v_fmac_f32_e32 v136, v119, v141
	s_waitcnt lgkmcnt(2)
	v_fmac_f32_e32 v136, v120, v142
	s_waitcnt vmcnt(3)
	s_delay_alu instid0(VALU_DEP_1) | instskip(SKIP_4) | instid1(VALU_DEP_1)
	v_fmac_f32_e32 v136, v121, v143
	ds_load_2addr_b32 v[118:119], v2 offset0:101 offset1:102
	ds_load_2addr_b32 v[120:121], v2 offset0:103 offset1:104
	s_waitcnt lgkmcnt(3)
	v_fmac_f32_e32 v136, v122, v114
	v_fmac_f32_e32 v136, v123, v115
	ds_load_2addr_b32 v[114:115], v2 offset0:105 offset1:106
	s_waitcnt lgkmcnt(3)
	v_fmac_f32_e32 v136, v124, v116
	s_waitcnt vmcnt(2)
	s_delay_alu instid0(VALU_DEP_1) | instskip(SKIP_3) | instid1(VALU_DEP_1)
	v_fmac_f32_e32 v136, v125, v117
	ds_load_2addr_b32 v[116:117], v2 offset0:107 offset1:108
	s_waitcnt lgkmcnt(3)
	v_fmac_f32_e32 v136, v126, v118
	v_fmac_f32_e32 v136, v127, v119
	ds_load_2addr_b32 v[118:119], v2 offset0:109 offset1:110
	s_waitcnt lgkmcnt(3)
	v_fmac_f32_e32 v136, v128, v120
	s_waitcnt vmcnt(1)
	s_delay_alu instid0(VALU_DEP_1) | instskip(SKIP_1) | instid1(VALU_DEP_1)
	v_fmac_f32_e32 v136, v129, v121
	s_waitcnt lgkmcnt(2)
	v_fmac_f32_e32 v136, v130, v114
	s_delay_alu instid0(VALU_DEP_1) | instskip(SKIP_1) | instid1(VALU_DEP_1)
	v_fmac_f32_e32 v136, v131, v115
	s_waitcnt lgkmcnt(1)
	v_fmac_f32_e32 v136, v132, v116
	s_waitcnt vmcnt(0)
	s_delay_alu instid0(VALU_DEP_1) | instskip(SKIP_1) | instid1(VALU_DEP_1)
	v_fmac_f32_e32 v136, v133, v117
	s_waitcnt lgkmcnt(0)
	v_fmac_f32_e32 v136, v134, v118
	s_delay_alu instid0(VALU_DEP_1) | instskip(NEXT) | instid1(VALU_DEP_1)
	v_fmac_f32_e32 v136, v135, v119
	v_sub_f32_e32 v2, v113, v136
	scratch_store_b32 off, v2, off offset:128
	v_cmpx_lt_u32_e32 31, v0
	s_cbranch_execz .LBB54_275
; %bb.274:
	scratch_load_b32 v2, off, off offset:124
	v_mov_b32_e32 v113, 0
	scratch_store_b32 off, v113, off offset:124
	s_waitcnt vmcnt(0)
	ds_store_b32 v1, v2
.LBB54_275:
	s_or_b32 exec_lo, exec_lo, s0
	s_waitcnt lgkmcnt(0)
	s_waitcnt_vscnt null, 0x0
	s_barrier
	buffer_gl0_inv
	s_clause 0x5
	scratch_load_b128 v[113:116], off, off offset:124
	scratch_load_b128 v[117:120], off, off offset:140
	;; [unrolled: 1-line block ×6, first 2 shown]
	v_mov_b32_e32 v2, 0
	ds_load_b128 v[137:140], v2 offset:352
	ds_load_b128 v[141:144], v2 offset:368
	s_mov_b32 s0, exec_lo
	s_waitcnt vmcnt(5) lgkmcnt(1)
	v_fma_f32 v137, v114, v137, 0
	s_delay_alu instid0(VALU_DEP_1) | instskip(NEXT) | instid1(VALU_DEP_1)
	v_fmac_f32_e32 v137, v115, v138
	v_fmac_f32_e32 v137, v116, v139
	s_waitcnt vmcnt(4)
	s_delay_alu instid0(VALU_DEP_1) | instskip(SKIP_3) | instid1(VALU_DEP_1)
	v_fmac_f32_e32 v137, v117, v140
	ds_load_b128 v[114:117], v2 offset:384
	s_waitcnt lgkmcnt(1)
	v_fmac_f32_e32 v137, v118, v141
	v_fmac_f32_e32 v137, v119, v142
	s_delay_alu instid0(VALU_DEP_1) | instskip(SKIP_1) | instid1(VALU_DEP_1)
	v_fmac_f32_e32 v137, v120, v143
	s_waitcnt vmcnt(3)
	v_fmac_f32_e32 v137, v121, v144
	ds_load_b128 v[118:121], v2 offset:400
	s_waitcnt lgkmcnt(1)
	v_fmac_f32_e32 v137, v122, v114
	s_delay_alu instid0(VALU_DEP_1) | instskip(NEXT) | instid1(VALU_DEP_1)
	v_fmac_f32_e32 v137, v123, v115
	v_fmac_f32_e32 v137, v124, v116
	s_waitcnt vmcnt(2)
	s_delay_alu instid0(VALU_DEP_1) | instskip(SKIP_3) | instid1(VALU_DEP_1)
	v_fmac_f32_e32 v137, v125, v117
	ds_load_b128 v[114:117], v2 offset:416
	s_waitcnt lgkmcnt(1)
	v_fmac_f32_e32 v137, v126, v118
	v_fmac_f32_e32 v137, v127, v119
	s_delay_alu instid0(VALU_DEP_1) | instskip(SKIP_4) | instid1(VALU_DEP_1)
	v_fmac_f32_e32 v137, v128, v120
	ds_load_b96 v[118:120], v2 offset:432
	s_waitcnt vmcnt(1)
	v_fmac_f32_e32 v137, v129, v121
	s_waitcnt lgkmcnt(1)
	v_fmac_f32_e32 v137, v130, v114
	s_delay_alu instid0(VALU_DEP_1) | instskip(NEXT) | instid1(VALU_DEP_1)
	v_fmac_f32_e32 v137, v131, v115
	v_fmac_f32_e32 v137, v132, v116
	s_waitcnt vmcnt(0)
	s_delay_alu instid0(VALU_DEP_1) | instskip(SKIP_1) | instid1(VALU_DEP_1)
	v_fmac_f32_e32 v137, v133, v117
	s_waitcnt lgkmcnt(0)
	v_fmac_f32_e32 v137, v134, v118
	s_delay_alu instid0(VALU_DEP_1) | instskip(NEXT) | instid1(VALU_DEP_1)
	v_fmac_f32_e32 v137, v135, v119
	v_fmac_f32_e32 v137, v136, v120
	s_delay_alu instid0(VALU_DEP_1)
	v_sub_f32_e32 v113, v113, v137
	scratch_store_b32 off, v113, off offset:124
	v_cmpx_lt_u32_e32 30, v0
	s_cbranch_execz .LBB54_277
; %bb.276:
	scratch_load_b32 v113, off, off offset:120
	scratch_store_b32 off, v2, off offset:120
	s_waitcnt vmcnt(0)
	ds_store_b32 v1, v113
.LBB54_277:
	s_or_b32 exec_lo, exec_lo, s0
	s_waitcnt lgkmcnt(0)
	s_waitcnt_vscnt null, 0x0
	s_barrier
	buffer_gl0_inv
	s_clause 0x6
	scratch_load_b128 v[113:116], off, off offset:120
	scratch_load_b128 v[117:120], off, off offset:136
	;; [unrolled: 1-line block ×6, first 2 shown]
	scratch_load_b32 v145, off, off offset:216
	ds_load_2addr_b32 v[137:138], v2 offset0:87 offset1:88
	ds_load_2addr_b32 v[139:140], v2 offset0:89 offset1:90
	;; [unrolled: 1-line block ×4, first 2 shown]
	s_mov_b32 s0, exec_lo
	s_waitcnt vmcnt(6) lgkmcnt(3)
	v_fma_f32 v137, v114, v137, 0
	s_delay_alu instid0(VALU_DEP_1) | instskip(SKIP_4) | instid1(VALU_DEP_1)
	v_fmac_f32_e32 v137, v115, v138
	ds_load_2addr_b32 v[114:115], v2 offset0:95 offset1:96
	s_waitcnt lgkmcnt(3)
	v_fmac_f32_e32 v137, v116, v139
	s_waitcnt vmcnt(5)
	v_fmac_f32_e32 v137, v117, v140
	ds_load_2addr_b32 v[116:117], v2 offset0:97 offset1:98
	s_waitcnt lgkmcnt(3)
	v_fmac_f32_e32 v137, v118, v141
	s_delay_alu instid0(VALU_DEP_1) | instskip(SKIP_1) | instid1(VALU_DEP_1)
	v_fmac_f32_e32 v137, v119, v142
	s_waitcnt lgkmcnt(2)
	v_fmac_f32_e32 v137, v120, v143
	s_waitcnt vmcnt(4)
	s_delay_alu instid0(VALU_DEP_1) | instskip(SKIP_4) | instid1(VALU_DEP_1)
	v_fmac_f32_e32 v137, v121, v144
	ds_load_2addr_b32 v[118:119], v2 offset0:99 offset1:100
	ds_load_2addr_b32 v[120:121], v2 offset0:101 offset1:102
	s_waitcnt lgkmcnt(3)
	v_fmac_f32_e32 v137, v122, v114
	v_fmac_f32_e32 v137, v123, v115
	ds_load_2addr_b32 v[114:115], v2 offset0:103 offset1:104
	s_waitcnt lgkmcnt(3)
	v_fmac_f32_e32 v137, v124, v116
	s_waitcnt vmcnt(3)
	s_delay_alu instid0(VALU_DEP_1) | instskip(SKIP_3) | instid1(VALU_DEP_1)
	v_fmac_f32_e32 v137, v125, v117
	ds_load_2addr_b32 v[116:117], v2 offset0:105 offset1:106
	s_waitcnt lgkmcnt(3)
	v_fmac_f32_e32 v137, v126, v118
	v_fmac_f32_e32 v137, v127, v119
	s_waitcnt lgkmcnt(2)
	s_delay_alu instid0(VALU_DEP_1) | instskip(SKIP_1) | instid1(VALU_DEP_1)
	v_fmac_f32_e32 v137, v128, v120
	s_waitcnt vmcnt(2)
	v_fmac_f32_e32 v137, v129, v121
	ds_load_2addr_b32 v[118:119], v2 offset0:107 offset1:108
	ds_load_2addr_b32 v[120:121], v2 offset0:109 offset1:110
	s_waitcnt lgkmcnt(3)
	v_fmac_f32_e32 v137, v130, v114
	s_delay_alu instid0(VALU_DEP_1) | instskip(SKIP_1) | instid1(VALU_DEP_1)
	v_fmac_f32_e32 v137, v131, v115
	s_waitcnt lgkmcnt(2)
	v_fmac_f32_e32 v137, v132, v116
	s_waitcnt vmcnt(1)
	s_delay_alu instid0(VALU_DEP_1) | instskip(SKIP_1) | instid1(VALU_DEP_1)
	v_fmac_f32_e32 v137, v133, v117
	s_waitcnt lgkmcnt(1)
	v_fmac_f32_e32 v137, v134, v118
	s_delay_alu instid0(VALU_DEP_1) | instskip(SKIP_1) | instid1(VALU_DEP_1)
	v_fmac_f32_e32 v137, v135, v119
	s_waitcnt lgkmcnt(0)
	v_fmac_f32_e32 v137, v136, v120
	s_waitcnt vmcnt(0)
	s_delay_alu instid0(VALU_DEP_1) | instskip(NEXT) | instid1(VALU_DEP_1)
	v_fmac_f32_e32 v137, v145, v121
	v_sub_f32_e32 v2, v113, v137
	scratch_store_b32 off, v2, off offset:120
	v_cmpx_lt_u32_e32 29, v0
	s_cbranch_execz .LBB54_279
; %bb.278:
	scratch_load_b32 v2, off, off offset:116
	v_mov_b32_e32 v113, 0
	scratch_store_b32 off, v113, off offset:116
	s_waitcnt vmcnt(0)
	ds_store_b32 v1, v2
.LBB54_279:
	s_or_b32 exec_lo, exec_lo, s0
	s_waitcnt lgkmcnt(0)
	s_waitcnt_vscnt null, 0x0
	s_barrier
	buffer_gl0_inv
	s_clause 0x6
	scratch_load_b128 v[113:116], off, off offset:116
	scratch_load_b128 v[117:120], off, off offset:132
	;; [unrolled: 1-line block ×6, first 2 shown]
	scratch_load_b64 v[145:146], off, off offset:212
	v_mov_b32_e32 v2, 0
	ds_load_2addr_b64 v[137:140], v2 offset0:43 offset1:44
	ds_load_2addr_b64 v[141:144], v2 offset0:45 offset1:46
	s_mov_b32 s0, exec_lo
	s_waitcnt vmcnt(6) lgkmcnt(1)
	v_fma_f32 v137, v114, v137, 0
	s_delay_alu instid0(VALU_DEP_1) | instskip(NEXT) | instid1(VALU_DEP_1)
	v_fmac_f32_e32 v137, v115, v138
	v_fmac_f32_e32 v137, v116, v139
	s_waitcnt vmcnt(5)
	s_delay_alu instid0(VALU_DEP_1) | instskip(SKIP_3) | instid1(VALU_DEP_1)
	v_fmac_f32_e32 v137, v117, v140
	ds_load_2addr_b64 v[114:117], v2 offset0:47 offset1:48
	s_waitcnt lgkmcnt(1)
	v_fmac_f32_e32 v137, v118, v141
	v_fmac_f32_e32 v137, v119, v142
	s_delay_alu instid0(VALU_DEP_1) | instskip(SKIP_1) | instid1(VALU_DEP_1)
	v_fmac_f32_e32 v137, v120, v143
	s_waitcnt vmcnt(4)
	v_fmac_f32_e32 v137, v121, v144
	ds_load_2addr_b64 v[118:121], v2 offset0:49 offset1:50
	s_waitcnt lgkmcnt(1)
	v_fmac_f32_e32 v137, v122, v114
	s_delay_alu instid0(VALU_DEP_1) | instskip(NEXT) | instid1(VALU_DEP_1)
	v_fmac_f32_e32 v137, v123, v115
	v_fmac_f32_e32 v137, v124, v116
	s_waitcnt vmcnt(3)
	s_delay_alu instid0(VALU_DEP_1) | instskip(SKIP_3) | instid1(VALU_DEP_1)
	v_fmac_f32_e32 v137, v125, v117
	ds_load_2addr_b64 v[114:117], v2 offset0:51 offset1:52
	s_waitcnt lgkmcnt(1)
	v_fmac_f32_e32 v137, v126, v118
	v_fmac_f32_e32 v137, v127, v119
	s_delay_alu instid0(VALU_DEP_1) | instskip(SKIP_1) | instid1(VALU_DEP_1)
	v_fmac_f32_e32 v137, v128, v120
	s_waitcnt vmcnt(2)
	v_fmac_f32_e32 v137, v129, v121
	ds_load_2addr_b64 v[118:121], v2 offset0:53 offset1:54
	s_waitcnt lgkmcnt(1)
	v_fmac_f32_e32 v137, v130, v114
	ds_load_b32 v114, v2 offset:440
	v_fmac_f32_e32 v137, v131, v115
	s_delay_alu instid0(VALU_DEP_1) | instskip(SKIP_1) | instid1(VALU_DEP_1)
	v_fmac_f32_e32 v137, v132, v116
	s_waitcnt vmcnt(1)
	v_fmac_f32_e32 v137, v133, v117
	s_waitcnt lgkmcnt(1)
	s_delay_alu instid0(VALU_DEP_1) | instskip(NEXT) | instid1(VALU_DEP_1)
	v_fmac_f32_e32 v137, v134, v118
	v_fmac_f32_e32 v137, v135, v119
	s_delay_alu instid0(VALU_DEP_1) | instskip(SKIP_1) | instid1(VALU_DEP_1)
	v_fmac_f32_e32 v137, v136, v120
	s_waitcnt vmcnt(0)
	v_fmac_f32_e32 v137, v145, v121
	s_waitcnt lgkmcnt(0)
	s_delay_alu instid0(VALU_DEP_1) | instskip(NEXT) | instid1(VALU_DEP_1)
	v_fmac_f32_e32 v137, v146, v114
	v_sub_f32_e32 v113, v113, v137
	scratch_store_b32 off, v113, off offset:116
	v_cmpx_lt_u32_e32 28, v0
	s_cbranch_execz .LBB54_281
; %bb.280:
	scratch_load_b32 v113, off, off offset:112
	scratch_store_b32 off, v2, off offset:112
	s_waitcnt vmcnt(0)
	ds_store_b32 v1, v113
.LBB54_281:
	s_or_b32 exec_lo, exec_lo, s0
	s_waitcnt lgkmcnt(0)
	s_waitcnt_vscnt null, 0x0
	s_barrier
	buffer_gl0_inv
	s_clause 0x6
	scratch_load_b128 v[113:116], off, off offset:112
	scratch_load_b128 v[117:120], off, off offset:128
	;; [unrolled: 1-line block ×6, first 2 shown]
	scratch_load_b96 v[137:139], off, off offset:208
	ds_load_2addr_b32 v[140:141], v2 offset0:85 offset1:86
	ds_load_2addr_b32 v[142:143], v2 offset0:87 offset1:88
	ds_load_2addr_b32 v[144:145], v2 offset0:89 offset1:90
	ds_load_2addr_b32 v[146:147], v2 offset0:91 offset1:92
	s_mov_b32 s0, exec_lo
	s_waitcnt vmcnt(6) lgkmcnt(3)
	v_fma_f32 v140, v114, v140, 0
	s_delay_alu instid0(VALU_DEP_1) | instskip(SKIP_4) | instid1(VALU_DEP_1)
	v_fmac_f32_e32 v140, v115, v141
	ds_load_2addr_b32 v[114:115], v2 offset0:93 offset1:94
	s_waitcnt lgkmcnt(3)
	v_fmac_f32_e32 v140, v116, v142
	s_waitcnt vmcnt(5)
	v_fmac_f32_e32 v140, v117, v143
	ds_load_2addr_b32 v[116:117], v2 offset0:95 offset1:96
	s_waitcnt lgkmcnt(3)
	v_fmac_f32_e32 v140, v118, v144
	s_delay_alu instid0(VALU_DEP_1) | instskip(SKIP_1) | instid1(VALU_DEP_1)
	v_fmac_f32_e32 v140, v119, v145
	s_waitcnt lgkmcnt(2)
	v_fmac_f32_e32 v140, v120, v146
	s_waitcnt vmcnt(4)
	s_delay_alu instid0(VALU_DEP_1) | instskip(SKIP_4) | instid1(VALU_DEP_1)
	v_fmac_f32_e32 v140, v121, v147
	ds_load_2addr_b32 v[118:119], v2 offset0:97 offset1:98
	ds_load_2addr_b32 v[120:121], v2 offset0:99 offset1:100
	s_waitcnt lgkmcnt(3)
	v_fmac_f32_e32 v140, v122, v114
	v_fmac_f32_e32 v140, v123, v115
	ds_load_2addr_b32 v[114:115], v2 offset0:101 offset1:102
	s_waitcnt lgkmcnt(3)
	v_fmac_f32_e32 v140, v124, v116
	s_waitcnt vmcnt(3)
	s_delay_alu instid0(VALU_DEP_1) | instskip(SKIP_3) | instid1(VALU_DEP_1)
	v_fmac_f32_e32 v140, v125, v117
	ds_load_2addr_b32 v[116:117], v2 offset0:103 offset1:104
	s_waitcnt lgkmcnt(3)
	v_fmac_f32_e32 v140, v126, v118
	v_fmac_f32_e32 v140, v127, v119
	s_waitcnt lgkmcnt(2)
	s_delay_alu instid0(VALU_DEP_1) | instskip(SKIP_1) | instid1(VALU_DEP_1)
	v_fmac_f32_e32 v140, v128, v120
	s_waitcnt vmcnt(2)
	v_fmac_f32_e32 v140, v129, v121
	ds_load_2addr_b32 v[118:119], v2 offset0:105 offset1:106
	ds_load_2addr_b32 v[120:121], v2 offset0:107 offset1:108
	s_waitcnt lgkmcnt(3)
	v_fmac_f32_e32 v140, v130, v114
	s_delay_alu instid0(VALU_DEP_1) | instskip(SKIP_4) | instid1(VALU_DEP_1)
	v_fmac_f32_e32 v140, v131, v115
	ds_load_2addr_b32 v[114:115], v2 offset0:109 offset1:110
	s_waitcnt lgkmcnt(3)
	v_fmac_f32_e32 v140, v132, v116
	s_waitcnt vmcnt(1)
	v_fmac_f32_e32 v140, v133, v117
	s_waitcnt lgkmcnt(2)
	s_delay_alu instid0(VALU_DEP_1) | instskip(NEXT) | instid1(VALU_DEP_1)
	v_fmac_f32_e32 v140, v134, v118
	v_fmac_f32_e32 v140, v135, v119
	s_waitcnt lgkmcnt(1)
	s_delay_alu instid0(VALU_DEP_1) | instskip(SKIP_1) | instid1(VALU_DEP_1)
	v_fmac_f32_e32 v140, v136, v120
	s_waitcnt vmcnt(0)
	v_fmac_f32_e32 v140, v137, v121
	s_waitcnt lgkmcnt(0)
	s_delay_alu instid0(VALU_DEP_1) | instskip(NEXT) | instid1(VALU_DEP_1)
	v_fmac_f32_e32 v140, v138, v114
	v_fmac_f32_e32 v140, v139, v115
	s_delay_alu instid0(VALU_DEP_1)
	v_sub_f32_e32 v2, v113, v140
	scratch_store_b32 off, v2, off offset:112
	v_cmpx_lt_u32_e32 27, v0
	s_cbranch_execz .LBB54_283
; %bb.282:
	scratch_load_b32 v2, off, off offset:108
	v_mov_b32_e32 v113, 0
	scratch_store_b32 off, v113, off offset:108
	s_waitcnt vmcnt(0)
	ds_store_b32 v1, v2
.LBB54_283:
	s_or_b32 exec_lo, exec_lo, s0
	s_waitcnt lgkmcnt(0)
	s_waitcnt_vscnt null, 0x0
	s_barrier
	buffer_gl0_inv
	s_clause 0x6
	scratch_load_b128 v[113:116], off, off offset:108
	scratch_load_b128 v[117:120], off, off offset:124
	;; [unrolled: 1-line block ×7, first 2 shown]
	v_mov_b32_e32 v2, 0
	ds_load_b128 v[141:144], v2 offset:336
	ds_load_b128 v[145:148], v2 offset:352
	s_mov_b32 s0, exec_lo
	s_waitcnt vmcnt(6) lgkmcnt(1)
	v_fma_f32 v141, v114, v141, 0
	s_delay_alu instid0(VALU_DEP_1) | instskip(NEXT) | instid1(VALU_DEP_1)
	v_fmac_f32_e32 v141, v115, v142
	v_fmac_f32_e32 v141, v116, v143
	s_waitcnt vmcnt(5)
	s_delay_alu instid0(VALU_DEP_1) | instskip(SKIP_3) | instid1(VALU_DEP_1)
	v_fmac_f32_e32 v141, v117, v144
	ds_load_b128 v[114:117], v2 offset:368
	s_waitcnt lgkmcnt(1)
	v_fmac_f32_e32 v141, v118, v145
	v_fmac_f32_e32 v141, v119, v146
	s_delay_alu instid0(VALU_DEP_1) | instskip(SKIP_1) | instid1(VALU_DEP_1)
	v_fmac_f32_e32 v141, v120, v147
	s_waitcnt vmcnt(4)
	v_fmac_f32_e32 v141, v121, v148
	ds_load_b128 v[118:121], v2 offset:384
	s_waitcnt lgkmcnt(1)
	v_fmac_f32_e32 v141, v122, v114
	s_delay_alu instid0(VALU_DEP_1) | instskip(NEXT) | instid1(VALU_DEP_1)
	v_fmac_f32_e32 v141, v123, v115
	v_fmac_f32_e32 v141, v124, v116
	s_waitcnt vmcnt(3)
	s_delay_alu instid0(VALU_DEP_1) | instskip(SKIP_3) | instid1(VALU_DEP_1)
	v_fmac_f32_e32 v141, v125, v117
	ds_load_b128 v[114:117], v2 offset:400
	s_waitcnt lgkmcnt(1)
	v_fmac_f32_e32 v141, v126, v118
	v_fmac_f32_e32 v141, v127, v119
	s_delay_alu instid0(VALU_DEP_1) | instskip(SKIP_1) | instid1(VALU_DEP_1)
	v_fmac_f32_e32 v141, v128, v120
	s_waitcnt vmcnt(2)
	v_fmac_f32_e32 v141, v129, v121
	ds_load_b128 v[118:121], v2 offset:416
	s_waitcnt lgkmcnt(1)
	v_fmac_f32_e32 v141, v130, v114
	s_delay_alu instid0(VALU_DEP_1) | instskip(NEXT) | instid1(VALU_DEP_1)
	v_fmac_f32_e32 v141, v131, v115
	v_fmac_f32_e32 v141, v132, v116
	ds_load_b96 v[114:116], v2 offset:432
	s_waitcnt vmcnt(1)
	v_fmac_f32_e32 v141, v133, v117
	s_waitcnt lgkmcnt(1)
	s_delay_alu instid0(VALU_DEP_1) | instskip(NEXT) | instid1(VALU_DEP_1)
	v_fmac_f32_e32 v141, v134, v118
	v_fmac_f32_e32 v141, v135, v119
	s_delay_alu instid0(VALU_DEP_1) | instskip(SKIP_1) | instid1(VALU_DEP_1)
	v_fmac_f32_e32 v141, v136, v120
	s_waitcnt vmcnt(0)
	v_fmac_f32_e32 v141, v137, v121
	s_waitcnt lgkmcnt(0)
	s_delay_alu instid0(VALU_DEP_1) | instskip(NEXT) | instid1(VALU_DEP_1)
	v_fmac_f32_e32 v141, v138, v114
	v_fmac_f32_e32 v141, v139, v115
	s_delay_alu instid0(VALU_DEP_1) | instskip(NEXT) | instid1(VALU_DEP_1)
	v_fmac_f32_e32 v141, v140, v116
	v_sub_f32_e32 v113, v113, v141
	scratch_store_b32 off, v113, off offset:108
	v_cmpx_lt_u32_e32 26, v0
	s_cbranch_execz .LBB54_285
; %bb.284:
	scratch_load_b32 v113, off, off offset:104
	scratch_store_b32 off, v2, off offset:104
	s_waitcnt vmcnt(0)
	ds_store_b32 v1, v113
.LBB54_285:
	s_or_b32 exec_lo, exec_lo, s0
	s_waitcnt lgkmcnt(0)
	s_waitcnt_vscnt null, 0x0
	s_barrier
	buffer_gl0_inv
	s_clause 0x7
	scratch_load_b128 v[113:116], off, off offset:104
	scratch_load_b128 v[117:120], off, off offset:120
	;; [unrolled: 1-line block ×7, first 2 shown]
	scratch_load_b32 v149, off, off offset:216
	ds_load_2addr_b32 v[141:142], v2 offset0:83 offset1:84
	ds_load_2addr_b32 v[143:144], v2 offset0:85 offset1:86
	;; [unrolled: 1-line block ×4, first 2 shown]
	s_mov_b32 s0, exec_lo
	s_waitcnt vmcnt(7) lgkmcnt(3)
	v_fma_f32 v141, v114, v141, 0
	s_delay_alu instid0(VALU_DEP_1) | instskip(SKIP_4) | instid1(VALU_DEP_1)
	v_fmac_f32_e32 v141, v115, v142
	ds_load_2addr_b32 v[114:115], v2 offset0:91 offset1:92
	s_waitcnt lgkmcnt(3)
	v_fmac_f32_e32 v141, v116, v143
	s_waitcnt vmcnt(6)
	v_fmac_f32_e32 v141, v117, v144
	ds_load_2addr_b32 v[116:117], v2 offset0:93 offset1:94
	s_waitcnt lgkmcnt(3)
	v_fmac_f32_e32 v141, v118, v145
	s_delay_alu instid0(VALU_DEP_1) | instskip(SKIP_1) | instid1(VALU_DEP_1)
	v_fmac_f32_e32 v141, v119, v146
	s_waitcnt lgkmcnt(2)
	v_fmac_f32_e32 v141, v120, v147
	s_waitcnt vmcnt(5)
	s_delay_alu instid0(VALU_DEP_1) | instskip(SKIP_4) | instid1(VALU_DEP_1)
	v_fmac_f32_e32 v141, v121, v148
	ds_load_2addr_b32 v[118:119], v2 offset0:95 offset1:96
	ds_load_2addr_b32 v[120:121], v2 offset0:97 offset1:98
	s_waitcnt lgkmcnt(3)
	v_fmac_f32_e32 v141, v122, v114
	v_fmac_f32_e32 v141, v123, v115
	ds_load_2addr_b32 v[114:115], v2 offset0:99 offset1:100
	s_waitcnt lgkmcnt(3)
	v_fmac_f32_e32 v141, v124, v116
	s_waitcnt vmcnt(4)
	s_delay_alu instid0(VALU_DEP_1) | instskip(SKIP_3) | instid1(VALU_DEP_1)
	v_fmac_f32_e32 v141, v125, v117
	ds_load_2addr_b32 v[116:117], v2 offset0:101 offset1:102
	s_waitcnt lgkmcnt(3)
	v_fmac_f32_e32 v141, v126, v118
	v_fmac_f32_e32 v141, v127, v119
	s_waitcnt lgkmcnt(2)
	s_delay_alu instid0(VALU_DEP_1) | instskip(SKIP_1) | instid1(VALU_DEP_1)
	v_fmac_f32_e32 v141, v128, v120
	s_waitcnt vmcnt(3)
	v_fmac_f32_e32 v141, v129, v121
	ds_load_2addr_b32 v[118:119], v2 offset0:103 offset1:104
	ds_load_2addr_b32 v[120:121], v2 offset0:105 offset1:106
	s_waitcnt lgkmcnt(3)
	v_fmac_f32_e32 v141, v130, v114
	s_delay_alu instid0(VALU_DEP_1) | instskip(SKIP_4) | instid1(VALU_DEP_1)
	v_fmac_f32_e32 v141, v131, v115
	ds_load_2addr_b32 v[114:115], v2 offset0:107 offset1:108
	s_waitcnt lgkmcnt(3)
	v_fmac_f32_e32 v141, v132, v116
	s_waitcnt vmcnt(2)
	v_fmac_f32_e32 v141, v133, v117
	ds_load_2addr_b32 v[116:117], v2 offset0:109 offset1:110
	s_waitcnt lgkmcnt(3)
	v_fmac_f32_e32 v141, v134, v118
	s_delay_alu instid0(VALU_DEP_1) | instskip(SKIP_1) | instid1(VALU_DEP_1)
	v_fmac_f32_e32 v141, v135, v119
	s_waitcnt lgkmcnt(2)
	v_fmac_f32_e32 v141, v136, v120
	s_waitcnt vmcnt(1)
	s_delay_alu instid0(VALU_DEP_1) | instskip(SKIP_1) | instid1(VALU_DEP_1)
	v_fmac_f32_e32 v141, v137, v121
	s_waitcnt lgkmcnt(1)
	v_fmac_f32_e32 v141, v138, v114
	s_delay_alu instid0(VALU_DEP_1) | instskip(SKIP_1) | instid1(VALU_DEP_1)
	v_fmac_f32_e32 v141, v139, v115
	s_waitcnt lgkmcnt(0)
	v_fmac_f32_e32 v141, v140, v116
	s_waitcnt vmcnt(0)
	s_delay_alu instid0(VALU_DEP_1) | instskip(NEXT) | instid1(VALU_DEP_1)
	v_fmac_f32_e32 v141, v149, v117
	v_sub_f32_e32 v2, v113, v141
	scratch_store_b32 off, v2, off offset:104
	v_cmpx_lt_u32_e32 25, v0
	s_cbranch_execz .LBB54_287
; %bb.286:
	scratch_load_b32 v2, off, off offset:100
	v_mov_b32_e32 v113, 0
	scratch_store_b32 off, v113, off offset:100
	s_waitcnt vmcnt(0)
	ds_store_b32 v1, v2
.LBB54_287:
	s_or_b32 exec_lo, exec_lo, s0
	s_waitcnt lgkmcnt(0)
	s_waitcnt_vscnt null, 0x0
	s_barrier
	buffer_gl0_inv
	s_clause 0x7
	scratch_load_b128 v[113:116], off, off offset:100
	scratch_load_b128 v[117:120], off, off offset:116
	;; [unrolled: 1-line block ×7, first 2 shown]
	scratch_load_b64 v[149:150], off, off offset:212
	v_mov_b32_e32 v2, 0
	ds_load_2addr_b64 v[141:144], v2 offset0:41 offset1:42
	ds_load_2addr_b64 v[145:148], v2 offset0:43 offset1:44
	s_mov_b32 s0, exec_lo
	s_waitcnt vmcnt(7) lgkmcnt(1)
	v_fma_f32 v141, v114, v141, 0
	s_delay_alu instid0(VALU_DEP_1) | instskip(NEXT) | instid1(VALU_DEP_1)
	v_fmac_f32_e32 v141, v115, v142
	v_fmac_f32_e32 v141, v116, v143
	s_waitcnt vmcnt(6)
	s_delay_alu instid0(VALU_DEP_1) | instskip(SKIP_3) | instid1(VALU_DEP_1)
	v_fmac_f32_e32 v141, v117, v144
	ds_load_2addr_b64 v[114:117], v2 offset0:45 offset1:46
	s_waitcnt lgkmcnt(1)
	v_fmac_f32_e32 v141, v118, v145
	v_fmac_f32_e32 v141, v119, v146
	s_delay_alu instid0(VALU_DEP_1) | instskip(SKIP_1) | instid1(VALU_DEP_1)
	v_fmac_f32_e32 v141, v120, v147
	s_waitcnt vmcnt(5)
	v_fmac_f32_e32 v141, v121, v148
	ds_load_2addr_b64 v[118:121], v2 offset0:47 offset1:48
	s_waitcnt lgkmcnt(1)
	v_fmac_f32_e32 v141, v122, v114
	s_delay_alu instid0(VALU_DEP_1) | instskip(NEXT) | instid1(VALU_DEP_1)
	v_fmac_f32_e32 v141, v123, v115
	v_fmac_f32_e32 v141, v124, v116
	s_waitcnt vmcnt(4)
	s_delay_alu instid0(VALU_DEP_1) | instskip(SKIP_3) | instid1(VALU_DEP_1)
	v_fmac_f32_e32 v141, v125, v117
	ds_load_2addr_b64 v[114:117], v2 offset0:49 offset1:50
	s_waitcnt lgkmcnt(1)
	v_fmac_f32_e32 v141, v126, v118
	v_fmac_f32_e32 v141, v127, v119
	s_delay_alu instid0(VALU_DEP_1) | instskip(SKIP_1) | instid1(VALU_DEP_1)
	v_fmac_f32_e32 v141, v128, v120
	s_waitcnt vmcnt(3)
	v_fmac_f32_e32 v141, v129, v121
	ds_load_2addr_b64 v[118:121], v2 offset0:51 offset1:52
	s_waitcnt lgkmcnt(1)
	v_fmac_f32_e32 v141, v130, v114
	s_delay_alu instid0(VALU_DEP_1) | instskip(NEXT) | instid1(VALU_DEP_1)
	v_fmac_f32_e32 v141, v131, v115
	v_fmac_f32_e32 v141, v132, v116
	s_waitcnt vmcnt(2)
	s_delay_alu instid0(VALU_DEP_1)
	v_fmac_f32_e32 v141, v133, v117
	ds_load_2addr_b64 v[114:117], v2 offset0:53 offset1:54
	s_waitcnt lgkmcnt(1)
	v_fmac_f32_e32 v141, v134, v118
	ds_load_b32 v118, v2 offset:440
	v_fmac_f32_e32 v141, v135, v119
	s_delay_alu instid0(VALU_DEP_1) | instskip(SKIP_1) | instid1(VALU_DEP_1)
	v_fmac_f32_e32 v141, v136, v120
	s_waitcnt vmcnt(1)
	v_fmac_f32_e32 v141, v137, v121
	s_waitcnt lgkmcnt(1)
	s_delay_alu instid0(VALU_DEP_1) | instskip(NEXT) | instid1(VALU_DEP_1)
	v_fmac_f32_e32 v141, v138, v114
	v_fmac_f32_e32 v141, v139, v115
	s_delay_alu instid0(VALU_DEP_1) | instskip(SKIP_1) | instid1(VALU_DEP_1)
	v_fmac_f32_e32 v141, v140, v116
	s_waitcnt vmcnt(0)
	v_fmac_f32_e32 v141, v149, v117
	s_waitcnt lgkmcnt(0)
	s_delay_alu instid0(VALU_DEP_1) | instskip(NEXT) | instid1(VALU_DEP_1)
	v_fmac_f32_e32 v141, v150, v118
	v_sub_f32_e32 v113, v113, v141
	scratch_store_b32 off, v113, off offset:100
	v_cmpx_lt_u32_e32 24, v0
	s_cbranch_execz .LBB54_289
; %bb.288:
	scratch_load_b32 v113, off, off offset:96
	scratch_store_b32 off, v2, off offset:96
	s_waitcnt vmcnt(0)
	ds_store_b32 v1, v113
.LBB54_289:
	s_or_b32 exec_lo, exec_lo, s0
	s_waitcnt lgkmcnt(0)
	s_waitcnt_vscnt null, 0x0
	s_barrier
	buffer_gl0_inv
	s_clause 0x7
	scratch_load_b128 v[113:116], off, off offset:96
	scratch_load_b128 v[117:120], off, off offset:112
	;; [unrolled: 1-line block ×7, first 2 shown]
	scratch_load_b96 v[141:143], off, off offset:208
	ds_load_2addr_b32 v[144:145], v2 offset0:81 offset1:82
	ds_load_2addr_b32 v[146:147], v2 offset0:83 offset1:84
	;; [unrolled: 1-line block ×4, first 2 shown]
	s_mov_b32 s0, exec_lo
	s_waitcnt vmcnt(7) lgkmcnt(3)
	v_fma_f32 v144, v114, v144, 0
	s_delay_alu instid0(VALU_DEP_1) | instskip(SKIP_4) | instid1(VALU_DEP_1)
	v_fmac_f32_e32 v144, v115, v145
	ds_load_2addr_b32 v[114:115], v2 offset0:89 offset1:90
	s_waitcnt lgkmcnt(3)
	v_fmac_f32_e32 v144, v116, v146
	s_waitcnt vmcnt(6)
	v_fmac_f32_e32 v144, v117, v147
	ds_load_2addr_b32 v[116:117], v2 offset0:91 offset1:92
	s_waitcnt lgkmcnt(3)
	v_fmac_f32_e32 v144, v118, v148
	s_delay_alu instid0(VALU_DEP_1) | instskip(SKIP_1) | instid1(VALU_DEP_1)
	v_fmac_f32_e32 v144, v119, v149
	s_waitcnt lgkmcnt(2)
	v_fmac_f32_e32 v144, v120, v150
	s_waitcnt vmcnt(5)
	s_delay_alu instid0(VALU_DEP_1) | instskip(SKIP_4) | instid1(VALU_DEP_1)
	v_fmac_f32_e32 v144, v121, v151
	ds_load_2addr_b32 v[118:119], v2 offset0:93 offset1:94
	ds_load_2addr_b32 v[120:121], v2 offset0:95 offset1:96
	s_waitcnt lgkmcnt(3)
	v_fmac_f32_e32 v144, v122, v114
	v_fmac_f32_e32 v144, v123, v115
	ds_load_2addr_b32 v[114:115], v2 offset0:97 offset1:98
	s_waitcnt lgkmcnt(3)
	v_fmac_f32_e32 v144, v124, v116
	s_waitcnt vmcnt(4)
	s_delay_alu instid0(VALU_DEP_1) | instskip(SKIP_3) | instid1(VALU_DEP_1)
	v_fmac_f32_e32 v144, v125, v117
	ds_load_2addr_b32 v[116:117], v2 offset0:99 offset1:100
	s_waitcnt lgkmcnt(3)
	v_fmac_f32_e32 v144, v126, v118
	v_fmac_f32_e32 v144, v127, v119
	s_waitcnt lgkmcnt(2)
	s_delay_alu instid0(VALU_DEP_1) | instskip(SKIP_1) | instid1(VALU_DEP_1)
	v_fmac_f32_e32 v144, v128, v120
	s_waitcnt vmcnt(3)
	v_fmac_f32_e32 v144, v129, v121
	ds_load_2addr_b32 v[118:119], v2 offset0:101 offset1:102
	ds_load_2addr_b32 v[120:121], v2 offset0:103 offset1:104
	s_waitcnt lgkmcnt(3)
	v_fmac_f32_e32 v144, v130, v114
	s_delay_alu instid0(VALU_DEP_1) | instskip(SKIP_4) | instid1(VALU_DEP_1)
	v_fmac_f32_e32 v144, v131, v115
	ds_load_2addr_b32 v[114:115], v2 offset0:105 offset1:106
	s_waitcnt lgkmcnt(3)
	v_fmac_f32_e32 v144, v132, v116
	s_waitcnt vmcnt(2)
	v_fmac_f32_e32 v144, v133, v117
	ds_load_2addr_b32 v[116:117], v2 offset0:107 offset1:108
	s_waitcnt lgkmcnt(3)
	v_fmac_f32_e32 v144, v134, v118
	s_delay_alu instid0(VALU_DEP_1) | instskip(SKIP_4) | instid1(VALU_DEP_1)
	v_fmac_f32_e32 v144, v135, v119
	ds_load_2addr_b32 v[118:119], v2 offset0:109 offset1:110
	s_waitcnt lgkmcnt(3)
	v_fmac_f32_e32 v144, v136, v120
	s_waitcnt vmcnt(1)
	v_fmac_f32_e32 v144, v137, v121
	s_waitcnt lgkmcnt(2)
	s_delay_alu instid0(VALU_DEP_1) | instskip(NEXT) | instid1(VALU_DEP_1)
	v_fmac_f32_e32 v144, v138, v114
	v_fmac_f32_e32 v144, v139, v115
	s_waitcnt lgkmcnt(1)
	s_delay_alu instid0(VALU_DEP_1) | instskip(SKIP_1) | instid1(VALU_DEP_1)
	v_fmac_f32_e32 v144, v140, v116
	s_waitcnt vmcnt(0)
	v_fmac_f32_e32 v144, v141, v117
	s_waitcnt lgkmcnt(0)
	s_delay_alu instid0(VALU_DEP_1) | instskip(NEXT) | instid1(VALU_DEP_1)
	v_fmac_f32_e32 v144, v142, v118
	v_fmac_f32_e32 v144, v143, v119
	s_delay_alu instid0(VALU_DEP_1)
	v_sub_f32_e32 v2, v113, v144
	scratch_store_b32 off, v2, off offset:96
	v_cmpx_lt_u32_e32 23, v0
	s_cbranch_execz .LBB54_291
; %bb.290:
	scratch_load_b32 v2, off, off offset:92
	v_mov_b32_e32 v113, 0
	scratch_store_b32 off, v113, off offset:92
	s_waitcnt vmcnt(0)
	ds_store_b32 v1, v2
.LBB54_291:
	s_or_b32 exec_lo, exec_lo, s0
	s_waitcnt lgkmcnt(0)
	s_waitcnt_vscnt null, 0x0
	s_barrier
	buffer_gl0_inv
	s_clause 0x7
	scratch_load_b128 v[113:116], off, off offset:92
	scratch_load_b128 v[117:120], off, off offset:108
	;; [unrolled: 1-line block ×8, first 2 shown]
	v_mov_b32_e32 v2, 0
	ds_load_b128 v[145:148], v2 offset:320
	ds_load_b128 v[149:152], v2 offset:336
	s_mov_b32 s0, exec_lo
	s_waitcnt vmcnt(7) lgkmcnt(1)
	v_fma_f32 v145, v114, v145, 0
	s_delay_alu instid0(VALU_DEP_1) | instskip(NEXT) | instid1(VALU_DEP_1)
	v_fmac_f32_e32 v145, v115, v146
	v_fmac_f32_e32 v145, v116, v147
	s_waitcnt vmcnt(6)
	s_delay_alu instid0(VALU_DEP_1) | instskip(SKIP_3) | instid1(VALU_DEP_1)
	v_fmac_f32_e32 v145, v117, v148
	ds_load_b128 v[114:117], v2 offset:352
	s_waitcnt lgkmcnt(1)
	v_fmac_f32_e32 v145, v118, v149
	v_fmac_f32_e32 v145, v119, v150
	s_delay_alu instid0(VALU_DEP_1) | instskip(SKIP_1) | instid1(VALU_DEP_1)
	v_fmac_f32_e32 v145, v120, v151
	s_waitcnt vmcnt(5)
	v_fmac_f32_e32 v145, v121, v152
	ds_load_b128 v[118:121], v2 offset:368
	s_waitcnt lgkmcnt(1)
	v_fmac_f32_e32 v145, v122, v114
	s_delay_alu instid0(VALU_DEP_1) | instskip(NEXT) | instid1(VALU_DEP_1)
	v_fmac_f32_e32 v145, v123, v115
	v_fmac_f32_e32 v145, v124, v116
	s_waitcnt vmcnt(4)
	s_delay_alu instid0(VALU_DEP_1) | instskip(SKIP_3) | instid1(VALU_DEP_1)
	v_fmac_f32_e32 v145, v125, v117
	ds_load_b128 v[114:117], v2 offset:384
	s_waitcnt lgkmcnt(1)
	v_fmac_f32_e32 v145, v126, v118
	v_fmac_f32_e32 v145, v127, v119
	s_delay_alu instid0(VALU_DEP_1) | instskip(SKIP_1) | instid1(VALU_DEP_1)
	v_fmac_f32_e32 v145, v128, v120
	s_waitcnt vmcnt(3)
	v_fmac_f32_e32 v145, v129, v121
	ds_load_b128 v[118:121], v2 offset:400
	s_waitcnt lgkmcnt(1)
	v_fmac_f32_e32 v145, v130, v114
	s_delay_alu instid0(VALU_DEP_1) | instskip(NEXT) | instid1(VALU_DEP_1)
	v_fmac_f32_e32 v145, v131, v115
	v_fmac_f32_e32 v145, v132, v116
	s_waitcnt vmcnt(2)
	s_delay_alu instid0(VALU_DEP_1) | instskip(SKIP_3) | instid1(VALU_DEP_1)
	v_fmac_f32_e32 v145, v133, v117
	ds_load_b128 v[114:117], v2 offset:416
	s_waitcnt lgkmcnt(1)
	v_fmac_f32_e32 v145, v134, v118
	v_fmac_f32_e32 v145, v135, v119
	s_delay_alu instid0(VALU_DEP_1) | instskip(SKIP_4) | instid1(VALU_DEP_1)
	v_fmac_f32_e32 v145, v136, v120
	ds_load_b96 v[118:120], v2 offset:432
	s_waitcnt vmcnt(1)
	v_fmac_f32_e32 v145, v137, v121
	s_waitcnt lgkmcnt(1)
	v_fmac_f32_e32 v145, v138, v114
	s_delay_alu instid0(VALU_DEP_1) | instskip(NEXT) | instid1(VALU_DEP_1)
	v_fmac_f32_e32 v145, v139, v115
	v_fmac_f32_e32 v145, v140, v116
	s_waitcnt vmcnt(0)
	s_delay_alu instid0(VALU_DEP_1) | instskip(SKIP_1) | instid1(VALU_DEP_1)
	v_fmac_f32_e32 v145, v141, v117
	s_waitcnt lgkmcnt(0)
	v_fmac_f32_e32 v145, v142, v118
	s_delay_alu instid0(VALU_DEP_1) | instskip(NEXT) | instid1(VALU_DEP_1)
	v_fmac_f32_e32 v145, v143, v119
	v_fmac_f32_e32 v145, v144, v120
	s_delay_alu instid0(VALU_DEP_1)
	v_sub_f32_e32 v113, v113, v145
	scratch_store_b32 off, v113, off offset:92
	v_cmpx_lt_u32_e32 22, v0
	s_cbranch_execz .LBB54_293
; %bb.292:
	scratch_load_b32 v113, off, off offset:88
	scratch_store_b32 off, v2, off offset:88
	s_waitcnt vmcnt(0)
	ds_store_b32 v1, v113
.LBB54_293:
	s_or_b32 exec_lo, exec_lo, s0
	s_waitcnt lgkmcnt(0)
	s_waitcnt_vscnt null, 0x0
	s_barrier
	buffer_gl0_inv
	s_clause 0x8
	scratch_load_b128 v[113:116], off, off offset:88
	scratch_load_b128 v[117:120], off, off offset:104
	;; [unrolled: 1-line block ×8, first 2 shown]
	scratch_load_b32 v153, off, off offset:216
	ds_load_2addr_b32 v[145:146], v2 offset0:79 offset1:80
	ds_load_2addr_b32 v[147:148], v2 offset0:81 offset1:82
	;; [unrolled: 1-line block ×4, first 2 shown]
	s_mov_b32 s0, exec_lo
	s_waitcnt vmcnt(8) lgkmcnt(3)
	v_fma_f32 v145, v114, v145, 0
	s_delay_alu instid0(VALU_DEP_1) | instskip(SKIP_4) | instid1(VALU_DEP_1)
	v_fmac_f32_e32 v145, v115, v146
	ds_load_2addr_b32 v[114:115], v2 offset0:87 offset1:88
	s_waitcnt lgkmcnt(3)
	v_fmac_f32_e32 v145, v116, v147
	s_waitcnt vmcnt(7)
	v_fmac_f32_e32 v145, v117, v148
	ds_load_2addr_b32 v[116:117], v2 offset0:89 offset1:90
	s_waitcnt lgkmcnt(3)
	v_fmac_f32_e32 v145, v118, v149
	s_delay_alu instid0(VALU_DEP_1) | instskip(SKIP_1) | instid1(VALU_DEP_1)
	v_fmac_f32_e32 v145, v119, v150
	s_waitcnt lgkmcnt(2)
	v_fmac_f32_e32 v145, v120, v151
	s_waitcnt vmcnt(6)
	s_delay_alu instid0(VALU_DEP_1) | instskip(SKIP_4) | instid1(VALU_DEP_1)
	v_fmac_f32_e32 v145, v121, v152
	ds_load_2addr_b32 v[118:119], v2 offset0:91 offset1:92
	ds_load_2addr_b32 v[120:121], v2 offset0:93 offset1:94
	s_waitcnt lgkmcnt(3)
	v_fmac_f32_e32 v145, v122, v114
	v_fmac_f32_e32 v145, v123, v115
	ds_load_2addr_b32 v[114:115], v2 offset0:95 offset1:96
	s_waitcnt lgkmcnt(3)
	v_fmac_f32_e32 v145, v124, v116
	s_waitcnt vmcnt(5)
	s_delay_alu instid0(VALU_DEP_1) | instskip(SKIP_3) | instid1(VALU_DEP_1)
	v_fmac_f32_e32 v145, v125, v117
	ds_load_2addr_b32 v[116:117], v2 offset0:97 offset1:98
	s_waitcnt lgkmcnt(3)
	v_fmac_f32_e32 v145, v126, v118
	v_fmac_f32_e32 v145, v127, v119
	s_waitcnt lgkmcnt(2)
	s_delay_alu instid0(VALU_DEP_1) | instskip(SKIP_1) | instid1(VALU_DEP_1)
	v_fmac_f32_e32 v145, v128, v120
	s_waitcnt vmcnt(4)
	v_fmac_f32_e32 v145, v129, v121
	ds_load_2addr_b32 v[118:119], v2 offset0:99 offset1:100
	ds_load_2addr_b32 v[120:121], v2 offset0:101 offset1:102
	s_waitcnt lgkmcnt(3)
	v_fmac_f32_e32 v145, v130, v114
	s_delay_alu instid0(VALU_DEP_1) | instskip(SKIP_4) | instid1(VALU_DEP_1)
	v_fmac_f32_e32 v145, v131, v115
	ds_load_2addr_b32 v[114:115], v2 offset0:103 offset1:104
	s_waitcnt lgkmcnt(3)
	v_fmac_f32_e32 v145, v132, v116
	s_waitcnt vmcnt(3)
	v_fmac_f32_e32 v145, v133, v117
	ds_load_2addr_b32 v[116:117], v2 offset0:105 offset1:106
	s_waitcnt lgkmcnt(3)
	v_fmac_f32_e32 v145, v134, v118
	s_delay_alu instid0(VALU_DEP_1) | instskip(SKIP_1) | instid1(VALU_DEP_1)
	v_fmac_f32_e32 v145, v135, v119
	s_waitcnt lgkmcnt(2)
	v_fmac_f32_e32 v145, v136, v120
	s_waitcnt vmcnt(2)
	s_delay_alu instid0(VALU_DEP_1) | instskip(SKIP_4) | instid1(VALU_DEP_1)
	v_fmac_f32_e32 v145, v137, v121
	ds_load_2addr_b32 v[118:119], v2 offset0:107 offset1:108
	ds_load_2addr_b32 v[120:121], v2 offset0:109 offset1:110
	s_waitcnt lgkmcnt(3)
	v_fmac_f32_e32 v145, v138, v114
	v_fmac_f32_e32 v145, v139, v115
	s_waitcnt lgkmcnt(2)
	s_delay_alu instid0(VALU_DEP_1) | instskip(SKIP_1) | instid1(VALU_DEP_1)
	v_fmac_f32_e32 v145, v140, v116
	s_waitcnt vmcnt(1)
	v_fmac_f32_e32 v145, v141, v117
	s_waitcnt lgkmcnt(1)
	s_delay_alu instid0(VALU_DEP_1) | instskip(NEXT) | instid1(VALU_DEP_1)
	v_fmac_f32_e32 v145, v142, v118
	v_fmac_f32_e32 v145, v143, v119
	s_waitcnt lgkmcnt(0)
	s_delay_alu instid0(VALU_DEP_1) | instskip(SKIP_1) | instid1(VALU_DEP_1)
	v_fmac_f32_e32 v145, v144, v120
	s_waitcnt vmcnt(0)
	v_fmac_f32_e32 v145, v153, v121
	s_delay_alu instid0(VALU_DEP_1)
	v_sub_f32_e32 v2, v113, v145
	scratch_store_b32 off, v2, off offset:88
	v_cmpx_lt_u32_e32 21, v0
	s_cbranch_execz .LBB54_295
; %bb.294:
	scratch_load_b32 v2, off, off offset:84
	v_mov_b32_e32 v113, 0
	scratch_store_b32 off, v113, off offset:84
	s_waitcnt vmcnt(0)
	ds_store_b32 v1, v2
.LBB54_295:
	s_or_b32 exec_lo, exec_lo, s0
	s_waitcnt lgkmcnt(0)
	s_waitcnt_vscnt null, 0x0
	s_barrier
	buffer_gl0_inv
	s_clause 0x8
	scratch_load_b128 v[113:116], off, off offset:84
	scratch_load_b128 v[117:120], off, off offset:100
	;; [unrolled: 1-line block ×8, first 2 shown]
	scratch_load_b64 v[153:154], off, off offset:212
	v_mov_b32_e32 v2, 0
	ds_load_2addr_b64 v[145:148], v2 offset0:39 offset1:40
	ds_load_2addr_b64 v[149:152], v2 offset0:41 offset1:42
	s_mov_b32 s0, exec_lo
	s_waitcnt vmcnt(8) lgkmcnt(1)
	v_fma_f32 v145, v114, v145, 0
	s_delay_alu instid0(VALU_DEP_1) | instskip(NEXT) | instid1(VALU_DEP_1)
	v_fmac_f32_e32 v145, v115, v146
	v_fmac_f32_e32 v145, v116, v147
	s_waitcnt vmcnt(7)
	s_delay_alu instid0(VALU_DEP_1) | instskip(SKIP_3) | instid1(VALU_DEP_1)
	v_fmac_f32_e32 v145, v117, v148
	ds_load_2addr_b64 v[114:117], v2 offset0:43 offset1:44
	s_waitcnt lgkmcnt(1)
	v_fmac_f32_e32 v145, v118, v149
	v_fmac_f32_e32 v145, v119, v150
	s_delay_alu instid0(VALU_DEP_1) | instskip(SKIP_1) | instid1(VALU_DEP_1)
	v_fmac_f32_e32 v145, v120, v151
	s_waitcnt vmcnt(6)
	v_fmac_f32_e32 v145, v121, v152
	ds_load_2addr_b64 v[118:121], v2 offset0:45 offset1:46
	s_waitcnt lgkmcnt(1)
	v_fmac_f32_e32 v145, v122, v114
	s_delay_alu instid0(VALU_DEP_1) | instskip(NEXT) | instid1(VALU_DEP_1)
	v_fmac_f32_e32 v145, v123, v115
	v_fmac_f32_e32 v145, v124, v116
	s_waitcnt vmcnt(5)
	s_delay_alu instid0(VALU_DEP_1) | instskip(SKIP_3) | instid1(VALU_DEP_1)
	v_fmac_f32_e32 v145, v125, v117
	ds_load_2addr_b64 v[114:117], v2 offset0:47 offset1:48
	s_waitcnt lgkmcnt(1)
	v_fmac_f32_e32 v145, v126, v118
	v_fmac_f32_e32 v145, v127, v119
	s_delay_alu instid0(VALU_DEP_1) | instskip(SKIP_1) | instid1(VALU_DEP_1)
	v_fmac_f32_e32 v145, v128, v120
	s_waitcnt vmcnt(4)
	v_fmac_f32_e32 v145, v129, v121
	ds_load_2addr_b64 v[118:121], v2 offset0:49 offset1:50
	s_waitcnt lgkmcnt(1)
	v_fmac_f32_e32 v145, v130, v114
	;; [unrolled: 17-line block ×3, first 2 shown]
	ds_load_b32 v114, v2 offset:440
	v_fmac_f32_e32 v145, v139, v115
	s_delay_alu instid0(VALU_DEP_1) | instskip(SKIP_1) | instid1(VALU_DEP_1)
	v_fmac_f32_e32 v145, v140, v116
	s_waitcnt vmcnt(1)
	v_fmac_f32_e32 v145, v141, v117
	s_waitcnt lgkmcnt(1)
	s_delay_alu instid0(VALU_DEP_1) | instskip(NEXT) | instid1(VALU_DEP_1)
	v_fmac_f32_e32 v145, v142, v118
	v_fmac_f32_e32 v145, v143, v119
	s_delay_alu instid0(VALU_DEP_1) | instskip(SKIP_1) | instid1(VALU_DEP_1)
	v_fmac_f32_e32 v145, v144, v120
	s_waitcnt vmcnt(0)
	v_fmac_f32_e32 v145, v153, v121
	s_waitcnt lgkmcnt(0)
	s_delay_alu instid0(VALU_DEP_1) | instskip(NEXT) | instid1(VALU_DEP_1)
	v_fmac_f32_e32 v145, v154, v114
	v_sub_f32_e32 v113, v113, v145
	scratch_store_b32 off, v113, off offset:84
	v_cmpx_lt_u32_e32 20, v0
	s_cbranch_execz .LBB54_297
; %bb.296:
	scratch_load_b32 v113, off, off offset:80
	scratch_store_b32 off, v2, off offset:80
	s_waitcnt vmcnt(0)
	ds_store_b32 v1, v113
.LBB54_297:
	s_or_b32 exec_lo, exec_lo, s0
	s_waitcnt lgkmcnt(0)
	s_waitcnt_vscnt null, 0x0
	s_barrier
	buffer_gl0_inv
	s_clause 0x8
	scratch_load_b128 v[113:116], off, off offset:80
	scratch_load_b128 v[117:120], off, off offset:96
	scratch_load_b128 v[121:124], off, off offset:112
	scratch_load_b128 v[125:128], off, off offset:128
	scratch_load_b128 v[129:132], off, off offset:144
	scratch_load_b128 v[133:136], off, off offset:160
	scratch_load_b128 v[137:140], off, off offset:176
	scratch_load_b128 v[141:144], off, off offset:192
	scratch_load_b96 v[145:147], off, off offset:208
	ds_load_2addr_b32 v[148:149], v2 offset0:77 offset1:78
	ds_load_2addr_b32 v[150:151], v2 offset0:79 offset1:80
	ds_load_2addr_b32 v[152:153], v2 offset0:81 offset1:82
	ds_load_2addr_b32 v[154:155], v2 offset0:83 offset1:84
	s_mov_b32 s0, exec_lo
	s_waitcnt vmcnt(8) lgkmcnt(3)
	v_fma_f32 v148, v114, v148, 0
	s_delay_alu instid0(VALU_DEP_1) | instskip(SKIP_4) | instid1(VALU_DEP_1)
	v_fmac_f32_e32 v148, v115, v149
	ds_load_2addr_b32 v[114:115], v2 offset0:85 offset1:86
	s_waitcnt lgkmcnt(3)
	v_fmac_f32_e32 v148, v116, v150
	s_waitcnt vmcnt(7)
	v_fmac_f32_e32 v148, v117, v151
	ds_load_2addr_b32 v[116:117], v2 offset0:87 offset1:88
	s_waitcnt lgkmcnt(3)
	v_fmac_f32_e32 v148, v118, v152
	s_delay_alu instid0(VALU_DEP_1) | instskip(SKIP_1) | instid1(VALU_DEP_1)
	v_fmac_f32_e32 v148, v119, v153
	s_waitcnt lgkmcnt(2)
	v_fmac_f32_e32 v148, v120, v154
	s_waitcnt vmcnt(6)
	s_delay_alu instid0(VALU_DEP_1) | instskip(SKIP_4) | instid1(VALU_DEP_1)
	v_fmac_f32_e32 v148, v121, v155
	ds_load_2addr_b32 v[118:119], v2 offset0:89 offset1:90
	ds_load_2addr_b32 v[120:121], v2 offset0:91 offset1:92
	s_waitcnt lgkmcnt(3)
	v_fmac_f32_e32 v148, v122, v114
	v_fmac_f32_e32 v148, v123, v115
	ds_load_2addr_b32 v[114:115], v2 offset0:93 offset1:94
	s_waitcnt lgkmcnt(3)
	v_fmac_f32_e32 v148, v124, v116
	s_waitcnt vmcnt(5)
	s_delay_alu instid0(VALU_DEP_1) | instskip(SKIP_3) | instid1(VALU_DEP_1)
	v_fmac_f32_e32 v148, v125, v117
	ds_load_2addr_b32 v[116:117], v2 offset0:95 offset1:96
	s_waitcnt lgkmcnt(3)
	v_fmac_f32_e32 v148, v126, v118
	v_fmac_f32_e32 v148, v127, v119
	s_waitcnt lgkmcnt(2)
	s_delay_alu instid0(VALU_DEP_1) | instskip(SKIP_1) | instid1(VALU_DEP_1)
	v_fmac_f32_e32 v148, v128, v120
	s_waitcnt vmcnt(4)
	v_fmac_f32_e32 v148, v129, v121
	ds_load_2addr_b32 v[118:119], v2 offset0:97 offset1:98
	ds_load_2addr_b32 v[120:121], v2 offset0:99 offset1:100
	s_waitcnt lgkmcnt(3)
	v_fmac_f32_e32 v148, v130, v114
	s_delay_alu instid0(VALU_DEP_1) | instskip(SKIP_4) | instid1(VALU_DEP_1)
	v_fmac_f32_e32 v148, v131, v115
	ds_load_2addr_b32 v[114:115], v2 offset0:101 offset1:102
	s_waitcnt lgkmcnt(3)
	v_fmac_f32_e32 v148, v132, v116
	s_waitcnt vmcnt(3)
	v_fmac_f32_e32 v148, v133, v117
	ds_load_2addr_b32 v[116:117], v2 offset0:103 offset1:104
	s_waitcnt lgkmcnt(3)
	v_fmac_f32_e32 v148, v134, v118
	s_delay_alu instid0(VALU_DEP_1) | instskip(SKIP_1) | instid1(VALU_DEP_1)
	v_fmac_f32_e32 v148, v135, v119
	s_waitcnt lgkmcnt(2)
	v_fmac_f32_e32 v148, v136, v120
	s_waitcnt vmcnt(2)
	s_delay_alu instid0(VALU_DEP_1) | instskip(SKIP_4) | instid1(VALU_DEP_1)
	v_fmac_f32_e32 v148, v137, v121
	ds_load_2addr_b32 v[118:119], v2 offset0:105 offset1:106
	ds_load_2addr_b32 v[120:121], v2 offset0:107 offset1:108
	s_waitcnt lgkmcnt(3)
	v_fmac_f32_e32 v148, v138, v114
	v_fmac_f32_e32 v148, v139, v115
	ds_load_2addr_b32 v[114:115], v2 offset0:109 offset1:110
	s_waitcnt lgkmcnt(3)
	v_fmac_f32_e32 v148, v140, v116
	s_waitcnt vmcnt(1)
	s_delay_alu instid0(VALU_DEP_1) | instskip(SKIP_1) | instid1(VALU_DEP_1)
	v_fmac_f32_e32 v148, v141, v117
	s_waitcnt lgkmcnt(2)
	v_fmac_f32_e32 v148, v142, v118
	s_delay_alu instid0(VALU_DEP_1) | instskip(SKIP_1) | instid1(VALU_DEP_1)
	v_fmac_f32_e32 v148, v143, v119
	s_waitcnt lgkmcnt(1)
	v_fmac_f32_e32 v148, v144, v120
	s_waitcnt vmcnt(0)
	s_delay_alu instid0(VALU_DEP_1) | instskip(SKIP_1) | instid1(VALU_DEP_1)
	v_fmac_f32_e32 v148, v145, v121
	s_waitcnt lgkmcnt(0)
	v_fmac_f32_e32 v148, v146, v114
	s_delay_alu instid0(VALU_DEP_1) | instskip(NEXT) | instid1(VALU_DEP_1)
	v_fmac_f32_e32 v148, v147, v115
	v_sub_f32_e32 v2, v113, v148
	scratch_store_b32 off, v2, off offset:80
	v_cmpx_lt_u32_e32 19, v0
	s_cbranch_execz .LBB54_299
; %bb.298:
	scratch_load_b32 v2, off, off offset:76
	v_mov_b32_e32 v113, 0
	scratch_store_b32 off, v113, off offset:76
	s_waitcnt vmcnt(0)
	ds_store_b32 v1, v2
.LBB54_299:
	s_or_b32 exec_lo, exec_lo, s0
	s_waitcnt lgkmcnt(0)
	s_waitcnt_vscnt null, 0x0
	s_barrier
	buffer_gl0_inv
	s_clause 0x8
	scratch_load_b128 v[113:116], off, off offset:76
	scratch_load_b128 v[117:120], off, off offset:92
	;; [unrolled: 1-line block ×9, first 2 shown]
	v_mov_b32_e32 v2, 0
	ds_load_b128 v[149:152], v2 offset:304
	ds_load_b128 v[153:156], v2 offset:320
	s_mov_b32 s0, exec_lo
	s_waitcnt vmcnt(8) lgkmcnt(1)
	v_fma_f32 v149, v114, v149, 0
	s_delay_alu instid0(VALU_DEP_1) | instskip(NEXT) | instid1(VALU_DEP_1)
	v_fmac_f32_e32 v149, v115, v150
	v_fmac_f32_e32 v149, v116, v151
	s_waitcnt vmcnt(7)
	s_delay_alu instid0(VALU_DEP_1) | instskip(SKIP_3) | instid1(VALU_DEP_1)
	v_fmac_f32_e32 v149, v117, v152
	ds_load_b128 v[114:117], v2 offset:336
	s_waitcnt lgkmcnt(1)
	v_fmac_f32_e32 v149, v118, v153
	v_fmac_f32_e32 v149, v119, v154
	s_delay_alu instid0(VALU_DEP_1) | instskip(SKIP_1) | instid1(VALU_DEP_1)
	v_fmac_f32_e32 v149, v120, v155
	s_waitcnt vmcnt(6)
	v_fmac_f32_e32 v149, v121, v156
	ds_load_b128 v[118:121], v2 offset:352
	s_waitcnt lgkmcnt(1)
	v_fmac_f32_e32 v149, v122, v114
	s_delay_alu instid0(VALU_DEP_1) | instskip(NEXT) | instid1(VALU_DEP_1)
	v_fmac_f32_e32 v149, v123, v115
	v_fmac_f32_e32 v149, v124, v116
	s_waitcnt vmcnt(5)
	s_delay_alu instid0(VALU_DEP_1) | instskip(SKIP_3) | instid1(VALU_DEP_1)
	v_fmac_f32_e32 v149, v125, v117
	ds_load_b128 v[114:117], v2 offset:368
	s_waitcnt lgkmcnt(1)
	v_fmac_f32_e32 v149, v126, v118
	v_fmac_f32_e32 v149, v127, v119
	s_delay_alu instid0(VALU_DEP_1) | instskip(SKIP_1) | instid1(VALU_DEP_1)
	v_fmac_f32_e32 v149, v128, v120
	s_waitcnt vmcnt(4)
	v_fmac_f32_e32 v149, v129, v121
	ds_load_b128 v[118:121], v2 offset:384
	s_waitcnt lgkmcnt(1)
	v_fmac_f32_e32 v149, v130, v114
	;; [unrolled: 17-line block ×3, first 2 shown]
	s_delay_alu instid0(VALU_DEP_1) | instskip(NEXT) | instid1(VALU_DEP_1)
	v_fmac_f32_e32 v149, v139, v115
	v_fmac_f32_e32 v149, v140, v116
	ds_load_b96 v[114:116], v2 offset:432
	s_waitcnt vmcnt(1)
	v_fmac_f32_e32 v149, v141, v117
	s_waitcnt lgkmcnt(1)
	s_delay_alu instid0(VALU_DEP_1) | instskip(NEXT) | instid1(VALU_DEP_1)
	v_fmac_f32_e32 v149, v142, v118
	v_fmac_f32_e32 v149, v143, v119
	s_delay_alu instid0(VALU_DEP_1) | instskip(SKIP_1) | instid1(VALU_DEP_1)
	v_fmac_f32_e32 v149, v144, v120
	s_waitcnt vmcnt(0)
	v_fmac_f32_e32 v149, v145, v121
	s_waitcnt lgkmcnt(0)
	s_delay_alu instid0(VALU_DEP_1) | instskip(NEXT) | instid1(VALU_DEP_1)
	v_fmac_f32_e32 v149, v146, v114
	v_fmac_f32_e32 v149, v147, v115
	s_delay_alu instid0(VALU_DEP_1) | instskip(NEXT) | instid1(VALU_DEP_1)
	v_fmac_f32_e32 v149, v148, v116
	v_sub_f32_e32 v113, v113, v149
	scratch_store_b32 off, v113, off offset:76
	v_cmpx_lt_u32_e32 18, v0
	s_cbranch_execz .LBB54_301
; %bb.300:
	scratch_load_b32 v113, off, off offset:72
	scratch_store_b32 off, v2, off offset:72
	s_waitcnt vmcnt(0)
	ds_store_b32 v1, v113
.LBB54_301:
	s_or_b32 exec_lo, exec_lo, s0
	s_waitcnt lgkmcnt(0)
	s_waitcnt_vscnt null, 0x0
	s_barrier
	buffer_gl0_inv
	s_clause 0x9
	scratch_load_b128 v[113:116], off, off offset:72
	scratch_load_b128 v[117:120], off, off offset:88
	;; [unrolled: 1-line block ×9, first 2 shown]
	scratch_load_b32 v157, off, off offset:216
	ds_load_2addr_b32 v[149:150], v2 offset0:75 offset1:76
	ds_load_2addr_b32 v[151:152], v2 offset0:77 offset1:78
	;; [unrolled: 1-line block ×4, first 2 shown]
	s_mov_b32 s0, exec_lo
	s_waitcnt vmcnt(9) lgkmcnt(3)
	v_fma_f32 v149, v114, v149, 0
	s_delay_alu instid0(VALU_DEP_1) | instskip(SKIP_4) | instid1(VALU_DEP_1)
	v_fmac_f32_e32 v149, v115, v150
	ds_load_2addr_b32 v[114:115], v2 offset0:83 offset1:84
	s_waitcnt lgkmcnt(3)
	v_fmac_f32_e32 v149, v116, v151
	s_waitcnt vmcnt(8)
	v_fmac_f32_e32 v149, v117, v152
	ds_load_2addr_b32 v[116:117], v2 offset0:85 offset1:86
	s_waitcnt lgkmcnt(3)
	v_fmac_f32_e32 v149, v118, v153
	s_delay_alu instid0(VALU_DEP_1) | instskip(SKIP_1) | instid1(VALU_DEP_1)
	v_fmac_f32_e32 v149, v119, v154
	s_waitcnt lgkmcnt(2)
	v_fmac_f32_e32 v149, v120, v155
	s_waitcnt vmcnt(7)
	s_delay_alu instid0(VALU_DEP_1) | instskip(SKIP_4) | instid1(VALU_DEP_1)
	v_fmac_f32_e32 v149, v121, v156
	ds_load_2addr_b32 v[118:119], v2 offset0:87 offset1:88
	ds_load_2addr_b32 v[120:121], v2 offset0:89 offset1:90
	s_waitcnt lgkmcnt(3)
	v_fmac_f32_e32 v149, v122, v114
	v_fmac_f32_e32 v149, v123, v115
	ds_load_2addr_b32 v[114:115], v2 offset0:91 offset1:92
	s_waitcnt lgkmcnt(3)
	v_fmac_f32_e32 v149, v124, v116
	s_waitcnt vmcnt(6)
	s_delay_alu instid0(VALU_DEP_1) | instskip(SKIP_3) | instid1(VALU_DEP_1)
	v_fmac_f32_e32 v149, v125, v117
	ds_load_2addr_b32 v[116:117], v2 offset0:93 offset1:94
	s_waitcnt lgkmcnt(3)
	v_fmac_f32_e32 v149, v126, v118
	v_fmac_f32_e32 v149, v127, v119
	s_waitcnt lgkmcnt(2)
	s_delay_alu instid0(VALU_DEP_1) | instskip(SKIP_1) | instid1(VALU_DEP_1)
	v_fmac_f32_e32 v149, v128, v120
	s_waitcnt vmcnt(5)
	v_fmac_f32_e32 v149, v129, v121
	ds_load_2addr_b32 v[118:119], v2 offset0:95 offset1:96
	ds_load_2addr_b32 v[120:121], v2 offset0:97 offset1:98
	s_waitcnt lgkmcnt(3)
	v_fmac_f32_e32 v149, v130, v114
	s_delay_alu instid0(VALU_DEP_1) | instskip(SKIP_4) | instid1(VALU_DEP_1)
	v_fmac_f32_e32 v149, v131, v115
	ds_load_2addr_b32 v[114:115], v2 offset0:99 offset1:100
	s_waitcnt lgkmcnt(3)
	v_fmac_f32_e32 v149, v132, v116
	s_waitcnt vmcnt(4)
	v_fmac_f32_e32 v149, v133, v117
	ds_load_2addr_b32 v[116:117], v2 offset0:101 offset1:102
	s_waitcnt lgkmcnt(3)
	v_fmac_f32_e32 v149, v134, v118
	s_delay_alu instid0(VALU_DEP_1) | instskip(SKIP_1) | instid1(VALU_DEP_1)
	v_fmac_f32_e32 v149, v135, v119
	s_waitcnt lgkmcnt(2)
	v_fmac_f32_e32 v149, v136, v120
	s_waitcnt vmcnt(3)
	s_delay_alu instid0(VALU_DEP_1) | instskip(SKIP_4) | instid1(VALU_DEP_1)
	v_fmac_f32_e32 v149, v137, v121
	ds_load_2addr_b32 v[118:119], v2 offset0:103 offset1:104
	ds_load_2addr_b32 v[120:121], v2 offset0:105 offset1:106
	s_waitcnt lgkmcnt(3)
	v_fmac_f32_e32 v149, v138, v114
	v_fmac_f32_e32 v149, v139, v115
	ds_load_2addr_b32 v[114:115], v2 offset0:107 offset1:108
	s_waitcnt lgkmcnt(3)
	v_fmac_f32_e32 v149, v140, v116
	s_waitcnt vmcnt(2)
	s_delay_alu instid0(VALU_DEP_1) | instskip(SKIP_3) | instid1(VALU_DEP_1)
	v_fmac_f32_e32 v149, v141, v117
	ds_load_2addr_b32 v[116:117], v2 offset0:109 offset1:110
	s_waitcnt lgkmcnt(3)
	v_fmac_f32_e32 v149, v142, v118
	v_fmac_f32_e32 v149, v143, v119
	s_waitcnt lgkmcnt(2)
	s_delay_alu instid0(VALU_DEP_1) | instskip(SKIP_1) | instid1(VALU_DEP_1)
	v_fmac_f32_e32 v149, v144, v120
	s_waitcnt vmcnt(1)
	v_fmac_f32_e32 v149, v145, v121
	s_waitcnt lgkmcnt(1)
	s_delay_alu instid0(VALU_DEP_1) | instskip(NEXT) | instid1(VALU_DEP_1)
	v_fmac_f32_e32 v149, v146, v114
	v_fmac_f32_e32 v149, v147, v115
	s_waitcnt lgkmcnt(0)
	s_delay_alu instid0(VALU_DEP_1) | instskip(SKIP_1) | instid1(VALU_DEP_1)
	v_fmac_f32_e32 v149, v148, v116
	s_waitcnt vmcnt(0)
	v_fmac_f32_e32 v149, v157, v117
	s_delay_alu instid0(VALU_DEP_1)
	v_sub_f32_e32 v2, v113, v149
	scratch_store_b32 off, v2, off offset:72
	v_cmpx_lt_u32_e32 17, v0
	s_cbranch_execz .LBB54_303
; %bb.302:
	scratch_load_b32 v2, off, off offset:68
	v_mov_b32_e32 v113, 0
	scratch_store_b32 off, v113, off offset:68
	s_waitcnt vmcnt(0)
	ds_store_b32 v1, v2
.LBB54_303:
	s_or_b32 exec_lo, exec_lo, s0
	s_waitcnt lgkmcnt(0)
	s_waitcnt_vscnt null, 0x0
	s_barrier
	buffer_gl0_inv
	s_clause 0x9
	scratch_load_b128 v[113:116], off, off offset:68
	scratch_load_b128 v[117:120], off, off offset:84
	;; [unrolled: 1-line block ×9, first 2 shown]
	scratch_load_b64 v[157:158], off, off offset:212
	v_mov_b32_e32 v2, 0
	ds_load_2addr_b64 v[149:152], v2 offset0:37 offset1:38
	ds_load_2addr_b64 v[153:156], v2 offset0:39 offset1:40
	s_mov_b32 s0, exec_lo
	s_waitcnt vmcnt(9) lgkmcnt(1)
	v_fma_f32 v149, v114, v149, 0
	s_delay_alu instid0(VALU_DEP_1) | instskip(NEXT) | instid1(VALU_DEP_1)
	v_fmac_f32_e32 v149, v115, v150
	v_fmac_f32_e32 v149, v116, v151
	s_waitcnt vmcnt(8)
	s_delay_alu instid0(VALU_DEP_1) | instskip(SKIP_3) | instid1(VALU_DEP_1)
	v_fmac_f32_e32 v149, v117, v152
	ds_load_2addr_b64 v[114:117], v2 offset0:41 offset1:42
	s_waitcnt lgkmcnt(1)
	v_fmac_f32_e32 v149, v118, v153
	v_fmac_f32_e32 v149, v119, v154
	s_delay_alu instid0(VALU_DEP_1) | instskip(SKIP_1) | instid1(VALU_DEP_1)
	v_fmac_f32_e32 v149, v120, v155
	s_waitcnt vmcnt(7)
	v_fmac_f32_e32 v149, v121, v156
	ds_load_2addr_b64 v[118:121], v2 offset0:43 offset1:44
	s_waitcnt lgkmcnt(1)
	v_fmac_f32_e32 v149, v122, v114
	s_delay_alu instid0(VALU_DEP_1) | instskip(NEXT) | instid1(VALU_DEP_1)
	v_fmac_f32_e32 v149, v123, v115
	v_fmac_f32_e32 v149, v124, v116
	s_waitcnt vmcnt(6)
	s_delay_alu instid0(VALU_DEP_1) | instskip(SKIP_3) | instid1(VALU_DEP_1)
	v_fmac_f32_e32 v149, v125, v117
	ds_load_2addr_b64 v[114:117], v2 offset0:45 offset1:46
	s_waitcnt lgkmcnt(1)
	v_fmac_f32_e32 v149, v126, v118
	v_fmac_f32_e32 v149, v127, v119
	s_delay_alu instid0(VALU_DEP_1) | instskip(SKIP_1) | instid1(VALU_DEP_1)
	v_fmac_f32_e32 v149, v128, v120
	s_waitcnt vmcnt(5)
	v_fmac_f32_e32 v149, v129, v121
	ds_load_2addr_b64 v[118:121], v2 offset0:47 offset1:48
	s_waitcnt lgkmcnt(1)
	v_fmac_f32_e32 v149, v130, v114
	;; [unrolled: 17-line block ×3, first 2 shown]
	s_delay_alu instid0(VALU_DEP_1) | instskip(NEXT) | instid1(VALU_DEP_1)
	v_fmac_f32_e32 v149, v139, v115
	v_fmac_f32_e32 v149, v140, v116
	s_waitcnt vmcnt(2)
	s_delay_alu instid0(VALU_DEP_1)
	v_fmac_f32_e32 v149, v141, v117
	ds_load_2addr_b64 v[114:117], v2 offset0:53 offset1:54
	s_waitcnt lgkmcnt(1)
	v_fmac_f32_e32 v149, v142, v118
	ds_load_b32 v118, v2 offset:440
	v_fmac_f32_e32 v149, v143, v119
	s_delay_alu instid0(VALU_DEP_1) | instskip(SKIP_1) | instid1(VALU_DEP_1)
	v_fmac_f32_e32 v149, v144, v120
	s_waitcnt vmcnt(1)
	v_fmac_f32_e32 v149, v145, v121
	s_waitcnt lgkmcnt(1)
	s_delay_alu instid0(VALU_DEP_1) | instskip(NEXT) | instid1(VALU_DEP_1)
	v_fmac_f32_e32 v149, v146, v114
	v_fmac_f32_e32 v149, v147, v115
	s_delay_alu instid0(VALU_DEP_1) | instskip(SKIP_1) | instid1(VALU_DEP_1)
	v_fmac_f32_e32 v149, v148, v116
	s_waitcnt vmcnt(0)
	v_fmac_f32_e32 v149, v157, v117
	s_waitcnt lgkmcnt(0)
	s_delay_alu instid0(VALU_DEP_1) | instskip(NEXT) | instid1(VALU_DEP_1)
	v_fmac_f32_e32 v149, v158, v118
	v_sub_f32_e32 v113, v113, v149
	scratch_store_b32 off, v113, off offset:68
	v_cmpx_lt_u32_e32 16, v0
	s_cbranch_execz .LBB54_305
; %bb.304:
	scratch_load_b32 v113, off, off offset:64
	scratch_store_b32 off, v2, off offset:64
	s_waitcnt vmcnt(0)
	ds_store_b32 v1, v113
.LBB54_305:
	s_or_b32 exec_lo, exec_lo, s0
	s_waitcnt lgkmcnt(0)
	s_waitcnt_vscnt null, 0x0
	s_barrier
	buffer_gl0_inv
	s_clause 0x9
	scratch_load_b128 v[113:116], off, off offset:64
	scratch_load_b128 v[117:120], off, off offset:80
	;; [unrolled: 1-line block ×9, first 2 shown]
	scratch_load_b96 v[149:151], off, off offset:208
	ds_load_2addr_b32 v[152:153], v2 offset0:73 offset1:74
	ds_load_2addr_b32 v[154:155], v2 offset0:75 offset1:76
	;; [unrolled: 1-line block ×4, first 2 shown]
	s_mov_b32 s0, exec_lo
	s_waitcnt vmcnt(9) lgkmcnt(3)
	v_fma_f32 v152, v114, v152, 0
	s_delay_alu instid0(VALU_DEP_1) | instskip(SKIP_4) | instid1(VALU_DEP_1)
	v_fmac_f32_e32 v152, v115, v153
	ds_load_2addr_b32 v[114:115], v2 offset0:81 offset1:82
	s_waitcnt lgkmcnt(3)
	v_fmac_f32_e32 v152, v116, v154
	s_waitcnt vmcnt(8)
	v_fmac_f32_e32 v152, v117, v155
	ds_load_2addr_b32 v[116:117], v2 offset0:83 offset1:84
	s_waitcnt lgkmcnt(3)
	v_fmac_f32_e32 v152, v118, v156
	s_delay_alu instid0(VALU_DEP_1) | instskip(SKIP_1) | instid1(VALU_DEP_1)
	v_fmac_f32_e32 v152, v119, v157
	s_waitcnt lgkmcnt(2)
	v_fmac_f32_e32 v152, v120, v158
	s_waitcnt vmcnt(7)
	s_delay_alu instid0(VALU_DEP_1) | instskip(SKIP_4) | instid1(VALU_DEP_1)
	v_fmac_f32_e32 v152, v121, v159
	ds_load_2addr_b32 v[118:119], v2 offset0:85 offset1:86
	ds_load_2addr_b32 v[120:121], v2 offset0:87 offset1:88
	s_waitcnt lgkmcnt(3)
	v_fmac_f32_e32 v152, v122, v114
	v_fmac_f32_e32 v152, v123, v115
	ds_load_2addr_b32 v[114:115], v2 offset0:89 offset1:90
	s_waitcnt lgkmcnt(3)
	v_fmac_f32_e32 v152, v124, v116
	s_waitcnt vmcnt(6)
	s_delay_alu instid0(VALU_DEP_1) | instskip(SKIP_3) | instid1(VALU_DEP_1)
	v_fmac_f32_e32 v152, v125, v117
	ds_load_2addr_b32 v[116:117], v2 offset0:91 offset1:92
	s_waitcnt lgkmcnt(3)
	v_fmac_f32_e32 v152, v126, v118
	v_fmac_f32_e32 v152, v127, v119
	s_waitcnt lgkmcnt(2)
	s_delay_alu instid0(VALU_DEP_1) | instskip(SKIP_1) | instid1(VALU_DEP_1)
	v_fmac_f32_e32 v152, v128, v120
	s_waitcnt vmcnt(5)
	v_fmac_f32_e32 v152, v129, v121
	ds_load_2addr_b32 v[118:119], v2 offset0:93 offset1:94
	ds_load_2addr_b32 v[120:121], v2 offset0:95 offset1:96
	s_waitcnt lgkmcnt(3)
	v_fmac_f32_e32 v152, v130, v114
	s_delay_alu instid0(VALU_DEP_1) | instskip(SKIP_4) | instid1(VALU_DEP_1)
	v_fmac_f32_e32 v152, v131, v115
	ds_load_2addr_b32 v[114:115], v2 offset0:97 offset1:98
	s_waitcnt lgkmcnt(3)
	v_fmac_f32_e32 v152, v132, v116
	s_waitcnt vmcnt(4)
	v_fmac_f32_e32 v152, v133, v117
	ds_load_2addr_b32 v[116:117], v2 offset0:99 offset1:100
	s_waitcnt lgkmcnt(3)
	v_fmac_f32_e32 v152, v134, v118
	s_delay_alu instid0(VALU_DEP_1) | instskip(SKIP_1) | instid1(VALU_DEP_1)
	v_fmac_f32_e32 v152, v135, v119
	s_waitcnt lgkmcnt(2)
	v_fmac_f32_e32 v152, v136, v120
	s_waitcnt vmcnt(3)
	s_delay_alu instid0(VALU_DEP_1) | instskip(SKIP_4) | instid1(VALU_DEP_1)
	v_fmac_f32_e32 v152, v137, v121
	ds_load_2addr_b32 v[118:119], v2 offset0:101 offset1:102
	ds_load_2addr_b32 v[120:121], v2 offset0:103 offset1:104
	s_waitcnt lgkmcnt(3)
	v_fmac_f32_e32 v152, v138, v114
	v_fmac_f32_e32 v152, v139, v115
	ds_load_2addr_b32 v[114:115], v2 offset0:105 offset1:106
	s_waitcnt lgkmcnt(3)
	v_fmac_f32_e32 v152, v140, v116
	s_waitcnt vmcnt(2)
	s_delay_alu instid0(VALU_DEP_1) | instskip(SKIP_3) | instid1(VALU_DEP_1)
	v_fmac_f32_e32 v152, v141, v117
	ds_load_2addr_b32 v[116:117], v2 offset0:107 offset1:108
	s_waitcnt lgkmcnt(3)
	v_fmac_f32_e32 v152, v142, v118
	v_fmac_f32_e32 v152, v143, v119
	ds_load_2addr_b32 v[118:119], v2 offset0:109 offset1:110
	s_waitcnt lgkmcnt(3)
	v_fmac_f32_e32 v152, v144, v120
	s_waitcnt vmcnt(1)
	s_delay_alu instid0(VALU_DEP_1) | instskip(SKIP_1) | instid1(VALU_DEP_1)
	v_fmac_f32_e32 v152, v145, v121
	s_waitcnt lgkmcnt(2)
	v_fmac_f32_e32 v152, v146, v114
	s_delay_alu instid0(VALU_DEP_1) | instskip(SKIP_1) | instid1(VALU_DEP_1)
	v_fmac_f32_e32 v152, v147, v115
	s_waitcnt lgkmcnt(1)
	v_fmac_f32_e32 v152, v148, v116
	s_waitcnt vmcnt(0)
	s_delay_alu instid0(VALU_DEP_1) | instskip(SKIP_1) | instid1(VALU_DEP_1)
	v_fmac_f32_e32 v152, v149, v117
	s_waitcnt lgkmcnt(0)
	v_fmac_f32_e32 v152, v150, v118
	s_delay_alu instid0(VALU_DEP_1) | instskip(NEXT) | instid1(VALU_DEP_1)
	v_fmac_f32_e32 v152, v151, v119
	v_sub_f32_e32 v2, v113, v152
	scratch_store_b32 off, v2, off offset:64
	v_cmpx_lt_u32_e32 15, v0
	s_cbranch_execz .LBB54_307
; %bb.306:
	scratch_load_b32 v2, off, off offset:60
	v_mov_b32_e32 v113, 0
	scratch_store_b32 off, v113, off offset:60
	s_waitcnt vmcnt(0)
	ds_store_b32 v1, v2
.LBB54_307:
	s_or_b32 exec_lo, exec_lo, s0
	s_waitcnt lgkmcnt(0)
	s_waitcnt_vscnt null, 0x0
	s_barrier
	buffer_gl0_inv
	s_clause 0x9
	scratch_load_b128 v[113:116], off, off offset:60
	scratch_load_b128 v[117:120], off, off offset:76
	;; [unrolled: 1-line block ×10, first 2 shown]
	v_mov_b32_e32 v2, 0
	ds_load_b128 v[153:156], v2 offset:288
	ds_load_b128 v[157:160], v2 offset:304
	s_mov_b32 s0, exec_lo
	s_waitcnt vmcnt(9) lgkmcnt(1)
	v_fma_f32 v153, v114, v153, 0
	s_delay_alu instid0(VALU_DEP_1) | instskip(NEXT) | instid1(VALU_DEP_1)
	v_fmac_f32_e32 v153, v115, v154
	v_fmac_f32_e32 v153, v116, v155
	s_waitcnt vmcnt(8)
	s_delay_alu instid0(VALU_DEP_1) | instskip(SKIP_3) | instid1(VALU_DEP_1)
	v_fmac_f32_e32 v153, v117, v156
	ds_load_b128 v[114:117], v2 offset:320
	s_waitcnt lgkmcnt(1)
	v_fmac_f32_e32 v153, v118, v157
	v_fmac_f32_e32 v153, v119, v158
	s_delay_alu instid0(VALU_DEP_1) | instskip(SKIP_1) | instid1(VALU_DEP_1)
	v_fmac_f32_e32 v153, v120, v159
	s_waitcnt vmcnt(7)
	v_fmac_f32_e32 v153, v121, v160
	ds_load_b128 v[118:121], v2 offset:336
	s_waitcnt lgkmcnt(1)
	v_fmac_f32_e32 v153, v122, v114
	s_delay_alu instid0(VALU_DEP_1) | instskip(NEXT) | instid1(VALU_DEP_1)
	v_fmac_f32_e32 v153, v123, v115
	v_fmac_f32_e32 v153, v124, v116
	s_waitcnt vmcnt(6)
	s_delay_alu instid0(VALU_DEP_1) | instskip(SKIP_3) | instid1(VALU_DEP_1)
	v_fmac_f32_e32 v153, v125, v117
	ds_load_b128 v[114:117], v2 offset:352
	s_waitcnt lgkmcnt(1)
	v_fmac_f32_e32 v153, v126, v118
	v_fmac_f32_e32 v153, v127, v119
	s_delay_alu instid0(VALU_DEP_1) | instskip(SKIP_1) | instid1(VALU_DEP_1)
	v_fmac_f32_e32 v153, v128, v120
	s_waitcnt vmcnt(5)
	v_fmac_f32_e32 v153, v129, v121
	ds_load_b128 v[118:121], v2 offset:368
	s_waitcnt lgkmcnt(1)
	v_fmac_f32_e32 v153, v130, v114
	;; [unrolled: 17-line block ×3, first 2 shown]
	s_delay_alu instid0(VALU_DEP_1) | instskip(NEXT) | instid1(VALU_DEP_1)
	v_fmac_f32_e32 v153, v139, v115
	v_fmac_f32_e32 v153, v140, v116
	s_waitcnt vmcnt(2)
	s_delay_alu instid0(VALU_DEP_1) | instskip(SKIP_3) | instid1(VALU_DEP_1)
	v_fmac_f32_e32 v153, v141, v117
	ds_load_b128 v[114:117], v2 offset:416
	s_waitcnt lgkmcnt(1)
	v_fmac_f32_e32 v153, v142, v118
	v_fmac_f32_e32 v153, v143, v119
	s_delay_alu instid0(VALU_DEP_1) | instskip(SKIP_4) | instid1(VALU_DEP_1)
	v_fmac_f32_e32 v153, v144, v120
	ds_load_b96 v[118:120], v2 offset:432
	s_waitcnt vmcnt(1)
	v_fmac_f32_e32 v153, v145, v121
	s_waitcnt lgkmcnt(1)
	v_fmac_f32_e32 v153, v146, v114
	s_delay_alu instid0(VALU_DEP_1) | instskip(NEXT) | instid1(VALU_DEP_1)
	v_fmac_f32_e32 v153, v147, v115
	v_fmac_f32_e32 v153, v148, v116
	s_waitcnt vmcnt(0)
	s_delay_alu instid0(VALU_DEP_1) | instskip(SKIP_1) | instid1(VALU_DEP_1)
	v_fmac_f32_e32 v153, v149, v117
	s_waitcnt lgkmcnt(0)
	v_fmac_f32_e32 v153, v150, v118
	s_delay_alu instid0(VALU_DEP_1) | instskip(NEXT) | instid1(VALU_DEP_1)
	v_fmac_f32_e32 v153, v151, v119
	v_fmac_f32_e32 v153, v152, v120
	s_delay_alu instid0(VALU_DEP_1)
	v_sub_f32_e32 v113, v113, v153
	scratch_store_b32 off, v113, off offset:60
	v_cmpx_lt_u32_e32 14, v0
	s_cbranch_execz .LBB54_309
; %bb.308:
	scratch_load_b32 v113, off, off offset:56
	scratch_store_b32 off, v2, off offset:56
	s_waitcnt vmcnt(0)
	ds_store_b32 v1, v113
.LBB54_309:
	s_or_b32 exec_lo, exec_lo, s0
	s_waitcnt lgkmcnt(0)
	s_waitcnt_vscnt null, 0x0
	s_barrier
	buffer_gl0_inv
	s_clause 0xa
	scratch_load_b128 v[113:116], off, off offset:56
	scratch_load_b128 v[117:120], off, off offset:72
	;; [unrolled: 1-line block ×10, first 2 shown]
	scratch_load_b32 v161, off, off offset:216
	ds_load_2addr_b32 v[153:154], v2 offset0:71 offset1:72
	ds_load_2addr_b32 v[155:156], v2 offset0:73 offset1:74
	;; [unrolled: 1-line block ×4, first 2 shown]
	s_mov_b32 s0, exec_lo
	s_waitcnt vmcnt(10) lgkmcnt(3)
	v_fma_f32 v153, v114, v153, 0
	s_delay_alu instid0(VALU_DEP_1) | instskip(SKIP_4) | instid1(VALU_DEP_1)
	v_fmac_f32_e32 v153, v115, v154
	ds_load_2addr_b32 v[114:115], v2 offset0:79 offset1:80
	s_waitcnt lgkmcnt(3)
	v_fmac_f32_e32 v153, v116, v155
	s_waitcnt vmcnt(9)
	v_fmac_f32_e32 v153, v117, v156
	ds_load_2addr_b32 v[116:117], v2 offset0:81 offset1:82
	s_waitcnt lgkmcnt(3)
	v_fmac_f32_e32 v153, v118, v157
	s_delay_alu instid0(VALU_DEP_1) | instskip(SKIP_1) | instid1(VALU_DEP_1)
	v_fmac_f32_e32 v153, v119, v158
	s_waitcnt lgkmcnt(2)
	v_fmac_f32_e32 v153, v120, v159
	s_waitcnt vmcnt(8)
	s_delay_alu instid0(VALU_DEP_1) | instskip(SKIP_4) | instid1(VALU_DEP_1)
	v_fmac_f32_e32 v153, v121, v160
	ds_load_2addr_b32 v[118:119], v2 offset0:83 offset1:84
	ds_load_2addr_b32 v[120:121], v2 offset0:85 offset1:86
	s_waitcnt lgkmcnt(3)
	v_fmac_f32_e32 v153, v122, v114
	v_fmac_f32_e32 v153, v123, v115
	ds_load_2addr_b32 v[114:115], v2 offset0:87 offset1:88
	s_waitcnt lgkmcnt(3)
	v_fmac_f32_e32 v153, v124, v116
	s_waitcnt vmcnt(7)
	s_delay_alu instid0(VALU_DEP_1) | instskip(SKIP_3) | instid1(VALU_DEP_1)
	v_fmac_f32_e32 v153, v125, v117
	ds_load_2addr_b32 v[116:117], v2 offset0:89 offset1:90
	s_waitcnt lgkmcnt(3)
	v_fmac_f32_e32 v153, v126, v118
	v_fmac_f32_e32 v153, v127, v119
	s_waitcnt lgkmcnt(2)
	s_delay_alu instid0(VALU_DEP_1) | instskip(SKIP_1) | instid1(VALU_DEP_1)
	v_fmac_f32_e32 v153, v128, v120
	s_waitcnt vmcnt(6)
	v_fmac_f32_e32 v153, v129, v121
	ds_load_2addr_b32 v[118:119], v2 offset0:91 offset1:92
	ds_load_2addr_b32 v[120:121], v2 offset0:93 offset1:94
	s_waitcnt lgkmcnt(3)
	v_fmac_f32_e32 v153, v130, v114
	s_delay_alu instid0(VALU_DEP_1) | instskip(SKIP_4) | instid1(VALU_DEP_1)
	v_fmac_f32_e32 v153, v131, v115
	ds_load_2addr_b32 v[114:115], v2 offset0:95 offset1:96
	s_waitcnt lgkmcnt(3)
	v_fmac_f32_e32 v153, v132, v116
	s_waitcnt vmcnt(5)
	v_fmac_f32_e32 v153, v133, v117
	ds_load_2addr_b32 v[116:117], v2 offset0:97 offset1:98
	s_waitcnt lgkmcnt(3)
	v_fmac_f32_e32 v153, v134, v118
	s_delay_alu instid0(VALU_DEP_1) | instskip(SKIP_1) | instid1(VALU_DEP_1)
	v_fmac_f32_e32 v153, v135, v119
	s_waitcnt lgkmcnt(2)
	v_fmac_f32_e32 v153, v136, v120
	s_waitcnt vmcnt(4)
	s_delay_alu instid0(VALU_DEP_1) | instskip(SKIP_4) | instid1(VALU_DEP_1)
	v_fmac_f32_e32 v153, v137, v121
	ds_load_2addr_b32 v[118:119], v2 offset0:99 offset1:100
	ds_load_2addr_b32 v[120:121], v2 offset0:101 offset1:102
	s_waitcnt lgkmcnt(3)
	v_fmac_f32_e32 v153, v138, v114
	v_fmac_f32_e32 v153, v139, v115
	ds_load_2addr_b32 v[114:115], v2 offset0:103 offset1:104
	s_waitcnt lgkmcnt(3)
	v_fmac_f32_e32 v153, v140, v116
	s_waitcnt vmcnt(3)
	s_delay_alu instid0(VALU_DEP_1) | instskip(SKIP_3) | instid1(VALU_DEP_1)
	v_fmac_f32_e32 v153, v141, v117
	ds_load_2addr_b32 v[116:117], v2 offset0:105 offset1:106
	s_waitcnt lgkmcnt(3)
	v_fmac_f32_e32 v153, v142, v118
	v_fmac_f32_e32 v153, v143, v119
	s_waitcnt lgkmcnt(2)
	s_delay_alu instid0(VALU_DEP_1) | instskip(SKIP_1) | instid1(VALU_DEP_1)
	v_fmac_f32_e32 v153, v144, v120
	s_waitcnt vmcnt(2)
	v_fmac_f32_e32 v153, v145, v121
	ds_load_2addr_b32 v[118:119], v2 offset0:107 offset1:108
	ds_load_2addr_b32 v[120:121], v2 offset0:109 offset1:110
	s_waitcnt lgkmcnt(3)
	v_fmac_f32_e32 v153, v146, v114
	s_delay_alu instid0(VALU_DEP_1) | instskip(SKIP_1) | instid1(VALU_DEP_1)
	v_fmac_f32_e32 v153, v147, v115
	s_waitcnt lgkmcnt(2)
	v_fmac_f32_e32 v153, v148, v116
	s_waitcnt vmcnt(1)
	s_delay_alu instid0(VALU_DEP_1) | instskip(SKIP_1) | instid1(VALU_DEP_1)
	v_fmac_f32_e32 v153, v149, v117
	s_waitcnt lgkmcnt(1)
	v_fmac_f32_e32 v153, v150, v118
	s_delay_alu instid0(VALU_DEP_1) | instskip(SKIP_1) | instid1(VALU_DEP_1)
	v_fmac_f32_e32 v153, v151, v119
	s_waitcnt lgkmcnt(0)
	v_fmac_f32_e32 v153, v152, v120
	s_waitcnt vmcnt(0)
	s_delay_alu instid0(VALU_DEP_1) | instskip(NEXT) | instid1(VALU_DEP_1)
	v_fmac_f32_e32 v153, v161, v121
	v_sub_f32_e32 v2, v113, v153
	scratch_store_b32 off, v2, off offset:56
	v_cmpx_lt_u32_e32 13, v0
	s_cbranch_execz .LBB54_311
; %bb.310:
	scratch_load_b32 v2, off, off offset:52
	v_mov_b32_e32 v113, 0
	scratch_store_b32 off, v113, off offset:52
	s_waitcnt vmcnt(0)
	ds_store_b32 v1, v2
.LBB54_311:
	s_or_b32 exec_lo, exec_lo, s0
	s_waitcnt lgkmcnt(0)
	s_waitcnt_vscnt null, 0x0
	s_barrier
	buffer_gl0_inv
	s_clause 0xa
	scratch_load_b128 v[113:116], off, off offset:52
	scratch_load_b128 v[117:120], off, off offset:68
	;; [unrolled: 1-line block ×10, first 2 shown]
	scratch_load_b64 v[161:162], off, off offset:212
	v_mov_b32_e32 v2, 0
	ds_load_2addr_b64 v[153:156], v2 offset0:35 offset1:36
	ds_load_2addr_b64 v[157:160], v2 offset0:37 offset1:38
	s_mov_b32 s0, exec_lo
	s_waitcnt vmcnt(10) lgkmcnt(1)
	v_fma_f32 v153, v114, v153, 0
	s_delay_alu instid0(VALU_DEP_1) | instskip(NEXT) | instid1(VALU_DEP_1)
	v_fmac_f32_e32 v153, v115, v154
	v_fmac_f32_e32 v153, v116, v155
	s_waitcnt vmcnt(9)
	s_delay_alu instid0(VALU_DEP_1) | instskip(SKIP_3) | instid1(VALU_DEP_1)
	v_fmac_f32_e32 v153, v117, v156
	ds_load_2addr_b64 v[114:117], v2 offset0:39 offset1:40
	s_waitcnt lgkmcnt(1)
	v_fmac_f32_e32 v153, v118, v157
	v_fmac_f32_e32 v153, v119, v158
	s_delay_alu instid0(VALU_DEP_1) | instskip(SKIP_1) | instid1(VALU_DEP_1)
	v_fmac_f32_e32 v153, v120, v159
	s_waitcnt vmcnt(8)
	v_fmac_f32_e32 v153, v121, v160
	ds_load_2addr_b64 v[118:121], v2 offset0:41 offset1:42
	s_waitcnt lgkmcnt(1)
	v_fmac_f32_e32 v153, v122, v114
	s_delay_alu instid0(VALU_DEP_1) | instskip(NEXT) | instid1(VALU_DEP_1)
	v_fmac_f32_e32 v153, v123, v115
	v_fmac_f32_e32 v153, v124, v116
	s_waitcnt vmcnt(7)
	s_delay_alu instid0(VALU_DEP_1) | instskip(SKIP_3) | instid1(VALU_DEP_1)
	v_fmac_f32_e32 v153, v125, v117
	ds_load_2addr_b64 v[114:117], v2 offset0:43 offset1:44
	s_waitcnt lgkmcnt(1)
	v_fmac_f32_e32 v153, v126, v118
	v_fmac_f32_e32 v153, v127, v119
	s_delay_alu instid0(VALU_DEP_1) | instskip(SKIP_1) | instid1(VALU_DEP_1)
	v_fmac_f32_e32 v153, v128, v120
	s_waitcnt vmcnt(6)
	v_fmac_f32_e32 v153, v129, v121
	ds_load_2addr_b64 v[118:121], v2 offset0:45 offset1:46
	s_waitcnt lgkmcnt(1)
	v_fmac_f32_e32 v153, v130, v114
	;; [unrolled: 17-line block ×4, first 2 shown]
	ds_load_b32 v114, v2 offset:440
	v_fmac_f32_e32 v153, v147, v115
	s_delay_alu instid0(VALU_DEP_1) | instskip(SKIP_1) | instid1(VALU_DEP_1)
	v_fmac_f32_e32 v153, v148, v116
	s_waitcnt vmcnt(1)
	v_fmac_f32_e32 v153, v149, v117
	s_waitcnt lgkmcnt(1)
	s_delay_alu instid0(VALU_DEP_1) | instskip(NEXT) | instid1(VALU_DEP_1)
	v_fmac_f32_e32 v153, v150, v118
	v_fmac_f32_e32 v153, v151, v119
	s_delay_alu instid0(VALU_DEP_1) | instskip(SKIP_1) | instid1(VALU_DEP_1)
	v_fmac_f32_e32 v153, v152, v120
	s_waitcnt vmcnt(0)
	v_fmac_f32_e32 v153, v161, v121
	s_waitcnt lgkmcnt(0)
	s_delay_alu instid0(VALU_DEP_1) | instskip(NEXT) | instid1(VALU_DEP_1)
	v_fmac_f32_e32 v153, v162, v114
	v_sub_f32_e32 v113, v113, v153
	scratch_store_b32 off, v113, off offset:52
	v_cmpx_lt_u32_e32 12, v0
	s_cbranch_execz .LBB54_313
; %bb.312:
	scratch_load_b32 v113, off, off offset:48
	scratch_store_b32 off, v2, off offset:48
	s_waitcnt vmcnt(0)
	ds_store_b32 v1, v113
.LBB54_313:
	s_or_b32 exec_lo, exec_lo, s0
	s_waitcnt lgkmcnt(0)
	s_waitcnt_vscnt null, 0x0
	s_barrier
	buffer_gl0_inv
	s_clause 0xa
	scratch_load_b128 v[113:116], off, off offset:48
	scratch_load_b128 v[117:120], off, off offset:64
	;; [unrolled: 1-line block ×10, first 2 shown]
	scratch_load_b96 v[153:155], off, off offset:208
	ds_load_2addr_b32 v[156:157], v2 offset0:69 offset1:70
	ds_load_2addr_b32 v[158:159], v2 offset0:71 offset1:72
	;; [unrolled: 1-line block ×4, first 2 shown]
	s_mov_b32 s0, exec_lo
	s_waitcnt vmcnt(10) lgkmcnt(3)
	v_fma_f32 v156, v114, v156, 0
	s_delay_alu instid0(VALU_DEP_1) | instskip(SKIP_4) | instid1(VALU_DEP_1)
	v_fmac_f32_e32 v156, v115, v157
	ds_load_2addr_b32 v[114:115], v2 offset0:77 offset1:78
	s_waitcnt lgkmcnt(3)
	v_fmac_f32_e32 v156, v116, v158
	s_waitcnt vmcnt(9)
	v_fmac_f32_e32 v156, v117, v159
	ds_load_2addr_b32 v[116:117], v2 offset0:79 offset1:80
	s_waitcnt lgkmcnt(3)
	v_fmac_f32_e32 v156, v118, v160
	s_delay_alu instid0(VALU_DEP_1) | instskip(SKIP_1) | instid1(VALU_DEP_1)
	v_fmac_f32_e32 v156, v119, v161
	s_waitcnt lgkmcnt(2)
	v_fmac_f32_e32 v156, v120, v162
	s_waitcnt vmcnt(8)
	s_delay_alu instid0(VALU_DEP_1) | instskip(SKIP_4) | instid1(VALU_DEP_1)
	v_fmac_f32_e32 v156, v121, v163
	ds_load_2addr_b32 v[118:119], v2 offset0:81 offset1:82
	ds_load_2addr_b32 v[120:121], v2 offset0:83 offset1:84
	s_waitcnt lgkmcnt(3)
	v_fmac_f32_e32 v156, v122, v114
	v_fmac_f32_e32 v156, v123, v115
	ds_load_2addr_b32 v[114:115], v2 offset0:85 offset1:86
	s_waitcnt lgkmcnt(3)
	v_fmac_f32_e32 v156, v124, v116
	s_waitcnt vmcnt(7)
	s_delay_alu instid0(VALU_DEP_1) | instskip(SKIP_3) | instid1(VALU_DEP_1)
	v_fmac_f32_e32 v156, v125, v117
	ds_load_2addr_b32 v[116:117], v2 offset0:87 offset1:88
	s_waitcnt lgkmcnt(3)
	v_fmac_f32_e32 v156, v126, v118
	v_fmac_f32_e32 v156, v127, v119
	s_waitcnt lgkmcnt(2)
	s_delay_alu instid0(VALU_DEP_1) | instskip(SKIP_1) | instid1(VALU_DEP_1)
	v_fmac_f32_e32 v156, v128, v120
	s_waitcnt vmcnt(6)
	v_fmac_f32_e32 v156, v129, v121
	ds_load_2addr_b32 v[118:119], v2 offset0:89 offset1:90
	ds_load_2addr_b32 v[120:121], v2 offset0:91 offset1:92
	s_waitcnt lgkmcnt(3)
	v_fmac_f32_e32 v156, v130, v114
	s_delay_alu instid0(VALU_DEP_1) | instskip(SKIP_4) | instid1(VALU_DEP_1)
	v_fmac_f32_e32 v156, v131, v115
	ds_load_2addr_b32 v[114:115], v2 offset0:93 offset1:94
	s_waitcnt lgkmcnt(3)
	v_fmac_f32_e32 v156, v132, v116
	s_waitcnt vmcnt(5)
	v_fmac_f32_e32 v156, v133, v117
	ds_load_2addr_b32 v[116:117], v2 offset0:95 offset1:96
	s_waitcnt lgkmcnt(3)
	v_fmac_f32_e32 v156, v134, v118
	s_delay_alu instid0(VALU_DEP_1) | instskip(SKIP_1) | instid1(VALU_DEP_1)
	v_fmac_f32_e32 v156, v135, v119
	s_waitcnt lgkmcnt(2)
	v_fmac_f32_e32 v156, v136, v120
	s_waitcnt vmcnt(4)
	s_delay_alu instid0(VALU_DEP_1) | instskip(SKIP_4) | instid1(VALU_DEP_1)
	v_fmac_f32_e32 v156, v137, v121
	ds_load_2addr_b32 v[118:119], v2 offset0:97 offset1:98
	ds_load_2addr_b32 v[120:121], v2 offset0:99 offset1:100
	s_waitcnt lgkmcnt(3)
	v_fmac_f32_e32 v156, v138, v114
	v_fmac_f32_e32 v156, v139, v115
	ds_load_2addr_b32 v[114:115], v2 offset0:101 offset1:102
	s_waitcnt lgkmcnt(3)
	v_fmac_f32_e32 v156, v140, v116
	s_waitcnt vmcnt(3)
	s_delay_alu instid0(VALU_DEP_1) | instskip(SKIP_3) | instid1(VALU_DEP_1)
	v_fmac_f32_e32 v156, v141, v117
	ds_load_2addr_b32 v[116:117], v2 offset0:103 offset1:104
	s_waitcnt lgkmcnt(3)
	v_fmac_f32_e32 v156, v142, v118
	v_fmac_f32_e32 v156, v143, v119
	s_waitcnt lgkmcnt(2)
	s_delay_alu instid0(VALU_DEP_1) | instskip(SKIP_1) | instid1(VALU_DEP_1)
	v_fmac_f32_e32 v156, v144, v120
	s_waitcnt vmcnt(2)
	v_fmac_f32_e32 v156, v145, v121
	ds_load_2addr_b32 v[118:119], v2 offset0:105 offset1:106
	ds_load_2addr_b32 v[120:121], v2 offset0:107 offset1:108
	s_waitcnt lgkmcnt(3)
	v_fmac_f32_e32 v156, v146, v114
	s_delay_alu instid0(VALU_DEP_1) | instskip(SKIP_4) | instid1(VALU_DEP_1)
	v_fmac_f32_e32 v156, v147, v115
	ds_load_2addr_b32 v[114:115], v2 offset0:109 offset1:110
	s_waitcnt lgkmcnt(3)
	v_fmac_f32_e32 v156, v148, v116
	s_waitcnt vmcnt(1)
	v_fmac_f32_e32 v156, v149, v117
	s_waitcnt lgkmcnt(2)
	s_delay_alu instid0(VALU_DEP_1) | instskip(NEXT) | instid1(VALU_DEP_1)
	v_fmac_f32_e32 v156, v150, v118
	v_fmac_f32_e32 v156, v151, v119
	s_waitcnt lgkmcnt(1)
	s_delay_alu instid0(VALU_DEP_1) | instskip(SKIP_1) | instid1(VALU_DEP_1)
	v_fmac_f32_e32 v156, v152, v120
	s_waitcnt vmcnt(0)
	v_fmac_f32_e32 v156, v153, v121
	s_waitcnt lgkmcnt(0)
	s_delay_alu instid0(VALU_DEP_1) | instskip(NEXT) | instid1(VALU_DEP_1)
	v_fmac_f32_e32 v156, v154, v114
	v_fmac_f32_e32 v156, v155, v115
	s_delay_alu instid0(VALU_DEP_1)
	v_sub_f32_e32 v2, v113, v156
	scratch_store_b32 off, v2, off offset:48
	v_cmpx_lt_u32_e32 11, v0
	s_cbranch_execz .LBB54_315
; %bb.314:
	scratch_load_b32 v2, off, off offset:44
	v_mov_b32_e32 v113, 0
	scratch_store_b32 off, v113, off offset:44
	s_waitcnt vmcnt(0)
	ds_store_b32 v1, v2
.LBB54_315:
	s_or_b32 exec_lo, exec_lo, s0
	s_waitcnt lgkmcnt(0)
	s_waitcnt_vscnt null, 0x0
	s_barrier
	buffer_gl0_inv
	s_clause 0xa
	scratch_load_b128 v[113:116], off, off offset:44
	scratch_load_b128 v[117:120], off, off offset:60
	;; [unrolled: 1-line block ×11, first 2 shown]
	v_mov_b32_e32 v2, 0
	ds_load_b128 v[157:160], v2 offset:272
	ds_load_b128 v[161:164], v2 offset:288
	s_mov_b32 s0, exec_lo
	s_waitcnt vmcnt(10) lgkmcnt(1)
	v_fma_f32 v157, v114, v157, 0
	s_delay_alu instid0(VALU_DEP_1) | instskip(NEXT) | instid1(VALU_DEP_1)
	v_fmac_f32_e32 v157, v115, v158
	v_fmac_f32_e32 v157, v116, v159
	s_waitcnt vmcnt(9)
	s_delay_alu instid0(VALU_DEP_1) | instskip(SKIP_3) | instid1(VALU_DEP_1)
	v_fmac_f32_e32 v157, v117, v160
	ds_load_b128 v[114:117], v2 offset:304
	s_waitcnt lgkmcnt(1)
	v_fmac_f32_e32 v157, v118, v161
	v_fmac_f32_e32 v157, v119, v162
	s_delay_alu instid0(VALU_DEP_1) | instskip(SKIP_1) | instid1(VALU_DEP_1)
	v_fmac_f32_e32 v157, v120, v163
	s_waitcnt vmcnt(8)
	v_fmac_f32_e32 v157, v121, v164
	ds_load_b128 v[118:121], v2 offset:320
	s_waitcnt lgkmcnt(1)
	v_fmac_f32_e32 v157, v122, v114
	s_delay_alu instid0(VALU_DEP_1) | instskip(NEXT) | instid1(VALU_DEP_1)
	v_fmac_f32_e32 v157, v123, v115
	v_fmac_f32_e32 v157, v124, v116
	s_waitcnt vmcnt(7)
	s_delay_alu instid0(VALU_DEP_1) | instskip(SKIP_3) | instid1(VALU_DEP_1)
	v_fmac_f32_e32 v157, v125, v117
	ds_load_b128 v[114:117], v2 offset:336
	s_waitcnt lgkmcnt(1)
	v_fmac_f32_e32 v157, v126, v118
	v_fmac_f32_e32 v157, v127, v119
	s_delay_alu instid0(VALU_DEP_1) | instskip(SKIP_1) | instid1(VALU_DEP_1)
	v_fmac_f32_e32 v157, v128, v120
	s_waitcnt vmcnt(6)
	v_fmac_f32_e32 v157, v129, v121
	ds_load_b128 v[118:121], v2 offset:352
	s_waitcnt lgkmcnt(1)
	v_fmac_f32_e32 v157, v130, v114
	s_delay_alu instid0(VALU_DEP_1) | instskip(NEXT) | instid1(VALU_DEP_1)
	v_fmac_f32_e32 v157, v131, v115
	v_fmac_f32_e32 v157, v132, v116
	s_waitcnt vmcnt(5)
	s_delay_alu instid0(VALU_DEP_1) | instskip(SKIP_3) | instid1(VALU_DEP_1)
	v_fmac_f32_e32 v157, v133, v117
	ds_load_b128 v[114:117], v2 offset:368
	s_waitcnt lgkmcnt(1)
	v_fmac_f32_e32 v157, v134, v118
	v_fmac_f32_e32 v157, v135, v119
	s_delay_alu instid0(VALU_DEP_1) | instskip(SKIP_1) | instid1(VALU_DEP_1)
	v_fmac_f32_e32 v157, v136, v120
	s_waitcnt vmcnt(4)
	v_fmac_f32_e32 v157, v137, v121
	ds_load_b128 v[118:121], v2 offset:384
	s_waitcnt lgkmcnt(1)
	v_fmac_f32_e32 v157, v138, v114
	s_delay_alu instid0(VALU_DEP_1) | instskip(NEXT) | instid1(VALU_DEP_1)
	v_fmac_f32_e32 v157, v139, v115
	v_fmac_f32_e32 v157, v140, v116
	s_waitcnt vmcnt(3)
	s_delay_alu instid0(VALU_DEP_1) | instskip(SKIP_3) | instid1(VALU_DEP_1)
	v_fmac_f32_e32 v157, v141, v117
	ds_load_b128 v[114:117], v2 offset:400
	s_waitcnt lgkmcnt(1)
	v_fmac_f32_e32 v157, v142, v118
	v_fmac_f32_e32 v157, v143, v119
	s_delay_alu instid0(VALU_DEP_1) | instskip(SKIP_1) | instid1(VALU_DEP_1)
	v_fmac_f32_e32 v157, v144, v120
	s_waitcnt vmcnt(2)
	v_fmac_f32_e32 v157, v145, v121
	ds_load_b128 v[118:121], v2 offset:416
	s_waitcnt lgkmcnt(1)
	v_fmac_f32_e32 v157, v146, v114
	s_delay_alu instid0(VALU_DEP_1) | instskip(NEXT) | instid1(VALU_DEP_1)
	v_fmac_f32_e32 v157, v147, v115
	v_fmac_f32_e32 v157, v148, v116
	ds_load_b96 v[114:116], v2 offset:432
	s_waitcnt vmcnt(1)
	v_fmac_f32_e32 v157, v149, v117
	s_waitcnt lgkmcnt(1)
	s_delay_alu instid0(VALU_DEP_1) | instskip(NEXT) | instid1(VALU_DEP_1)
	v_fmac_f32_e32 v157, v150, v118
	v_fmac_f32_e32 v157, v151, v119
	s_delay_alu instid0(VALU_DEP_1) | instskip(SKIP_1) | instid1(VALU_DEP_1)
	v_fmac_f32_e32 v157, v152, v120
	s_waitcnt vmcnt(0)
	v_fmac_f32_e32 v157, v153, v121
	s_waitcnt lgkmcnt(0)
	s_delay_alu instid0(VALU_DEP_1) | instskip(NEXT) | instid1(VALU_DEP_1)
	v_fmac_f32_e32 v157, v154, v114
	v_fmac_f32_e32 v157, v155, v115
	s_delay_alu instid0(VALU_DEP_1) | instskip(NEXT) | instid1(VALU_DEP_1)
	v_fmac_f32_e32 v157, v156, v116
	v_sub_f32_e32 v113, v113, v157
	scratch_store_b32 off, v113, off offset:44
	v_cmpx_lt_u32_e32 10, v0
	s_cbranch_execz .LBB54_317
; %bb.316:
	scratch_load_b32 v113, off, off offset:40
	scratch_store_b32 off, v2, off offset:40
	s_waitcnt vmcnt(0)
	ds_store_b32 v1, v113
.LBB54_317:
	s_or_b32 exec_lo, exec_lo, s0
	s_waitcnt lgkmcnt(0)
	s_waitcnt_vscnt null, 0x0
	s_barrier
	buffer_gl0_inv
	s_clause 0xb
	scratch_load_b128 v[113:116], off, off offset:40
	scratch_load_b128 v[117:120], off, off offset:56
	;; [unrolled: 1-line block ×11, first 2 shown]
	scratch_load_b32 v165, off, off offset:216
	ds_load_2addr_b32 v[157:158], v2 offset0:67 offset1:68
	ds_load_2addr_b32 v[159:160], v2 offset0:69 offset1:70
	;; [unrolled: 1-line block ×4, first 2 shown]
	s_mov_b32 s0, exec_lo
	s_waitcnt vmcnt(11) lgkmcnt(3)
	v_fma_f32 v157, v114, v157, 0
	s_delay_alu instid0(VALU_DEP_1) | instskip(SKIP_4) | instid1(VALU_DEP_1)
	v_fmac_f32_e32 v157, v115, v158
	ds_load_2addr_b32 v[114:115], v2 offset0:75 offset1:76
	s_waitcnt lgkmcnt(3)
	v_fmac_f32_e32 v157, v116, v159
	s_waitcnt vmcnt(10)
	v_fmac_f32_e32 v157, v117, v160
	ds_load_2addr_b32 v[116:117], v2 offset0:77 offset1:78
	s_waitcnt lgkmcnt(3)
	v_fmac_f32_e32 v157, v118, v161
	s_delay_alu instid0(VALU_DEP_1) | instskip(SKIP_1) | instid1(VALU_DEP_1)
	v_fmac_f32_e32 v157, v119, v162
	s_waitcnt lgkmcnt(2)
	v_fmac_f32_e32 v157, v120, v163
	s_waitcnt vmcnt(9)
	s_delay_alu instid0(VALU_DEP_1) | instskip(SKIP_4) | instid1(VALU_DEP_1)
	v_fmac_f32_e32 v157, v121, v164
	ds_load_2addr_b32 v[118:119], v2 offset0:79 offset1:80
	ds_load_2addr_b32 v[120:121], v2 offset0:81 offset1:82
	s_waitcnt lgkmcnt(3)
	v_fmac_f32_e32 v157, v122, v114
	v_fmac_f32_e32 v157, v123, v115
	ds_load_2addr_b32 v[114:115], v2 offset0:83 offset1:84
	s_waitcnt lgkmcnt(3)
	v_fmac_f32_e32 v157, v124, v116
	s_waitcnt vmcnt(8)
	s_delay_alu instid0(VALU_DEP_1) | instskip(SKIP_3) | instid1(VALU_DEP_1)
	v_fmac_f32_e32 v157, v125, v117
	ds_load_2addr_b32 v[116:117], v2 offset0:85 offset1:86
	s_waitcnt lgkmcnt(3)
	v_fmac_f32_e32 v157, v126, v118
	v_fmac_f32_e32 v157, v127, v119
	s_waitcnt lgkmcnt(2)
	s_delay_alu instid0(VALU_DEP_1) | instskip(SKIP_1) | instid1(VALU_DEP_1)
	v_fmac_f32_e32 v157, v128, v120
	s_waitcnt vmcnt(7)
	v_fmac_f32_e32 v157, v129, v121
	ds_load_2addr_b32 v[118:119], v2 offset0:87 offset1:88
	ds_load_2addr_b32 v[120:121], v2 offset0:89 offset1:90
	s_waitcnt lgkmcnt(3)
	v_fmac_f32_e32 v157, v130, v114
	s_delay_alu instid0(VALU_DEP_1) | instskip(SKIP_4) | instid1(VALU_DEP_1)
	v_fmac_f32_e32 v157, v131, v115
	ds_load_2addr_b32 v[114:115], v2 offset0:91 offset1:92
	s_waitcnt lgkmcnt(3)
	v_fmac_f32_e32 v157, v132, v116
	s_waitcnt vmcnt(6)
	v_fmac_f32_e32 v157, v133, v117
	ds_load_2addr_b32 v[116:117], v2 offset0:93 offset1:94
	s_waitcnt lgkmcnt(3)
	v_fmac_f32_e32 v157, v134, v118
	s_delay_alu instid0(VALU_DEP_1) | instskip(SKIP_1) | instid1(VALU_DEP_1)
	v_fmac_f32_e32 v157, v135, v119
	s_waitcnt lgkmcnt(2)
	v_fmac_f32_e32 v157, v136, v120
	s_waitcnt vmcnt(5)
	s_delay_alu instid0(VALU_DEP_1) | instskip(SKIP_4) | instid1(VALU_DEP_1)
	v_fmac_f32_e32 v157, v137, v121
	ds_load_2addr_b32 v[118:119], v2 offset0:95 offset1:96
	ds_load_2addr_b32 v[120:121], v2 offset0:97 offset1:98
	s_waitcnt lgkmcnt(3)
	v_fmac_f32_e32 v157, v138, v114
	v_fmac_f32_e32 v157, v139, v115
	ds_load_2addr_b32 v[114:115], v2 offset0:99 offset1:100
	s_waitcnt lgkmcnt(3)
	v_fmac_f32_e32 v157, v140, v116
	s_waitcnt vmcnt(4)
	s_delay_alu instid0(VALU_DEP_1) | instskip(SKIP_3) | instid1(VALU_DEP_1)
	v_fmac_f32_e32 v157, v141, v117
	ds_load_2addr_b32 v[116:117], v2 offset0:101 offset1:102
	s_waitcnt lgkmcnt(3)
	v_fmac_f32_e32 v157, v142, v118
	v_fmac_f32_e32 v157, v143, v119
	s_waitcnt lgkmcnt(2)
	s_delay_alu instid0(VALU_DEP_1) | instskip(SKIP_1) | instid1(VALU_DEP_1)
	v_fmac_f32_e32 v157, v144, v120
	s_waitcnt vmcnt(3)
	v_fmac_f32_e32 v157, v145, v121
	ds_load_2addr_b32 v[118:119], v2 offset0:103 offset1:104
	ds_load_2addr_b32 v[120:121], v2 offset0:105 offset1:106
	s_waitcnt lgkmcnt(3)
	v_fmac_f32_e32 v157, v146, v114
	s_delay_alu instid0(VALU_DEP_1) | instskip(SKIP_4) | instid1(VALU_DEP_1)
	v_fmac_f32_e32 v157, v147, v115
	ds_load_2addr_b32 v[114:115], v2 offset0:107 offset1:108
	s_waitcnt lgkmcnt(3)
	v_fmac_f32_e32 v157, v148, v116
	s_waitcnt vmcnt(2)
	v_fmac_f32_e32 v157, v149, v117
	ds_load_2addr_b32 v[116:117], v2 offset0:109 offset1:110
	s_waitcnt lgkmcnt(3)
	v_fmac_f32_e32 v157, v150, v118
	s_delay_alu instid0(VALU_DEP_1) | instskip(SKIP_1) | instid1(VALU_DEP_1)
	v_fmac_f32_e32 v157, v151, v119
	s_waitcnt lgkmcnt(2)
	v_fmac_f32_e32 v157, v152, v120
	s_waitcnt vmcnt(1)
	s_delay_alu instid0(VALU_DEP_1) | instskip(SKIP_1) | instid1(VALU_DEP_1)
	v_fmac_f32_e32 v157, v153, v121
	s_waitcnt lgkmcnt(1)
	v_fmac_f32_e32 v157, v154, v114
	s_delay_alu instid0(VALU_DEP_1) | instskip(SKIP_1) | instid1(VALU_DEP_1)
	v_fmac_f32_e32 v157, v155, v115
	s_waitcnt lgkmcnt(0)
	v_fmac_f32_e32 v157, v156, v116
	s_waitcnt vmcnt(0)
	s_delay_alu instid0(VALU_DEP_1) | instskip(NEXT) | instid1(VALU_DEP_1)
	v_fmac_f32_e32 v157, v165, v117
	v_sub_f32_e32 v2, v113, v157
	scratch_store_b32 off, v2, off offset:40
	v_cmpx_lt_u32_e32 9, v0
	s_cbranch_execz .LBB54_319
; %bb.318:
	scratch_load_b32 v2, off, off offset:36
	v_mov_b32_e32 v113, 0
	scratch_store_b32 off, v113, off offset:36
	s_waitcnt vmcnt(0)
	ds_store_b32 v1, v2
.LBB54_319:
	s_or_b32 exec_lo, exec_lo, s0
	s_waitcnt lgkmcnt(0)
	s_waitcnt_vscnt null, 0x0
	s_barrier
	buffer_gl0_inv
	s_clause 0xb
	scratch_load_b128 v[113:116], off, off offset:36
	scratch_load_b128 v[117:120], off, off offset:52
	;; [unrolled: 1-line block ×11, first 2 shown]
	scratch_load_b64 v[165:166], off, off offset:212
	v_mov_b32_e32 v2, 0
	ds_load_2addr_b64 v[157:160], v2 offset0:33 offset1:34
	ds_load_2addr_b64 v[161:164], v2 offset0:35 offset1:36
	s_mov_b32 s0, exec_lo
	s_waitcnt vmcnt(11) lgkmcnt(1)
	v_fma_f32 v157, v114, v157, 0
	s_delay_alu instid0(VALU_DEP_1) | instskip(NEXT) | instid1(VALU_DEP_1)
	v_fmac_f32_e32 v157, v115, v158
	v_fmac_f32_e32 v157, v116, v159
	s_waitcnt vmcnt(10)
	s_delay_alu instid0(VALU_DEP_1) | instskip(SKIP_3) | instid1(VALU_DEP_1)
	v_fmac_f32_e32 v157, v117, v160
	ds_load_2addr_b64 v[114:117], v2 offset0:37 offset1:38
	s_waitcnt lgkmcnt(1)
	v_fmac_f32_e32 v157, v118, v161
	v_fmac_f32_e32 v157, v119, v162
	s_delay_alu instid0(VALU_DEP_1) | instskip(SKIP_1) | instid1(VALU_DEP_1)
	v_fmac_f32_e32 v157, v120, v163
	s_waitcnt vmcnt(9)
	v_fmac_f32_e32 v157, v121, v164
	ds_load_2addr_b64 v[118:121], v2 offset0:39 offset1:40
	s_waitcnt lgkmcnt(1)
	v_fmac_f32_e32 v157, v122, v114
	s_delay_alu instid0(VALU_DEP_1) | instskip(NEXT) | instid1(VALU_DEP_1)
	v_fmac_f32_e32 v157, v123, v115
	v_fmac_f32_e32 v157, v124, v116
	s_waitcnt vmcnt(8)
	s_delay_alu instid0(VALU_DEP_1) | instskip(SKIP_3) | instid1(VALU_DEP_1)
	v_fmac_f32_e32 v157, v125, v117
	ds_load_2addr_b64 v[114:117], v2 offset0:41 offset1:42
	s_waitcnt lgkmcnt(1)
	v_fmac_f32_e32 v157, v126, v118
	v_fmac_f32_e32 v157, v127, v119
	s_delay_alu instid0(VALU_DEP_1) | instskip(SKIP_1) | instid1(VALU_DEP_1)
	v_fmac_f32_e32 v157, v128, v120
	s_waitcnt vmcnt(7)
	v_fmac_f32_e32 v157, v129, v121
	ds_load_2addr_b64 v[118:121], v2 offset0:43 offset1:44
	s_waitcnt lgkmcnt(1)
	v_fmac_f32_e32 v157, v130, v114
	s_delay_alu instid0(VALU_DEP_1) | instskip(NEXT) | instid1(VALU_DEP_1)
	v_fmac_f32_e32 v157, v131, v115
	v_fmac_f32_e32 v157, v132, v116
	s_waitcnt vmcnt(6)
	s_delay_alu instid0(VALU_DEP_1) | instskip(SKIP_3) | instid1(VALU_DEP_1)
	v_fmac_f32_e32 v157, v133, v117
	ds_load_2addr_b64 v[114:117], v2 offset0:45 offset1:46
	s_waitcnt lgkmcnt(1)
	v_fmac_f32_e32 v157, v134, v118
	v_fmac_f32_e32 v157, v135, v119
	s_delay_alu instid0(VALU_DEP_1) | instskip(SKIP_1) | instid1(VALU_DEP_1)
	v_fmac_f32_e32 v157, v136, v120
	s_waitcnt vmcnt(5)
	v_fmac_f32_e32 v157, v137, v121
	ds_load_2addr_b64 v[118:121], v2 offset0:47 offset1:48
	s_waitcnt lgkmcnt(1)
	v_fmac_f32_e32 v157, v138, v114
	s_delay_alu instid0(VALU_DEP_1) | instskip(NEXT) | instid1(VALU_DEP_1)
	v_fmac_f32_e32 v157, v139, v115
	v_fmac_f32_e32 v157, v140, v116
	s_waitcnt vmcnt(4)
	s_delay_alu instid0(VALU_DEP_1) | instskip(SKIP_3) | instid1(VALU_DEP_1)
	v_fmac_f32_e32 v157, v141, v117
	ds_load_2addr_b64 v[114:117], v2 offset0:49 offset1:50
	s_waitcnt lgkmcnt(1)
	v_fmac_f32_e32 v157, v142, v118
	v_fmac_f32_e32 v157, v143, v119
	s_delay_alu instid0(VALU_DEP_1) | instskip(SKIP_1) | instid1(VALU_DEP_1)
	v_fmac_f32_e32 v157, v144, v120
	s_waitcnt vmcnt(3)
	v_fmac_f32_e32 v157, v145, v121
	ds_load_2addr_b64 v[118:121], v2 offset0:51 offset1:52
	s_waitcnt lgkmcnt(1)
	v_fmac_f32_e32 v157, v146, v114
	s_delay_alu instid0(VALU_DEP_1) | instskip(NEXT) | instid1(VALU_DEP_1)
	v_fmac_f32_e32 v157, v147, v115
	v_fmac_f32_e32 v157, v148, v116
	s_waitcnt vmcnt(2)
	s_delay_alu instid0(VALU_DEP_1)
	v_fmac_f32_e32 v157, v149, v117
	ds_load_2addr_b64 v[114:117], v2 offset0:53 offset1:54
	s_waitcnt lgkmcnt(1)
	v_fmac_f32_e32 v157, v150, v118
	ds_load_b32 v118, v2 offset:440
	v_fmac_f32_e32 v157, v151, v119
	s_delay_alu instid0(VALU_DEP_1) | instskip(SKIP_1) | instid1(VALU_DEP_1)
	v_fmac_f32_e32 v157, v152, v120
	s_waitcnt vmcnt(1)
	v_fmac_f32_e32 v157, v153, v121
	s_waitcnt lgkmcnt(1)
	s_delay_alu instid0(VALU_DEP_1) | instskip(NEXT) | instid1(VALU_DEP_1)
	v_fmac_f32_e32 v157, v154, v114
	v_fmac_f32_e32 v157, v155, v115
	s_delay_alu instid0(VALU_DEP_1) | instskip(SKIP_1) | instid1(VALU_DEP_1)
	v_fmac_f32_e32 v157, v156, v116
	s_waitcnt vmcnt(0)
	v_fmac_f32_e32 v157, v165, v117
	s_waitcnt lgkmcnt(0)
	s_delay_alu instid0(VALU_DEP_1) | instskip(NEXT) | instid1(VALU_DEP_1)
	v_fmac_f32_e32 v157, v166, v118
	v_sub_f32_e32 v113, v113, v157
	scratch_store_b32 off, v113, off offset:36
	v_cmpx_lt_u32_e32 8, v0
	s_cbranch_execz .LBB54_321
; %bb.320:
	scratch_load_b32 v113, off, off offset:32
	scratch_store_b32 off, v2, off offset:32
	s_waitcnt vmcnt(0)
	ds_store_b32 v1, v113
.LBB54_321:
	s_or_b32 exec_lo, exec_lo, s0
	s_waitcnt lgkmcnt(0)
	s_waitcnt_vscnt null, 0x0
	s_barrier
	buffer_gl0_inv
	s_clause 0xb
	scratch_load_b128 v[113:116], off, off offset:32
	scratch_load_b128 v[117:120], off, off offset:48
	;; [unrolled: 1-line block ×11, first 2 shown]
	scratch_load_b96 v[157:159], off, off offset:208
	ds_load_2addr_b32 v[160:161], v2 offset0:65 offset1:66
	ds_load_2addr_b32 v[162:163], v2 offset0:67 offset1:68
	;; [unrolled: 1-line block ×3, first 2 shown]
	s_mov_b32 s0, exec_lo
	s_waitcnt vmcnt(11) lgkmcnt(2)
	v_fma_f32 v160, v114, v160, 0
	s_delay_alu instid0(VALU_DEP_1) | instskip(SKIP_4) | instid1(VALU_DEP_1)
	v_fmac_f32_e32 v160, v115, v161
	ds_load_2addr_b32 v[114:115], v2 offset0:71 offset1:72
	s_waitcnt lgkmcnt(2)
	v_fmac_f32_e32 v160, v116, v162
	s_waitcnt vmcnt(10)
	v_fmac_f32_e32 v160, v117, v163
	ds_load_2addr_b32 v[116:117], v2 offset0:73 offset1:74
	s_waitcnt lgkmcnt(2)
	v_fmac_f32_e32 v160, v118, v164
	s_delay_alu instid0(VALU_DEP_1) | instskip(SKIP_4) | instid1(VALU_DEP_1)
	v_fmac_f32_e32 v160, v119, v165
	ds_load_2addr_b32 v[118:119], v2 offset0:75 offset1:76
	s_waitcnt lgkmcnt(2)
	v_fmac_f32_e32 v160, v120, v114
	s_waitcnt vmcnt(9)
	v_fmac_f32_e32 v160, v121, v115
	ds_load_2addr_b32 v[114:115], v2 offset0:77 offset1:78
	s_waitcnt lgkmcnt(2)
	v_fmac_f32_e32 v160, v122, v116
	;; [unrolled: 10-line block ×10, first 2 shown]
	s_delay_alu instid0(VALU_DEP_1) | instskip(SKIP_1) | instid1(VALU_DEP_1)
	v_fmac_f32_e32 v160, v155, v119
	s_waitcnt lgkmcnt(1)
	v_fmac_f32_e32 v160, v156, v114
	s_waitcnt vmcnt(0)
	s_delay_alu instid0(VALU_DEP_1) | instskip(SKIP_1) | instid1(VALU_DEP_1)
	v_fmac_f32_e32 v160, v157, v115
	s_waitcnt lgkmcnt(0)
	v_fmac_f32_e32 v160, v158, v116
	s_delay_alu instid0(VALU_DEP_1) | instskip(NEXT) | instid1(VALU_DEP_1)
	v_fmac_f32_e32 v160, v159, v117
	v_sub_f32_e32 v2, v113, v160
	scratch_store_b32 off, v2, off offset:32
	v_cmpx_lt_u32_e32 7, v0
	s_cbranch_execz .LBB54_323
; %bb.322:
	scratch_load_b32 v2, off, off offset:28
	v_mov_b32_e32 v113, 0
	scratch_store_b32 off, v113, off offset:28
	s_waitcnt vmcnt(0)
	ds_store_b32 v1, v2
.LBB54_323:
	s_or_b32 exec_lo, exec_lo, s0
	s_waitcnt lgkmcnt(0)
	s_waitcnt_vscnt null, 0x0
	s_barrier
	buffer_gl0_inv
	s_clause 0xb
	scratch_load_b128 v[113:116], off, off offset:28
	scratch_load_b128 v[117:120], off, off offset:44
	;; [unrolled: 1-line block ×12, first 2 shown]
	v_mov_b32_e32 v2, 0
	ds_load_b128 v[161:164], v2 offset:256
	ds_load_b128 v[165:168], v2 offset:272
	s_mov_b32 s0, exec_lo
	s_waitcnt vmcnt(11) lgkmcnt(1)
	v_fma_f32 v161, v114, v161, 0
	s_delay_alu instid0(VALU_DEP_1) | instskip(NEXT) | instid1(VALU_DEP_1)
	v_fmac_f32_e32 v161, v115, v162
	v_fmac_f32_e32 v161, v116, v163
	s_waitcnt vmcnt(10)
	s_delay_alu instid0(VALU_DEP_1) | instskip(SKIP_3) | instid1(VALU_DEP_1)
	v_fmac_f32_e32 v161, v117, v164
	ds_load_b128 v[114:117], v2 offset:288
	s_waitcnt lgkmcnt(1)
	v_fmac_f32_e32 v161, v118, v165
	v_fmac_f32_e32 v161, v119, v166
	s_delay_alu instid0(VALU_DEP_1) | instskip(SKIP_1) | instid1(VALU_DEP_1)
	v_fmac_f32_e32 v161, v120, v167
	s_waitcnt vmcnt(9)
	v_fmac_f32_e32 v161, v121, v168
	ds_load_b128 v[118:121], v2 offset:304
	s_waitcnt lgkmcnt(1)
	v_fmac_f32_e32 v161, v122, v114
	s_delay_alu instid0(VALU_DEP_1) | instskip(NEXT) | instid1(VALU_DEP_1)
	v_fmac_f32_e32 v161, v123, v115
	v_fmac_f32_e32 v161, v124, v116
	s_waitcnt vmcnt(8)
	s_delay_alu instid0(VALU_DEP_1) | instskip(SKIP_3) | instid1(VALU_DEP_1)
	v_fmac_f32_e32 v161, v125, v117
	ds_load_b128 v[114:117], v2 offset:320
	s_waitcnt lgkmcnt(1)
	v_fmac_f32_e32 v161, v126, v118
	v_fmac_f32_e32 v161, v127, v119
	s_delay_alu instid0(VALU_DEP_1) | instskip(SKIP_1) | instid1(VALU_DEP_1)
	v_fmac_f32_e32 v161, v128, v120
	s_waitcnt vmcnt(7)
	v_fmac_f32_e32 v161, v129, v121
	ds_load_b128 v[118:121], v2 offset:336
	s_waitcnt lgkmcnt(1)
	v_fmac_f32_e32 v161, v130, v114
	;; [unrolled: 17-line block ×4, first 2 shown]
	s_delay_alu instid0(VALU_DEP_1) | instskip(NEXT) | instid1(VALU_DEP_1)
	v_fmac_f32_e32 v161, v147, v115
	v_fmac_f32_e32 v161, v148, v116
	s_waitcnt vmcnt(2)
	s_delay_alu instid0(VALU_DEP_1) | instskip(SKIP_3) | instid1(VALU_DEP_1)
	v_fmac_f32_e32 v161, v149, v117
	ds_load_b128 v[114:117], v2 offset:416
	s_waitcnt lgkmcnt(1)
	v_fmac_f32_e32 v161, v150, v118
	v_fmac_f32_e32 v161, v151, v119
	s_delay_alu instid0(VALU_DEP_1) | instskip(SKIP_4) | instid1(VALU_DEP_1)
	v_fmac_f32_e32 v161, v152, v120
	ds_load_b96 v[118:120], v2 offset:432
	s_waitcnt vmcnt(1)
	v_fmac_f32_e32 v161, v153, v121
	s_waitcnt lgkmcnt(1)
	v_fmac_f32_e32 v161, v154, v114
	s_delay_alu instid0(VALU_DEP_1) | instskip(NEXT) | instid1(VALU_DEP_1)
	v_fmac_f32_e32 v161, v155, v115
	v_fmac_f32_e32 v161, v156, v116
	s_waitcnt vmcnt(0)
	s_delay_alu instid0(VALU_DEP_1) | instskip(SKIP_1) | instid1(VALU_DEP_1)
	v_fmac_f32_e32 v161, v157, v117
	s_waitcnt lgkmcnt(0)
	v_fmac_f32_e32 v161, v158, v118
	s_delay_alu instid0(VALU_DEP_1) | instskip(NEXT) | instid1(VALU_DEP_1)
	v_fmac_f32_e32 v161, v159, v119
	v_fmac_f32_e32 v161, v160, v120
	s_delay_alu instid0(VALU_DEP_1)
	v_sub_f32_e32 v113, v113, v161
	scratch_store_b32 off, v113, off offset:28
	v_cmpx_lt_u32_e32 6, v0
	s_cbranch_execz .LBB54_325
; %bb.324:
	scratch_load_b32 v113, off, off offset:24
	scratch_store_b32 off, v2, off offset:24
	s_waitcnt vmcnt(0)
	ds_store_b32 v1, v113
.LBB54_325:
	s_or_b32 exec_lo, exec_lo, s0
	s_waitcnt lgkmcnt(0)
	s_waitcnt_vscnt null, 0x0
	s_barrier
	buffer_gl0_inv
	s_clause 0xc
	scratch_load_b128 v[113:116], off, off offset:24
	scratch_load_b128 v[117:120], off, off offset:40
	;; [unrolled: 1-line block ×12, first 2 shown]
	scratch_load_b32 v169, off, off offset:216
	ds_load_2addr_b32 v[161:162], v2 offset0:63 offset1:64
	ds_load_2addr_b32 v[163:164], v2 offset0:65 offset1:66
	;; [unrolled: 1-line block ×4, first 2 shown]
	s_mov_b32 s0, exec_lo
	s_waitcnt vmcnt(12) lgkmcnt(3)
	v_fma_f32 v161, v114, v161, 0
	s_delay_alu instid0(VALU_DEP_1) | instskip(SKIP_4) | instid1(VALU_DEP_1)
	v_fmac_f32_e32 v161, v115, v162
	ds_load_2addr_b32 v[114:115], v2 offset0:71 offset1:72
	s_waitcnt lgkmcnt(3)
	v_fmac_f32_e32 v161, v116, v163
	s_waitcnt vmcnt(11)
	v_fmac_f32_e32 v161, v117, v164
	ds_load_2addr_b32 v[116:117], v2 offset0:73 offset1:74
	s_waitcnt lgkmcnt(3)
	v_fmac_f32_e32 v161, v118, v165
	s_delay_alu instid0(VALU_DEP_1) | instskip(SKIP_1) | instid1(VALU_DEP_1)
	v_fmac_f32_e32 v161, v119, v166
	s_waitcnt lgkmcnt(2)
	v_fmac_f32_e32 v161, v120, v167
	s_waitcnt vmcnt(10)
	s_delay_alu instid0(VALU_DEP_1) | instskip(SKIP_4) | instid1(VALU_DEP_1)
	v_fmac_f32_e32 v161, v121, v168
	ds_load_2addr_b32 v[118:119], v2 offset0:75 offset1:76
	ds_load_2addr_b32 v[120:121], v2 offset0:77 offset1:78
	s_waitcnt lgkmcnt(3)
	v_fmac_f32_e32 v161, v122, v114
	v_fmac_f32_e32 v161, v123, v115
	ds_load_2addr_b32 v[114:115], v2 offset0:79 offset1:80
	s_waitcnt lgkmcnt(3)
	v_fmac_f32_e32 v161, v124, v116
	s_waitcnt vmcnt(9)
	s_delay_alu instid0(VALU_DEP_1) | instskip(SKIP_3) | instid1(VALU_DEP_1)
	v_fmac_f32_e32 v161, v125, v117
	ds_load_2addr_b32 v[116:117], v2 offset0:81 offset1:82
	s_waitcnt lgkmcnt(3)
	v_fmac_f32_e32 v161, v126, v118
	v_fmac_f32_e32 v161, v127, v119
	s_waitcnt lgkmcnt(2)
	s_delay_alu instid0(VALU_DEP_1) | instskip(SKIP_1) | instid1(VALU_DEP_1)
	v_fmac_f32_e32 v161, v128, v120
	s_waitcnt vmcnt(8)
	v_fmac_f32_e32 v161, v129, v121
	ds_load_2addr_b32 v[118:119], v2 offset0:83 offset1:84
	ds_load_2addr_b32 v[120:121], v2 offset0:85 offset1:86
	s_waitcnt lgkmcnt(3)
	v_fmac_f32_e32 v161, v130, v114
	s_delay_alu instid0(VALU_DEP_1) | instskip(SKIP_4) | instid1(VALU_DEP_1)
	v_fmac_f32_e32 v161, v131, v115
	ds_load_2addr_b32 v[114:115], v2 offset0:87 offset1:88
	s_waitcnt lgkmcnt(3)
	v_fmac_f32_e32 v161, v132, v116
	s_waitcnt vmcnt(7)
	v_fmac_f32_e32 v161, v133, v117
	ds_load_2addr_b32 v[116:117], v2 offset0:89 offset1:90
	s_waitcnt lgkmcnt(3)
	v_fmac_f32_e32 v161, v134, v118
	s_delay_alu instid0(VALU_DEP_1) | instskip(SKIP_1) | instid1(VALU_DEP_1)
	v_fmac_f32_e32 v161, v135, v119
	s_waitcnt lgkmcnt(2)
	v_fmac_f32_e32 v161, v136, v120
	s_waitcnt vmcnt(6)
	s_delay_alu instid0(VALU_DEP_1) | instskip(SKIP_4) | instid1(VALU_DEP_1)
	v_fmac_f32_e32 v161, v137, v121
	ds_load_2addr_b32 v[118:119], v2 offset0:91 offset1:92
	ds_load_2addr_b32 v[120:121], v2 offset0:93 offset1:94
	s_waitcnt lgkmcnt(3)
	v_fmac_f32_e32 v161, v138, v114
	v_fmac_f32_e32 v161, v139, v115
	ds_load_2addr_b32 v[114:115], v2 offset0:95 offset1:96
	s_waitcnt lgkmcnt(3)
	v_fmac_f32_e32 v161, v140, v116
	s_waitcnt vmcnt(5)
	s_delay_alu instid0(VALU_DEP_1) | instskip(SKIP_3) | instid1(VALU_DEP_1)
	v_fmac_f32_e32 v161, v141, v117
	ds_load_2addr_b32 v[116:117], v2 offset0:97 offset1:98
	s_waitcnt lgkmcnt(3)
	v_fmac_f32_e32 v161, v142, v118
	v_fmac_f32_e32 v161, v143, v119
	s_waitcnt lgkmcnt(2)
	s_delay_alu instid0(VALU_DEP_1) | instskip(SKIP_1) | instid1(VALU_DEP_1)
	v_fmac_f32_e32 v161, v144, v120
	s_waitcnt vmcnt(4)
	v_fmac_f32_e32 v161, v145, v121
	ds_load_2addr_b32 v[118:119], v2 offset0:99 offset1:100
	ds_load_2addr_b32 v[120:121], v2 offset0:101 offset1:102
	s_waitcnt lgkmcnt(3)
	v_fmac_f32_e32 v161, v146, v114
	s_delay_alu instid0(VALU_DEP_1) | instskip(SKIP_4) | instid1(VALU_DEP_1)
	v_fmac_f32_e32 v161, v147, v115
	ds_load_2addr_b32 v[114:115], v2 offset0:103 offset1:104
	s_waitcnt lgkmcnt(3)
	v_fmac_f32_e32 v161, v148, v116
	s_waitcnt vmcnt(3)
	v_fmac_f32_e32 v161, v149, v117
	ds_load_2addr_b32 v[116:117], v2 offset0:105 offset1:106
	s_waitcnt lgkmcnt(3)
	v_fmac_f32_e32 v161, v150, v118
	s_delay_alu instid0(VALU_DEP_1) | instskip(SKIP_1) | instid1(VALU_DEP_1)
	v_fmac_f32_e32 v161, v151, v119
	s_waitcnt lgkmcnt(2)
	v_fmac_f32_e32 v161, v152, v120
	s_waitcnt vmcnt(2)
	s_delay_alu instid0(VALU_DEP_1) | instskip(SKIP_4) | instid1(VALU_DEP_1)
	v_fmac_f32_e32 v161, v153, v121
	ds_load_2addr_b32 v[118:119], v2 offset0:107 offset1:108
	ds_load_2addr_b32 v[120:121], v2 offset0:109 offset1:110
	s_waitcnt lgkmcnt(3)
	v_fmac_f32_e32 v161, v154, v114
	v_fmac_f32_e32 v161, v155, v115
	s_waitcnt lgkmcnt(2)
	s_delay_alu instid0(VALU_DEP_1) | instskip(SKIP_1) | instid1(VALU_DEP_1)
	v_fmac_f32_e32 v161, v156, v116
	s_waitcnt vmcnt(1)
	v_fmac_f32_e32 v161, v157, v117
	s_waitcnt lgkmcnt(1)
	s_delay_alu instid0(VALU_DEP_1) | instskip(NEXT) | instid1(VALU_DEP_1)
	v_fmac_f32_e32 v161, v158, v118
	v_fmac_f32_e32 v161, v159, v119
	s_waitcnt lgkmcnt(0)
	s_delay_alu instid0(VALU_DEP_1) | instskip(SKIP_1) | instid1(VALU_DEP_1)
	v_fmac_f32_e32 v161, v160, v120
	s_waitcnt vmcnt(0)
	v_fmac_f32_e32 v161, v169, v121
	s_delay_alu instid0(VALU_DEP_1)
	v_sub_f32_e32 v2, v113, v161
	scratch_store_b32 off, v2, off offset:24
	v_cmpx_lt_u32_e32 5, v0
	s_cbranch_execz .LBB54_327
; %bb.326:
	scratch_load_b32 v2, off, off offset:20
	v_mov_b32_e32 v113, 0
	scratch_store_b32 off, v113, off offset:20
	s_waitcnt vmcnt(0)
	ds_store_b32 v1, v2
.LBB54_327:
	s_or_b32 exec_lo, exec_lo, s0
	s_waitcnt lgkmcnt(0)
	s_waitcnt_vscnt null, 0x0
	s_barrier
	buffer_gl0_inv
	s_clause 0xc
	scratch_load_b128 v[113:116], off, off offset:20
	scratch_load_b128 v[117:120], off, off offset:36
	;; [unrolled: 1-line block ×12, first 2 shown]
	scratch_load_b64 v[169:170], off, off offset:212
	v_mov_b32_e32 v2, 0
	ds_load_2addr_b64 v[161:164], v2 offset0:31 offset1:32
	ds_load_2addr_b64 v[165:168], v2 offset0:33 offset1:34
	s_mov_b32 s0, exec_lo
	s_waitcnt vmcnt(12) lgkmcnt(1)
	v_fma_f32 v161, v114, v161, 0
	s_delay_alu instid0(VALU_DEP_1) | instskip(NEXT) | instid1(VALU_DEP_1)
	v_fmac_f32_e32 v161, v115, v162
	v_fmac_f32_e32 v161, v116, v163
	s_waitcnt vmcnt(11)
	s_delay_alu instid0(VALU_DEP_1) | instskip(SKIP_3) | instid1(VALU_DEP_1)
	v_fmac_f32_e32 v161, v117, v164
	ds_load_2addr_b64 v[114:117], v2 offset0:35 offset1:36
	s_waitcnt lgkmcnt(1)
	v_fmac_f32_e32 v161, v118, v165
	v_fmac_f32_e32 v161, v119, v166
	s_delay_alu instid0(VALU_DEP_1) | instskip(SKIP_1) | instid1(VALU_DEP_1)
	v_fmac_f32_e32 v161, v120, v167
	s_waitcnt vmcnt(10)
	v_fmac_f32_e32 v161, v121, v168
	ds_load_2addr_b64 v[118:121], v2 offset0:37 offset1:38
	s_waitcnt lgkmcnt(1)
	v_fmac_f32_e32 v161, v122, v114
	s_delay_alu instid0(VALU_DEP_1) | instskip(NEXT) | instid1(VALU_DEP_1)
	v_fmac_f32_e32 v161, v123, v115
	v_fmac_f32_e32 v161, v124, v116
	s_waitcnt vmcnt(9)
	s_delay_alu instid0(VALU_DEP_1) | instskip(SKIP_3) | instid1(VALU_DEP_1)
	v_fmac_f32_e32 v161, v125, v117
	ds_load_2addr_b64 v[114:117], v2 offset0:39 offset1:40
	s_waitcnt lgkmcnt(1)
	v_fmac_f32_e32 v161, v126, v118
	v_fmac_f32_e32 v161, v127, v119
	s_delay_alu instid0(VALU_DEP_1) | instskip(SKIP_1) | instid1(VALU_DEP_1)
	v_fmac_f32_e32 v161, v128, v120
	s_waitcnt vmcnt(8)
	v_fmac_f32_e32 v161, v129, v121
	ds_load_2addr_b64 v[118:121], v2 offset0:41 offset1:42
	s_waitcnt lgkmcnt(1)
	v_fmac_f32_e32 v161, v130, v114
	;; [unrolled: 17-line block ×5, first 2 shown]
	ds_load_b32 v114, v2 offset:440
	v_fmac_f32_e32 v161, v155, v115
	s_delay_alu instid0(VALU_DEP_1) | instskip(SKIP_1) | instid1(VALU_DEP_1)
	v_fmac_f32_e32 v161, v156, v116
	s_waitcnt vmcnt(1)
	v_fmac_f32_e32 v161, v157, v117
	s_waitcnt lgkmcnt(1)
	s_delay_alu instid0(VALU_DEP_1) | instskip(NEXT) | instid1(VALU_DEP_1)
	v_fmac_f32_e32 v161, v158, v118
	v_fmac_f32_e32 v161, v159, v119
	s_delay_alu instid0(VALU_DEP_1) | instskip(SKIP_1) | instid1(VALU_DEP_1)
	v_fmac_f32_e32 v161, v160, v120
	s_waitcnt vmcnt(0)
	v_fmac_f32_e32 v161, v169, v121
	s_waitcnt lgkmcnt(0)
	s_delay_alu instid0(VALU_DEP_1) | instskip(NEXT) | instid1(VALU_DEP_1)
	v_fmac_f32_e32 v161, v170, v114
	v_sub_f32_e32 v113, v113, v161
	scratch_store_b32 off, v113, off offset:20
	v_cmpx_lt_u32_e32 4, v0
	s_cbranch_execz .LBB54_329
; %bb.328:
	scratch_load_b32 v113, off, off offset:16
	scratch_store_b32 off, v2, off offset:16
	s_waitcnt vmcnt(0)
	ds_store_b32 v1, v113
.LBB54_329:
	s_or_b32 exec_lo, exec_lo, s0
	s_waitcnt lgkmcnt(0)
	s_waitcnt_vscnt null, 0x0
	s_barrier
	buffer_gl0_inv
	s_clause 0xc
	scratch_load_b128 v[113:116], off, off offset:16
	scratch_load_b128 v[117:120], off, off offset:32
	;; [unrolled: 1-line block ×12, first 2 shown]
	scratch_load_b96 v[161:163], off, off offset:208
	ds_load_2addr_b32 v[164:165], v2 offset0:61 offset1:62
	ds_load_2addr_b32 v[166:167], v2 offset0:63 offset1:64
	;; [unrolled: 1-line block ×4, first 2 shown]
	s_mov_b32 s0, exec_lo
	s_waitcnt vmcnt(12) lgkmcnt(3)
	v_fma_f32 v164, v114, v164, 0
	s_delay_alu instid0(VALU_DEP_1) | instskip(SKIP_4) | instid1(VALU_DEP_1)
	v_fmac_f32_e32 v164, v115, v165
	ds_load_2addr_b32 v[114:115], v2 offset0:69 offset1:70
	s_waitcnt lgkmcnt(3)
	v_fmac_f32_e32 v164, v116, v166
	s_waitcnt vmcnt(11)
	v_fmac_f32_e32 v164, v117, v167
	ds_load_2addr_b32 v[116:117], v2 offset0:71 offset1:72
	s_waitcnt lgkmcnt(3)
	v_fmac_f32_e32 v164, v118, v168
	s_delay_alu instid0(VALU_DEP_1) | instskip(SKIP_1) | instid1(VALU_DEP_1)
	v_fmac_f32_e32 v164, v119, v169
	s_waitcnt lgkmcnt(2)
	v_fmac_f32_e32 v164, v120, v170
	s_waitcnt vmcnt(10)
	s_delay_alu instid0(VALU_DEP_1) | instskip(SKIP_4) | instid1(VALU_DEP_1)
	v_fmac_f32_e32 v164, v121, v171
	ds_load_2addr_b32 v[118:119], v2 offset0:73 offset1:74
	ds_load_2addr_b32 v[120:121], v2 offset0:75 offset1:76
	s_waitcnt lgkmcnt(3)
	v_fmac_f32_e32 v164, v122, v114
	v_fmac_f32_e32 v164, v123, v115
	ds_load_2addr_b32 v[114:115], v2 offset0:77 offset1:78
	s_waitcnt lgkmcnt(3)
	v_fmac_f32_e32 v164, v124, v116
	s_waitcnt vmcnt(9)
	s_delay_alu instid0(VALU_DEP_1) | instskip(SKIP_3) | instid1(VALU_DEP_1)
	v_fmac_f32_e32 v164, v125, v117
	ds_load_2addr_b32 v[116:117], v2 offset0:79 offset1:80
	s_waitcnt lgkmcnt(3)
	v_fmac_f32_e32 v164, v126, v118
	v_fmac_f32_e32 v164, v127, v119
	s_waitcnt lgkmcnt(2)
	s_delay_alu instid0(VALU_DEP_1) | instskip(SKIP_1) | instid1(VALU_DEP_1)
	v_fmac_f32_e32 v164, v128, v120
	s_waitcnt vmcnt(8)
	v_fmac_f32_e32 v164, v129, v121
	ds_load_2addr_b32 v[118:119], v2 offset0:81 offset1:82
	ds_load_2addr_b32 v[120:121], v2 offset0:83 offset1:84
	s_waitcnt lgkmcnt(3)
	v_fmac_f32_e32 v164, v130, v114
	s_delay_alu instid0(VALU_DEP_1) | instskip(SKIP_4) | instid1(VALU_DEP_1)
	v_fmac_f32_e32 v164, v131, v115
	ds_load_2addr_b32 v[114:115], v2 offset0:85 offset1:86
	s_waitcnt lgkmcnt(3)
	v_fmac_f32_e32 v164, v132, v116
	s_waitcnt vmcnt(7)
	v_fmac_f32_e32 v164, v133, v117
	ds_load_2addr_b32 v[116:117], v2 offset0:87 offset1:88
	s_waitcnt lgkmcnt(3)
	v_fmac_f32_e32 v164, v134, v118
	s_delay_alu instid0(VALU_DEP_1) | instskip(SKIP_1) | instid1(VALU_DEP_1)
	v_fmac_f32_e32 v164, v135, v119
	s_waitcnt lgkmcnt(2)
	v_fmac_f32_e32 v164, v136, v120
	s_waitcnt vmcnt(6)
	s_delay_alu instid0(VALU_DEP_1) | instskip(SKIP_4) | instid1(VALU_DEP_1)
	v_fmac_f32_e32 v164, v137, v121
	ds_load_2addr_b32 v[118:119], v2 offset0:89 offset1:90
	ds_load_2addr_b32 v[120:121], v2 offset0:91 offset1:92
	s_waitcnt lgkmcnt(3)
	v_fmac_f32_e32 v164, v138, v114
	v_fmac_f32_e32 v164, v139, v115
	ds_load_2addr_b32 v[114:115], v2 offset0:93 offset1:94
	s_waitcnt lgkmcnt(3)
	v_fmac_f32_e32 v164, v140, v116
	s_waitcnt vmcnt(5)
	s_delay_alu instid0(VALU_DEP_1) | instskip(SKIP_3) | instid1(VALU_DEP_1)
	v_fmac_f32_e32 v164, v141, v117
	ds_load_2addr_b32 v[116:117], v2 offset0:95 offset1:96
	s_waitcnt lgkmcnt(3)
	v_fmac_f32_e32 v164, v142, v118
	v_fmac_f32_e32 v164, v143, v119
	s_waitcnt lgkmcnt(2)
	s_delay_alu instid0(VALU_DEP_1) | instskip(SKIP_1) | instid1(VALU_DEP_1)
	v_fmac_f32_e32 v164, v144, v120
	s_waitcnt vmcnt(4)
	v_fmac_f32_e32 v164, v145, v121
	ds_load_2addr_b32 v[118:119], v2 offset0:97 offset1:98
	ds_load_2addr_b32 v[120:121], v2 offset0:99 offset1:100
	s_waitcnt lgkmcnt(3)
	v_fmac_f32_e32 v164, v146, v114
	s_delay_alu instid0(VALU_DEP_1) | instskip(SKIP_4) | instid1(VALU_DEP_1)
	v_fmac_f32_e32 v164, v147, v115
	ds_load_2addr_b32 v[114:115], v2 offset0:101 offset1:102
	s_waitcnt lgkmcnt(3)
	v_fmac_f32_e32 v164, v148, v116
	s_waitcnt vmcnt(3)
	v_fmac_f32_e32 v164, v149, v117
	ds_load_2addr_b32 v[116:117], v2 offset0:103 offset1:104
	s_waitcnt lgkmcnt(3)
	v_fmac_f32_e32 v164, v150, v118
	s_delay_alu instid0(VALU_DEP_1) | instskip(SKIP_1) | instid1(VALU_DEP_1)
	v_fmac_f32_e32 v164, v151, v119
	s_waitcnt lgkmcnt(2)
	v_fmac_f32_e32 v164, v152, v120
	s_waitcnt vmcnt(2)
	s_delay_alu instid0(VALU_DEP_1) | instskip(SKIP_4) | instid1(VALU_DEP_1)
	v_fmac_f32_e32 v164, v153, v121
	ds_load_2addr_b32 v[118:119], v2 offset0:105 offset1:106
	ds_load_2addr_b32 v[120:121], v2 offset0:107 offset1:108
	s_waitcnt lgkmcnt(3)
	v_fmac_f32_e32 v164, v154, v114
	v_fmac_f32_e32 v164, v155, v115
	ds_load_2addr_b32 v[114:115], v2 offset0:109 offset1:110
	s_waitcnt lgkmcnt(3)
	v_fmac_f32_e32 v164, v156, v116
	s_waitcnt vmcnt(1)
	s_delay_alu instid0(VALU_DEP_1) | instskip(SKIP_1) | instid1(VALU_DEP_1)
	v_fmac_f32_e32 v164, v157, v117
	s_waitcnt lgkmcnt(2)
	v_fmac_f32_e32 v164, v158, v118
	s_delay_alu instid0(VALU_DEP_1) | instskip(SKIP_1) | instid1(VALU_DEP_1)
	v_fmac_f32_e32 v164, v159, v119
	s_waitcnt lgkmcnt(1)
	v_fmac_f32_e32 v164, v160, v120
	s_waitcnt vmcnt(0)
	s_delay_alu instid0(VALU_DEP_1) | instskip(SKIP_1) | instid1(VALU_DEP_1)
	v_fmac_f32_e32 v164, v161, v121
	s_waitcnt lgkmcnt(0)
	v_fmac_f32_e32 v164, v162, v114
	s_delay_alu instid0(VALU_DEP_1) | instskip(NEXT) | instid1(VALU_DEP_1)
	v_fmac_f32_e32 v164, v163, v115
	v_sub_f32_e32 v2, v113, v164
	scratch_store_b32 off, v2, off offset:16
	v_cmpx_lt_u32_e32 3, v0
	s_cbranch_execz .LBB54_331
; %bb.330:
	scratch_load_b32 v2, off, off offset:12
	v_mov_b32_e32 v113, 0
	scratch_store_b32 off, v113, off offset:12
	s_waitcnt vmcnt(0)
	ds_store_b32 v1, v2
.LBB54_331:
	s_or_b32 exec_lo, exec_lo, s0
	s_waitcnt lgkmcnt(0)
	s_waitcnt_vscnt null, 0x0
	s_barrier
	buffer_gl0_inv
	s_clause 0xc
	scratch_load_b128 v[113:116], off, off offset:12
	scratch_load_b128 v[117:120], off, off offset:28
	;; [unrolled: 1-line block ×13, first 2 shown]
	v_mov_b32_e32 v2, 0
	ds_load_b128 v[165:168], v2 offset:240
	ds_load_b128 v[169:172], v2 offset:256
	s_mov_b32 s0, exec_lo
	s_waitcnt vmcnt(12) lgkmcnt(1)
	v_fma_f32 v165, v114, v165, 0
	s_delay_alu instid0(VALU_DEP_1) | instskip(NEXT) | instid1(VALU_DEP_1)
	v_fmac_f32_e32 v165, v115, v166
	v_fmac_f32_e32 v165, v116, v167
	s_waitcnt vmcnt(11)
	s_delay_alu instid0(VALU_DEP_1) | instskip(SKIP_3) | instid1(VALU_DEP_1)
	v_fmac_f32_e32 v165, v117, v168
	ds_load_b128 v[114:117], v2 offset:272
	s_waitcnt lgkmcnt(1)
	v_fmac_f32_e32 v165, v118, v169
	v_fmac_f32_e32 v165, v119, v170
	s_delay_alu instid0(VALU_DEP_1) | instskip(SKIP_1) | instid1(VALU_DEP_1)
	v_fmac_f32_e32 v165, v120, v171
	s_waitcnt vmcnt(10)
	v_fmac_f32_e32 v165, v121, v172
	ds_load_b128 v[118:121], v2 offset:288
	s_waitcnt lgkmcnt(1)
	v_fmac_f32_e32 v165, v122, v114
	s_delay_alu instid0(VALU_DEP_1) | instskip(NEXT) | instid1(VALU_DEP_1)
	v_fmac_f32_e32 v165, v123, v115
	v_fmac_f32_e32 v165, v124, v116
	s_waitcnt vmcnt(9)
	s_delay_alu instid0(VALU_DEP_1) | instskip(SKIP_3) | instid1(VALU_DEP_1)
	v_fmac_f32_e32 v165, v125, v117
	ds_load_b128 v[114:117], v2 offset:304
	s_waitcnt lgkmcnt(1)
	v_fmac_f32_e32 v165, v126, v118
	v_fmac_f32_e32 v165, v127, v119
	s_delay_alu instid0(VALU_DEP_1) | instskip(SKIP_1) | instid1(VALU_DEP_1)
	v_fmac_f32_e32 v165, v128, v120
	s_waitcnt vmcnt(8)
	v_fmac_f32_e32 v165, v129, v121
	ds_load_b128 v[118:121], v2 offset:320
	s_waitcnt lgkmcnt(1)
	v_fmac_f32_e32 v165, v130, v114
	;; [unrolled: 17-line block ×5, first 2 shown]
	s_delay_alu instid0(VALU_DEP_1) | instskip(NEXT) | instid1(VALU_DEP_1)
	v_fmac_f32_e32 v165, v155, v115
	v_fmac_f32_e32 v165, v156, v116
	ds_load_b96 v[114:116], v2 offset:432
	s_waitcnt vmcnt(1)
	v_fmac_f32_e32 v165, v157, v117
	s_waitcnt lgkmcnt(1)
	s_delay_alu instid0(VALU_DEP_1) | instskip(NEXT) | instid1(VALU_DEP_1)
	v_fmac_f32_e32 v165, v158, v118
	v_fmac_f32_e32 v165, v159, v119
	s_delay_alu instid0(VALU_DEP_1) | instskip(SKIP_1) | instid1(VALU_DEP_1)
	v_fmac_f32_e32 v165, v160, v120
	s_waitcnt vmcnt(0)
	v_fmac_f32_e32 v165, v161, v121
	s_waitcnt lgkmcnt(0)
	s_delay_alu instid0(VALU_DEP_1) | instskip(NEXT) | instid1(VALU_DEP_1)
	v_fmac_f32_e32 v165, v162, v114
	v_fmac_f32_e32 v165, v163, v115
	s_delay_alu instid0(VALU_DEP_1) | instskip(NEXT) | instid1(VALU_DEP_1)
	v_fmac_f32_e32 v165, v164, v116
	v_sub_f32_e32 v113, v113, v165
	scratch_store_b32 off, v113, off offset:12
	v_cmpx_lt_u32_e32 2, v0
	s_cbranch_execz .LBB54_333
; %bb.332:
	scratch_load_b32 v113, off, off offset:8
	scratch_store_b32 off, v2, off offset:8
	s_waitcnt vmcnt(0)
	ds_store_b32 v1, v113
.LBB54_333:
	s_or_b32 exec_lo, exec_lo, s0
	s_waitcnt lgkmcnt(0)
	s_waitcnt_vscnt null, 0x0
	s_barrier
	buffer_gl0_inv
	s_clause 0xd
	scratch_load_b128 v[113:116], off, off offset:8
	scratch_load_b128 v[117:120], off, off offset:24
	;; [unrolled: 1-line block ×13, first 2 shown]
	scratch_load_b32 v173, off, off offset:216
	ds_load_2addr_b32 v[165:166], v2 offset0:59 offset1:60
	ds_load_2addr_b32 v[167:168], v2 offset0:61 offset1:62
	;; [unrolled: 1-line block ×4, first 2 shown]
	s_mov_b32 s0, exec_lo
	s_waitcnt vmcnt(13) lgkmcnt(3)
	v_fma_f32 v165, v114, v165, 0
	s_delay_alu instid0(VALU_DEP_1) | instskip(SKIP_4) | instid1(VALU_DEP_1)
	v_fmac_f32_e32 v165, v115, v166
	ds_load_2addr_b32 v[114:115], v2 offset0:67 offset1:68
	s_waitcnt lgkmcnt(3)
	v_fmac_f32_e32 v165, v116, v167
	s_waitcnt vmcnt(12)
	v_fmac_f32_e32 v165, v117, v168
	ds_load_2addr_b32 v[116:117], v2 offset0:69 offset1:70
	s_waitcnt lgkmcnt(3)
	v_fmac_f32_e32 v165, v118, v169
	s_delay_alu instid0(VALU_DEP_1) | instskip(SKIP_1) | instid1(VALU_DEP_1)
	v_fmac_f32_e32 v165, v119, v170
	s_waitcnt lgkmcnt(2)
	v_fmac_f32_e32 v165, v120, v171
	s_waitcnt vmcnt(11)
	s_delay_alu instid0(VALU_DEP_1) | instskip(SKIP_4) | instid1(VALU_DEP_1)
	v_fmac_f32_e32 v165, v121, v172
	ds_load_2addr_b32 v[118:119], v2 offset0:71 offset1:72
	ds_load_2addr_b32 v[120:121], v2 offset0:73 offset1:74
	s_waitcnt lgkmcnt(3)
	v_fmac_f32_e32 v165, v122, v114
	v_fmac_f32_e32 v165, v123, v115
	ds_load_2addr_b32 v[114:115], v2 offset0:75 offset1:76
	s_waitcnt lgkmcnt(3)
	v_fmac_f32_e32 v165, v124, v116
	s_waitcnt vmcnt(10)
	s_delay_alu instid0(VALU_DEP_1) | instskip(SKIP_3) | instid1(VALU_DEP_1)
	v_fmac_f32_e32 v165, v125, v117
	ds_load_2addr_b32 v[116:117], v2 offset0:77 offset1:78
	s_waitcnt lgkmcnt(3)
	v_fmac_f32_e32 v165, v126, v118
	v_fmac_f32_e32 v165, v127, v119
	s_waitcnt lgkmcnt(2)
	s_delay_alu instid0(VALU_DEP_1) | instskip(SKIP_1) | instid1(VALU_DEP_1)
	v_fmac_f32_e32 v165, v128, v120
	s_waitcnt vmcnt(9)
	v_fmac_f32_e32 v165, v129, v121
	ds_load_2addr_b32 v[118:119], v2 offset0:79 offset1:80
	ds_load_2addr_b32 v[120:121], v2 offset0:81 offset1:82
	s_waitcnt lgkmcnt(3)
	v_fmac_f32_e32 v165, v130, v114
	s_delay_alu instid0(VALU_DEP_1) | instskip(SKIP_4) | instid1(VALU_DEP_1)
	v_fmac_f32_e32 v165, v131, v115
	ds_load_2addr_b32 v[114:115], v2 offset0:83 offset1:84
	s_waitcnt lgkmcnt(3)
	v_fmac_f32_e32 v165, v132, v116
	s_waitcnt vmcnt(8)
	v_fmac_f32_e32 v165, v133, v117
	ds_load_2addr_b32 v[116:117], v2 offset0:85 offset1:86
	s_waitcnt lgkmcnt(3)
	v_fmac_f32_e32 v165, v134, v118
	s_delay_alu instid0(VALU_DEP_1) | instskip(SKIP_1) | instid1(VALU_DEP_1)
	v_fmac_f32_e32 v165, v135, v119
	s_waitcnt lgkmcnt(2)
	v_fmac_f32_e32 v165, v136, v120
	s_waitcnt vmcnt(7)
	s_delay_alu instid0(VALU_DEP_1) | instskip(SKIP_4) | instid1(VALU_DEP_1)
	v_fmac_f32_e32 v165, v137, v121
	ds_load_2addr_b32 v[118:119], v2 offset0:87 offset1:88
	ds_load_2addr_b32 v[120:121], v2 offset0:89 offset1:90
	s_waitcnt lgkmcnt(3)
	v_fmac_f32_e32 v165, v138, v114
	v_fmac_f32_e32 v165, v139, v115
	ds_load_2addr_b32 v[114:115], v2 offset0:91 offset1:92
	s_waitcnt lgkmcnt(3)
	v_fmac_f32_e32 v165, v140, v116
	s_waitcnt vmcnt(6)
	s_delay_alu instid0(VALU_DEP_1) | instskip(SKIP_3) | instid1(VALU_DEP_1)
	v_fmac_f32_e32 v165, v141, v117
	ds_load_2addr_b32 v[116:117], v2 offset0:93 offset1:94
	s_waitcnt lgkmcnt(3)
	v_fmac_f32_e32 v165, v142, v118
	v_fmac_f32_e32 v165, v143, v119
	s_waitcnt lgkmcnt(2)
	s_delay_alu instid0(VALU_DEP_1) | instskip(SKIP_1) | instid1(VALU_DEP_1)
	v_fmac_f32_e32 v165, v144, v120
	s_waitcnt vmcnt(5)
	v_fmac_f32_e32 v165, v145, v121
	ds_load_2addr_b32 v[118:119], v2 offset0:95 offset1:96
	ds_load_2addr_b32 v[120:121], v2 offset0:97 offset1:98
	s_waitcnt lgkmcnt(3)
	v_fmac_f32_e32 v165, v146, v114
	s_delay_alu instid0(VALU_DEP_1) | instskip(SKIP_4) | instid1(VALU_DEP_1)
	v_fmac_f32_e32 v165, v147, v115
	ds_load_2addr_b32 v[114:115], v2 offset0:99 offset1:100
	s_waitcnt lgkmcnt(3)
	v_fmac_f32_e32 v165, v148, v116
	s_waitcnt vmcnt(4)
	v_fmac_f32_e32 v165, v149, v117
	ds_load_2addr_b32 v[116:117], v2 offset0:101 offset1:102
	s_waitcnt lgkmcnt(3)
	v_fmac_f32_e32 v165, v150, v118
	s_delay_alu instid0(VALU_DEP_1) | instskip(SKIP_1) | instid1(VALU_DEP_1)
	v_fmac_f32_e32 v165, v151, v119
	s_waitcnt lgkmcnt(2)
	v_fmac_f32_e32 v165, v152, v120
	s_waitcnt vmcnt(3)
	s_delay_alu instid0(VALU_DEP_1) | instskip(SKIP_4) | instid1(VALU_DEP_1)
	v_fmac_f32_e32 v165, v153, v121
	ds_load_2addr_b32 v[118:119], v2 offset0:103 offset1:104
	ds_load_2addr_b32 v[120:121], v2 offset0:105 offset1:106
	s_waitcnt lgkmcnt(3)
	v_fmac_f32_e32 v165, v154, v114
	v_fmac_f32_e32 v165, v155, v115
	ds_load_2addr_b32 v[114:115], v2 offset0:107 offset1:108
	s_waitcnt lgkmcnt(3)
	v_fmac_f32_e32 v165, v156, v116
	s_waitcnt vmcnt(2)
	s_delay_alu instid0(VALU_DEP_1) | instskip(SKIP_3) | instid1(VALU_DEP_1)
	v_fmac_f32_e32 v165, v157, v117
	ds_load_2addr_b32 v[116:117], v2 offset0:109 offset1:110
	s_waitcnt lgkmcnt(3)
	v_fmac_f32_e32 v165, v158, v118
	v_fmac_f32_e32 v165, v159, v119
	s_waitcnt lgkmcnt(2)
	s_delay_alu instid0(VALU_DEP_1) | instskip(SKIP_1) | instid1(VALU_DEP_1)
	v_fmac_f32_e32 v165, v160, v120
	s_waitcnt vmcnt(1)
	v_fmac_f32_e32 v165, v161, v121
	s_waitcnt lgkmcnt(1)
	s_delay_alu instid0(VALU_DEP_1) | instskip(NEXT) | instid1(VALU_DEP_1)
	v_fmac_f32_e32 v165, v162, v114
	v_fmac_f32_e32 v165, v163, v115
	s_waitcnt lgkmcnt(0)
	s_delay_alu instid0(VALU_DEP_1) | instskip(SKIP_1) | instid1(VALU_DEP_1)
	v_fmac_f32_e32 v165, v164, v116
	s_waitcnt vmcnt(0)
	v_fmac_f32_e32 v165, v173, v117
	s_delay_alu instid0(VALU_DEP_1)
	v_sub_f32_e32 v2, v113, v165
	scratch_store_b32 off, v2, off offset:8
	v_cmpx_lt_u32_e32 1, v0
	s_cbranch_execz .LBB54_335
; %bb.334:
	scratch_load_b32 v2, off, off offset:4
	v_mov_b32_e32 v113, 0
	scratch_store_b32 off, v113, off offset:4
	s_waitcnt vmcnt(0)
	ds_store_b32 v1, v2
.LBB54_335:
	s_or_b32 exec_lo, exec_lo, s0
	s_waitcnt lgkmcnt(0)
	s_waitcnt_vscnt null, 0x0
	s_barrier
	buffer_gl0_inv
	s_clause 0xd
	scratch_load_b128 v[114:117], off, off offset:4
	scratch_load_b128 v[118:121], off, off offset:20
	;; [unrolled: 1-line block ×13, first 2 shown]
	scratch_load_b64 v[174:175], off, off offset:212
	v_mov_b32_e32 v113, 0
	ds_load_2addr_b64 v[166:169], v113 offset0:29 offset1:30
	ds_load_2addr_b64 v[170:173], v113 offset0:31 offset1:32
	s_mov_b32 s0, exec_lo
	s_waitcnt vmcnt(13) lgkmcnt(1)
	v_fma_f32 v2, v115, v166, 0
	s_delay_alu instid0(VALU_DEP_1) | instskip(NEXT) | instid1(VALU_DEP_1)
	v_fmac_f32_e32 v2, v116, v167
	v_fmac_f32_e32 v2, v117, v168
	s_waitcnt vmcnt(12)
	s_delay_alu instid0(VALU_DEP_1) | instskip(SKIP_3) | instid1(VALU_DEP_1)
	v_fmac_f32_e32 v2, v118, v169
	ds_load_2addr_b64 v[115:118], v113 offset0:33 offset1:34
	s_waitcnt lgkmcnt(1)
	v_fmac_f32_e32 v2, v119, v170
	v_fmac_f32_e32 v2, v120, v171
	s_delay_alu instid0(VALU_DEP_1) | instskip(SKIP_1) | instid1(VALU_DEP_1)
	v_fmac_f32_e32 v2, v121, v172
	s_waitcnt vmcnt(11)
	v_fmac_f32_e32 v2, v122, v173
	ds_load_2addr_b64 v[119:122], v113 offset0:35 offset1:36
	s_waitcnt lgkmcnt(1)
	v_fmac_f32_e32 v2, v123, v115
	s_delay_alu instid0(VALU_DEP_1) | instskip(NEXT) | instid1(VALU_DEP_1)
	v_fmac_f32_e32 v2, v124, v116
	v_fmac_f32_e32 v2, v125, v117
	s_waitcnt vmcnt(10)
	s_delay_alu instid0(VALU_DEP_1) | instskip(SKIP_3) | instid1(VALU_DEP_1)
	v_fmac_f32_e32 v2, v126, v118
	ds_load_2addr_b64 v[115:118], v113 offset0:37 offset1:38
	s_waitcnt lgkmcnt(1)
	v_fmac_f32_e32 v2, v127, v119
	v_fmac_f32_e32 v2, v128, v120
	s_delay_alu instid0(VALU_DEP_1) | instskip(SKIP_1) | instid1(VALU_DEP_1)
	v_fmac_f32_e32 v2, v129, v121
	s_waitcnt vmcnt(9)
	v_fmac_f32_e32 v2, v130, v122
	ds_load_2addr_b64 v[119:122], v113 offset0:39 offset1:40
	s_waitcnt lgkmcnt(1)
	v_fmac_f32_e32 v2, v131, v115
	;; [unrolled: 17-line block ×5, first 2 shown]
	s_delay_alu instid0(VALU_DEP_1) | instskip(NEXT) | instid1(VALU_DEP_1)
	v_fmac_f32_e32 v2, v156, v116
	v_fmac_f32_e32 v2, v157, v117
	s_waitcnt vmcnt(2)
	s_delay_alu instid0(VALU_DEP_1)
	v_fmac_f32_e32 v2, v158, v118
	ds_load_2addr_b64 v[115:118], v113 offset0:53 offset1:54
	s_waitcnt lgkmcnt(1)
	v_fmac_f32_e32 v2, v159, v119
	ds_load_b32 v119, v113 offset:440
	v_fmac_f32_e32 v2, v160, v120
	s_delay_alu instid0(VALU_DEP_1) | instskip(SKIP_1) | instid1(VALU_DEP_1)
	v_fmac_f32_e32 v2, v161, v121
	s_waitcnt vmcnt(1)
	v_fmac_f32_e32 v2, v162, v122
	s_waitcnt lgkmcnt(1)
	s_delay_alu instid0(VALU_DEP_1) | instskip(NEXT) | instid1(VALU_DEP_1)
	v_fmac_f32_e32 v2, v163, v115
	v_fmac_f32_e32 v2, v164, v116
	s_delay_alu instid0(VALU_DEP_1) | instskip(SKIP_1) | instid1(VALU_DEP_1)
	v_fmac_f32_e32 v2, v165, v117
	s_waitcnt vmcnt(0)
	v_fmac_f32_e32 v2, v174, v118
	s_waitcnt lgkmcnt(0)
	s_delay_alu instid0(VALU_DEP_1) | instskip(NEXT) | instid1(VALU_DEP_1)
	v_fmac_f32_e32 v2, v175, v119
	v_sub_f32_e32 v2, v114, v2
	scratch_store_b32 off, v2, off offset:4
	v_cmpx_ne_u32_e32 0, v0
	s_cbranch_execz .LBB54_337
; %bb.336:
	scratch_load_b32 v0, off, off
	scratch_store_b32 off, v113, off
	s_waitcnt vmcnt(0)
	ds_store_b32 v1, v0
.LBB54_337:
	s_or_b32 exec_lo, exec_lo, s0
	s_waitcnt lgkmcnt(0)
	s_waitcnt_vscnt null, 0x0
	s_barrier
	buffer_gl0_inv
	s_clause 0xd
	scratch_load_b128 v[114:117], off, off
	scratch_load_b128 v[118:121], off, off offset:16
	scratch_load_b128 v[122:125], off, off offset:32
	;; [unrolled: 1-line block ×12, first 2 shown]
	scratch_load_b96 v[0:2], off, off offset:208
	ds_load_2addr_b32 v[166:167], v113 offset0:57 offset1:58
	ds_load_2addr_b32 v[168:169], v113 offset0:59 offset1:60
	;; [unrolled: 1-line block ×4, first 2 shown]
	s_and_b32 vcc_lo, exec_lo, s16
	s_waitcnt vmcnt(13) lgkmcnt(3)
	v_fma_f32 v166, v115, v166, 0
	s_delay_alu instid0(VALU_DEP_1) | instskip(SKIP_4) | instid1(VALU_DEP_1)
	v_fmac_f32_e32 v166, v116, v167
	ds_load_2addr_b32 v[115:116], v113 offset0:65 offset1:66
	s_waitcnt lgkmcnt(3)
	v_fmac_f32_e32 v166, v117, v168
	s_waitcnt vmcnt(12)
	v_fmac_f32_e32 v166, v118, v169
	ds_load_2addr_b32 v[117:118], v113 offset0:67 offset1:68
	s_waitcnt lgkmcnt(3)
	v_fmac_f32_e32 v166, v119, v170
	s_delay_alu instid0(VALU_DEP_1) | instskip(SKIP_1) | instid1(VALU_DEP_1)
	v_fmac_f32_e32 v166, v120, v171
	s_waitcnt lgkmcnt(2)
	v_fmac_f32_e32 v166, v121, v172
	s_waitcnt vmcnt(11)
	s_delay_alu instid0(VALU_DEP_1) | instskip(SKIP_4) | instid1(VALU_DEP_1)
	v_fmac_f32_e32 v166, v122, v173
	ds_load_2addr_b32 v[119:120], v113 offset0:69 offset1:70
	ds_load_2addr_b32 v[121:122], v113 offset0:71 offset1:72
	s_waitcnt lgkmcnt(3)
	v_fmac_f32_e32 v166, v123, v115
	v_fmac_f32_e32 v166, v124, v116
	ds_load_2addr_b32 v[115:116], v113 offset0:73 offset1:74
	s_waitcnt lgkmcnt(3)
	v_fmac_f32_e32 v166, v125, v117
	s_waitcnt vmcnt(10)
	s_delay_alu instid0(VALU_DEP_1) | instskip(SKIP_3) | instid1(VALU_DEP_1)
	v_fmac_f32_e32 v166, v126, v118
	ds_load_2addr_b32 v[117:118], v113 offset0:75 offset1:76
	s_waitcnt lgkmcnt(3)
	v_fmac_f32_e32 v166, v127, v119
	v_fmac_f32_e32 v166, v128, v120
	s_waitcnt lgkmcnt(2)
	s_delay_alu instid0(VALU_DEP_1) | instskip(SKIP_1) | instid1(VALU_DEP_1)
	v_fmac_f32_e32 v166, v129, v121
	s_waitcnt vmcnt(9)
	v_fmac_f32_e32 v166, v130, v122
	ds_load_2addr_b32 v[119:120], v113 offset0:77 offset1:78
	ds_load_2addr_b32 v[121:122], v113 offset0:79 offset1:80
	s_waitcnt lgkmcnt(3)
	v_fmac_f32_e32 v166, v131, v115
	s_delay_alu instid0(VALU_DEP_1) | instskip(SKIP_4) | instid1(VALU_DEP_1)
	v_fmac_f32_e32 v166, v132, v116
	ds_load_2addr_b32 v[115:116], v113 offset0:81 offset1:82
	s_waitcnt lgkmcnt(3)
	v_fmac_f32_e32 v166, v133, v117
	s_waitcnt vmcnt(8)
	v_fmac_f32_e32 v166, v134, v118
	ds_load_2addr_b32 v[117:118], v113 offset0:83 offset1:84
	s_waitcnt lgkmcnt(3)
	v_fmac_f32_e32 v166, v135, v119
	s_delay_alu instid0(VALU_DEP_1) | instskip(SKIP_1) | instid1(VALU_DEP_1)
	v_fmac_f32_e32 v166, v136, v120
	s_waitcnt lgkmcnt(2)
	v_fmac_f32_e32 v166, v137, v121
	s_waitcnt vmcnt(7)
	s_delay_alu instid0(VALU_DEP_1) | instskip(SKIP_4) | instid1(VALU_DEP_1)
	v_fmac_f32_e32 v166, v138, v122
	ds_load_2addr_b32 v[119:120], v113 offset0:85 offset1:86
	ds_load_2addr_b32 v[121:122], v113 offset0:87 offset1:88
	s_waitcnt lgkmcnt(3)
	v_fmac_f32_e32 v166, v139, v115
	v_fmac_f32_e32 v166, v140, v116
	ds_load_2addr_b32 v[115:116], v113 offset0:89 offset1:90
	s_waitcnt lgkmcnt(3)
	v_fmac_f32_e32 v166, v141, v117
	s_waitcnt vmcnt(6)
	s_delay_alu instid0(VALU_DEP_1) | instskip(SKIP_3) | instid1(VALU_DEP_1)
	v_fmac_f32_e32 v166, v142, v118
	ds_load_2addr_b32 v[117:118], v113 offset0:91 offset1:92
	s_waitcnt lgkmcnt(3)
	v_fmac_f32_e32 v166, v143, v119
	v_fmac_f32_e32 v166, v144, v120
	s_waitcnt lgkmcnt(2)
	s_delay_alu instid0(VALU_DEP_1) | instskip(SKIP_1) | instid1(VALU_DEP_1)
	v_fmac_f32_e32 v166, v145, v121
	s_waitcnt vmcnt(5)
	v_fmac_f32_e32 v166, v146, v122
	ds_load_2addr_b32 v[119:120], v113 offset0:93 offset1:94
	ds_load_2addr_b32 v[121:122], v113 offset0:95 offset1:96
	s_waitcnt lgkmcnt(3)
	v_fmac_f32_e32 v166, v147, v115
	s_delay_alu instid0(VALU_DEP_1) | instskip(SKIP_4) | instid1(VALU_DEP_1)
	v_fmac_f32_e32 v166, v148, v116
	ds_load_2addr_b32 v[115:116], v113 offset0:97 offset1:98
	s_waitcnt lgkmcnt(3)
	v_fmac_f32_e32 v166, v149, v117
	s_waitcnt vmcnt(4)
	v_fmac_f32_e32 v166, v150, v118
	ds_load_2addr_b32 v[117:118], v113 offset0:99 offset1:100
	s_waitcnt lgkmcnt(3)
	v_fmac_f32_e32 v166, v151, v119
	s_delay_alu instid0(VALU_DEP_1) | instskip(SKIP_1) | instid1(VALU_DEP_1)
	v_fmac_f32_e32 v166, v152, v120
	s_waitcnt lgkmcnt(2)
	v_fmac_f32_e32 v166, v153, v121
	s_waitcnt vmcnt(3)
	s_delay_alu instid0(VALU_DEP_1) | instskip(SKIP_4) | instid1(VALU_DEP_1)
	v_fmac_f32_e32 v166, v154, v122
	ds_load_2addr_b32 v[119:120], v113 offset0:101 offset1:102
	ds_load_2addr_b32 v[121:122], v113 offset0:103 offset1:104
	s_waitcnt lgkmcnt(3)
	v_fmac_f32_e32 v166, v155, v115
	v_fmac_f32_e32 v166, v156, v116
	ds_load_2addr_b32 v[115:116], v113 offset0:105 offset1:106
	s_waitcnt lgkmcnt(3)
	v_fmac_f32_e32 v166, v157, v117
	s_waitcnt vmcnt(2)
	s_delay_alu instid0(VALU_DEP_1) | instskip(SKIP_3) | instid1(VALU_DEP_1)
	v_fmac_f32_e32 v166, v158, v118
	ds_load_2addr_b32 v[117:118], v113 offset0:107 offset1:108
	s_waitcnt lgkmcnt(3)
	v_fmac_f32_e32 v166, v159, v119
	v_fmac_f32_e32 v166, v160, v120
	ds_load_2addr_b32 v[119:120], v113 offset0:109 offset1:110
	s_waitcnt lgkmcnt(3)
	v_fmac_f32_e32 v166, v161, v121
	s_waitcnt vmcnt(1)
	s_delay_alu instid0(VALU_DEP_1) | instskip(SKIP_1) | instid1(VALU_DEP_1)
	v_fmac_f32_e32 v166, v162, v122
	s_waitcnt lgkmcnt(2)
	v_fmac_f32_e32 v166, v163, v115
	s_delay_alu instid0(VALU_DEP_1) | instskip(SKIP_1) | instid1(VALU_DEP_1)
	v_fmac_f32_e32 v166, v164, v116
	s_waitcnt lgkmcnt(1)
	v_fmac_f32_e32 v166, v165, v117
	s_waitcnt vmcnt(0)
	s_delay_alu instid0(VALU_DEP_1) | instskip(SKIP_1) | instid1(VALU_DEP_1)
	v_fmac_f32_e32 v166, v0, v118
	s_waitcnt lgkmcnt(0)
	v_fmac_f32_e32 v166, v1, v119
	s_delay_alu instid0(VALU_DEP_1) | instskip(NEXT) | instid1(VALU_DEP_1)
	v_fmac_f32_e32 v166, v2, v120
	v_sub_f32_e32 v0, v114, v166
	scratch_store_b32 off, v0, off
	s_cbranch_vccz .LBB54_447
; %bb.338:
	v_dual_mov_b32 v114, s13 :: v_dual_mov_b32 v113, s12
	s_mov_b32 s0, exec_lo
	flat_load_b32 v0, v[113:114] offset:212
	s_waitcnt vmcnt(0) lgkmcnt(0)
	v_cmpx_ne_u32_e32 54, v0
	s_cbranch_execz .LBB54_340
; %bb.339:
	v_lshl_add_u32 v0, v0, 2, 0
	scratch_load_b32 v2, v0, off offset:-4
	s_waitcnt vmcnt(0)
	scratch_store_b32 off, v2, off offset:212
	scratch_store_b32 v0, v1, off offset:-4
.LBB54_340:
	s_or_b32 exec_lo, exec_lo, s0
	v_dual_mov_b32 v0, s12 :: v_dual_mov_b32 v1, s13
	s_mov_b32 s0, exec_lo
	flat_load_b32 v0, v[0:1] offset:208
	s_waitcnt vmcnt(0) lgkmcnt(0)
	v_cmpx_ne_u32_e32 53, v0
	s_cbranch_execz .LBB54_342
; %bb.341:
	v_lshl_add_u32 v0, v0, 2, 0
	scratch_load_b32 v1, v0, off offset:-4
	scratch_load_b32 v2, off, off offset:208
	s_waitcnt vmcnt(1)
	scratch_store_b32 off, v1, off offset:208
	s_waitcnt vmcnt(0)
	scratch_store_b32 v0, v2, off offset:-4
.LBB54_342:
	s_or_b32 exec_lo, exec_lo, s0
	v_dual_mov_b32 v0, s12 :: v_dual_mov_b32 v1, s13
	s_mov_b32 s0, exec_lo
	flat_load_b32 v0, v[0:1] offset:204
	s_waitcnt vmcnt(0) lgkmcnt(0)
	v_cmpx_ne_u32_e32 52, v0
	s_cbranch_execz .LBB54_344
; %bb.343:
	v_lshl_add_u32 v0, v0, 2, 0
	scratch_load_b32 v1, v0, off offset:-4
	scratch_load_b32 v2, off, off offset:204
	s_waitcnt vmcnt(1)
	scratch_store_b32 off, v1, off offset:204
	s_waitcnt vmcnt(0)
	scratch_store_b32 v0, v2, off offset:-4
.LBB54_344:
	;; [unrolled: 16-line block ×52, first 2 shown]
	s_or_b32 exec_lo, exec_lo, s0
	v_dual_mov_b32 v0, s12 :: v_dual_mov_b32 v1, s13
	s_mov_b32 s0, exec_lo
	flat_load_b32 v1, v[0:1]
	scratch_load_b32 v0, off, off
	s_waitcnt vmcnt(1) lgkmcnt(0)
	v_cmpx_ne_u32_e32 1, v1
	s_cbranch_execz .LBB54_446
; %bb.445:
	v_lshl_add_u32 v1, v1, 2, 0
	scratch_load_b32 v2, v1, off offset:-4
	s_waitcnt vmcnt(0)
	scratch_store_b32 off, v2, off
	scratch_store_b32 v1, v0, off offset:-4
	scratch_load_b32 v0, off, off
.LBB54_446:
	s_or_b32 exec_lo, exec_lo, s0
.LBB54_447:
	s_clause 0xd
	scratch_load_b128 v[113:116], off, off offset:4
	scratch_load_b128 v[117:120], off, off offset:20
	scratch_load_b128 v[121:124], off, off offset:36
	scratch_load_b128 v[125:128], off, off offset:52
	scratch_load_b128 v[129:132], off, off offset:68
	scratch_load_b128 v[133:136], off, off offset:84
	scratch_load_b128 v[137:140], off, off offset:100
	scratch_load_b128 v[141:144], off, off offset:116
	scratch_load_b128 v[145:148], off, off offset:132
	scratch_load_b128 v[149:152], off, off offset:148
	scratch_load_b128 v[153:156], off, off offset:164
	scratch_load_b128 v[157:160], off, off offset:180
	scratch_load_b128 v[161:164], off, off offset:196
	scratch_load_b64 v[1:2], off, off offset:212
	s_waitcnt vmcnt(14)
	global_store_b32 v[3:4], v0, off
	s_waitcnt vmcnt(13)
	s_clause 0x3
	global_store_b32 v[5:6], v113, off
	global_store_b32 v[7:8], v114, off
	global_store_b32 v[9:10], v115, off
	global_store_b32 v[11:12], v116, off
	s_waitcnt vmcnt(12)
	s_clause 0x3
	global_store_b32 v[13:14], v117, off
	global_store_b32 v[15:16], v118, off
	global_store_b32 v[17:18], v119, off
	;; [unrolled: 6-line block ×13, first 2 shown]
	global_store_b32 v[109:110], v164, off
	s_waitcnt vmcnt(0)
	s_clause 0x1
	global_store_b32 v[111:112], v1, off
	global_store_b32 v[63:64], v2, off
	s_endpgm
	.section	.rodata,"a",@progbits
	.p2align	6, 0x0
	.amdhsa_kernel _ZN9rocsolver6v33100L18getri_kernel_smallILi55EfPfEEvT1_iilPiilS4_bb
		.amdhsa_group_segment_fixed_size 444
		.amdhsa_private_segment_fixed_size 224
		.amdhsa_kernarg_size 60
		.amdhsa_user_sgpr_count 15
		.amdhsa_user_sgpr_dispatch_ptr 0
		.amdhsa_user_sgpr_queue_ptr 0
		.amdhsa_user_sgpr_kernarg_segment_ptr 1
		.amdhsa_user_sgpr_dispatch_id 0
		.amdhsa_user_sgpr_private_segment_size 0
		.amdhsa_wavefront_size32 1
		.amdhsa_uses_dynamic_stack 0
		.amdhsa_enable_private_segment 1
		.amdhsa_system_sgpr_workgroup_id_x 1
		.amdhsa_system_sgpr_workgroup_id_y 0
		.amdhsa_system_sgpr_workgroup_id_z 0
		.amdhsa_system_sgpr_workgroup_info 0
		.amdhsa_system_vgpr_workitem_id 0
		.amdhsa_next_free_vgpr 176
		.amdhsa_next_free_sgpr 18
		.amdhsa_reserve_vcc 1
		.amdhsa_float_round_mode_32 0
		.amdhsa_float_round_mode_16_64 0
		.amdhsa_float_denorm_mode_32 3
		.amdhsa_float_denorm_mode_16_64 3
		.amdhsa_dx10_clamp 1
		.amdhsa_ieee_mode 1
		.amdhsa_fp16_overflow 0
		.amdhsa_workgroup_processor_mode 1
		.amdhsa_memory_ordered 1
		.amdhsa_forward_progress 0
		.amdhsa_shared_vgpr_count 0
		.amdhsa_exception_fp_ieee_invalid_op 0
		.amdhsa_exception_fp_denorm_src 0
		.amdhsa_exception_fp_ieee_div_zero 0
		.amdhsa_exception_fp_ieee_overflow 0
		.amdhsa_exception_fp_ieee_underflow 0
		.amdhsa_exception_fp_ieee_inexact 0
		.amdhsa_exception_int_div_zero 0
	.end_amdhsa_kernel
	.section	.text._ZN9rocsolver6v33100L18getri_kernel_smallILi55EfPfEEvT1_iilPiilS4_bb,"axG",@progbits,_ZN9rocsolver6v33100L18getri_kernel_smallILi55EfPfEEvT1_iilPiilS4_bb,comdat
.Lfunc_end54:
	.size	_ZN9rocsolver6v33100L18getri_kernel_smallILi55EfPfEEvT1_iilPiilS4_bb, .Lfunc_end54-_ZN9rocsolver6v33100L18getri_kernel_smallILi55EfPfEEvT1_iilPiilS4_bb
                                        ; -- End function
	.section	.AMDGPU.csdata,"",@progbits
; Kernel info:
; codeLenInByte = 42328
; NumSgprs: 20
; NumVgprs: 176
; ScratchSize: 224
; MemoryBound: 0
; FloatMode: 240
; IeeeMode: 1
; LDSByteSize: 444 bytes/workgroup (compile time only)
; SGPRBlocks: 2
; VGPRBlocks: 21
; NumSGPRsForWavesPerEU: 20
; NumVGPRsForWavesPerEU: 176
; Occupancy: 8
; WaveLimiterHint : 1
; COMPUTE_PGM_RSRC2:SCRATCH_EN: 1
; COMPUTE_PGM_RSRC2:USER_SGPR: 15
; COMPUTE_PGM_RSRC2:TRAP_HANDLER: 0
; COMPUTE_PGM_RSRC2:TGID_X_EN: 1
; COMPUTE_PGM_RSRC2:TGID_Y_EN: 0
; COMPUTE_PGM_RSRC2:TGID_Z_EN: 0
; COMPUTE_PGM_RSRC2:TIDIG_COMP_CNT: 0
	.section	.text._ZN9rocsolver6v33100L18getri_kernel_smallILi56EfPfEEvT1_iilPiilS4_bb,"axG",@progbits,_ZN9rocsolver6v33100L18getri_kernel_smallILi56EfPfEEvT1_iilPiilS4_bb,comdat
	.globl	_ZN9rocsolver6v33100L18getri_kernel_smallILi56EfPfEEvT1_iilPiilS4_bb ; -- Begin function _ZN9rocsolver6v33100L18getri_kernel_smallILi56EfPfEEvT1_iilPiilS4_bb
	.p2align	8
	.type	_ZN9rocsolver6v33100L18getri_kernel_smallILi56EfPfEEvT1_iilPiilS4_bb,@function
_ZN9rocsolver6v33100L18getri_kernel_smallILi56EfPfEEvT1_iilPiilS4_bb: ; @_ZN9rocsolver6v33100L18getri_kernel_smallILi56EfPfEEvT1_iilPiilS4_bb
; %bb.0:
	s_mov_b32 s2, exec_lo
	v_cmpx_gt_u32_e32 56, v0
	s_cbranch_execz .LBB55_232
; %bb.1:
	s_clause 0x2
	s_load_b32 s17, s[0:1], 0x38
	s_load_b128 s[8:11], s[0:1], 0x10
	s_load_b128 s[4:7], s[0:1], 0x28
	s_mov_b32 s14, s15
                                        ; implicit-def: $sgpr12_sgpr13
	s_waitcnt lgkmcnt(0)
	s_bitcmp1_b32 s17, 8
	s_cselect_b32 s16, -1, 0
	s_bfe_u32 s2, s17, 0x10008
	s_ashr_i32 s15, s15, 31
	s_cmp_eq_u32 s2, 0
	s_cbranch_scc1 .LBB55_3
; %bb.2:
	s_load_b32 s2, s[0:1], 0x20
	s_mul_i32 s3, s14, s5
	s_mul_hi_u32 s5, s14, s4
	s_mul_i32 s12, s15, s4
	s_add_i32 s3, s5, s3
	s_mul_i32 s4, s14, s4
	s_add_i32 s5, s3, s12
	s_delay_alu instid0(SALU_CYCLE_1)
	s_lshl_b64 s[4:5], s[4:5], 2
	s_waitcnt lgkmcnt(0)
	s_ashr_i32 s3, s2, 31
	s_add_u32 s4, s10, s4
	s_addc_u32 s5, s11, s5
	s_lshl_b64 s[2:3], s[2:3], 2
	s_delay_alu instid0(SALU_CYCLE_1)
	s_add_u32 s12, s4, s2
	s_addc_u32 s13, s5, s3
.LBB55_3:
	s_load_b128 s[0:3], s[0:1], 0x0
	s_mul_i32 s4, s14, s9
	s_mul_hi_u32 s5, s14, s8
	s_mul_i32 s9, s15, s8
	s_add_i32 s5, s5, s4
	s_mul_i32 s4, s14, s8
	s_add_i32 s5, s5, s9
	v_lshlrev_b32_e32 v3, 2, v0
	s_lshl_b64 s[4:5], s[4:5], 2
	s_waitcnt lgkmcnt(0)
	v_add3_u32 v1, s3, s3, v0
	s_ashr_i32 s9, s2, 31
	s_mov_b32 s8, s2
	s_add_u32 s2, s0, s4
	s_addc_u32 s4, s1, s5
	v_add_nc_u32_e32 v8, s3, v1
	s_lshl_b64 s[0:1], s[8:9], 2
	v_ashrrev_i32_e32 v2, 31, v1
	s_add_u32 s0, s2, s0
	s_addc_u32 s1, s4, s1
	v_add_nc_u32_e32 v10, s3, v8
	v_add_co_u32 v4, s2, s0, v3
	s_mov_b32 s10, s3
	s_ashr_i32 s11, s3, 31
	s_delay_alu instid0(VALU_DEP_2) | instskip(SKIP_3) | instid1(VALU_DEP_4)
	v_add_nc_u32_e32 v12, s3, v10
	v_add_co_ci_u32_e64 v5, null, s1, 0, s2
	v_ashrrev_i32_e32 v9, 31, v8
	v_lshlrev_b64 v[1:2], 2, v[1:2]
	v_add_nc_u32_e32 v14, s3, v12
	s_lshl_b64 s[4:5], s[10:11], 2
	v_ashrrev_i32_e32 v11, 31, v10
	v_add_co_u32 v6, vcc_lo, v4, s4
	s_delay_alu instid0(VALU_DEP_3) | instskip(SKIP_3) | instid1(VALU_DEP_4)
	v_add_nc_u32_e32 v16, s3, v14
	v_add_co_ci_u32_e32 v7, vcc_lo, s5, v5, vcc_lo
	v_lshlrev_b64 v[49:50], 2, v[8:9]
	v_add_co_u32 v8, vcc_lo, s0, v1
	v_add_nc_u32_e32 v18, s3, v16
	v_add_co_ci_u32_e32 v9, vcc_lo, s1, v2, vcc_lo
	v_lshlrev_b64 v[1:2], 2, v[10:11]
	v_ashrrev_i32_e32 v13, 31, v12
	s_delay_alu instid0(VALU_DEP_4) | instskip(SKIP_3) | instid1(VALU_DEP_4)
	v_add_nc_u32_e32 v20, s3, v18
	v_add_co_u32 v10, vcc_lo, s0, v49
	v_ashrrev_i32_e32 v15, 31, v14
	v_add_co_ci_u32_e32 v11, vcc_lo, s1, v50, vcc_lo
	v_add_nc_u32_e32 v22, s3, v20
	v_lshlrev_b64 v[49:50], 2, v[12:13]
	v_add_co_u32 v12, vcc_lo, s0, v1
	v_add_co_ci_u32_e32 v13, vcc_lo, s1, v2, vcc_lo
	s_delay_alu instid0(VALU_DEP_4) | instskip(SKIP_3) | instid1(VALU_DEP_4)
	v_add_nc_u32_e32 v24, s3, v22
	v_lshlrev_b64 v[1:2], 2, v[14:15]
	v_ashrrev_i32_e32 v17, 31, v16
	v_add_co_u32 v14, vcc_lo, s0, v49
	v_add_nc_u32_e32 v26, s3, v24
	v_ashrrev_i32_e32 v19, 31, v18
	v_add_co_ci_u32_e32 v15, vcc_lo, s1, v50, vcc_lo
	v_lshlrev_b64 v[49:50], 2, v[16:17]
	s_delay_alu instid0(VALU_DEP_4) | instskip(SKIP_2) | instid1(VALU_DEP_3)
	v_add_nc_u32_e32 v28, s3, v26
	v_add_co_u32 v16, vcc_lo, s0, v1
	v_add_co_ci_u32_e32 v17, vcc_lo, s1, v2, vcc_lo
	v_add_nc_u32_e32 v30, s3, v28
	v_lshlrev_b64 v[1:2], 2, v[18:19]
	v_ashrrev_i32_e32 v21, 31, v20
	v_add_co_u32 v18, vcc_lo, s0, v49
	s_delay_alu instid0(VALU_DEP_4) | instskip(SKIP_3) | instid1(VALU_DEP_4)
	v_add_nc_u32_e32 v32, s3, v30
	v_ashrrev_i32_e32 v23, 31, v22
	v_add_co_ci_u32_e32 v19, vcc_lo, s1, v50, vcc_lo
	v_lshlrev_b64 v[49:50], 2, v[20:21]
	v_add_nc_u32_e32 v34, s3, v32
	v_add_co_u32 v20, vcc_lo, s0, v1
	v_add_co_ci_u32_e32 v21, vcc_lo, s1, v2, vcc_lo
	s_delay_alu instid0(VALU_DEP_3) | instskip(SKIP_3) | instid1(VALU_DEP_4)
	v_add_nc_u32_e32 v36, s3, v34
	v_lshlrev_b64 v[1:2], 2, v[22:23]
	v_ashrrev_i32_e32 v25, 31, v24
	v_add_co_u32 v22, vcc_lo, s0, v49
	v_add_nc_u32_e32 v38, s3, v36
	v_ashrrev_i32_e32 v27, 31, v26
	v_add_co_ci_u32_e32 v23, vcc_lo, s1, v50, vcc_lo
	v_lshlrev_b64 v[49:50], 2, v[24:25]
	s_delay_alu instid0(VALU_DEP_4) | instskip(SKIP_2) | instid1(VALU_DEP_3)
	v_add_nc_u32_e32 v40, s3, v38
	v_add_co_u32 v24, vcc_lo, s0, v1
	v_add_co_ci_u32_e32 v25, vcc_lo, s1, v2, vcc_lo
	v_add_nc_u32_e32 v42, s3, v40
	v_lshlrev_b64 v[1:2], 2, v[26:27]
	v_ashrrev_i32_e32 v29, 31, v28
	v_add_co_u32 v26, vcc_lo, s0, v49
	s_delay_alu instid0(VALU_DEP_4) | instskip(SKIP_3) | instid1(VALU_DEP_4)
	v_add_nc_u32_e32 v44, s3, v42
	v_ashrrev_i32_e32 v31, 31, v30
	v_add_co_ci_u32_e32 v27, vcc_lo, s1, v50, vcc_lo
	v_lshlrev_b64 v[49:50], 2, v[28:29]
	v_add_nc_u32_e32 v46, s3, v44
	v_add_co_u32 v28, vcc_lo, s0, v1
	v_add_co_ci_u32_e32 v29, vcc_lo, s1, v2, vcc_lo
	s_delay_alu instid0(VALU_DEP_3) | instskip(SKIP_3) | instid1(VALU_DEP_4)
	;; [unrolled: 25-line block ×5, first 2 shown]
	v_add_nc_u32_e32 v88, s3, v84
	v_lshlrev_b64 v[1:2], 2, v[55:56]
	v_ashrrev_i32_e32 v58, 31, v57
	v_add_co_u32 v54, vcc_lo, s0, v68
	v_add_nc_u32_e32 v90, s3, v88
	v_ashrrev_i32_e32 v60, 31, v59
	v_add_co_ci_u32_e32 v55, vcc_lo, s1, v69, vcc_lo
	v_lshlrev_b64 v[68:69], 2, v[57:58]
	s_delay_alu instid0(VALU_DEP_4) | instskip(SKIP_2) | instid1(VALU_DEP_3)
	v_add_nc_u32_e32 v92, s3, v90
	v_add_co_u32 v56, vcc_lo, s0, v1
	v_add_co_ci_u32_e32 v57, vcc_lo, s1, v2, vcc_lo
	v_add_nc_u32_e32 v94, s3, v92
	v_lshlrev_b64 v[1:2], 2, v[59:60]
	v_ashrrev_i32_e32 v62, 31, v61
	v_add_co_u32 v58, vcc_lo, s0, v68
	s_delay_alu instid0(VALU_DEP_4) | instskip(SKIP_3) | instid1(VALU_DEP_4)
	v_add_nc_u32_e32 v96, s3, v94
	v_ashrrev_i32_e32 v64, 31, v63
	v_add_co_ci_u32_e32 v59, vcc_lo, s1, v69, vcc_lo
	v_lshlrev_b64 v[68:69], 2, v[61:62]
	v_add_nc_u32_e32 v98, s3, v96
	v_add_co_u32 v60, vcc_lo, s0, v1
	v_ashrrev_i32_e32 v66, 31, v65
	v_add_co_ci_u32_e32 v61, vcc_lo, s1, v2, vcc_lo
	s_delay_alu instid0(VALU_DEP_4) | instskip(SKIP_3) | instid1(VALU_DEP_4)
	v_add_nc_u32_e32 v100, s3, v98
	v_lshlrev_b64 v[1:2], 2, v[63:64]
	v_add_co_u32 v62, vcc_lo, s0, v68
	v_lshlrev_b64 v[85:86], 2, v[65:66]
	v_add_nc_u32_e32 v102, s3, v100
	v_ashrrev_i32_e32 v68, 31, v67
	v_add_co_ci_u32_e32 v63, vcc_lo, s1, v69, vcc_lo
	v_add_co_u32 v64, vcc_lo, s0, v1
	s_delay_alu instid0(VALU_DEP_4) | instskip(SKIP_3) | instid1(VALU_DEP_4)
	v_add_nc_u32_e32 v104, s3, v102
	v_add_co_ci_u32_e32 v65, vcc_lo, s1, v2, vcc_lo
	v_lshlrev_b64 v[1:2], 2, v[67:68]
	v_ashrrev_i32_e32 v71, 31, v70
	v_add_nc_u32_e32 v106, s3, v104
	v_add_co_u32 v68, vcc_lo, s0, v85
	v_ashrrev_i32_e32 v73, 31, v72
	v_add_co_ci_u32_e32 v69, vcc_lo, s1, v86, vcc_lo
	s_delay_alu instid0(VALU_DEP_4) | instskip(SKIP_3) | instid1(VALU_DEP_4)
	v_add_nc_u32_e32 v108, s3, v106
	v_lshlrev_b64 v[85:86], 2, v[70:71]
	v_add_co_u32 v70, vcc_lo, s0, v1
	v_add_co_ci_u32_e32 v71, vcc_lo, s1, v2, vcc_lo
	v_add_nc_u32_e32 v110, s3, v108
	v_lshlrev_b64 v[1:2], 2, v[72:73]
	v_ashrrev_i32_e32 v75, 31, v74
	v_ashrrev_i32_e32 v77, 31, v76
	;; [unrolled: 1-line block ×3, first 2 shown]
	v_add_nc_u32_e32 v112, s3, v110
	v_ashrrev_i32_e32 v81, 31, v80
	v_ashrrev_i32_e32 v83, 31, v82
	;; [unrolled: 1-line block ×4, first 2 shown]
	v_add_nc_u32_e32 v114, s3, v112
	v_ashrrev_i32_e32 v93, 31, v92
	v_ashrrev_i32_e32 v95, 31, v94
	;; [unrolled: 1-line block ×3, first 2 shown]
	v_lshlrev_b64 v[90:91], 2, v[90:91]
	v_add_nc_u32_e32 v66, s3, v114
	v_ashrrev_i32_e32 v99, 31, v98
	v_lshlrev_b64 v[94:95], 2, v[94:95]
	v_ashrrev_i32_e32 v101, 31, v100
	v_ashrrev_i32_e32 v103, 31, v102
	;; [unrolled: 1-line block ×3, first 2 shown]
	v_lshlrev_b64 v[98:99], 2, v[98:99]
	v_ashrrev_i32_e32 v105, 31, v104
	v_ashrrev_i32_e32 v107, 31, v106
	v_lshlrev_b64 v[102:103], 2, v[102:103]
	v_lshlrev_b64 v[66:67], 2, v[66:67]
	v_ashrrev_i32_e32 v109, 31, v108
	v_ashrrev_i32_e32 v111, 31, v110
	v_lshlrev_b64 v[106:107], 2, v[106:107]
	v_ashrrev_i32_e32 v113, 31, v112
	v_ashrrev_i32_e32 v115, 31, v114
	v_add_co_u32 v66, vcc_lo, s0, v66
	v_add_co_ci_u32_e32 v67, vcc_lo, s1, v67, vcc_lo
	v_add_co_u32 v72, vcc_lo, s0, v85
	v_add_co_ci_u32_e32 v73, vcc_lo, s1, v86, vcc_lo
	v_lshlrev_b64 v[85:86], 2, v[74:75]
	v_add_co_u32 v74, vcc_lo, s0, v1
	v_add_co_ci_u32_e32 v75, vcc_lo, s1, v2, vcc_lo
	v_lshlrev_b64 v[1:2], 2, v[76:77]
	s_delay_alu instid0(VALU_DEP_4) | instskip(SKIP_2) | instid1(VALU_DEP_4)
	v_add_co_u32 v76, vcc_lo, s0, v85
	v_add_co_ci_u32_e32 v77, vcc_lo, s1, v86, vcc_lo
	v_lshlrev_b64 v[85:86], 2, v[78:79]
	v_add_co_u32 v78, vcc_lo, s0, v1
	v_add_co_ci_u32_e32 v79, vcc_lo, s1, v2, vcc_lo
	v_lshlrev_b64 v[1:2], 2, v[80:81]
	s_delay_alu instid0(VALU_DEP_4)
	v_add_co_u32 v80, vcc_lo, s0, v85
	v_ashrrev_i32_e32 v85, 31, v84
	v_add_co_ci_u32_e32 v81, vcc_lo, s1, v86, vcc_lo
	v_lshlrev_b64 v[86:87], 2, v[82:83]
	v_add_co_u32 v82, vcc_lo, s0, v1
	v_add_co_ci_u32_e32 v83, vcc_lo, s1, v2, vcc_lo
	v_lshlrev_b64 v[1:2], 2, v[84:85]
	s_delay_alu instid0(VALU_DEP_4) | instskip(SKIP_2) | instid1(VALU_DEP_4)
	v_add_co_u32 v84, vcc_lo, s0, v86
	v_add_co_ci_u32_e32 v85, vcc_lo, s1, v87, vcc_lo
	v_lshlrev_b64 v[110:111], 2, v[110:111]
	v_add_co_u32 v86, vcc_lo, s0, v1
	v_add_co_ci_u32_e32 v87, vcc_lo, s1, v2, vcc_lo
	v_lshlrev_b64 v[1:2], 2, v[88:89]
	v_lshlrev_b64 v[114:115], 2, v[114:115]
	s_clause 0x18
	global_load_b32 v116, v3, s[0:1]
	global_load_b32 v117, v[6:7], off
	global_load_b32 v118, v[8:9], off
	global_load_b32 v119, v[10:11], off
	global_load_b32 v120, v[12:13], off
	global_load_b32 v121, v[14:15], off
	global_load_b32 v122, v[16:17], off
	global_load_b32 v123, v[18:19], off
	global_load_b32 v124, v[20:21], off
	global_load_b32 v125, v[22:23], off
	global_load_b32 v126, v[24:25], off
	global_load_b32 v127, v[26:27], off
	global_load_b32 v128, v[28:29], off
	global_load_b32 v129, v[30:31], off
	global_load_b32 v130, v[32:33], off
	global_load_b32 v131, v[34:35], off
	global_load_b32 v132, v[36:37], off
	global_load_b32 v133, v[38:39], off
	global_load_b32 v134, v[40:41], off
	global_load_b32 v135, v[42:43], off
	global_load_b32 v136, v[44:45], off
	global_load_b32 v137, v[46:47], off
	global_load_b32 v138, v[48:49], off
	global_load_b32 v139, v[50:51], off
	global_load_b32 v140, v[52:53], off
	v_add_co_u32 v88, vcc_lo, s0, v1
	v_add_co_ci_u32_e32 v89, vcc_lo, s1, v2, vcc_lo
	v_lshlrev_b64 v[1:2], 2, v[92:93]
	v_add_co_u32 v90, vcc_lo, s0, v90
	v_add_co_ci_u32_e32 v91, vcc_lo, s1, v91, vcc_lo
	s_clause 0x7
	global_load_b32 v141, v[54:55], off
	global_load_b32 v142, v[56:57], off
	global_load_b32 v143, v[58:59], off
	global_load_b32 v144, v[60:61], off
	global_load_b32 v145, v[62:63], off
	global_load_b32 v146, v[64:65], off
	global_load_b32 v147, v[68:69], off
	global_load_b32 v148, v[70:71], off
	v_add_co_u32 v92, vcc_lo, s0, v1
	v_add_co_ci_u32_e32 v93, vcc_lo, s1, v2, vcc_lo
	v_lshlrev_b64 v[1:2], 2, v[96:97]
	v_add_co_u32 v94, vcc_lo, s0, v94
	v_add_co_ci_u32_e32 v95, vcc_lo, s1, v95, vcc_lo
	s_clause 0x7
	global_load_b32 v149, v[72:73], off
	global_load_b32 v150, v[74:75], off
	global_load_b32 v151, v[76:77], off
	global_load_b32 v152, v[78:79], off
	global_load_b32 v153, v[80:81], off
	global_load_b32 v154, v[82:83], off
	global_load_b32 v155, v[84:85], off
	global_load_b32 v156, v[86:87], off
	v_add_co_u32 v96, vcc_lo, s0, v1
	v_add_co_ci_u32_e32 v97, vcc_lo, s1, v2, vcc_lo
	v_lshlrev_b64 v[1:2], 2, v[100:101]
	v_add_co_u32 v98, vcc_lo, s0, v98
	v_add_co_ci_u32_e32 v99, vcc_lo, s1, v99, vcc_lo
	s_bitcmp0_b32 s17, 0
	s_delay_alu instid0(VALU_DEP_3) | instskip(NEXT) | instid1(VALU_DEP_4)
	v_add_co_u32 v100, vcc_lo, s0, v1
	v_add_co_ci_u32_e32 v101, vcc_lo, s1, v2, vcc_lo
	v_lshlrev_b64 v[1:2], 2, v[104:105]
	v_add_co_u32 v102, vcc_lo, s0, v102
	v_add_co_ci_u32_e32 v103, vcc_lo, s1, v103, vcc_lo
	s_clause 0x7
	global_load_b32 v157, v[88:89], off
	global_load_b32 v158, v[90:91], off
	;; [unrolled: 1-line block ×8, first 2 shown]
	v_add_co_u32 v104, vcc_lo, s0, v1
	v_add_co_ci_u32_e32 v105, vcc_lo, s1, v2, vcc_lo
	v_lshlrev_b64 v[1:2], 2, v[108:109]
	v_add_co_u32 v106, vcc_lo, s0, v106
	v_add_co_ci_u32_e32 v107, vcc_lo, s1, v107, vcc_lo
	s_delay_alu instid0(VALU_DEP_3) | instskip(NEXT) | instid1(VALU_DEP_4)
	v_add_co_u32 v108, vcc_lo, s0, v1
	v_add_co_ci_u32_e32 v109, vcc_lo, s1, v2, vcc_lo
	v_lshlrev_b64 v[1:2], 2, v[112:113]
	v_add_co_u32 v110, vcc_lo, s0, v110
	v_add_co_ci_u32_e32 v111, vcc_lo, s1, v111, vcc_lo
	s_delay_alu instid0(VALU_DEP_3) | instskip(NEXT) | instid1(VALU_DEP_4)
	v_add_co_u32 v112, vcc_lo, s0, v1
	v_add_co_ci_u32_e32 v113, vcc_lo, s1, v2, vcc_lo
	v_add_co_u32 v114, vcc_lo, s0, v114
	v_add_co_ci_u32_e32 v115, vcc_lo, s1, v115, vcc_lo
	s_clause 0x6
	global_load_b32 v165, v[104:105], off
	global_load_b32 v166, v[106:107], off
	;; [unrolled: 1-line block ×7, first 2 shown]
	s_mov_b32 s1, -1
	s_waitcnt vmcnt(52)
	scratch_store_b128 off, v[116:119], off
	s_waitcnt vmcnt(48)
	scratch_store_b128 off, v[120:123], off offset:16
	s_waitcnt vmcnt(44)
	scratch_store_b128 off, v[124:127], off offset:32
	;; [unrolled: 2-line block ×13, first 2 shown]
	s_cbranch_scc1 .LBB55_230
; %bb.4:
	v_cmp_eq_u32_e64 s0, 0, v0
	s_delay_alu instid0(VALU_DEP_1)
	s_and_saveexec_b32 s1, s0
	s_cbranch_execz .LBB55_6
; %bb.5:
	v_mov_b32_e32 v1, 0
	ds_store_b32 v1, v1 offset:448
.LBB55_6:
	s_or_b32 exec_lo, exec_lo, s1
	s_waitcnt lgkmcnt(0)
	s_waitcnt_vscnt null, 0x0
	s_barrier
	buffer_gl0_inv
	scratch_load_b32 v1, v3, off
	s_mov_b32 s2, exec_lo
	s_waitcnt vmcnt(0)
	v_cmpx_eq_f32_e32 0, v1
	s_cbranch_execz .LBB55_10
; %bb.7:
	v_mov_b32_e32 v1, 0
	s_mov_b32 s3, 0
	ds_load_b32 v2, v1 offset:448
	s_waitcnt lgkmcnt(0)
	v_readfirstlane_b32 s1, v2
	v_add_nc_u32_e32 v2, 1, v0
	s_delay_alu instid0(VALU_DEP_2) | instskip(NEXT) | instid1(VALU_DEP_1)
	s_cmp_eq_u32 s1, 0
	v_cmp_gt_i32_e32 vcc_lo, s1, v2
	s_cselect_b32 s4, -1, 0
	s_delay_alu instid0(SALU_CYCLE_1) | instskip(NEXT) | instid1(SALU_CYCLE_1)
	s_or_b32 s4, s4, vcc_lo
	s_and_b32 exec_lo, exec_lo, s4
	s_cbranch_execz .LBB55_10
; %bb.8:
	v_mov_b32_e32 v116, s1
.LBB55_9:                               ; =>This Inner Loop Header: Depth=1
	ds_cmpstore_rtn_b32 v116, v1, v2, v116 offset:448
	s_waitcnt lgkmcnt(0)
	v_cmp_ne_u32_e32 vcc_lo, 0, v116
	v_cmp_le_i32_e64 s1, v116, v2
	s_delay_alu instid0(VALU_DEP_1) | instskip(NEXT) | instid1(SALU_CYCLE_1)
	s_and_b32 s1, vcc_lo, s1
	s_and_b32 s1, exec_lo, s1
	s_delay_alu instid0(SALU_CYCLE_1) | instskip(NEXT) | instid1(SALU_CYCLE_1)
	s_or_b32 s3, s1, s3
	s_and_not1_b32 exec_lo, exec_lo, s3
	s_cbranch_execnz .LBB55_9
.LBB55_10:
	s_or_b32 exec_lo, exec_lo, s2
	v_mov_b32_e32 v1, 0
	s_barrier
	buffer_gl0_inv
	ds_load_b32 v2, v1 offset:448
	s_and_saveexec_b32 s1, s0
	s_cbranch_execz .LBB55_12
; %bb.11:
	s_lshl_b64 s[2:3], s[14:15], 2
	s_delay_alu instid0(SALU_CYCLE_1)
	s_add_u32 s2, s6, s2
	s_addc_u32 s3, s7, s3
	s_waitcnt lgkmcnt(0)
	global_store_b32 v1, v2, s[2:3]
.LBB55_12:
	s_or_b32 exec_lo, exec_lo, s1
	s_waitcnt lgkmcnt(0)
	v_cmp_ne_u32_e32 vcc_lo, 0, v2
	s_mov_b32 s1, 0
	s_cbranch_vccnz .LBB55_230
; %bb.13:
	v_add_nc_u32_e32 v1, 0, v3
	scratch_load_b32 v2, v1, off
	s_waitcnt vmcnt(0)
	v_div_scale_f32 v116, null, v2, v2, 1.0
	v_div_scale_f32 v119, vcc_lo, 1.0, v2, 1.0
	s_delay_alu instid0(VALU_DEP_2) | instskip(SKIP_2) | instid1(VALU_DEP_1)
	v_rcp_f32_e32 v117, v116
	s_waitcnt_depctr 0xfff
	v_fma_f32 v118, -v116, v117, 1.0
	v_fmac_f32_e32 v117, v118, v117
	s_delay_alu instid0(VALU_DEP_1) | instskip(NEXT) | instid1(VALU_DEP_1)
	v_mul_f32_e32 v118, v119, v117
	v_fma_f32 v120, -v116, v118, v119
	s_delay_alu instid0(VALU_DEP_1) | instskip(NEXT) | instid1(VALU_DEP_1)
	v_fmac_f32_e32 v118, v120, v117
	v_fma_f32 v116, -v116, v118, v119
	s_delay_alu instid0(VALU_DEP_1) | instskip(NEXT) | instid1(VALU_DEP_1)
	v_div_fmas_f32 v116, v116, v117, v118
	v_div_fixup_f32 v2, v116, v2, 1.0
	scratch_store_b32 v1, v2, off
	scratch_load_b32 v116, off, off offset:4
	v_xor_b32_e32 v117, 0x80000000, v2
	v_add_nc_u32_e32 v2, 0xe0, v3
	s_waitcnt vmcnt(0)
	ds_store_2addr_b32 v3, v117, v116 offset1:56
	s_waitcnt lgkmcnt(0)
	s_waitcnt_vscnt null, 0x0
	s_barrier
	buffer_gl0_inv
	s_and_saveexec_b32 s1, s0
	s_cbranch_execz .LBB55_15
; %bb.14:
	scratch_load_b32 v116, v1, off
	ds_load_b32 v117, v2
	v_mov_b32_e32 v118, 0
	ds_load_b32 v118, v118 offset:4
	s_waitcnt vmcnt(0) lgkmcnt(1)
	v_fma_f32 v116, v116, v117, 0
	s_waitcnt lgkmcnt(0)
	s_delay_alu instid0(VALU_DEP_1)
	v_mul_f32_e32 v116, v116, v118
	scratch_store_b32 off, v116, off offset:4
.LBB55_15:
	s_or_b32 exec_lo, exec_lo, s1
	s_waitcnt_vscnt null, 0x0
	s_barrier
	buffer_gl0_inv
	scratch_load_b32 v116, off, off offset:8
	s_mov_b32 s1, exec_lo
	s_waitcnt vmcnt(0)
	ds_store_b32 v2, v116
	s_waitcnt lgkmcnt(0)
	s_barrier
	buffer_gl0_inv
	v_cmpx_gt_u32_e32 2, v0
	s_cbranch_execz .LBB55_17
; %bb.16:
	scratch_load_b32 v118, v1, off
	scratch_load_b32 v119, off, off offset:4
	ds_load_b32 v120, v2
	v_mov_b32_e32 v116, 0
	ds_load_2addr_b32 v[116:117], v116 offset0:2 offset1:57
	s_waitcnt vmcnt(1) lgkmcnt(1)
	v_fma_f32 v118, v118, v120, 0
	s_waitcnt vmcnt(0) lgkmcnt(0)
	s_delay_alu instid0(VALU_DEP_1) | instskip(NEXT) | instid1(VALU_DEP_1)
	v_fma_f32 v117, v119, v117, v118
	v_cndmask_b32_e64 v117, v118, v117, s0
	s_delay_alu instid0(VALU_DEP_1)
	v_mul_f32_e32 v116, v117, v116
	scratch_store_b32 off, v116, off offset:8
.LBB55_17:
	s_or_b32 exec_lo, exec_lo, s1
	s_waitcnt_vscnt null, 0x0
	s_barrier
	buffer_gl0_inv
	scratch_load_b32 v117, off, off offset:12
	v_add_nc_u32_e32 v116, -1, v0
	s_mov_b32 s0, exec_lo
	s_waitcnt vmcnt(0)
	ds_store_b32 v2, v117
	s_waitcnt lgkmcnt(0)
	s_barrier
	buffer_gl0_inv
	v_cmpx_gt_u32_e32 3, v0
	s_cbranch_execz .LBB55_21
; %bb.18:
	v_dual_mov_b32 v117, 0 :: v_dual_add_nc_u32 v118, -1, v0
	v_add_nc_u32_e32 v119, 0xe0, v3
	v_add_nc_u32_e32 v120, 0, v3
	s_mov_b32 s1, 0
.LBB55_19:                              ; =>This Inner Loop Header: Depth=1
	scratch_load_b32 v121, v120, off
	ds_load_b32 v122, v119
	v_add_nc_u32_e32 v118, 1, v118
	v_add_nc_u32_e32 v119, 4, v119
	v_add_nc_u32_e32 v120, 4, v120
	s_delay_alu instid0(VALU_DEP_3)
	v_cmp_lt_u32_e32 vcc_lo, 1, v118
	s_or_b32 s1, vcc_lo, s1
	s_waitcnt vmcnt(0) lgkmcnt(0)
	v_fmac_f32_e32 v117, v121, v122
	s_and_not1_b32 exec_lo, exec_lo, s1
	s_cbranch_execnz .LBB55_19
; %bb.20:
	s_or_b32 exec_lo, exec_lo, s1
	v_mov_b32_e32 v118, 0
	ds_load_b32 v118, v118 offset:12
	s_waitcnt lgkmcnt(0)
	v_mul_f32_e32 v117, v117, v118
	scratch_store_b32 off, v117, off offset:12
.LBB55_21:
	s_or_b32 exec_lo, exec_lo, s0
	s_waitcnt_vscnt null, 0x0
	s_barrier
	buffer_gl0_inv
	scratch_load_b32 v117, off, off offset:16
	s_mov_b32 s0, exec_lo
	s_waitcnt vmcnt(0)
	ds_store_b32 v2, v117
	s_waitcnt lgkmcnt(0)
	s_barrier
	buffer_gl0_inv
	v_cmpx_gt_u32_e32 4, v0
	s_cbranch_execz .LBB55_25
; %bb.22:
	v_dual_mov_b32 v117, 0 :: v_dual_add_nc_u32 v118, -1, v0
	v_add_nc_u32_e32 v119, 0xe0, v3
	v_add_nc_u32_e32 v120, 0, v3
	s_mov_b32 s1, 0
.LBB55_23:                              ; =>This Inner Loop Header: Depth=1
	scratch_load_b32 v121, v120, off
	ds_load_b32 v122, v119
	v_add_nc_u32_e32 v118, 1, v118
	v_add_nc_u32_e32 v119, 4, v119
	v_add_nc_u32_e32 v120, 4, v120
	s_delay_alu instid0(VALU_DEP_3)
	v_cmp_lt_u32_e32 vcc_lo, 2, v118
	s_or_b32 s1, vcc_lo, s1
	s_waitcnt vmcnt(0) lgkmcnt(0)
	v_fmac_f32_e32 v117, v121, v122
	s_and_not1_b32 exec_lo, exec_lo, s1
	s_cbranch_execnz .LBB55_23
; %bb.24:
	s_or_b32 exec_lo, exec_lo, s1
	v_mov_b32_e32 v118, 0
	ds_load_b32 v118, v118 offset:16
	s_waitcnt lgkmcnt(0)
	v_mul_f32_e32 v117, v117, v118
	scratch_store_b32 off, v117, off offset:16
.LBB55_25:
	s_or_b32 exec_lo, exec_lo, s0
	s_waitcnt_vscnt null, 0x0
	s_barrier
	buffer_gl0_inv
	scratch_load_b32 v117, off, off offset:20
	;; [unrolled: 39-line block ×21, first 2 shown]
	s_mov_b32 s0, exec_lo
	s_waitcnt vmcnt(0)
	ds_store_b32 v2, v117
	s_waitcnt lgkmcnt(0)
	s_barrier
	buffer_gl0_inv
	v_cmpx_gt_u32_e32 24, v0
	s_cbranch_execz .LBB55_105
; %bb.102:
	v_dual_mov_b32 v117, 0 :: v_dual_add_nc_u32 v118, -1, v0
	v_add_nc_u32_e32 v119, 0xe0, v3
	v_add_nc_u32_e32 v120, 0, v3
	s_mov_b32 s1, 0
.LBB55_103:                             ; =>This Inner Loop Header: Depth=1
	scratch_load_b32 v121, v120, off
	ds_load_b32 v122, v119
	v_add_nc_u32_e32 v118, 1, v118
	v_add_nc_u32_e32 v119, 4, v119
	v_add_nc_u32_e32 v120, 4, v120
	s_delay_alu instid0(VALU_DEP_3)
	v_cmp_lt_u32_e32 vcc_lo, 22, v118
	s_or_b32 s1, vcc_lo, s1
	s_waitcnt vmcnt(0) lgkmcnt(0)
	v_fmac_f32_e32 v117, v121, v122
	s_and_not1_b32 exec_lo, exec_lo, s1
	s_cbranch_execnz .LBB55_103
; %bb.104:
	s_or_b32 exec_lo, exec_lo, s1
	v_mov_b32_e32 v118, 0
	ds_load_b32 v118, v118 offset:96
	s_waitcnt lgkmcnt(0)
	v_mul_f32_e32 v117, v117, v118
	scratch_store_b32 off, v117, off offset:96
.LBB55_105:
	s_or_b32 exec_lo, exec_lo, s0
	s_waitcnt_vscnt null, 0x0
	s_barrier
	buffer_gl0_inv
	scratch_load_b32 v117, off, off offset:100
	s_mov_b32 s0, exec_lo
	s_waitcnt vmcnt(0)
	ds_store_b32 v2, v117
	s_waitcnt lgkmcnt(0)
	s_barrier
	buffer_gl0_inv
	v_cmpx_gt_u32_e32 25, v0
	s_cbranch_execz .LBB55_109
; %bb.106:
	v_dual_mov_b32 v117, 0 :: v_dual_add_nc_u32 v118, -1, v0
	v_add_nc_u32_e32 v119, 0xe0, v3
	v_add_nc_u32_e32 v120, 0, v3
	s_mov_b32 s1, 0
.LBB55_107:                             ; =>This Inner Loop Header: Depth=1
	scratch_load_b32 v121, v120, off
	ds_load_b32 v122, v119
	v_add_nc_u32_e32 v118, 1, v118
	v_add_nc_u32_e32 v119, 4, v119
	v_add_nc_u32_e32 v120, 4, v120
	s_delay_alu instid0(VALU_DEP_3)
	v_cmp_lt_u32_e32 vcc_lo, 23, v118
	s_or_b32 s1, vcc_lo, s1
	s_waitcnt vmcnt(0) lgkmcnt(0)
	v_fmac_f32_e32 v117, v121, v122
	s_and_not1_b32 exec_lo, exec_lo, s1
	s_cbranch_execnz .LBB55_107
; %bb.108:
	s_or_b32 exec_lo, exec_lo, s1
	v_mov_b32_e32 v118, 0
	ds_load_b32 v118, v118 offset:100
	s_waitcnt lgkmcnt(0)
	v_mul_f32_e32 v117, v117, v118
	scratch_store_b32 off, v117, off offset:100
.LBB55_109:
	s_or_b32 exec_lo, exec_lo, s0
	s_waitcnt_vscnt null, 0x0
	s_barrier
	buffer_gl0_inv
	scratch_load_b32 v117, off, off offset:104
	;; [unrolled: 39-line block ×30, first 2 shown]
	s_mov_b32 s0, exec_lo
	s_waitcnt vmcnt(0)
	ds_store_b32 v2, v117
	s_waitcnt lgkmcnt(0)
	s_barrier
	buffer_gl0_inv
	v_cmpx_gt_u32_e32 54, v0
	s_cbranch_execz .LBB55_225
; %bb.222:
	v_add_nc_u32_e32 v117, -1, v0
	v_add_nc_u32_e32 v118, 0xe0, v3
	v_add_nc_u32_e32 v119, 0, v3
	v_mov_b32_e32 v3, 0
	s_mov_b32 s1, 0
.LBB55_223:                             ; =>This Inner Loop Header: Depth=1
	scratch_load_b32 v120, v119, off
	ds_load_b32 v121, v118
	v_add_nc_u32_e32 v117, 1, v117
	v_add_nc_u32_e32 v118, 4, v118
	;; [unrolled: 1-line block ×3, first 2 shown]
	s_delay_alu instid0(VALU_DEP_3)
	v_cmp_lt_u32_e32 vcc_lo, 52, v117
	s_or_b32 s1, vcc_lo, s1
	s_waitcnt vmcnt(0) lgkmcnt(0)
	v_fmac_f32_e32 v3, v120, v121
	s_and_not1_b32 exec_lo, exec_lo, s1
	s_cbranch_execnz .LBB55_223
; %bb.224:
	s_or_b32 exec_lo, exec_lo, s1
	v_mov_b32_e32 v117, 0
	ds_load_b32 v117, v117 offset:216
	s_waitcnt lgkmcnt(0)
	v_mul_f32_e32 v3, v3, v117
	scratch_store_b32 off, v3, off offset:216
.LBB55_225:
	s_or_b32 exec_lo, exec_lo, s0
	s_waitcnt_vscnt null, 0x0
	s_barrier
	buffer_gl0_inv
	scratch_load_b32 v3, off, off offset:220
	s_mov_b32 s0, exec_lo
	s_waitcnt vmcnt(0)
	ds_store_b32 v2, v3
	s_waitcnt lgkmcnt(0)
	s_barrier
	buffer_gl0_inv
	v_cmpx_ne_u32_e32 55, v0
	s_cbranch_execz .LBB55_229
; %bb.226:
	v_mov_b32_e32 v3, 0
	s_mov_b32 s1, 0
.LBB55_227:                             ; =>This Inner Loop Header: Depth=1
	scratch_load_b32 v117, v1, off
	ds_load_b32 v118, v2
	v_add_nc_u32_e32 v116, 1, v116
	v_add_nc_u32_e32 v2, 4, v2
	;; [unrolled: 1-line block ×3, first 2 shown]
	s_waitcnt vmcnt(0) lgkmcnt(0)
	v_fmac_f32_e32 v3, v117, v118
	v_cmp_lt_u32_e32 vcc_lo, 53, v116
	s_or_b32 s1, vcc_lo, s1
	s_delay_alu instid0(SALU_CYCLE_1)
	s_and_not1_b32 exec_lo, exec_lo, s1
	s_cbranch_execnz .LBB55_227
; %bb.228:
	s_or_b32 exec_lo, exec_lo, s1
	v_mov_b32_e32 v1, 0
	ds_load_b32 v1, v1 offset:220
	s_waitcnt lgkmcnt(0)
	v_mul_f32_e32 v1, v3, v1
	scratch_store_b32 off, v1, off offset:220
.LBB55_229:
	s_or_b32 exec_lo, exec_lo, s0
	s_mov_b32 s1, -1
	s_waitcnt_vscnt null, 0x0
	s_barrier
	buffer_gl0_inv
.LBB55_230:
	s_and_b32 vcc_lo, exec_lo, s1
	s_cbranch_vccz .LBB55_232
; %bb.231:
	s_lshl_b64 s[0:1], s[14:15], 2
	v_mov_b32_e32 v1, 0
	s_add_u32 s0, s6, s0
	s_addc_u32 s1, s7, s1
	global_load_b32 v1, v1, s[0:1]
	s_waitcnt vmcnt(0)
	v_cmp_ne_u32_e32 vcc_lo, 0, v1
	s_cbranch_vccz .LBB55_233
.LBB55_232:
	s_endpgm
.LBB55_233:
	v_lshl_add_u32 v1, v0, 2, 0xe0
	s_mov_b32 s0, exec_lo
	v_cmpx_eq_u32_e32 55, v0
	s_cbranch_execz .LBB55_235
; %bb.234:
	scratch_load_b32 v2, off, off offset:216
	v_mov_b32_e32 v3, 0
	scratch_store_b32 off, v3, off offset:216
	s_waitcnt vmcnt(0)
	ds_store_b32 v1, v2
.LBB55_235:
	s_or_b32 exec_lo, exec_lo, s0
	s_waitcnt lgkmcnt(0)
	s_waitcnt_vscnt null, 0x0
	s_barrier
	buffer_gl0_inv
	scratch_load_b64 v[116:117], off, off offset:216
	v_mov_b32_e32 v2, 0
	s_mov_b32 s0, exec_lo
	ds_load_b32 v3, v2 offset:444
	s_waitcnt vmcnt(0) lgkmcnt(0)
	v_fma_f32 v3, v117, v3, 0
	s_delay_alu instid0(VALU_DEP_1)
	v_sub_f32_e32 v3, v116, v3
	scratch_store_b32 off, v3, off offset:216
	v_cmpx_lt_u32_e32 53, v0
	s_cbranch_execz .LBB55_237
; %bb.236:
	scratch_load_b32 v3, off, off offset:212
	scratch_store_b32 off, v2, off offset:212
	s_waitcnt vmcnt(0)
	ds_store_b32 v1, v3
.LBB55_237:
	s_or_b32 exec_lo, exec_lo, s0
	s_waitcnt lgkmcnt(0)
	s_waitcnt_vscnt null, 0x0
	s_barrier
	buffer_gl0_inv
	scratch_load_b96 v[116:118], off, off offset:212
	ds_load_b64 v[2:3], v2 offset:440
	s_mov_b32 s0, exec_lo
	s_waitcnt vmcnt(0) lgkmcnt(0)
	v_fma_f32 v2, v117, v2, 0
	s_delay_alu instid0(VALU_DEP_1) | instskip(NEXT) | instid1(VALU_DEP_1)
	v_fmac_f32_e32 v2, v118, v3
	v_sub_f32_e32 v2, v116, v2
	scratch_store_b32 off, v2, off offset:212
	v_cmpx_lt_u32_e32 52, v0
	s_cbranch_execz .LBB55_239
; %bb.238:
	scratch_load_b32 v2, off, off offset:208
	v_mov_b32_e32 v3, 0
	scratch_store_b32 off, v3, off offset:208
	s_waitcnt vmcnt(0)
	ds_store_b32 v1, v2
.LBB55_239:
	s_or_b32 exec_lo, exec_lo, s0
	s_waitcnt lgkmcnt(0)
	s_waitcnt_vscnt null, 0x0
	s_barrier
	buffer_gl0_inv
	scratch_load_b128 v[116:119], off, off offset:208
	v_mov_b32_e32 v2, 0
	ds_load_2addr_b32 v[120:121], v2 offset0:109 offset1:110
	ds_load_b32 v3, v2 offset:444
	s_mov_b32 s0, exec_lo
	s_waitcnt vmcnt(0) lgkmcnt(1)
	v_fma_f32 v117, v117, v120, 0
	s_delay_alu instid0(VALU_DEP_1) | instskip(SKIP_1) | instid1(VALU_DEP_1)
	v_fmac_f32_e32 v117, v118, v121
	s_waitcnt lgkmcnt(0)
	v_fmac_f32_e32 v117, v119, v3
	s_delay_alu instid0(VALU_DEP_1)
	v_sub_f32_e32 v3, v116, v117
	scratch_store_b32 off, v3, off offset:208
	v_cmpx_lt_u32_e32 51, v0
	s_cbranch_execz .LBB55_241
; %bb.240:
	scratch_load_b32 v3, off, off offset:204
	scratch_store_b32 off, v2, off offset:204
	s_waitcnt vmcnt(0)
	ds_store_b32 v1, v3
.LBB55_241:
	s_or_b32 exec_lo, exec_lo, s0
	s_waitcnt lgkmcnt(0)
	s_waitcnt_vscnt null, 0x0
	s_barrier
	buffer_gl0_inv
	s_clause 0x1
	scratch_load_b128 v[116:119], off, off offset:204
	scratch_load_b32 v3, off, off offset:220
	ds_load_b128 v[120:123], v2 offset:432
	s_mov_b32 s0, exec_lo
	s_waitcnt vmcnt(1) lgkmcnt(0)
	v_fma_f32 v2, v117, v120, 0
	s_delay_alu instid0(VALU_DEP_1) | instskip(NEXT) | instid1(VALU_DEP_1)
	v_fmac_f32_e32 v2, v118, v121
	v_fmac_f32_e32 v2, v119, v122
	s_waitcnt vmcnt(0)
	s_delay_alu instid0(VALU_DEP_1) | instskip(NEXT) | instid1(VALU_DEP_1)
	v_fmac_f32_e32 v2, v3, v123
	v_sub_f32_e32 v2, v116, v2
	scratch_store_b32 off, v2, off offset:204
	v_cmpx_lt_u32_e32 50, v0
	s_cbranch_execz .LBB55_243
; %bb.242:
	scratch_load_b32 v2, off, off offset:200
	v_mov_b32_e32 v3, 0
	scratch_store_b32 off, v3, off offset:200
	s_waitcnt vmcnt(0)
	ds_store_b32 v1, v2
.LBB55_243:
	s_or_b32 exec_lo, exec_lo, s0
	s_waitcnt lgkmcnt(0)
	s_waitcnt_vscnt null, 0x0
	s_barrier
	buffer_gl0_inv
	s_clause 0x1
	scratch_load_b128 v[116:119], off, off offset:200
	scratch_load_b64 v[120:121], off, off offset:216
	v_mov_b32_e32 v2, 0
	ds_load_2addr_b32 v[122:123], v2 offset0:107 offset1:108
	ds_load_2addr_b32 v[124:125], v2 offset0:109 offset1:110
	ds_load_b32 v3, v2 offset:444
	s_mov_b32 s0, exec_lo
	s_waitcnt vmcnt(1) lgkmcnt(2)
	v_fma_f32 v117, v117, v122, 0
	s_delay_alu instid0(VALU_DEP_1) | instskip(SKIP_1) | instid1(VALU_DEP_1)
	v_fmac_f32_e32 v117, v118, v123
	s_waitcnt lgkmcnt(1)
	v_fmac_f32_e32 v117, v119, v124
	s_waitcnt vmcnt(0)
	s_delay_alu instid0(VALU_DEP_1) | instskip(SKIP_1) | instid1(VALU_DEP_1)
	v_fmac_f32_e32 v117, v120, v125
	s_waitcnt lgkmcnt(0)
	v_fmac_f32_e32 v117, v121, v3
	s_delay_alu instid0(VALU_DEP_1)
	v_sub_f32_e32 v3, v116, v117
	scratch_store_b32 off, v3, off offset:200
	v_cmpx_lt_u32_e32 49, v0
	s_cbranch_execz .LBB55_245
; %bb.244:
	scratch_load_b32 v3, off, off offset:196
	scratch_store_b32 off, v2, off offset:196
	s_waitcnt vmcnt(0)
	ds_store_b32 v1, v3
.LBB55_245:
	s_or_b32 exec_lo, exec_lo, s0
	s_waitcnt lgkmcnt(0)
	s_waitcnt_vscnt null, 0x0
	s_barrier
	buffer_gl0_inv
	s_clause 0x1
	scratch_load_b128 v[116:119], off, off offset:196
	scratch_load_b96 v[124:126], off, off offset:212
	ds_load_2addr_b64 v[120:123], v2 offset0:53 offset1:54
	ds_load_b64 v[2:3], v2 offset:440
	s_mov_b32 s0, exec_lo
	s_waitcnt vmcnt(1) lgkmcnt(1)
	v_fma_f32 v117, v117, v120, 0
	s_delay_alu instid0(VALU_DEP_1) | instskip(NEXT) | instid1(VALU_DEP_1)
	v_fmac_f32_e32 v117, v118, v121
	v_fmac_f32_e32 v117, v119, v122
	s_waitcnt vmcnt(0)
	s_delay_alu instid0(VALU_DEP_1) | instskip(SKIP_1) | instid1(VALU_DEP_1)
	v_fmac_f32_e32 v117, v124, v123
	s_waitcnt lgkmcnt(0)
	v_fmac_f32_e32 v117, v125, v2
	s_delay_alu instid0(VALU_DEP_1) | instskip(NEXT) | instid1(VALU_DEP_1)
	v_fmac_f32_e32 v117, v126, v3
	v_sub_f32_e32 v2, v116, v117
	scratch_store_b32 off, v2, off offset:196
	v_cmpx_lt_u32_e32 48, v0
	s_cbranch_execz .LBB55_247
; %bb.246:
	scratch_load_b32 v2, off, off offset:192
	v_mov_b32_e32 v3, 0
	scratch_store_b32 off, v3, off offset:192
	s_waitcnt vmcnt(0)
	ds_store_b32 v1, v2
.LBB55_247:
	s_or_b32 exec_lo, exec_lo, s0
	s_waitcnt lgkmcnt(0)
	s_waitcnt_vscnt null, 0x0
	s_barrier
	buffer_gl0_inv
	s_clause 0x1
	scratch_load_b128 v[116:119], off, off offset:192
	scratch_load_b128 v[120:123], off, off offset:208
	v_mov_b32_e32 v2, 0
	ds_load_2addr_b32 v[124:125], v2 offset0:105 offset1:106
	ds_load_2addr_b32 v[126:127], v2 offset0:107 offset1:108
	;; [unrolled: 1-line block ×3, first 2 shown]
	ds_load_b32 v3, v2 offset:444
	s_mov_b32 s0, exec_lo
	s_waitcnt vmcnt(1) lgkmcnt(3)
	v_fma_f32 v117, v117, v124, 0
	s_delay_alu instid0(VALU_DEP_1) | instskip(SKIP_1) | instid1(VALU_DEP_1)
	v_fmac_f32_e32 v117, v118, v125
	s_waitcnt lgkmcnt(2)
	v_fmac_f32_e32 v117, v119, v126
	s_waitcnt vmcnt(0)
	s_delay_alu instid0(VALU_DEP_1) | instskip(SKIP_1) | instid1(VALU_DEP_1)
	v_fmac_f32_e32 v117, v120, v127
	s_waitcnt lgkmcnt(1)
	v_fmac_f32_e32 v117, v121, v128
	s_delay_alu instid0(VALU_DEP_1) | instskip(SKIP_1) | instid1(VALU_DEP_1)
	v_fmac_f32_e32 v117, v122, v129
	s_waitcnt lgkmcnt(0)
	v_fmac_f32_e32 v117, v123, v3
	s_delay_alu instid0(VALU_DEP_1)
	v_sub_f32_e32 v3, v116, v117
	scratch_store_b32 off, v3, off offset:192
	v_cmpx_lt_u32_e32 47, v0
	s_cbranch_execz .LBB55_249
; %bb.248:
	scratch_load_b32 v3, off, off offset:188
	scratch_store_b32 off, v2, off offset:188
	s_waitcnt vmcnt(0)
	ds_store_b32 v1, v3
.LBB55_249:
	s_or_b32 exec_lo, exec_lo, s0
	s_waitcnt lgkmcnt(0)
	s_waitcnt_vscnt null, 0x0
	s_barrier
	buffer_gl0_inv
	s_clause 0x2
	scratch_load_b128 v[116:119], off, off offset:188
	scratch_load_b128 v[120:123], off, off offset:204
	scratch_load_b32 v3, off, off offset:220
	ds_load_b128 v[124:127], v2 offset:416
	ds_load_b128 v[128:131], v2 offset:432
	s_mov_b32 s0, exec_lo
	s_waitcnt vmcnt(2) lgkmcnt(1)
	v_fma_f32 v2, v117, v124, 0
	s_delay_alu instid0(VALU_DEP_1) | instskip(NEXT) | instid1(VALU_DEP_1)
	v_fmac_f32_e32 v2, v118, v125
	v_fmac_f32_e32 v2, v119, v126
	s_waitcnt vmcnt(1)
	s_delay_alu instid0(VALU_DEP_1) | instskip(SKIP_1) | instid1(VALU_DEP_1)
	v_fmac_f32_e32 v2, v120, v127
	s_waitcnt lgkmcnt(0)
	v_fmac_f32_e32 v2, v121, v128
	s_delay_alu instid0(VALU_DEP_1) | instskip(NEXT) | instid1(VALU_DEP_1)
	v_fmac_f32_e32 v2, v122, v129
	v_fmac_f32_e32 v2, v123, v130
	s_waitcnt vmcnt(0)
	s_delay_alu instid0(VALU_DEP_1) | instskip(NEXT) | instid1(VALU_DEP_1)
	v_fmac_f32_e32 v2, v3, v131
	v_sub_f32_e32 v2, v116, v2
	scratch_store_b32 off, v2, off offset:188
	v_cmpx_lt_u32_e32 46, v0
	s_cbranch_execz .LBB55_251
; %bb.250:
	scratch_load_b32 v2, off, off offset:184
	v_mov_b32_e32 v3, 0
	scratch_store_b32 off, v3, off offset:184
	s_waitcnt vmcnt(0)
	ds_store_b32 v1, v2
.LBB55_251:
	s_or_b32 exec_lo, exec_lo, s0
	s_waitcnt lgkmcnt(0)
	s_waitcnt_vscnt null, 0x0
	s_barrier
	buffer_gl0_inv
	s_clause 0x2
	scratch_load_b128 v[116:119], off, off offset:184
	scratch_load_b128 v[120:123], off, off offset:200
	scratch_load_b64 v[124:125], off, off offset:216
	v_mov_b32_e32 v2, 0
	ds_load_2addr_b32 v[126:127], v2 offset0:103 offset1:104
	ds_load_2addr_b32 v[128:129], v2 offset0:105 offset1:106
	;; [unrolled: 1-line block ×4, first 2 shown]
	s_mov_b32 s0, exec_lo
	s_waitcnt vmcnt(2) lgkmcnt(3)
	v_fma_f32 v3, v117, v126, 0
	s_delay_alu instid0(VALU_DEP_1) | instskip(SKIP_4) | instid1(VALU_DEP_1)
	v_fmac_f32_e32 v3, v118, v127
	ds_load_b32 v117, v2 offset:444
	s_waitcnt lgkmcnt(3)
	v_fmac_f32_e32 v3, v119, v128
	s_waitcnt vmcnt(1)
	v_fmac_f32_e32 v3, v120, v129
	s_waitcnt lgkmcnt(2)
	s_delay_alu instid0(VALU_DEP_1) | instskip(NEXT) | instid1(VALU_DEP_1)
	v_fmac_f32_e32 v3, v121, v130
	v_fmac_f32_e32 v3, v122, v131
	s_waitcnt lgkmcnt(1)
	s_delay_alu instid0(VALU_DEP_1) | instskip(SKIP_1) | instid1(VALU_DEP_1)
	v_fmac_f32_e32 v3, v123, v132
	s_waitcnt vmcnt(0)
	v_fmac_f32_e32 v3, v124, v133
	s_waitcnt lgkmcnt(0)
	s_delay_alu instid0(VALU_DEP_1) | instskip(NEXT) | instid1(VALU_DEP_1)
	v_fmac_f32_e32 v3, v125, v117
	v_sub_f32_e32 v3, v116, v3
	scratch_store_b32 off, v3, off offset:184
	v_cmpx_lt_u32_e32 45, v0
	s_cbranch_execz .LBB55_253
; %bb.252:
	scratch_load_b32 v3, off, off offset:180
	scratch_store_b32 off, v2, off offset:180
	s_waitcnt vmcnt(0)
	ds_store_b32 v1, v3
.LBB55_253:
	s_or_b32 exec_lo, exec_lo, s0
	s_waitcnt lgkmcnt(0)
	s_waitcnt_vscnt null, 0x0
	s_barrier
	buffer_gl0_inv
	s_clause 0x2
	scratch_load_b128 v[116:119], off, off offset:180
	scratch_load_b128 v[120:123], off, off offset:196
	scratch_load_b96 v[132:134], off, off offset:212
	ds_load_2addr_b64 v[124:127], v2 offset0:51 offset1:52
	ds_load_2addr_b64 v[128:131], v2 offset0:53 offset1:54
	ds_load_b64 v[2:3], v2 offset:440
	s_mov_b32 s0, exec_lo
	s_waitcnt vmcnt(2) lgkmcnt(2)
	v_fma_f32 v117, v117, v124, 0
	s_delay_alu instid0(VALU_DEP_1) | instskip(NEXT) | instid1(VALU_DEP_1)
	v_fmac_f32_e32 v117, v118, v125
	v_fmac_f32_e32 v117, v119, v126
	s_waitcnt vmcnt(1)
	s_delay_alu instid0(VALU_DEP_1) | instskip(SKIP_1) | instid1(VALU_DEP_1)
	v_fmac_f32_e32 v117, v120, v127
	s_waitcnt lgkmcnt(1)
	v_fmac_f32_e32 v117, v121, v128
	s_delay_alu instid0(VALU_DEP_1) | instskip(NEXT) | instid1(VALU_DEP_1)
	v_fmac_f32_e32 v117, v122, v129
	v_fmac_f32_e32 v117, v123, v130
	s_waitcnt vmcnt(0)
	s_delay_alu instid0(VALU_DEP_1) | instskip(SKIP_1) | instid1(VALU_DEP_1)
	v_fmac_f32_e32 v117, v132, v131
	s_waitcnt lgkmcnt(0)
	v_fmac_f32_e32 v117, v133, v2
	s_delay_alu instid0(VALU_DEP_1) | instskip(NEXT) | instid1(VALU_DEP_1)
	v_fmac_f32_e32 v117, v134, v3
	v_sub_f32_e32 v2, v116, v117
	scratch_store_b32 off, v2, off offset:180
	v_cmpx_lt_u32_e32 44, v0
	s_cbranch_execz .LBB55_255
; %bb.254:
	scratch_load_b32 v2, off, off offset:176
	v_mov_b32_e32 v3, 0
	scratch_store_b32 off, v3, off offset:176
	s_waitcnt vmcnt(0)
	ds_store_b32 v1, v2
.LBB55_255:
	s_or_b32 exec_lo, exec_lo, s0
	s_waitcnt lgkmcnt(0)
	s_waitcnt_vscnt null, 0x0
	s_barrier
	buffer_gl0_inv
	s_clause 0x2
	scratch_load_b128 v[116:119], off, off offset:176
	scratch_load_b128 v[120:123], off, off offset:192
	scratch_load_b128 v[124:127], off, off offset:208
	v_mov_b32_e32 v2, 0
	ds_load_2addr_b32 v[128:129], v2 offset0:101 offset1:102
	ds_load_2addr_b32 v[130:131], v2 offset0:103 offset1:104
	;; [unrolled: 1-line block ×4, first 2 shown]
	s_mov_b32 s0, exec_lo
	s_waitcnt vmcnt(2) lgkmcnt(3)
	v_fma_f32 v3, v117, v128, 0
	s_delay_alu instid0(VALU_DEP_1)
	v_fmac_f32_e32 v3, v118, v129
	ds_load_2addr_b32 v[117:118], v2 offset0:109 offset1:110
	s_waitcnt lgkmcnt(3)
	v_fmac_f32_e32 v3, v119, v130
	ds_load_b32 v119, v2 offset:444
	s_waitcnt vmcnt(1)
	v_fmac_f32_e32 v3, v120, v131
	s_waitcnt lgkmcnt(3)
	s_delay_alu instid0(VALU_DEP_1) | instskip(NEXT) | instid1(VALU_DEP_1)
	v_fmac_f32_e32 v3, v121, v132
	v_fmac_f32_e32 v3, v122, v133
	s_waitcnt lgkmcnt(2)
	s_delay_alu instid0(VALU_DEP_1) | instskip(SKIP_1) | instid1(VALU_DEP_1)
	v_fmac_f32_e32 v3, v123, v134
	s_waitcnt vmcnt(0)
	v_fmac_f32_e32 v3, v124, v135
	s_waitcnt lgkmcnt(1)
	s_delay_alu instid0(VALU_DEP_1) | instskip(NEXT) | instid1(VALU_DEP_1)
	v_fmac_f32_e32 v3, v125, v117
	v_fmac_f32_e32 v3, v126, v118
	s_waitcnt lgkmcnt(0)
	s_delay_alu instid0(VALU_DEP_1) | instskip(NEXT) | instid1(VALU_DEP_1)
	v_fmac_f32_e32 v3, v127, v119
	v_sub_f32_e32 v3, v116, v3
	scratch_store_b32 off, v3, off offset:176
	v_cmpx_lt_u32_e32 43, v0
	s_cbranch_execz .LBB55_257
; %bb.256:
	scratch_load_b32 v3, off, off offset:172
	scratch_store_b32 off, v2, off offset:172
	s_waitcnt vmcnt(0)
	ds_store_b32 v1, v3
.LBB55_257:
	s_or_b32 exec_lo, exec_lo, s0
	s_waitcnt lgkmcnt(0)
	s_waitcnt_vscnt null, 0x0
	s_barrier
	buffer_gl0_inv
	s_clause 0x3
	scratch_load_b128 v[116:119], off, off offset:172
	scratch_load_b128 v[120:123], off, off offset:188
	;; [unrolled: 1-line block ×3, first 2 shown]
	scratch_load_b32 v3, off, off offset:220
	ds_load_b128 v[128:131], v2 offset:400
	ds_load_b128 v[132:135], v2 offset:416
	s_mov_b32 s0, exec_lo
	s_waitcnt vmcnt(3) lgkmcnt(1)
	v_fma_f32 v128, v117, v128, 0
	s_delay_alu instid0(VALU_DEP_1) | instskip(NEXT) | instid1(VALU_DEP_1)
	v_fmac_f32_e32 v128, v118, v129
	v_fmac_f32_e32 v128, v119, v130
	s_waitcnt vmcnt(2)
	s_delay_alu instid0(VALU_DEP_1) | instskip(SKIP_3) | instid1(VALU_DEP_1)
	v_fmac_f32_e32 v128, v120, v131
	ds_load_b128 v[117:120], v2 offset:432
	s_waitcnt lgkmcnt(1)
	v_fmac_f32_e32 v128, v121, v132
	v_fmac_f32_e32 v128, v122, v133
	s_delay_alu instid0(VALU_DEP_1) | instskip(SKIP_1) | instid1(VALU_DEP_1)
	v_fmac_f32_e32 v128, v123, v134
	s_waitcnt vmcnt(1)
	v_fmac_f32_e32 v128, v124, v135
	s_waitcnt lgkmcnt(0)
	s_delay_alu instid0(VALU_DEP_1) | instskip(NEXT) | instid1(VALU_DEP_1)
	v_fmac_f32_e32 v128, v125, v117
	v_fmac_f32_e32 v128, v126, v118
	s_delay_alu instid0(VALU_DEP_1) | instskip(SKIP_1) | instid1(VALU_DEP_1)
	v_fmac_f32_e32 v128, v127, v119
	s_waitcnt vmcnt(0)
	v_fmac_f32_e32 v128, v3, v120
	s_delay_alu instid0(VALU_DEP_1)
	v_sub_f32_e32 v2, v116, v128
	scratch_store_b32 off, v2, off offset:172
	v_cmpx_lt_u32_e32 42, v0
	s_cbranch_execz .LBB55_259
; %bb.258:
	scratch_load_b32 v2, off, off offset:168
	v_mov_b32_e32 v3, 0
	scratch_store_b32 off, v3, off offset:168
	s_waitcnt vmcnt(0)
	ds_store_b32 v1, v2
.LBB55_259:
	s_or_b32 exec_lo, exec_lo, s0
	s_waitcnt lgkmcnt(0)
	s_waitcnt_vscnt null, 0x0
	s_barrier
	buffer_gl0_inv
	s_clause 0x3
	scratch_load_b128 v[116:119], off, off offset:168
	scratch_load_b128 v[120:123], off, off offset:184
	;; [unrolled: 1-line block ×3, first 2 shown]
	scratch_load_b64 v[128:129], off, off offset:216
	v_mov_b32_e32 v2, 0
	ds_load_2addr_b32 v[130:131], v2 offset0:99 offset1:100
	ds_load_2addr_b32 v[132:133], v2 offset0:101 offset1:102
	;; [unrolled: 1-line block ×4, first 2 shown]
	s_mov_b32 s0, exec_lo
	s_waitcnt vmcnt(3) lgkmcnt(3)
	v_fma_f32 v3, v117, v130, 0
	s_delay_alu instid0(VALU_DEP_1) | instskip(SKIP_4) | instid1(VALU_DEP_1)
	v_fmac_f32_e32 v3, v118, v131
	ds_load_2addr_b32 v[117:118], v2 offset0:107 offset1:108
	s_waitcnt lgkmcnt(3)
	v_fmac_f32_e32 v3, v119, v132
	s_waitcnt vmcnt(2)
	v_fmac_f32_e32 v3, v120, v133
	ds_load_2addr_b32 v[119:120], v2 offset0:109 offset1:110
	s_waitcnt lgkmcnt(3)
	v_fmac_f32_e32 v3, v121, v134
	ds_load_b32 v121, v2 offset:444
	v_fmac_f32_e32 v3, v122, v135
	s_waitcnt lgkmcnt(3)
	s_delay_alu instid0(VALU_DEP_1) | instskip(SKIP_1) | instid1(VALU_DEP_1)
	v_fmac_f32_e32 v3, v123, v136
	s_waitcnt vmcnt(1)
	v_fmac_f32_e32 v3, v124, v137
	s_waitcnt lgkmcnt(2)
	s_delay_alu instid0(VALU_DEP_1) | instskip(NEXT) | instid1(VALU_DEP_1)
	v_fmac_f32_e32 v3, v125, v117
	v_fmac_f32_e32 v3, v126, v118
	s_waitcnt lgkmcnt(1)
	s_delay_alu instid0(VALU_DEP_1) | instskip(SKIP_1) | instid1(VALU_DEP_1)
	v_fmac_f32_e32 v3, v127, v119
	s_waitcnt vmcnt(0)
	v_fmac_f32_e32 v3, v128, v120
	s_waitcnt lgkmcnt(0)
	s_delay_alu instid0(VALU_DEP_1) | instskip(NEXT) | instid1(VALU_DEP_1)
	v_fmac_f32_e32 v3, v129, v121
	v_sub_f32_e32 v3, v116, v3
	scratch_store_b32 off, v3, off offset:168
	v_cmpx_lt_u32_e32 41, v0
	s_cbranch_execz .LBB55_261
; %bb.260:
	scratch_load_b32 v3, off, off offset:164
	scratch_store_b32 off, v2, off offset:164
	s_waitcnt vmcnt(0)
	ds_store_b32 v1, v3
.LBB55_261:
	s_or_b32 exec_lo, exec_lo, s0
	s_waitcnt lgkmcnt(0)
	s_waitcnt_vscnt null, 0x0
	s_barrier
	buffer_gl0_inv
	s_clause 0x3
	scratch_load_b128 v[116:119], off, off offset:164
	scratch_load_b128 v[120:123], off, off offset:180
	scratch_load_b128 v[124:127], off, off offset:196
	scratch_load_b96 v[136:138], off, off offset:212
	ds_load_2addr_b64 v[128:131], v2 offset0:49 offset1:50
	ds_load_2addr_b64 v[132:135], v2 offset0:51 offset1:52
	s_mov_b32 s0, exec_lo
	s_waitcnt vmcnt(3) lgkmcnt(1)
	v_fma_f32 v128, v117, v128, 0
	s_delay_alu instid0(VALU_DEP_1) | instskip(NEXT) | instid1(VALU_DEP_1)
	v_fmac_f32_e32 v128, v118, v129
	v_fmac_f32_e32 v128, v119, v130
	s_waitcnt vmcnt(2)
	s_delay_alu instid0(VALU_DEP_1) | instskip(SKIP_4) | instid1(VALU_DEP_1)
	v_fmac_f32_e32 v128, v120, v131
	ds_load_2addr_b64 v[117:120], v2 offset0:53 offset1:54
	ds_load_b64 v[2:3], v2 offset:440
	s_waitcnt lgkmcnt(2)
	v_fmac_f32_e32 v128, v121, v132
	v_fmac_f32_e32 v128, v122, v133
	s_delay_alu instid0(VALU_DEP_1) | instskip(SKIP_1) | instid1(VALU_DEP_1)
	v_fmac_f32_e32 v128, v123, v134
	s_waitcnt vmcnt(1)
	v_fmac_f32_e32 v128, v124, v135
	s_waitcnt lgkmcnt(1)
	s_delay_alu instid0(VALU_DEP_1) | instskip(NEXT) | instid1(VALU_DEP_1)
	v_fmac_f32_e32 v128, v125, v117
	v_fmac_f32_e32 v128, v126, v118
	s_delay_alu instid0(VALU_DEP_1) | instskip(SKIP_1) | instid1(VALU_DEP_1)
	v_fmac_f32_e32 v128, v127, v119
	s_waitcnt vmcnt(0)
	v_fmac_f32_e32 v128, v136, v120
	s_waitcnt lgkmcnt(0)
	s_delay_alu instid0(VALU_DEP_1) | instskip(NEXT) | instid1(VALU_DEP_1)
	v_fmac_f32_e32 v128, v137, v2
	v_fmac_f32_e32 v128, v138, v3
	s_delay_alu instid0(VALU_DEP_1)
	v_sub_f32_e32 v2, v116, v128
	scratch_store_b32 off, v2, off offset:164
	v_cmpx_lt_u32_e32 40, v0
	s_cbranch_execz .LBB55_263
; %bb.262:
	scratch_load_b32 v2, off, off offset:160
	v_mov_b32_e32 v3, 0
	scratch_store_b32 off, v3, off offset:160
	s_waitcnt vmcnt(0)
	ds_store_b32 v1, v2
.LBB55_263:
	s_or_b32 exec_lo, exec_lo, s0
	s_waitcnt lgkmcnt(0)
	s_waitcnt_vscnt null, 0x0
	s_barrier
	buffer_gl0_inv
	s_clause 0x3
	scratch_load_b128 v[116:119], off, off offset:160
	scratch_load_b128 v[120:123], off, off offset:176
	scratch_load_b128 v[124:127], off, off offset:192
	scratch_load_b128 v[128:131], off, off offset:208
	v_mov_b32_e32 v2, 0
	ds_load_2addr_b32 v[132:133], v2 offset0:97 offset1:98
	ds_load_2addr_b32 v[134:135], v2 offset0:99 offset1:100
	;; [unrolled: 1-line block ×4, first 2 shown]
	s_mov_b32 s0, exec_lo
	s_waitcnt vmcnt(3) lgkmcnt(3)
	v_fma_f32 v3, v117, v132, 0
	s_delay_alu instid0(VALU_DEP_1) | instskip(SKIP_4) | instid1(VALU_DEP_1)
	v_fmac_f32_e32 v3, v118, v133
	ds_load_2addr_b32 v[117:118], v2 offset0:105 offset1:106
	s_waitcnt lgkmcnt(3)
	v_fmac_f32_e32 v3, v119, v134
	s_waitcnt vmcnt(2)
	v_fmac_f32_e32 v3, v120, v135
	ds_load_2addr_b32 v[119:120], v2 offset0:107 offset1:108
	s_waitcnt lgkmcnt(3)
	v_fmac_f32_e32 v3, v121, v136
	s_delay_alu instid0(VALU_DEP_1) | instskip(SKIP_1) | instid1(VALU_DEP_1)
	v_fmac_f32_e32 v3, v122, v137
	s_waitcnt lgkmcnt(2)
	v_fmac_f32_e32 v3, v123, v138
	ds_load_2addr_b32 v[121:122], v2 offset0:109 offset1:110
	ds_load_b32 v123, v2 offset:444
	s_waitcnt vmcnt(1)
	v_fmac_f32_e32 v3, v124, v139
	s_waitcnt lgkmcnt(3)
	s_delay_alu instid0(VALU_DEP_1) | instskip(NEXT) | instid1(VALU_DEP_1)
	v_fmac_f32_e32 v3, v125, v117
	v_fmac_f32_e32 v3, v126, v118
	s_waitcnt lgkmcnt(2)
	s_delay_alu instid0(VALU_DEP_1) | instskip(SKIP_1) | instid1(VALU_DEP_1)
	v_fmac_f32_e32 v3, v127, v119
	s_waitcnt vmcnt(0)
	v_fmac_f32_e32 v3, v128, v120
	s_waitcnt lgkmcnt(1)
	s_delay_alu instid0(VALU_DEP_1) | instskip(NEXT) | instid1(VALU_DEP_1)
	v_fmac_f32_e32 v3, v129, v121
	v_fmac_f32_e32 v3, v130, v122
	s_waitcnt lgkmcnt(0)
	s_delay_alu instid0(VALU_DEP_1) | instskip(NEXT) | instid1(VALU_DEP_1)
	v_fmac_f32_e32 v3, v131, v123
	v_sub_f32_e32 v3, v116, v3
	scratch_store_b32 off, v3, off offset:160
	v_cmpx_lt_u32_e32 39, v0
	s_cbranch_execz .LBB55_265
; %bb.264:
	scratch_load_b32 v3, off, off offset:156
	scratch_store_b32 off, v2, off offset:156
	s_waitcnt vmcnt(0)
	ds_store_b32 v1, v3
.LBB55_265:
	s_or_b32 exec_lo, exec_lo, s0
	s_waitcnt lgkmcnt(0)
	s_waitcnt_vscnt null, 0x0
	s_barrier
	buffer_gl0_inv
	s_clause 0x4
	scratch_load_b128 v[116:119], off, off offset:156
	scratch_load_b128 v[120:123], off, off offset:172
	;; [unrolled: 1-line block ×4, first 2 shown]
	scratch_load_b32 v3, off, off offset:220
	ds_load_b128 v[132:135], v2 offset:384
	ds_load_b128 v[136:139], v2 offset:400
	s_mov_b32 s0, exec_lo
	s_waitcnt vmcnt(4) lgkmcnt(1)
	v_fma_f32 v132, v117, v132, 0
	s_delay_alu instid0(VALU_DEP_1) | instskip(NEXT) | instid1(VALU_DEP_1)
	v_fmac_f32_e32 v132, v118, v133
	v_fmac_f32_e32 v132, v119, v134
	s_waitcnt vmcnt(3)
	s_delay_alu instid0(VALU_DEP_1) | instskip(SKIP_3) | instid1(VALU_DEP_1)
	v_fmac_f32_e32 v132, v120, v135
	ds_load_b128 v[117:120], v2 offset:416
	s_waitcnt lgkmcnt(1)
	v_fmac_f32_e32 v132, v121, v136
	v_fmac_f32_e32 v132, v122, v137
	s_delay_alu instid0(VALU_DEP_1) | instskip(SKIP_1) | instid1(VALU_DEP_1)
	v_fmac_f32_e32 v132, v123, v138
	s_waitcnt vmcnt(2)
	v_fmac_f32_e32 v132, v124, v139
	ds_load_b128 v[121:124], v2 offset:432
	s_waitcnt lgkmcnt(1)
	v_fmac_f32_e32 v132, v125, v117
	s_delay_alu instid0(VALU_DEP_1) | instskip(NEXT) | instid1(VALU_DEP_1)
	v_fmac_f32_e32 v132, v126, v118
	v_fmac_f32_e32 v132, v127, v119
	s_waitcnt vmcnt(1)
	s_delay_alu instid0(VALU_DEP_1) | instskip(SKIP_1) | instid1(VALU_DEP_1)
	v_fmac_f32_e32 v132, v128, v120
	s_waitcnt lgkmcnt(0)
	v_fmac_f32_e32 v132, v129, v121
	s_delay_alu instid0(VALU_DEP_1) | instskip(NEXT) | instid1(VALU_DEP_1)
	v_fmac_f32_e32 v132, v130, v122
	v_fmac_f32_e32 v132, v131, v123
	s_waitcnt vmcnt(0)
	s_delay_alu instid0(VALU_DEP_1) | instskip(NEXT) | instid1(VALU_DEP_1)
	v_fmac_f32_e32 v132, v3, v124
	v_sub_f32_e32 v2, v116, v132
	scratch_store_b32 off, v2, off offset:156
	v_cmpx_lt_u32_e32 38, v0
	s_cbranch_execz .LBB55_267
; %bb.266:
	scratch_load_b32 v2, off, off offset:152
	v_mov_b32_e32 v3, 0
	scratch_store_b32 off, v3, off offset:152
	s_waitcnt vmcnt(0)
	ds_store_b32 v1, v2
.LBB55_267:
	s_or_b32 exec_lo, exec_lo, s0
	s_waitcnt lgkmcnt(0)
	s_waitcnt_vscnt null, 0x0
	s_barrier
	buffer_gl0_inv
	s_clause 0x4
	scratch_load_b128 v[116:119], off, off offset:152
	scratch_load_b128 v[120:123], off, off offset:168
	;; [unrolled: 1-line block ×4, first 2 shown]
	scratch_load_b64 v[132:133], off, off offset:216
	v_mov_b32_e32 v2, 0
	ds_load_2addr_b32 v[134:135], v2 offset0:95 offset1:96
	ds_load_2addr_b32 v[136:137], v2 offset0:97 offset1:98
	;; [unrolled: 1-line block ×4, first 2 shown]
	s_mov_b32 s0, exec_lo
	s_waitcnt vmcnt(4) lgkmcnt(3)
	v_fma_f32 v3, v117, v134, 0
	s_delay_alu instid0(VALU_DEP_1) | instskip(SKIP_4) | instid1(VALU_DEP_1)
	v_fmac_f32_e32 v3, v118, v135
	ds_load_2addr_b32 v[117:118], v2 offset0:103 offset1:104
	s_waitcnt lgkmcnt(3)
	v_fmac_f32_e32 v3, v119, v136
	s_waitcnt vmcnt(3)
	v_fmac_f32_e32 v3, v120, v137
	ds_load_2addr_b32 v[119:120], v2 offset0:105 offset1:106
	s_waitcnt lgkmcnt(3)
	v_fmac_f32_e32 v3, v121, v138
	s_delay_alu instid0(VALU_DEP_1) | instskip(SKIP_1) | instid1(VALU_DEP_1)
	v_fmac_f32_e32 v3, v122, v139
	s_waitcnt lgkmcnt(2)
	v_fmac_f32_e32 v3, v123, v140
	s_waitcnt vmcnt(2)
	s_delay_alu instid0(VALU_DEP_1)
	v_fmac_f32_e32 v3, v124, v141
	ds_load_2addr_b32 v[121:122], v2 offset0:107 offset1:108
	ds_load_2addr_b32 v[123:124], v2 offset0:109 offset1:110
	s_waitcnt lgkmcnt(3)
	v_fmac_f32_e32 v3, v125, v117
	ds_load_b32 v117, v2 offset:444
	v_fmac_f32_e32 v3, v126, v118
	s_waitcnt lgkmcnt(3)
	s_delay_alu instid0(VALU_DEP_1) | instskip(SKIP_1) | instid1(VALU_DEP_1)
	v_fmac_f32_e32 v3, v127, v119
	s_waitcnt vmcnt(1)
	v_fmac_f32_e32 v3, v128, v120
	s_waitcnt lgkmcnt(2)
	s_delay_alu instid0(VALU_DEP_1) | instskip(NEXT) | instid1(VALU_DEP_1)
	v_fmac_f32_e32 v3, v129, v121
	v_fmac_f32_e32 v3, v130, v122
	s_waitcnt lgkmcnt(1)
	s_delay_alu instid0(VALU_DEP_1) | instskip(SKIP_1) | instid1(VALU_DEP_1)
	v_fmac_f32_e32 v3, v131, v123
	s_waitcnt vmcnt(0)
	v_fmac_f32_e32 v3, v132, v124
	s_waitcnt lgkmcnt(0)
	s_delay_alu instid0(VALU_DEP_1) | instskip(NEXT) | instid1(VALU_DEP_1)
	v_fmac_f32_e32 v3, v133, v117
	v_sub_f32_e32 v3, v116, v3
	scratch_store_b32 off, v3, off offset:152
	v_cmpx_lt_u32_e32 37, v0
	s_cbranch_execz .LBB55_269
; %bb.268:
	scratch_load_b32 v3, off, off offset:148
	scratch_store_b32 off, v2, off offset:148
	s_waitcnt vmcnt(0)
	ds_store_b32 v1, v3
.LBB55_269:
	s_or_b32 exec_lo, exec_lo, s0
	s_waitcnt lgkmcnt(0)
	s_waitcnt_vscnt null, 0x0
	s_barrier
	buffer_gl0_inv
	s_clause 0x4
	scratch_load_b128 v[116:119], off, off offset:148
	scratch_load_b128 v[120:123], off, off offset:164
	;; [unrolled: 1-line block ×4, first 2 shown]
	scratch_load_b96 v[140:142], off, off offset:212
	ds_load_2addr_b64 v[132:135], v2 offset0:47 offset1:48
	ds_load_2addr_b64 v[136:139], v2 offset0:49 offset1:50
	s_mov_b32 s0, exec_lo
	s_waitcnt vmcnt(4) lgkmcnt(1)
	v_fma_f32 v132, v117, v132, 0
	s_delay_alu instid0(VALU_DEP_1) | instskip(NEXT) | instid1(VALU_DEP_1)
	v_fmac_f32_e32 v132, v118, v133
	v_fmac_f32_e32 v132, v119, v134
	s_waitcnt vmcnt(3)
	s_delay_alu instid0(VALU_DEP_1) | instskip(SKIP_3) | instid1(VALU_DEP_1)
	v_fmac_f32_e32 v132, v120, v135
	ds_load_2addr_b64 v[117:120], v2 offset0:51 offset1:52
	s_waitcnt lgkmcnt(1)
	v_fmac_f32_e32 v132, v121, v136
	v_fmac_f32_e32 v132, v122, v137
	s_delay_alu instid0(VALU_DEP_1) | instskip(SKIP_1) | instid1(VALU_DEP_1)
	v_fmac_f32_e32 v132, v123, v138
	s_waitcnt vmcnt(2)
	v_fmac_f32_e32 v132, v124, v139
	ds_load_2addr_b64 v[121:124], v2 offset0:53 offset1:54
	ds_load_b64 v[2:3], v2 offset:440
	s_waitcnt lgkmcnt(2)
	v_fmac_f32_e32 v132, v125, v117
	s_delay_alu instid0(VALU_DEP_1) | instskip(NEXT) | instid1(VALU_DEP_1)
	v_fmac_f32_e32 v132, v126, v118
	v_fmac_f32_e32 v132, v127, v119
	s_waitcnt vmcnt(1)
	s_delay_alu instid0(VALU_DEP_1) | instskip(SKIP_1) | instid1(VALU_DEP_1)
	v_fmac_f32_e32 v132, v128, v120
	s_waitcnt lgkmcnt(1)
	v_fmac_f32_e32 v132, v129, v121
	s_delay_alu instid0(VALU_DEP_1) | instskip(NEXT) | instid1(VALU_DEP_1)
	v_fmac_f32_e32 v132, v130, v122
	v_fmac_f32_e32 v132, v131, v123
	s_waitcnt vmcnt(0)
	s_delay_alu instid0(VALU_DEP_1) | instskip(SKIP_1) | instid1(VALU_DEP_1)
	v_fmac_f32_e32 v132, v140, v124
	s_waitcnt lgkmcnt(0)
	v_fmac_f32_e32 v132, v141, v2
	s_delay_alu instid0(VALU_DEP_1) | instskip(NEXT) | instid1(VALU_DEP_1)
	v_fmac_f32_e32 v132, v142, v3
	v_sub_f32_e32 v2, v116, v132
	scratch_store_b32 off, v2, off offset:148
	v_cmpx_lt_u32_e32 36, v0
	s_cbranch_execz .LBB55_271
; %bb.270:
	scratch_load_b32 v2, off, off offset:144
	v_mov_b32_e32 v3, 0
	scratch_store_b32 off, v3, off offset:144
	s_waitcnt vmcnt(0)
	ds_store_b32 v1, v2
.LBB55_271:
	s_or_b32 exec_lo, exec_lo, s0
	s_waitcnt lgkmcnt(0)
	s_waitcnt_vscnt null, 0x0
	s_barrier
	buffer_gl0_inv
	s_clause 0x4
	scratch_load_b128 v[116:119], off, off offset:144
	scratch_load_b128 v[120:123], off, off offset:160
	;; [unrolled: 1-line block ×5, first 2 shown]
	v_mov_b32_e32 v2, 0
	ds_load_2addr_b32 v[136:137], v2 offset0:93 offset1:94
	ds_load_2addr_b32 v[138:139], v2 offset0:95 offset1:96
	ds_load_2addr_b32 v[140:141], v2 offset0:97 offset1:98
	ds_load_2addr_b32 v[142:143], v2 offset0:99 offset1:100
	s_mov_b32 s0, exec_lo
	s_waitcnt vmcnt(4) lgkmcnt(3)
	v_fma_f32 v3, v117, v136, 0
	s_delay_alu instid0(VALU_DEP_1) | instskip(SKIP_4) | instid1(VALU_DEP_1)
	v_fmac_f32_e32 v3, v118, v137
	ds_load_2addr_b32 v[117:118], v2 offset0:101 offset1:102
	s_waitcnt lgkmcnt(3)
	v_fmac_f32_e32 v3, v119, v138
	s_waitcnt vmcnt(3)
	v_fmac_f32_e32 v3, v120, v139
	ds_load_2addr_b32 v[119:120], v2 offset0:103 offset1:104
	s_waitcnt lgkmcnt(3)
	v_fmac_f32_e32 v3, v121, v140
	s_delay_alu instid0(VALU_DEP_1) | instskip(SKIP_1) | instid1(VALU_DEP_1)
	v_fmac_f32_e32 v3, v122, v141
	s_waitcnt lgkmcnt(2)
	v_fmac_f32_e32 v3, v123, v142
	s_waitcnt vmcnt(2)
	s_delay_alu instid0(VALU_DEP_1) | instskip(SKIP_4) | instid1(VALU_DEP_1)
	v_fmac_f32_e32 v3, v124, v143
	ds_load_2addr_b32 v[121:122], v2 offset0:105 offset1:106
	ds_load_2addr_b32 v[123:124], v2 offset0:107 offset1:108
	s_waitcnt lgkmcnt(3)
	v_fmac_f32_e32 v3, v125, v117
	v_fmac_f32_e32 v3, v126, v118
	ds_load_2addr_b32 v[117:118], v2 offset0:109 offset1:110
	s_waitcnt lgkmcnt(3)
	v_fmac_f32_e32 v3, v127, v119
	ds_load_b32 v119, v2 offset:444
	s_waitcnt vmcnt(1)
	v_fmac_f32_e32 v3, v128, v120
	s_waitcnt lgkmcnt(3)
	s_delay_alu instid0(VALU_DEP_1) | instskip(NEXT) | instid1(VALU_DEP_1)
	v_fmac_f32_e32 v3, v129, v121
	v_fmac_f32_e32 v3, v130, v122
	s_waitcnt lgkmcnt(2)
	s_delay_alu instid0(VALU_DEP_1) | instskip(SKIP_1) | instid1(VALU_DEP_1)
	v_fmac_f32_e32 v3, v131, v123
	s_waitcnt vmcnt(0)
	v_fmac_f32_e32 v3, v132, v124
	s_waitcnt lgkmcnt(1)
	s_delay_alu instid0(VALU_DEP_1) | instskip(NEXT) | instid1(VALU_DEP_1)
	v_fmac_f32_e32 v3, v133, v117
	v_fmac_f32_e32 v3, v134, v118
	s_waitcnt lgkmcnt(0)
	s_delay_alu instid0(VALU_DEP_1) | instskip(NEXT) | instid1(VALU_DEP_1)
	v_fmac_f32_e32 v3, v135, v119
	v_sub_f32_e32 v3, v116, v3
	scratch_store_b32 off, v3, off offset:144
	v_cmpx_lt_u32_e32 35, v0
	s_cbranch_execz .LBB55_273
; %bb.272:
	scratch_load_b32 v3, off, off offset:140
	scratch_store_b32 off, v2, off offset:140
	s_waitcnt vmcnt(0)
	ds_store_b32 v1, v3
.LBB55_273:
	s_or_b32 exec_lo, exec_lo, s0
	s_waitcnt lgkmcnt(0)
	s_waitcnt_vscnt null, 0x0
	s_barrier
	buffer_gl0_inv
	s_clause 0x5
	scratch_load_b128 v[116:119], off, off offset:140
	scratch_load_b128 v[120:123], off, off offset:156
	;; [unrolled: 1-line block ×5, first 2 shown]
	scratch_load_b32 v3, off, off offset:220
	ds_load_b128 v[136:139], v2 offset:368
	ds_load_b128 v[140:143], v2 offset:384
	s_mov_b32 s0, exec_lo
	s_waitcnt vmcnt(5) lgkmcnt(1)
	v_fma_f32 v136, v117, v136, 0
	s_delay_alu instid0(VALU_DEP_1) | instskip(NEXT) | instid1(VALU_DEP_1)
	v_fmac_f32_e32 v136, v118, v137
	v_fmac_f32_e32 v136, v119, v138
	s_waitcnt vmcnt(4)
	s_delay_alu instid0(VALU_DEP_1) | instskip(SKIP_3) | instid1(VALU_DEP_1)
	v_fmac_f32_e32 v136, v120, v139
	ds_load_b128 v[117:120], v2 offset:400
	s_waitcnt lgkmcnt(1)
	v_fmac_f32_e32 v136, v121, v140
	v_fmac_f32_e32 v136, v122, v141
	s_delay_alu instid0(VALU_DEP_1) | instskip(SKIP_1) | instid1(VALU_DEP_1)
	v_fmac_f32_e32 v136, v123, v142
	s_waitcnt vmcnt(3)
	v_fmac_f32_e32 v136, v124, v143
	ds_load_b128 v[121:124], v2 offset:416
	s_waitcnt lgkmcnt(1)
	v_fmac_f32_e32 v136, v125, v117
	s_delay_alu instid0(VALU_DEP_1) | instskip(NEXT) | instid1(VALU_DEP_1)
	v_fmac_f32_e32 v136, v126, v118
	v_fmac_f32_e32 v136, v127, v119
	s_waitcnt vmcnt(2)
	s_delay_alu instid0(VALU_DEP_1) | instskip(SKIP_3) | instid1(VALU_DEP_1)
	v_fmac_f32_e32 v136, v128, v120
	ds_load_b128 v[117:120], v2 offset:432
	s_waitcnt lgkmcnt(1)
	v_fmac_f32_e32 v136, v129, v121
	v_fmac_f32_e32 v136, v130, v122
	s_delay_alu instid0(VALU_DEP_1) | instskip(SKIP_1) | instid1(VALU_DEP_1)
	v_fmac_f32_e32 v136, v131, v123
	s_waitcnt vmcnt(1)
	v_fmac_f32_e32 v136, v132, v124
	s_waitcnt lgkmcnt(0)
	s_delay_alu instid0(VALU_DEP_1) | instskip(NEXT) | instid1(VALU_DEP_1)
	v_fmac_f32_e32 v136, v133, v117
	v_fmac_f32_e32 v136, v134, v118
	s_delay_alu instid0(VALU_DEP_1) | instskip(SKIP_1) | instid1(VALU_DEP_1)
	v_fmac_f32_e32 v136, v135, v119
	s_waitcnt vmcnt(0)
	v_fmac_f32_e32 v136, v3, v120
	s_delay_alu instid0(VALU_DEP_1)
	v_sub_f32_e32 v2, v116, v136
	scratch_store_b32 off, v2, off offset:140
	v_cmpx_lt_u32_e32 34, v0
	s_cbranch_execz .LBB55_275
; %bb.274:
	scratch_load_b32 v2, off, off offset:136
	v_mov_b32_e32 v3, 0
	scratch_store_b32 off, v3, off offset:136
	s_waitcnt vmcnt(0)
	ds_store_b32 v1, v2
.LBB55_275:
	s_or_b32 exec_lo, exec_lo, s0
	s_waitcnt lgkmcnt(0)
	s_waitcnt_vscnt null, 0x0
	s_barrier
	buffer_gl0_inv
	s_clause 0x5
	scratch_load_b128 v[116:119], off, off offset:136
	scratch_load_b128 v[120:123], off, off offset:152
	;; [unrolled: 1-line block ×5, first 2 shown]
	scratch_load_b64 v[136:137], off, off offset:216
	v_mov_b32_e32 v2, 0
	ds_load_2addr_b32 v[138:139], v2 offset0:91 offset1:92
	ds_load_2addr_b32 v[140:141], v2 offset0:93 offset1:94
	;; [unrolled: 1-line block ×4, first 2 shown]
	s_mov_b32 s0, exec_lo
	s_waitcnt vmcnt(5) lgkmcnt(3)
	v_fma_f32 v3, v117, v138, 0
	s_delay_alu instid0(VALU_DEP_1) | instskip(SKIP_4) | instid1(VALU_DEP_1)
	v_fmac_f32_e32 v3, v118, v139
	ds_load_2addr_b32 v[117:118], v2 offset0:99 offset1:100
	s_waitcnt lgkmcnt(3)
	v_fmac_f32_e32 v3, v119, v140
	s_waitcnt vmcnt(4)
	v_fmac_f32_e32 v3, v120, v141
	ds_load_2addr_b32 v[119:120], v2 offset0:101 offset1:102
	s_waitcnt lgkmcnt(3)
	v_fmac_f32_e32 v3, v121, v142
	s_delay_alu instid0(VALU_DEP_1) | instskip(SKIP_1) | instid1(VALU_DEP_1)
	v_fmac_f32_e32 v3, v122, v143
	s_waitcnt lgkmcnt(2)
	v_fmac_f32_e32 v3, v123, v144
	s_waitcnt vmcnt(3)
	s_delay_alu instid0(VALU_DEP_1) | instskip(SKIP_4) | instid1(VALU_DEP_1)
	v_fmac_f32_e32 v3, v124, v145
	ds_load_2addr_b32 v[121:122], v2 offset0:103 offset1:104
	ds_load_2addr_b32 v[123:124], v2 offset0:105 offset1:106
	s_waitcnt lgkmcnt(3)
	v_fmac_f32_e32 v3, v125, v117
	v_fmac_f32_e32 v3, v126, v118
	ds_load_2addr_b32 v[117:118], v2 offset0:107 offset1:108
	s_waitcnt lgkmcnt(3)
	v_fmac_f32_e32 v3, v127, v119
	s_waitcnt vmcnt(2)
	s_delay_alu instid0(VALU_DEP_1)
	v_fmac_f32_e32 v3, v128, v120
	ds_load_2addr_b32 v[119:120], v2 offset0:109 offset1:110
	s_waitcnt lgkmcnt(3)
	v_fmac_f32_e32 v3, v129, v121
	ds_load_b32 v121, v2 offset:444
	v_fmac_f32_e32 v3, v130, v122
	s_waitcnt lgkmcnt(3)
	s_delay_alu instid0(VALU_DEP_1) | instskip(SKIP_1) | instid1(VALU_DEP_1)
	v_fmac_f32_e32 v3, v131, v123
	s_waitcnt vmcnt(1)
	v_fmac_f32_e32 v3, v132, v124
	s_waitcnt lgkmcnt(2)
	s_delay_alu instid0(VALU_DEP_1) | instskip(NEXT) | instid1(VALU_DEP_1)
	v_fmac_f32_e32 v3, v133, v117
	v_fmac_f32_e32 v3, v134, v118
	s_waitcnt lgkmcnt(1)
	s_delay_alu instid0(VALU_DEP_1) | instskip(SKIP_1) | instid1(VALU_DEP_1)
	v_fmac_f32_e32 v3, v135, v119
	s_waitcnt vmcnt(0)
	v_fmac_f32_e32 v3, v136, v120
	s_waitcnt lgkmcnt(0)
	s_delay_alu instid0(VALU_DEP_1) | instskip(NEXT) | instid1(VALU_DEP_1)
	v_fmac_f32_e32 v3, v137, v121
	v_sub_f32_e32 v3, v116, v3
	scratch_store_b32 off, v3, off offset:136
	v_cmpx_lt_u32_e32 33, v0
	s_cbranch_execz .LBB55_277
; %bb.276:
	scratch_load_b32 v3, off, off offset:132
	scratch_store_b32 off, v2, off offset:132
	s_waitcnt vmcnt(0)
	ds_store_b32 v1, v3
.LBB55_277:
	s_or_b32 exec_lo, exec_lo, s0
	s_waitcnt lgkmcnt(0)
	s_waitcnt_vscnt null, 0x0
	s_barrier
	buffer_gl0_inv
	s_clause 0x5
	scratch_load_b128 v[116:119], off, off offset:132
	scratch_load_b128 v[120:123], off, off offset:148
	;; [unrolled: 1-line block ×5, first 2 shown]
	scratch_load_b96 v[144:146], off, off offset:212
	ds_load_2addr_b64 v[136:139], v2 offset0:45 offset1:46
	ds_load_2addr_b64 v[140:143], v2 offset0:47 offset1:48
	s_mov_b32 s0, exec_lo
	s_waitcnt vmcnt(5) lgkmcnt(1)
	v_fma_f32 v136, v117, v136, 0
	s_delay_alu instid0(VALU_DEP_1) | instskip(NEXT) | instid1(VALU_DEP_1)
	v_fmac_f32_e32 v136, v118, v137
	v_fmac_f32_e32 v136, v119, v138
	s_waitcnt vmcnt(4)
	s_delay_alu instid0(VALU_DEP_1) | instskip(SKIP_3) | instid1(VALU_DEP_1)
	v_fmac_f32_e32 v136, v120, v139
	ds_load_2addr_b64 v[117:120], v2 offset0:49 offset1:50
	s_waitcnt lgkmcnt(1)
	v_fmac_f32_e32 v136, v121, v140
	v_fmac_f32_e32 v136, v122, v141
	s_delay_alu instid0(VALU_DEP_1) | instskip(SKIP_1) | instid1(VALU_DEP_1)
	v_fmac_f32_e32 v136, v123, v142
	s_waitcnt vmcnt(3)
	v_fmac_f32_e32 v136, v124, v143
	ds_load_2addr_b64 v[121:124], v2 offset0:51 offset1:52
	s_waitcnt lgkmcnt(1)
	v_fmac_f32_e32 v136, v125, v117
	s_delay_alu instid0(VALU_DEP_1) | instskip(NEXT) | instid1(VALU_DEP_1)
	v_fmac_f32_e32 v136, v126, v118
	v_fmac_f32_e32 v136, v127, v119
	s_waitcnt vmcnt(2)
	s_delay_alu instid0(VALU_DEP_1) | instskip(SKIP_4) | instid1(VALU_DEP_1)
	v_fmac_f32_e32 v136, v128, v120
	ds_load_2addr_b64 v[117:120], v2 offset0:53 offset1:54
	ds_load_b64 v[2:3], v2 offset:440
	s_waitcnt lgkmcnt(2)
	v_fmac_f32_e32 v136, v129, v121
	v_fmac_f32_e32 v136, v130, v122
	s_delay_alu instid0(VALU_DEP_1) | instskip(SKIP_1) | instid1(VALU_DEP_1)
	v_fmac_f32_e32 v136, v131, v123
	s_waitcnt vmcnt(1)
	v_fmac_f32_e32 v136, v132, v124
	s_waitcnt lgkmcnt(1)
	s_delay_alu instid0(VALU_DEP_1) | instskip(NEXT) | instid1(VALU_DEP_1)
	v_fmac_f32_e32 v136, v133, v117
	v_fmac_f32_e32 v136, v134, v118
	s_delay_alu instid0(VALU_DEP_1) | instskip(SKIP_1) | instid1(VALU_DEP_1)
	v_fmac_f32_e32 v136, v135, v119
	s_waitcnt vmcnt(0)
	v_fmac_f32_e32 v136, v144, v120
	s_waitcnt lgkmcnt(0)
	s_delay_alu instid0(VALU_DEP_1) | instskip(NEXT) | instid1(VALU_DEP_1)
	v_fmac_f32_e32 v136, v145, v2
	v_fmac_f32_e32 v136, v146, v3
	s_delay_alu instid0(VALU_DEP_1)
	v_sub_f32_e32 v2, v116, v136
	scratch_store_b32 off, v2, off offset:132
	v_cmpx_lt_u32_e32 32, v0
	s_cbranch_execz .LBB55_279
; %bb.278:
	scratch_load_b32 v2, off, off offset:128
	v_mov_b32_e32 v3, 0
	scratch_store_b32 off, v3, off offset:128
	s_waitcnt vmcnt(0)
	ds_store_b32 v1, v2
.LBB55_279:
	s_or_b32 exec_lo, exec_lo, s0
	s_waitcnt lgkmcnt(0)
	s_waitcnt_vscnt null, 0x0
	s_barrier
	buffer_gl0_inv
	s_clause 0x5
	scratch_load_b128 v[116:119], off, off offset:128
	scratch_load_b128 v[120:123], off, off offset:144
	;; [unrolled: 1-line block ×6, first 2 shown]
	v_mov_b32_e32 v2, 0
	ds_load_2addr_b32 v[140:141], v2 offset0:89 offset1:90
	ds_load_2addr_b32 v[142:143], v2 offset0:91 offset1:92
	;; [unrolled: 1-line block ×4, first 2 shown]
	s_mov_b32 s0, exec_lo
	s_waitcnt vmcnt(5) lgkmcnt(3)
	v_fma_f32 v3, v117, v140, 0
	s_delay_alu instid0(VALU_DEP_1) | instskip(SKIP_4) | instid1(VALU_DEP_1)
	v_fmac_f32_e32 v3, v118, v141
	ds_load_2addr_b32 v[117:118], v2 offset0:97 offset1:98
	s_waitcnt lgkmcnt(3)
	v_fmac_f32_e32 v3, v119, v142
	s_waitcnt vmcnt(4)
	v_fmac_f32_e32 v3, v120, v143
	ds_load_2addr_b32 v[119:120], v2 offset0:99 offset1:100
	s_waitcnt lgkmcnt(3)
	v_fmac_f32_e32 v3, v121, v144
	s_delay_alu instid0(VALU_DEP_1) | instskip(SKIP_1) | instid1(VALU_DEP_1)
	v_fmac_f32_e32 v3, v122, v145
	s_waitcnt lgkmcnt(2)
	v_fmac_f32_e32 v3, v123, v146
	s_waitcnt vmcnt(3)
	s_delay_alu instid0(VALU_DEP_1) | instskip(SKIP_4) | instid1(VALU_DEP_1)
	v_fmac_f32_e32 v3, v124, v147
	ds_load_2addr_b32 v[121:122], v2 offset0:101 offset1:102
	ds_load_2addr_b32 v[123:124], v2 offset0:103 offset1:104
	s_waitcnt lgkmcnt(3)
	v_fmac_f32_e32 v3, v125, v117
	v_fmac_f32_e32 v3, v126, v118
	ds_load_2addr_b32 v[117:118], v2 offset0:105 offset1:106
	s_waitcnt lgkmcnt(3)
	v_fmac_f32_e32 v3, v127, v119
	s_waitcnt vmcnt(2)
	s_delay_alu instid0(VALU_DEP_1) | instskip(SKIP_3) | instid1(VALU_DEP_1)
	v_fmac_f32_e32 v3, v128, v120
	ds_load_2addr_b32 v[119:120], v2 offset0:107 offset1:108
	s_waitcnt lgkmcnt(3)
	v_fmac_f32_e32 v3, v129, v121
	v_fmac_f32_e32 v3, v130, v122
	s_waitcnt lgkmcnt(2)
	s_delay_alu instid0(VALU_DEP_1)
	v_fmac_f32_e32 v3, v131, v123
	ds_load_2addr_b32 v[121:122], v2 offset0:109 offset1:110
	ds_load_b32 v123, v2 offset:444
	s_waitcnt vmcnt(1)
	v_fmac_f32_e32 v3, v132, v124
	s_waitcnt lgkmcnt(3)
	s_delay_alu instid0(VALU_DEP_1) | instskip(NEXT) | instid1(VALU_DEP_1)
	v_fmac_f32_e32 v3, v133, v117
	v_fmac_f32_e32 v3, v134, v118
	s_waitcnt lgkmcnt(2)
	s_delay_alu instid0(VALU_DEP_1) | instskip(SKIP_1) | instid1(VALU_DEP_1)
	v_fmac_f32_e32 v3, v135, v119
	s_waitcnt vmcnt(0)
	v_fmac_f32_e32 v3, v136, v120
	s_waitcnt lgkmcnt(1)
	s_delay_alu instid0(VALU_DEP_1) | instskip(NEXT) | instid1(VALU_DEP_1)
	v_fmac_f32_e32 v3, v137, v121
	v_fmac_f32_e32 v3, v138, v122
	s_waitcnt lgkmcnt(0)
	s_delay_alu instid0(VALU_DEP_1) | instskip(NEXT) | instid1(VALU_DEP_1)
	v_fmac_f32_e32 v3, v139, v123
	v_sub_f32_e32 v3, v116, v3
	scratch_store_b32 off, v3, off offset:128
	v_cmpx_lt_u32_e32 31, v0
	s_cbranch_execz .LBB55_281
; %bb.280:
	scratch_load_b32 v3, off, off offset:124
	scratch_store_b32 off, v2, off offset:124
	s_waitcnt vmcnt(0)
	ds_store_b32 v1, v3
.LBB55_281:
	s_or_b32 exec_lo, exec_lo, s0
	s_waitcnt lgkmcnt(0)
	s_waitcnt_vscnt null, 0x0
	s_barrier
	buffer_gl0_inv
	s_clause 0x6
	scratch_load_b128 v[116:119], off, off offset:124
	scratch_load_b128 v[120:123], off, off offset:140
	;; [unrolled: 1-line block ×6, first 2 shown]
	scratch_load_b32 v3, off, off offset:220
	ds_load_b128 v[140:143], v2 offset:352
	ds_load_b128 v[144:147], v2 offset:368
	s_mov_b32 s0, exec_lo
	s_waitcnt vmcnt(6) lgkmcnt(1)
	v_fma_f32 v140, v117, v140, 0
	s_delay_alu instid0(VALU_DEP_1) | instskip(NEXT) | instid1(VALU_DEP_1)
	v_fmac_f32_e32 v140, v118, v141
	v_fmac_f32_e32 v140, v119, v142
	s_waitcnt vmcnt(5)
	s_delay_alu instid0(VALU_DEP_1) | instskip(SKIP_3) | instid1(VALU_DEP_1)
	v_fmac_f32_e32 v140, v120, v143
	ds_load_b128 v[117:120], v2 offset:384
	s_waitcnt lgkmcnt(1)
	v_fmac_f32_e32 v140, v121, v144
	v_fmac_f32_e32 v140, v122, v145
	s_delay_alu instid0(VALU_DEP_1) | instskip(SKIP_1) | instid1(VALU_DEP_1)
	v_fmac_f32_e32 v140, v123, v146
	s_waitcnt vmcnt(4)
	v_fmac_f32_e32 v140, v124, v147
	ds_load_b128 v[121:124], v2 offset:400
	s_waitcnt lgkmcnt(1)
	v_fmac_f32_e32 v140, v125, v117
	s_delay_alu instid0(VALU_DEP_1) | instskip(NEXT) | instid1(VALU_DEP_1)
	v_fmac_f32_e32 v140, v126, v118
	v_fmac_f32_e32 v140, v127, v119
	s_waitcnt vmcnt(3)
	s_delay_alu instid0(VALU_DEP_1) | instskip(SKIP_3) | instid1(VALU_DEP_1)
	v_fmac_f32_e32 v140, v128, v120
	ds_load_b128 v[117:120], v2 offset:416
	s_waitcnt lgkmcnt(1)
	v_fmac_f32_e32 v140, v129, v121
	v_fmac_f32_e32 v140, v130, v122
	s_delay_alu instid0(VALU_DEP_1) | instskip(SKIP_1) | instid1(VALU_DEP_1)
	v_fmac_f32_e32 v140, v131, v123
	s_waitcnt vmcnt(2)
	v_fmac_f32_e32 v140, v132, v124
	ds_load_b128 v[121:124], v2 offset:432
	s_waitcnt lgkmcnt(1)
	v_fmac_f32_e32 v140, v133, v117
	s_delay_alu instid0(VALU_DEP_1) | instskip(NEXT) | instid1(VALU_DEP_1)
	v_fmac_f32_e32 v140, v134, v118
	v_fmac_f32_e32 v140, v135, v119
	s_waitcnt vmcnt(1)
	s_delay_alu instid0(VALU_DEP_1) | instskip(SKIP_1) | instid1(VALU_DEP_1)
	v_fmac_f32_e32 v140, v136, v120
	s_waitcnt lgkmcnt(0)
	v_fmac_f32_e32 v140, v137, v121
	s_delay_alu instid0(VALU_DEP_1) | instskip(NEXT) | instid1(VALU_DEP_1)
	v_fmac_f32_e32 v140, v138, v122
	v_fmac_f32_e32 v140, v139, v123
	s_waitcnt vmcnt(0)
	s_delay_alu instid0(VALU_DEP_1) | instskip(NEXT) | instid1(VALU_DEP_1)
	v_fmac_f32_e32 v140, v3, v124
	v_sub_f32_e32 v2, v116, v140
	scratch_store_b32 off, v2, off offset:124
	v_cmpx_lt_u32_e32 30, v0
	s_cbranch_execz .LBB55_283
; %bb.282:
	scratch_load_b32 v2, off, off offset:120
	v_mov_b32_e32 v3, 0
	scratch_store_b32 off, v3, off offset:120
	s_waitcnt vmcnt(0)
	ds_store_b32 v1, v2
.LBB55_283:
	s_or_b32 exec_lo, exec_lo, s0
	s_waitcnt lgkmcnt(0)
	s_waitcnt_vscnt null, 0x0
	s_barrier
	buffer_gl0_inv
	s_clause 0x6
	scratch_load_b128 v[116:119], off, off offset:120
	scratch_load_b128 v[120:123], off, off offset:136
	scratch_load_b128 v[124:127], off, off offset:152
	scratch_load_b128 v[128:131], off, off offset:168
	scratch_load_b128 v[132:135], off, off offset:184
	scratch_load_b128 v[136:139], off, off offset:200
	scratch_load_b64 v[140:141], off, off offset:216
	v_mov_b32_e32 v2, 0
	ds_load_2addr_b32 v[142:143], v2 offset0:87 offset1:88
	ds_load_2addr_b32 v[144:145], v2 offset0:89 offset1:90
	;; [unrolled: 1-line block ×4, first 2 shown]
	s_mov_b32 s0, exec_lo
	s_waitcnt vmcnt(6) lgkmcnt(3)
	v_fma_f32 v3, v117, v142, 0
	s_delay_alu instid0(VALU_DEP_1) | instskip(SKIP_4) | instid1(VALU_DEP_1)
	v_fmac_f32_e32 v3, v118, v143
	ds_load_2addr_b32 v[117:118], v2 offset0:95 offset1:96
	s_waitcnt lgkmcnt(3)
	v_fmac_f32_e32 v3, v119, v144
	s_waitcnt vmcnt(5)
	v_fmac_f32_e32 v3, v120, v145
	ds_load_2addr_b32 v[119:120], v2 offset0:97 offset1:98
	s_waitcnt lgkmcnt(3)
	v_fmac_f32_e32 v3, v121, v146
	s_delay_alu instid0(VALU_DEP_1) | instskip(SKIP_1) | instid1(VALU_DEP_1)
	v_fmac_f32_e32 v3, v122, v147
	s_waitcnt lgkmcnt(2)
	v_fmac_f32_e32 v3, v123, v148
	s_waitcnt vmcnt(4)
	s_delay_alu instid0(VALU_DEP_1) | instskip(SKIP_4) | instid1(VALU_DEP_1)
	v_fmac_f32_e32 v3, v124, v149
	ds_load_2addr_b32 v[121:122], v2 offset0:99 offset1:100
	ds_load_2addr_b32 v[123:124], v2 offset0:101 offset1:102
	s_waitcnt lgkmcnt(3)
	v_fmac_f32_e32 v3, v125, v117
	v_fmac_f32_e32 v3, v126, v118
	ds_load_2addr_b32 v[117:118], v2 offset0:103 offset1:104
	s_waitcnt lgkmcnt(3)
	v_fmac_f32_e32 v3, v127, v119
	s_waitcnt vmcnt(3)
	s_delay_alu instid0(VALU_DEP_1) | instskip(SKIP_3) | instid1(VALU_DEP_1)
	v_fmac_f32_e32 v3, v128, v120
	ds_load_2addr_b32 v[119:120], v2 offset0:105 offset1:106
	s_waitcnt lgkmcnt(3)
	v_fmac_f32_e32 v3, v129, v121
	v_fmac_f32_e32 v3, v130, v122
	s_waitcnt lgkmcnt(2)
	s_delay_alu instid0(VALU_DEP_1) | instskip(SKIP_1) | instid1(VALU_DEP_1)
	v_fmac_f32_e32 v3, v131, v123
	s_waitcnt vmcnt(2)
	v_fmac_f32_e32 v3, v132, v124
	ds_load_2addr_b32 v[121:122], v2 offset0:107 offset1:108
	ds_load_2addr_b32 v[123:124], v2 offset0:109 offset1:110
	s_waitcnt lgkmcnt(3)
	v_fmac_f32_e32 v3, v133, v117
	ds_load_b32 v117, v2 offset:444
	v_fmac_f32_e32 v3, v134, v118
	s_waitcnt lgkmcnt(3)
	s_delay_alu instid0(VALU_DEP_1) | instskip(SKIP_1) | instid1(VALU_DEP_1)
	v_fmac_f32_e32 v3, v135, v119
	s_waitcnt vmcnt(1)
	v_fmac_f32_e32 v3, v136, v120
	s_waitcnt lgkmcnt(2)
	s_delay_alu instid0(VALU_DEP_1) | instskip(NEXT) | instid1(VALU_DEP_1)
	v_fmac_f32_e32 v3, v137, v121
	v_fmac_f32_e32 v3, v138, v122
	s_waitcnt lgkmcnt(1)
	s_delay_alu instid0(VALU_DEP_1) | instskip(SKIP_1) | instid1(VALU_DEP_1)
	v_fmac_f32_e32 v3, v139, v123
	s_waitcnt vmcnt(0)
	v_fmac_f32_e32 v3, v140, v124
	s_waitcnt lgkmcnt(0)
	s_delay_alu instid0(VALU_DEP_1) | instskip(NEXT) | instid1(VALU_DEP_1)
	v_fmac_f32_e32 v3, v141, v117
	v_sub_f32_e32 v3, v116, v3
	scratch_store_b32 off, v3, off offset:120
	v_cmpx_lt_u32_e32 29, v0
	s_cbranch_execz .LBB55_285
; %bb.284:
	scratch_load_b32 v3, off, off offset:116
	scratch_store_b32 off, v2, off offset:116
	s_waitcnt vmcnt(0)
	ds_store_b32 v1, v3
.LBB55_285:
	s_or_b32 exec_lo, exec_lo, s0
	s_waitcnt lgkmcnt(0)
	s_waitcnt_vscnt null, 0x0
	s_barrier
	buffer_gl0_inv
	s_clause 0x6
	scratch_load_b128 v[116:119], off, off offset:116
	scratch_load_b128 v[120:123], off, off offset:132
	;; [unrolled: 1-line block ×6, first 2 shown]
	scratch_load_b96 v[148:150], off, off offset:212
	ds_load_2addr_b64 v[140:143], v2 offset0:43 offset1:44
	ds_load_2addr_b64 v[144:147], v2 offset0:45 offset1:46
	s_mov_b32 s0, exec_lo
	s_waitcnt vmcnt(6) lgkmcnt(1)
	v_fma_f32 v140, v117, v140, 0
	s_delay_alu instid0(VALU_DEP_1) | instskip(NEXT) | instid1(VALU_DEP_1)
	v_fmac_f32_e32 v140, v118, v141
	v_fmac_f32_e32 v140, v119, v142
	s_waitcnt vmcnt(5)
	s_delay_alu instid0(VALU_DEP_1) | instskip(SKIP_3) | instid1(VALU_DEP_1)
	v_fmac_f32_e32 v140, v120, v143
	ds_load_2addr_b64 v[117:120], v2 offset0:47 offset1:48
	s_waitcnt lgkmcnt(1)
	v_fmac_f32_e32 v140, v121, v144
	v_fmac_f32_e32 v140, v122, v145
	s_delay_alu instid0(VALU_DEP_1) | instskip(SKIP_1) | instid1(VALU_DEP_1)
	v_fmac_f32_e32 v140, v123, v146
	s_waitcnt vmcnt(4)
	v_fmac_f32_e32 v140, v124, v147
	ds_load_2addr_b64 v[121:124], v2 offset0:49 offset1:50
	s_waitcnt lgkmcnt(1)
	v_fmac_f32_e32 v140, v125, v117
	s_delay_alu instid0(VALU_DEP_1) | instskip(NEXT) | instid1(VALU_DEP_1)
	v_fmac_f32_e32 v140, v126, v118
	v_fmac_f32_e32 v140, v127, v119
	s_waitcnt vmcnt(3)
	s_delay_alu instid0(VALU_DEP_1) | instskip(SKIP_3) | instid1(VALU_DEP_1)
	v_fmac_f32_e32 v140, v128, v120
	ds_load_2addr_b64 v[117:120], v2 offset0:51 offset1:52
	s_waitcnt lgkmcnt(1)
	v_fmac_f32_e32 v140, v129, v121
	v_fmac_f32_e32 v140, v130, v122
	s_delay_alu instid0(VALU_DEP_1) | instskip(SKIP_1) | instid1(VALU_DEP_1)
	v_fmac_f32_e32 v140, v131, v123
	s_waitcnt vmcnt(2)
	v_fmac_f32_e32 v140, v132, v124
	ds_load_2addr_b64 v[121:124], v2 offset0:53 offset1:54
	ds_load_b64 v[2:3], v2 offset:440
	s_waitcnt lgkmcnt(2)
	v_fmac_f32_e32 v140, v133, v117
	s_delay_alu instid0(VALU_DEP_1) | instskip(NEXT) | instid1(VALU_DEP_1)
	v_fmac_f32_e32 v140, v134, v118
	v_fmac_f32_e32 v140, v135, v119
	s_waitcnt vmcnt(1)
	s_delay_alu instid0(VALU_DEP_1) | instskip(SKIP_1) | instid1(VALU_DEP_1)
	v_fmac_f32_e32 v140, v136, v120
	s_waitcnt lgkmcnt(1)
	v_fmac_f32_e32 v140, v137, v121
	s_delay_alu instid0(VALU_DEP_1) | instskip(NEXT) | instid1(VALU_DEP_1)
	v_fmac_f32_e32 v140, v138, v122
	v_fmac_f32_e32 v140, v139, v123
	s_waitcnt vmcnt(0)
	s_delay_alu instid0(VALU_DEP_1) | instskip(SKIP_1) | instid1(VALU_DEP_1)
	v_fmac_f32_e32 v140, v148, v124
	s_waitcnt lgkmcnt(0)
	v_fmac_f32_e32 v140, v149, v2
	s_delay_alu instid0(VALU_DEP_1) | instskip(NEXT) | instid1(VALU_DEP_1)
	v_fmac_f32_e32 v140, v150, v3
	v_sub_f32_e32 v2, v116, v140
	scratch_store_b32 off, v2, off offset:116
	v_cmpx_lt_u32_e32 28, v0
	s_cbranch_execz .LBB55_287
; %bb.286:
	scratch_load_b32 v2, off, off offset:112
	v_mov_b32_e32 v3, 0
	scratch_store_b32 off, v3, off offset:112
	s_waitcnt vmcnt(0)
	ds_store_b32 v1, v2
.LBB55_287:
	s_or_b32 exec_lo, exec_lo, s0
	s_waitcnt lgkmcnt(0)
	s_waitcnt_vscnt null, 0x0
	s_barrier
	buffer_gl0_inv
	s_clause 0x6
	scratch_load_b128 v[116:119], off, off offset:112
	scratch_load_b128 v[120:123], off, off offset:128
	;; [unrolled: 1-line block ×7, first 2 shown]
	v_mov_b32_e32 v2, 0
	ds_load_2addr_b32 v[144:145], v2 offset0:85 offset1:86
	ds_load_2addr_b32 v[146:147], v2 offset0:87 offset1:88
	;; [unrolled: 1-line block ×4, first 2 shown]
	s_mov_b32 s0, exec_lo
	s_waitcnt vmcnt(6) lgkmcnt(3)
	v_fma_f32 v3, v117, v144, 0
	s_delay_alu instid0(VALU_DEP_1) | instskip(SKIP_4) | instid1(VALU_DEP_1)
	v_fmac_f32_e32 v3, v118, v145
	ds_load_2addr_b32 v[117:118], v2 offset0:93 offset1:94
	s_waitcnt lgkmcnt(3)
	v_fmac_f32_e32 v3, v119, v146
	s_waitcnt vmcnt(5)
	v_fmac_f32_e32 v3, v120, v147
	ds_load_2addr_b32 v[119:120], v2 offset0:95 offset1:96
	s_waitcnt lgkmcnt(3)
	v_fmac_f32_e32 v3, v121, v148
	s_delay_alu instid0(VALU_DEP_1) | instskip(SKIP_1) | instid1(VALU_DEP_1)
	v_fmac_f32_e32 v3, v122, v149
	s_waitcnt lgkmcnt(2)
	v_fmac_f32_e32 v3, v123, v150
	s_waitcnt vmcnt(4)
	s_delay_alu instid0(VALU_DEP_1) | instskip(SKIP_4) | instid1(VALU_DEP_1)
	v_fmac_f32_e32 v3, v124, v151
	ds_load_2addr_b32 v[121:122], v2 offset0:97 offset1:98
	ds_load_2addr_b32 v[123:124], v2 offset0:99 offset1:100
	s_waitcnt lgkmcnt(3)
	v_fmac_f32_e32 v3, v125, v117
	v_fmac_f32_e32 v3, v126, v118
	ds_load_2addr_b32 v[117:118], v2 offset0:101 offset1:102
	s_waitcnt lgkmcnt(3)
	v_fmac_f32_e32 v3, v127, v119
	s_waitcnt vmcnt(3)
	s_delay_alu instid0(VALU_DEP_1) | instskip(SKIP_3) | instid1(VALU_DEP_1)
	v_fmac_f32_e32 v3, v128, v120
	ds_load_2addr_b32 v[119:120], v2 offset0:103 offset1:104
	s_waitcnt lgkmcnt(3)
	v_fmac_f32_e32 v3, v129, v121
	v_fmac_f32_e32 v3, v130, v122
	s_waitcnt lgkmcnt(2)
	s_delay_alu instid0(VALU_DEP_1) | instskip(SKIP_1) | instid1(VALU_DEP_1)
	v_fmac_f32_e32 v3, v131, v123
	s_waitcnt vmcnt(2)
	v_fmac_f32_e32 v3, v132, v124
	ds_load_2addr_b32 v[121:122], v2 offset0:105 offset1:106
	ds_load_2addr_b32 v[123:124], v2 offset0:107 offset1:108
	s_waitcnt lgkmcnt(3)
	v_fmac_f32_e32 v3, v133, v117
	s_delay_alu instid0(VALU_DEP_1)
	v_fmac_f32_e32 v3, v134, v118
	ds_load_2addr_b32 v[117:118], v2 offset0:109 offset1:110
	s_waitcnt lgkmcnt(3)
	v_fmac_f32_e32 v3, v135, v119
	ds_load_b32 v119, v2 offset:444
	s_waitcnt vmcnt(1)
	v_fmac_f32_e32 v3, v136, v120
	s_waitcnt lgkmcnt(3)
	s_delay_alu instid0(VALU_DEP_1) | instskip(NEXT) | instid1(VALU_DEP_1)
	v_fmac_f32_e32 v3, v137, v121
	v_fmac_f32_e32 v3, v138, v122
	s_waitcnt lgkmcnt(2)
	s_delay_alu instid0(VALU_DEP_1) | instskip(SKIP_1) | instid1(VALU_DEP_1)
	v_fmac_f32_e32 v3, v139, v123
	s_waitcnt vmcnt(0)
	v_fmac_f32_e32 v3, v140, v124
	s_waitcnt lgkmcnt(1)
	s_delay_alu instid0(VALU_DEP_1) | instskip(NEXT) | instid1(VALU_DEP_1)
	v_fmac_f32_e32 v3, v141, v117
	v_fmac_f32_e32 v3, v142, v118
	s_waitcnt lgkmcnt(0)
	s_delay_alu instid0(VALU_DEP_1) | instskip(NEXT) | instid1(VALU_DEP_1)
	v_fmac_f32_e32 v3, v143, v119
	v_sub_f32_e32 v3, v116, v3
	scratch_store_b32 off, v3, off offset:112
	v_cmpx_lt_u32_e32 27, v0
	s_cbranch_execz .LBB55_289
; %bb.288:
	scratch_load_b32 v3, off, off offset:108
	scratch_store_b32 off, v2, off offset:108
	s_waitcnt vmcnt(0)
	ds_store_b32 v1, v3
.LBB55_289:
	s_or_b32 exec_lo, exec_lo, s0
	s_waitcnt lgkmcnt(0)
	s_waitcnt_vscnt null, 0x0
	s_barrier
	buffer_gl0_inv
	s_clause 0x7
	scratch_load_b128 v[116:119], off, off offset:108
	scratch_load_b128 v[120:123], off, off offset:124
	scratch_load_b128 v[124:127], off, off offset:140
	scratch_load_b128 v[128:131], off, off offset:156
	scratch_load_b128 v[132:135], off, off offset:172
	scratch_load_b128 v[136:139], off, off offset:188
	scratch_load_b128 v[140:143], off, off offset:204
	scratch_load_b32 v3, off, off offset:220
	ds_load_b128 v[144:147], v2 offset:336
	ds_load_b128 v[148:151], v2 offset:352
	s_mov_b32 s0, exec_lo
	s_waitcnt vmcnt(7) lgkmcnt(1)
	v_fma_f32 v144, v117, v144, 0
	s_delay_alu instid0(VALU_DEP_1) | instskip(NEXT) | instid1(VALU_DEP_1)
	v_fmac_f32_e32 v144, v118, v145
	v_fmac_f32_e32 v144, v119, v146
	s_waitcnt vmcnt(6)
	s_delay_alu instid0(VALU_DEP_1) | instskip(SKIP_3) | instid1(VALU_DEP_1)
	v_fmac_f32_e32 v144, v120, v147
	ds_load_b128 v[117:120], v2 offset:368
	s_waitcnt lgkmcnt(1)
	v_fmac_f32_e32 v144, v121, v148
	v_fmac_f32_e32 v144, v122, v149
	s_delay_alu instid0(VALU_DEP_1) | instskip(SKIP_1) | instid1(VALU_DEP_1)
	v_fmac_f32_e32 v144, v123, v150
	s_waitcnt vmcnt(5)
	v_fmac_f32_e32 v144, v124, v151
	ds_load_b128 v[121:124], v2 offset:384
	s_waitcnt lgkmcnt(1)
	v_fmac_f32_e32 v144, v125, v117
	s_delay_alu instid0(VALU_DEP_1) | instskip(NEXT) | instid1(VALU_DEP_1)
	v_fmac_f32_e32 v144, v126, v118
	v_fmac_f32_e32 v144, v127, v119
	s_waitcnt vmcnt(4)
	s_delay_alu instid0(VALU_DEP_1) | instskip(SKIP_3) | instid1(VALU_DEP_1)
	v_fmac_f32_e32 v144, v128, v120
	ds_load_b128 v[117:120], v2 offset:400
	s_waitcnt lgkmcnt(1)
	v_fmac_f32_e32 v144, v129, v121
	v_fmac_f32_e32 v144, v130, v122
	s_delay_alu instid0(VALU_DEP_1) | instskip(SKIP_1) | instid1(VALU_DEP_1)
	v_fmac_f32_e32 v144, v131, v123
	s_waitcnt vmcnt(3)
	v_fmac_f32_e32 v144, v132, v124
	ds_load_b128 v[121:124], v2 offset:416
	s_waitcnt lgkmcnt(1)
	v_fmac_f32_e32 v144, v133, v117
	s_delay_alu instid0(VALU_DEP_1) | instskip(NEXT) | instid1(VALU_DEP_1)
	v_fmac_f32_e32 v144, v134, v118
	v_fmac_f32_e32 v144, v135, v119
	s_waitcnt vmcnt(2)
	s_delay_alu instid0(VALU_DEP_1) | instskip(SKIP_3) | instid1(VALU_DEP_1)
	v_fmac_f32_e32 v144, v136, v120
	ds_load_b128 v[117:120], v2 offset:432
	s_waitcnt lgkmcnt(1)
	v_fmac_f32_e32 v144, v137, v121
	v_fmac_f32_e32 v144, v138, v122
	s_delay_alu instid0(VALU_DEP_1) | instskip(SKIP_1) | instid1(VALU_DEP_1)
	v_fmac_f32_e32 v144, v139, v123
	s_waitcnt vmcnt(1)
	v_fmac_f32_e32 v144, v140, v124
	s_waitcnt lgkmcnt(0)
	s_delay_alu instid0(VALU_DEP_1) | instskip(NEXT) | instid1(VALU_DEP_1)
	v_fmac_f32_e32 v144, v141, v117
	v_fmac_f32_e32 v144, v142, v118
	s_delay_alu instid0(VALU_DEP_1) | instskip(SKIP_1) | instid1(VALU_DEP_1)
	v_fmac_f32_e32 v144, v143, v119
	s_waitcnt vmcnt(0)
	v_fmac_f32_e32 v144, v3, v120
	s_delay_alu instid0(VALU_DEP_1)
	v_sub_f32_e32 v2, v116, v144
	scratch_store_b32 off, v2, off offset:108
	v_cmpx_lt_u32_e32 26, v0
	s_cbranch_execz .LBB55_291
; %bb.290:
	scratch_load_b32 v2, off, off offset:104
	v_mov_b32_e32 v3, 0
	scratch_store_b32 off, v3, off offset:104
	s_waitcnt vmcnt(0)
	ds_store_b32 v1, v2
.LBB55_291:
	s_or_b32 exec_lo, exec_lo, s0
	s_waitcnt lgkmcnt(0)
	s_waitcnt_vscnt null, 0x0
	s_barrier
	buffer_gl0_inv
	s_clause 0x7
	scratch_load_b128 v[116:119], off, off offset:104
	scratch_load_b128 v[120:123], off, off offset:120
	;; [unrolled: 1-line block ×7, first 2 shown]
	scratch_load_b64 v[144:145], off, off offset:216
	v_mov_b32_e32 v2, 0
	ds_load_2addr_b32 v[146:147], v2 offset0:83 offset1:84
	ds_load_2addr_b32 v[148:149], v2 offset0:85 offset1:86
	;; [unrolled: 1-line block ×4, first 2 shown]
	s_mov_b32 s0, exec_lo
	s_waitcnt vmcnt(7) lgkmcnt(3)
	v_fma_f32 v3, v117, v146, 0
	s_delay_alu instid0(VALU_DEP_1) | instskip(SKIP_4) | instid1(VALU_DEP_1)
	v_fmac_f32_e32 v3, v118, v147
	ds_load_2addr_b32 v[117:118], v2 offset0:91 offset1:92
	s_waitcnt lgkmcnt(3)
	v_fmac_f32_e32 v3, v119, v148
	s_waitcnt vmcnt(6)
	v_fmac_f32_e32 v3, v120, v149
	ds_load_2addr_b32 v[119:120], v2 offset0:93 offset1:94
	s_waitcnt lgkmcnt(3)
	v_fmac_f32_e32 v3, v121, v150
	s_delay_alu instid0(VALU_DEP_1) | instskip(SKIP_1) | instid1(VALU_DEP_1)
	v_fmac_f32_e32 v3, v122, v151
	s_waitcnt lgkmcnt(2)
	v_fmac_f32_e32 v3, v123, v152
	s_waitcnt vmcnt(5)
	s_delay_alu instid0(VALU_DEP_1) | instskip(SKIP_4) | instid1(VALU_DEP_1)
	v_fmac_f32_e32 v3, v124, v153
	ds_load_2addr_b32 v[121:122], v2 offset0:95 offset1:96
	ds_load_2addr_b32 v[123:124], v2 offset0:97 offset1:98
	s_waitcnt lgkmcnt(3)
	v_fmac_f32_e32 v3, v125, v117
	v_fmac_f32_e32 v3, v126, v118
	ds_load_2addr_b32 v[117:118], v2 offset0:99 offset1:100
	s_waitcnt lgkmcnt(3)
	v_fmac_f32_e32 v3, v127, v119
	s_waitcnt vmcnt(4)
	s_delay_alu instid0(VALU_DEP_1) | instskip(SKIP_3) | instid1(VALU_DEP_1)
	v_fmac_f32_e32 v3, v128, v120
	ds_load_2addr_b32 v[119:120], v2 offset0:101 offset1:102
	s_waitcnt lgkmcnt(3)
	v_fmac_f32_e32 v3, v129, v121
	v_fmac_f32_e32 v3, v130, v122
	s_waitcnt lgkmcnt(2)
	s_delay_alu instid0(VALU_DEP_1) | instskip(SKIP_1) | instid1(VALU_DEP_1)
	v_fmac_f32_e32 v3, v131, v123
	s_waitcnt vmcnt(3)
	v_fmac_f32_e32 v3, v132, v124
	ds_load_2addr_b32 v[121:122], v2 offset0:103 offset1:104
	ds_load_2addr_b32 v[123:124], v2 offset0:105 offset1:106
	s_waitcnt lgkmcnt(3)
	v_fmac_f32_e32 v3, v133, v117
	s_delay_alu instid0(VALU_DEP_1) | instskip(SKIP_4) | instid1(VALU_DEP_1)
	v_fmac_f32_e32 v3, v134, v118
	ds_load_2addr_b32 v[117:118], v2 offset0:107 offset1:108
	s_waitcnt lgkmcnt(3)
	v_fmac_f32_e32 v3, v135, v119
	s_waitcnt vmcnt(2)
	v_fmac_f32_e32 v3, v136, v120
	ds_load_2addr_b32 v[119:120], v2 offset0:109 offset1:110
	s_waitcnt lgkmcnt(3)
	v_fmac_f32_e32 v3, v137, v121
	ds_load_b32 v121, v2 offset:444
	v_fmac_f32_e32 v3, v138, v122
	s_waitcnt lgkmcnt(3)
	s_delay_alu instid0(VALU_DEP_1) | instskip(SKIP_1) | instid1(VALU_DEP_1)
	v_fmac_f32_e32 v3, v139, v123
	s_waitcnt vmcnt(1)
	v_fmac_f32_e32 v3, v140, v124
	s_waitcnt lgkmcnt(2)
	s_delay_alu instid0(VALU_DEP_1) | instskip(NEXT) | instid1(VALU_DEP_1)
	v_fmac_f32_e32 v3, v141, v117
	v_fmac_f32_e32 v3, v142, v118
	s_waitcnt lgkmcnt(1)
	s_delay_alu instid0(VALU_DEP_1) | instskip(SKIP_1) | instid1(VALU_DEP_1)
	v_fmac_f32_e32 v3, v143, v119
	s_waitcnt vmcnt(0)
	v_fmac_f32_e32 v3, v144, v120
	s_waitcnt lgkmcnt(0)
	s_delay_alu instid0(VALU_DEP_1) | instskip(NEXT) | instid1(VALU_DEP_1)
	v_fmac_f32_e32 v3, v145, v121
	v_sub_f32_e32 v3, v116, v3
	scratch_store_b32 off, v3, off offset:104
	v_cmpx_lt_u32_e32 25, v0
	s_cbranch_execz .LBB55_293
; %bb.292:
	scratch_load_b32 v3, off, off offset:100
	scratch_store_b32 off, v2, off offset:100
	s_waitcnt vmcnt(0)
	ds_store_b32 v1, v3
.LBB55_293:
	s_or_b32 exec_lo, exec_lo, s0
	s_waitcnt lgkmcnt(0)
	s_waitcnt_vscnt null, 0x0
	s_barrier
	buffer_gl0_inv
	s_clause 0x7
	scratch_load_b128 v[116:119], off, off offset:100
	scratch_load_b128 v[120:123], off, off offset:116
	;; [unrolled: 1-line block ×7, first 2 shown]
	scratch_load_b96 v[152:154], off, off offset:212
	ds_load_2addr_b64 v[144:147], v2 offset0:41 offset1:42
	ds_load_2addr_b64 v[148:151], v2 offset0:43 offset1:44
	s_mov_b32 s0, exec_lo
	s_waitcnt vmcnt(7) lgkmcnt(1)
	v_fma_f32 v144, v117, v144, 0
	s_delay_alu instid0(VALU_DEP_1) | instskip(NEXT) | instid1(VALU_DEP_1)
	v_fmac_f32_e32 v144, v118, v145
	v_fmac_f32_e32 v144, v119, v146
	s_waitcnt vmcnt(6)
	s_delay_alu instid0(VALU_DEP_1) | instskip(SKIP_3) | instid1(VALU_DEP_1)
	v_fmac_f32_e32 v144, v120, v147
	ds_load_2addr_b64 v[117:120], v2 offset0:45 offset1:46
	s_waitcnt lgkmcnt(1)
	v_fmac_f32_e32 v144, v121, v148
	v_fmac_f32_e32 v144, v122, v149
	s_delay_alu instid0(VALU_DEP_1) | instskip(SKIP_1) | instid1(VALU_DEP_1)
	v_fmac_f32_e32 v144, v123, v150
	s_waitcnt vmcnt(5)
	v_fmac_f32_e32 v144, v124, v151
	ds_load_2addr_b64 v[121:124], v2 offset0:47 offset1:48
	s_waitcnt lgkmcnt(1)
	v_fmac_f32_e32 v144, v125, v117
	s_delay_alu instid0(VALU_DEP_1) | instskip(NEXT) | instid1(VALU_DEP_1)
	v_fmac_f32_e32 v144, v126, v118
	v_fmac_f32_e32 v144, v127, v119
	s_waitcnt vmcnt(4)
	s_delay_alu instid0(VALU_DEP_1) | instskip(SKIP_3) | instid1(VALU_DEP_1)
	v_fmac_f32_e32 v144, v128, v120
	ds_load_2addr_b64 v[117:120], v2 offset0:49 offset1:50
	s_waitcnt lgkmcnt(1)
	v_fmac_f32_e32 v144, v129, v121
	v_fmac_f32_e32 v144, v130, v122
	s_delay_alu instid0(VALU_DEP_1) | instskip(SKIP_1) | instid1(VALU_DEP_1)
	v_fmac_f32_e32 v144, v131, v123
	s_waitcnt vmcnt(3)
	v_fmac_f32_e32 v144, v132, v124
	ds_load_2addr_b64 v[121:124], v2 offset0:51 offset1:52
	s_waitcnt lgkmcnt(1)
	v_fmac_f32_e32 v144, v133, v117
	s_delay_alu instid0(VALU_DEP_1) | instskip(NEXT) | instid1(VALU_DEP_1)
	v_fmac_f32_e32 v144, v134, v118
	v_fmac_f32_e32 v144, v135, v119
	s_waitcnt vmcnt(2)
	s_delay_alu instid0(VALU_DEP_1) | instskip(SKIP_4) | instid1(VALU_DEP_1)
	v_fmac_f32_e32 v144, v136, v120
	ds_load_2addr_b64 v[117:120], v2 offset0:53 offset1:54
	ds_load_b64 v[2:3], v2 offset:440
	s_waitcnt lgkmcnt(2)
	v_fmac_f32_e32 v144, v137, v121
	v_fmac_f32_e32 v144, v138, v122
	s_delay_alu instid0(VALU_DEP_1) | instskip(SKIP_1) | instid1(VALU_DEP_1)
	v_fmac_f32_e32 v144, v139, v123
	s_waitcnt vmcnt(1)
	v_fmac_f32_e32 v144, v140, v124
	s_waitcnt lgkmcnt(1)
	s_delay_alu instid0(VALU_DEP_1) | instskip(NEXT) | instid1(VALU_DEP_1)
	v_fmac_f32_e32 v144, v141, v117
	v_fmac_f32_e32 v144, v142, v118
	s_delay_alu instid0(VALU_DEP_1) | instskip(SKIP_1) | instid1(VALU_DEP_1)
	v_fmac_f32_e32 v144, v143, v119
	s_waitcnt vmcnt(0)
	v_fmac_f32_e32 v144, v152, v120
	s_waitcnt lgkmcnt(0)
	s_delay_alu instid0(VALU_DEP_1) | instskip(NEXT) | instid1(VALU_DEP_1)
	v_fmac_f32_e32 v144, v153, v2
	v_fmac_f32_e32 v144, v154, v3
	s_delay_alu instid0(VALU_DEP_1)
	v_sub_f32_e32 v2, v116, v144
	scratch_store_b32 off, v2, off offset:100
	v_cmpx_lt_u32_e32 24, v0
	s_cbranch_execz .LBB55_295
; %bb.294:
	scratch_load_b32 v2, off, off offset:96
	v_mov_b32_e32 v3, 0
	scratch_store_b32 off, v3, off offset:96
	s_waitcnt vmcnt(0)
	ds_store_b32 v1, v2
.LBB55_295:
	s_or_b32 exec_lo, exec_lo, s0
	s_waitcnt lgkmcnt(0)
	s_waitcnt_vscnt null, 0x0
	s_barrier
	buffer_gl0_inv
	s_clause 0x7
	scratch_load_b128 v[116:119], off, off offset:96
	scratch_load_b128 v[120:123], off, off offset:112
	;; [unrolled: 1-line block ×8, first 2 shown]
	v_mov_b32_e32 v2, 0
	ds_load_2addr_b32 v[148:149], v2 offset0:81 offset1:82
	ds_load_2addr_b32 v[150:151], v2 offset0:83 offset1:84
	;; [unrolled: 1-line block ×4, first 2 shown]
	s_mov_b32 s0, exec_lo
	s_waitcnt vmcnt(7) lgkmcnt(3)
	v_fma_f32 v3, v117, v148, 0
	s_delay_alu instid0(VALU_DEP_1) | instskip(SKIP_4) | instid1(VALU_DEP_1)
	v_fmac_f32_e32 v3, v118, v149
	ds_load_2addr_b32 v[117:118], v2 offset0:89 offset1:90
	s_waitcnt lgkmcnt(3)
	v_fmac_f32_e32 v3, v119, v150
	s_waitcnt vmcnt(6)
	v_fmac_f32_e32 v3, v120, v151
	ds_load_2addr_b32 v[119:120], v2 offset0:91 offset1:92
	s_waitcnt lgkmcnt(3)
	v_fmac_f32_e32 v3, v121, v152
	s_delay_alu instid0(VALU_DEP_1) | instskip(SKIP_1) | instid1(VALU_DEP_1)
	v_fmac_f32_e32 v3, v122, v153
	s_waitcnt lgkmcnt(2)
	v_fmac_f32_e32 v3, v123, v154
	s_waitcnt vmcnt(5)
	s_delay_alu instid0(VALU_DEP_1) | instskip(SKIP_4) | instid1(VALU_DEP_1)
	v_fmac_f32_e32 v3, v124, v155
	ds_load_2addr_b32 v[121:122], v2 offset0:93 offset1:94
	ds_load_2addr_b32 v[123:124], v2 offset0:95 offset1:96
	s_waitcnt lgkmcnt(3)
	v_fmac_f32_e32 v3, v125, v117
	v_fmac_f32_e32 v3, v126, v118
	ds_load_2addr_b32 v[117:118], v2 offset0:97 offset1:98
	s_waitcnt lgkmcnt(3)
	v_fmac_f32_e32 v3, v127, v119
	s_waitcnt vmcnt(4)
	s_delay_alu instid0(VALU_DEP_1) | instskip(SKIP_3) | instid1(VALU_DEP_1)
	v_fmac_f32_e32 v3, v128, v120
	ds_load_2addr_b32 v[119:120], v2 offset0:99 offset1:100
	s_waitcnt lgkmcnt(3)
	v_fmac_f32_e32 v3, v129, v121
	v_fmac_f32_e32 v3, v130, v122
	s_waitcnt lgkmcnt(2)
	s_delay_alu instid0(VALU_DEP_1) | instskip(SKIP_1) | instid1(VALU_DEP_1)
	v_fmac_f32_e32 v3, v131, v123
	s_waitcnt vmcnt(3)
	v_fmac_f32_e32 v3, v132, v124
	ds_load_2addr_b32 v[121:122], v2 offset0:101 offset1:102
	ds_load_2addr_b32 v[123:124], v2 offset0:103 offset1:104
	s_waitcnt lgkmcnt(3)
	v_fmac_f32_e32 v3, v133, v117
	s_delay_alu instid0(VALU_DEP_1) | instskip(SKIP_4) | instid1(VALU_DEP_1)
	v_fmac_f32_e32 v3, v134, v118
	ds_load_2addr_b32 v[117:118], v2 offset0:105 offset1:106
	s_waitcnt lgkmcnt(3)
	v_fmac_f32_e32 v3, v135, v119
	s_waitcnt vmcnt(2)
	v_fmac_f32_e32 v3, v136, v120
	ds_load_2addr_b32 v[119:120], v2 offset0:107 offset1:108
	s_waitcnt lgkmcnt(3)
	v_fmac_f32_e32 v3, v137, v121
	s_delay_alu instid0(VALU_DEP_1) | instskip(SKIP_1) | instid1(VALU_DEP_1)
	v_fmac_f32_e32 v3, v138, v122
	s_waitcnt lgkmcnt(2)
	v_fmac_f32_e32 v3, v139, v123
	ds_load_2addr_b32 v[121:122], v2 offset0:109 offset1:110
	ds_load_b32 v123, v2 offset:444
	s_waitcnt vmcnt(1)
	v_fmac_f32_e32 v3, v140, v124
	s_waitcnt lgkmcnt(3)
	s_delay_alu instid0(VALU_DEP_1) | instskip(NEXT) | instid1(VALU_DEP_1)
	v_fmac_f32_e32 v3, v141, v117
	v_fmac_f32_e32 v3, v142, v118
	s_waitcnt lgkmcnt(2)
	s_delay_alu instid0(VALU_DEP_1) | instskip(SKIP_1) | instid1(VALU_DEP_1)
	v_fmac_f32_e32 v3, v143, v119
	s_waitcnt vmcnt(0)
	v_fmac_f32_e32 v3, v144, v120
	s_waitcnt lgkmcnt(1)
	s_delay_alu instid0(VALU_DEP_1) | instskip(NEXT) | instid1(VALU_DEP_1)
	v_fmac_f32_e32 v3, v145, v121
	v_fmac_f32_e32 v3, v146, v122
	s_waitcnt lgkmcnt(0)
	s_delay_alu instid0(VALU_DEP_1) | instskip(NEXT) | instid1(VALU_DEP_1)
	v_fmac_f32_e32 v3, v147, v123
	v_sub_f32_e32 v3, v116, v3
	scratch_store_b32 off, v3, off offset:96
	v_cmpx_lt_u32_e32 23, v0
	s_cbranch_execz .LBB55_297
; %bb.296:
	scratch_load_b32 v3, off, off offset:92
	scratch_store_b32 off, v2, off offset:92
	s_waitcnt vmcnt(0)
	ds_store_b32 v1, v3
.LBB55_297:
	s_or_b32 exec_lo, exec_lo, s0
	s_waitcnt lgkmcnt(0)
	s_waitcnt_vscnt null, 0x0
	s_barrier
	buffer_gl0_inv
	s_clause 0x8
	scratch_load_b128 v[116:119], off, off offset:92
	scratch_load_b128 v[120:123], off, off offset:108
	;; [unrolled: 1-line block ×8, first 2 shown]
	scratch_load_b32 v3, off, off offset:220
	ds_load_b128 v[148:151], v2 offset:320
	ds_load_b128 v[152:155], v2 offset:336
	s_mov_b32 s0, exec_lo
	s_waitcnt vmcnt(8) lgkmcnt(1)
	v_fma_f32 v148, v117, v148, 0
	s_delay_alu instid0(VALU_DEP_1) | instskip(NEXT) | instid1(VALU_DEP_1)
	v_fmac_f32_e32 v148, v118, v149
	v_fmac_f32_e32 v148, v119, v150
	s_waitcnt vmcnt(7)
	s_delay_alu instid0(VALU_DEP_1) | instskip(SKIP_3) | instid1(VALU_DEP_1)
	v_fmac_f32_e32 v148, v120, v151
	ds_load_b128 v[117:120], v2 offset:352
	s_waitcnt lgkmcnt(1)
	v_fmac_f32_e32 v148, v121, v152
	v_fmac_f32_e32 v148, v122, v153
	s_delay_alu instid0(VALU_DEP_1) | instskip(SKIP_1) | instid1(VALU_DEP_1)
	v_fmac_f32_e32 v148, v123, v154
	s_waitcnt vmcnt(6)
	v_fmac_f32_e32 v148, v124, v155
	ds_load_b128 v[121:124], v2 offset:368
	s_waitcnt lgkmcnt(1)
	v_fmac_f32_e32 v148, v125, v117
	s_delay_alu instid0(VALU_DEP_1) | instskip(NEXT) | instid1(VALU_DEP_1)
	v_fmac_f32_e32 v148, v126, v118
	v_fmac_f32_e32 v148, v127, v119
	s_waitcnt vmcnt(5)
	s_delay_alu instid0(VALU_DEP_1) | instskip(SKIP_3) | instid1(VALU_DEP_1)
	v_fmac_f32_e32 v148, v128, v120
	ds_load_b128 v[117:120], v2 offset:384
	s_waitcnt lgkmcnt(1)
	v_fmac_f32_e32 v148, v129, v121
	v_fmac_f32_e32 v148, v130, v122
	s_delay_alu instid0(VALU_DEP_1) | instskip(SKIP_1) | instid1(VALU_DEP_1)
	v_fmac_f32_e32 v148, v131, v123
	s_waitcnt vmcnt(4)
	v_fmac_f32_e32 v148, v132, v124
	ds_load_b128 v[121:124], v2 offset:400
	s_waitcnt lgkmcnt(1)
	v_fmac_f32_e32 v148, v133, v117
	;; [unrolled: 17-line block ×3, first 2 shown]
	s_delay_alu instid0(VALU_DEP_1) | instskip(NEXT) | instid1(VALU_DEP_1)
	v_fmac_f32_e32 v148, v142, v118
	v_fmac_f32_e32 v148, v143, v119
	s_waitcnt vmcnt(1)
	s_delay_alu instid0(VALU_DEP_1) | instskip(SKIP_1) | instid1(VALU_DEP_1)
	v_fmac_f32_e32 v148, v144, v120
	s_waitcnt lgkmcnt(0)
	v_fmac_f32_e32 v148, v145, v121
	s_delay_alu instid0(VALU_DEP_1) | instskip(NEXT) | instid1(VALU_DEP_1)
	v_fmac_f32_e32 v148, v146, v122
	v_fmac_f32_e32 v148, v147, v123
	s_waitcnt vmcnt(0)
	s_delay_alu instid0(VALU_DEP_1) | instskip(NEXT) | instid1(VALU_DEP_1)
	v_fmac_f32_e32 v148, v3, v124
	v_sub_f32_e32 v2, v116, v148
	scratch_store_b32 off, v2, off offset:92
	v_cmpx_lt_u32_e32 22, v0
	s_cbranch_execz .LBB55_299
; %bb.298:
	scratch_load_b32 v2, off, off offset:88
	v_mov_b32_e32 v3, 0
	scratch_store_b32 off, v3, off offset:88
	s_waitcnt vmcnt(0)
	ds_store_b32 v1, v2
.LBB55_299:
	s_or_b32 exec_lo, exec_lo, s0
	s_waitcnt lgkmcnt(0)
	s_waitcnt_vscnt null, 0x0
	s_barrier
	buffer_gl0_inv
	s_clause 0x8
	scratch_load_b128 v[116:119], off, off offset:88
	scratch_load_b128 v[120:123], off, off offset:104
	;; [unrolled: 1-line block ×8, first 2 shown]
	scratch_load_b64 v[148:149], off, off offset:216
	v_mov_b32_e32 v2, 0
	ds_load_2addr_b32 v[150:151], v2 offset0:79 offset1:80
	ds_load_2addr_b32 v[152:153], v2 offset0:81 offset1:82
	;; [unrolled: 1-line block ×4, first 2 shown]
	s_mov_b32 s0, exec_lo
	s_waitcnt vmcnt(8) lgkmcnt(3)
	v_fma_f32 v3, v117, v150, 0
	s_delay_alu instid0(VALU_DEP_1) | instskip(SKIP_4) | instid1(VALU_DEP_1)
	v_fmac_f32_e32 v3, v118, v151
	ds_load_2addr_b32 v[117:118], v2 offset0:87 offset1:88
	s_waitcnt lgkmcnt(3)
	v_fmac_f32_e32 v3, v119, v152
	s_waitcnt vmcnt(7)
	v_fmac_f32_e32 v3, v120, v153
	ds_load_2addr_b32 v[119:120], v2 offset0:89 offset1:90
	s_waitcnt lgkmcnt(3)
	v_fmac_f32_e32 v3, v121, v154
	s_delay_alu instid0(VALU_DEP_1) | instskip(SKIP_1) | instid1(VALU_DEP_1)
	v_fmac_f32_e32 v3, v122, v155
	s_waitcnt lgkmcnt(2)
	v_fmac_f32_e32 v3, v123, v156
	s_waitcnt vmcnt(6)
	s_delay_alu instid0(VALU_DEP_1) | instskip(SKIP_4) | instid1(VALU_DEP_1)
	v_fmac_f32_e32 v3, v124, v157
	ds_load_2addr_b32 v[121:122], v2 offset0:91 offset1:92
	ds_load_2addr_b32 v[123:124], v2 offset0:93 offset1:94
	s_waitcnt lgkmcnt(3)
	v_fmac_f32_e32 v3, v125, v117
	v_fmac_f32_e32 v3, v126, v118
	ds_load_2addr_b32 v[117:118], v2 offset0:95 offset1:96
	s_waitcnt lgkmcnt(3)
	v_fmac_f32_e32 v3, v127, v119
	s_waitcnt vmcnt(5)
	s_delay_alu instid0(VALU_DEP_1) | instskip(SKIP_3) | instid1(VALU_DEP_1)
	v_fmac_f32_e32 v3, v128, v120
	ds_load_2addr_b32 v[119:120], v2 offset0:97 offset1:98
	s_waitcnt lgkmcnt(3)
	v_fmac_f32_e32 v3, v129, v121
	v_fmac_f32_e32 v3, v130, v122
	s_waitcnt lgkmcnt(2)
	s_delay_alu instid0(VALU_DEP_1) | instskip(SKIP_1) | instid1(VALU_DEP_1)
	v_fmac_f32_e32 v3, v131, v123
	s_waitcnt vmcnt(4)
	v_fmac_f32_e32 v3, v132, v124
	ds_load_2addr_b32 v[121:122], v2 offset0:99 offset1:100
	ds_load_2addr_b32 v[123:124], v2 offset0:101 offset1:102
	s_waitcnt lgkmcnt(3)
	v_fmac_f32_e32 v3, v133, v117
	s_delay_alu instid0(VALU_DEP_1) | instskip(SKIP_4) | instid1(VALU_DEP_1)
	v_fmac_f32_e32 v3, v134, v118
	ds_load_2addr_b32 v[117:118], v2 offset0:103 offset1:104
	s_waitcnt lgkmcnt(3)
	v_fmac_f32_e32 v3, v135, v119
	s_waitcnt vmcnt(3)
	v_fmac_f32_e32 v3, v136, v120
	ds_load_2addr_b32 v[119:120], v2 offset0:105 offset1:106
	s_waitcnt lgkmcnt(3)
	v_fmac_f32_e32 v3, v137, v121
	s_delay_alu instid0(VALU_DEP_1) | instskip(SKIP_1) | instid1(VALU_DEP_1)
	v_fmac_f32_e32 v3, v138, v122
	s_waitcnt lgkmcnt(2)
	v_fmac_f32_e32 v3, v139, v123
	s_waitcnt vmcnt(2)
	s_delay_alu instid0(VALU_DEP_1)
	v_fmac_f32_e32 v3, v140, v124
	ds_load_2addr_b32 v[121:122], v2 offset0:107 offset1:108
	ds_load_2addr_b32 v[123:124], v2 offset0:109 offset1:110
	s_waitcnt lgkmcnt(3)
	v_fmac_f32_e32 v3, v141, v117
	ds_load_b32 v117, v2 offset:444
	v_fmac_f32_e32 v3, v142, v118
	s_waitcnt lgkmcnt(3)
	s_delay_alu instid0(VALU_DEP_1) | instskip(SKIP_1) | instid1(VALU_DEP_1)
	v_fmac_f32_e32 v3, v143, v119
	s_waitcnt vmcnt(1)
	v_fmac_f32_e32 v3, v144, v120
	s_waitcnt lgkmcnt(2)
	s_delay_alu instid0(VALU_DEP_1) | instskip(NEXT) | instid1(VALU_DEP_1)
	v_fmac_f32_e32 v3, v145, v121
	v_fmac_f32_e32 v3, v146, v122
	s_waitcnt lgkmcnt(1)
	s_delay_alu instid0(VALU_DEP_1) | instskip(SKIP_1) | instid1(VALU_DEP_1)
	v_fmac_f32_e32 v3, v147, v123
	s_waitcnt vmcnt(0)
	v_fmac_f32_e32 v3, v148, v124
	s_waitcnt lgkmcnt(0)
	s_delay_alu instid0(VALU_DEP_1) | instskip(NEXT) | instid1(VALU_DEP_1)
	v_fmac_f32_e32 v3, v149, v117
	v_sub_f32_e32 v3, v116, v3
	scratch_store_b32 off, v3, off offset:88
	v_cmpx_lt_u32_e32 21, v0
	s_cbranch_execz .LBB55_301
; %bb.300:
	scratch_load_b32 v3, off, off offset:84
	scratch_store_b32 off, v2, off offset:84
	s_waitcnt vmcnt(0)
	ds_store_b32 v1, v3
.LBB55_301:
	s_or_b32 exec_lo, exec_lo, s0
	s_waitcnt lgkmcnt(0)
	s_waitcnt_vscnt null, 0x0
	s_barrier
	buffer_gl0_inv
	s_clause 0x8
	scratch_load_b128 v[116:119], off, off offset:84
	scratch_load_b128 v[120:123], off, off offset:100
	scratch_load_b128 v[124:127], off, off offset:116
	scratch_load_b128 v[128:131], off, off offset:132
	scratch_load_b128 v[132:135], off, off offset:148
	scratch_load_b128 v[136:139], off, off offset:164
	scratch_load_b128 v[140:143], off, off offset:180
	scratch_load_b128 v[144:147], off, off offset:196
	scratch_load_b96 v[156:158], off, off offset:212
	ds_load_2addr_b64 v[148:151], v2 offset0:39 offset1:40
	ds_load_2addr_b64 v[152:155], v2 offset0:41 offset1:42
	s_mov_b32 s0, exec_lo
	s_waitcnt vmcnt(8) lgkmcnt(1)
	v_fma_f32 v148, v117, v148, 0
	s_delay_alu instid0(VALU_DEP_1) | instskip(NEXT) | instid1(VALU_DEP_1)
	v_fmac_f32_e32 v148, v118, v149
	v_fmac_f32_e32 v148, v119, v150
	s_waitcnt vmcnt(7)
	s_delay_alu instid0(VALU_DEP_1) | instskip(SKIP_3) | instid1(VALU_DEP_1)
	v_fmac_f32_e32 v148, v120, v151
	ds_load_2addr_b64 v[117:120], v2 offset0:43 offset1:44
	s_waitcnt lgkmcnt(1)
	v_fmac_f32_e32 v148, v121, v152
	v_fmac_f32_e32 v148, v122, v153
	s_delay_alu instid0(VALU_DEP_1) | instskip(SKIP_1) | instid1(VALU_DEP_1)
	v_fmac_f32_e32 v148, v123, v154
	s_waitcnt vmcnt(6)
	v_fmac_f32_e32 v148, v124, v155
	ds_load_2addr_b64 v[121:124], v2 offset0:45 offset1:46
	s_waitcnt lgkmcnt(1)
	v_fmac_f32_e32 v148, v125, v117
	s_delay_alu instid0(VALU_DEP_1) | instskip(NEXT) | instid1(VALU_DEP_1)
	v_fmac_f32_e32 v148, v126, v118
	v_fmac_f32_e32 v148, v127, v119
	s_waitcnt vmcnt(5)
	s_delay_alu instid0(VALU_DEP_1) | instskip(SKIP_3) | instid1(VALU_DEP_1)
	v_fmac_f32_e32 v148, v128, v120
	ds_load_2addr_b64 v[117:120], v2 offset0:47 offset1:48
	s_waitcnt lgkmcnt(1)
	v_fmac_f32_e32 v148, v129, v121
	v_fmac_f32_e32 v148, v130, v122
	s_delay_alu instid0(VALU_DEP_1) | instskip(SKIP_1) | instid1(VALU_DEP_1)
	v_fmac_f32_e32 v148, v131, v123
	s_waitcnt vmcnt(4)
	v_fmac_f32_e32 v148, v132, v124
	ds_load_2addr_b64 v[121:124], v2 offset0:49 offset1:50
	s_waitcnt lgkmcnt(1)
	v_fmac_f32_e32 v148, v133, v117
	s_delay_alu instid0(VALU_DEP_1) | instskip(NEXT) | instid1(VALU_DEP_1)
	v_fmac_f32_e32 v148, v134, v118
	v_fmac_f32_e32 v148, v135, v119
	s_waitcnt vmcnt(3)
	s_delay_alu instid0(VALU_DEP_1) | instskip(SKIP_3) | instid1(VALU_DEP_1)
	v_fmac_f32_e32 v148, v136, v120
	ds_load_2addr_b64 v[117:120], v2 offset0:51 offset1:52
	s_waitcnt lgkmcnt(1)
	v_fmac_f32_e32 v148, v137, v121
	v_fmac_f32_e32 v148, v138, v122
	s_delay_alu instid0(VALU_DEP_1) | instskip(SKIP_1) | instid1(VALU_DEP_1)
	v_fmac_f32_e32 v148, v139, v123
	s_waitcnt vmcnt(2)
	v_fmac_f32_e32 v148, v140, v124
	ds_load_2addr_b64 v[121:124], v2 offset0:53 offset1:54
	ds_load_b64 v[2:3], v2 offset:440
	s_waitcnt lgkmcnt(2)
	v_fmac_f32_e32 v148, v141, v117
	s_delay_alu instid0(VALU_DEP_1) | instskip(NEXT) | instid1(VALU_DEP_1)
	v_fmac_f32_e32 v148, v142, v118
	v_fmac_f32_e32 v148, v143, v119
	s_waitcnt vmcnt(1)
	s_delay_alu instid0(VALU_DEP_1) | instskip(SKIP_1) | instid1(VALU_DEP_1)
	v_fmac_f32_e32 v148, v144, v120
	s_waitcnt lgkmcnt(1)
	v_fmac_f32_e32 v148, v145, v121
	s_delay_alu instid0(VALU_DEP_1) | instskip(NEXT) | instid1(VALU_DEP_1)
	v_fmac_f32_e32 v148, v146, v122
	v_fmac_f32_e32 v148, v147, v123
	s_waitcnt vmcnt(0)
	s_delay_alu instid0(VALU_DEP_1) | instskip(SKIP_1) | instid1(VALU_DEP_1)
	v_fmac_f32_e32 v148, v156, v124
	s_waitcnt lgkmcnt(0)
	v_fmac_f32_e32 v148, v157, v2
	s_delay_alu instid0(VALU_DEP_1) | instskip(NEXT) | instid1(VALU_DEP_1)
	v_fmac_f32_e32 v148, v158, v3
	v_sub_f32_e32 v2, v116, v148
	scratch_store_b32 off, v2, off offset:84
	v_cmpx_lt_u32_e32 20, v0
	s_cbranch_execz .LBB55_303
; %bb.302:
	scratch_load_b32 v2, off, off offset:80
	v_mov_b32_e32 v3, 0
	scratch_store_b32 off, v3, off offset:80
	s_waitcnt vmcnt(0)
	ds_store_b32 v1, v2
.LBB55_303:
	s_or_b32 exec_lo, exec_lo, s0
	s_waitcnt lgkmcnt(0)
	s_waitcnt_vscnt null, 0x0
	s_barrier
	buffer_gl0_inv
	s_clause 0x8
	scratch_load_b128 v[116:119], off, off offset:80
	scratch_load_b128 v[120:123], off, off offset:96
	scratch_load_b128 v[124:127], off, off offset:112
	scratch_load_b128 v[128:131], off, off offset:128
	scratch_load_b128 v[132:135], off, off offset:144
	scratch_load_b128 v[136:139], off, off offset:160
	scratch_load_b128 v[140:143], off, off offset:176
	scratch_load_b128 v[144:147], off, off offset:192
	scratch_load_b128 v[148:151], off, off offset:208
	v_mov_b32_e32 v2, 0
	ds_load_2addr_b32 v[152:153], v2 offset0:77 offset1:78
	ds_load_2addr_b32 v[154:155], v2 offset0:79 offset1:80
	;; [unrolled: 1-line block ×4, first 2 shown]
	s_mov_b32 s0, exec_lo
	s_waitcnt vmcnt(8) lgkmcnt(3)
	v_fma_f32 v3, v117, v152, 0
	s_delay_alu instid0(VALU_DEP_1) | instskip(SKIP_4) | instid1(VALU_DEP_1)
	v_fmac_f32_e32 v3, v118, v153
	ds_load_2addr_b32 v[117:118], v2 offset0:85 offset1:86
	s_waitcnt lgkmcnt(3)
	v_fmac_f32_e32 v3, v119, v154
	s_waitcnt vmcnt(7)
	v_fmac_f32_e32 v3, v120, v155
	ds_load_2addr_b32 v[119:120], v2 offset0:87 offset1:88
	s_waitcnt lgkmcnt(3)
	v_fmac_f32_e32 v3, v121, v156
	s_delay_alu instid0(VALU_DEP_1) | instskip(SKIP_1) | instid1(VALU_DEP_1)
	v_fmac_f32_e32 v3, v122, v157
	s_waitcnt lgkmcnt(2)
	v_fmac_f32_e32 v3, v123, v158
	s_waitcnt vmcnt(6)
	s_delay_alu instid0(VALU_DEP_1) | instskip(SKIP_4) | instid1(VALU_DEP_1)
	v_fmac_f32_e32 v3, v124, v159
	ds_load_2addr_b32 v[121:122], v2 offset0:89 offset1:90
	ds_load_2addr_b32 v[123:124], v2 offset0:91 offset1:92
	s_waitcnt lgkmcnt(3)
	v_fmac_f32_e32 v3, v125, v117
	v_fmac_f32_e32 v3, v126, v118
	ds_load_2addr_b32 v[117:118], v2 offset0:93 offset1:94
	s_waitcnt lgkmcnt(3)
	v_fmac_f32_e32 v3, v127, v119
	s_waitcnt vmcnt(5)
	s_delay_alu instid0(VALU_DEP_1) | instskip(SKIP_3) | instid1(VALU_DEP_1)
	v_fmac_f32_e32 v3, v128, v120
	ds_load_2addr_b32 v[119:120], v2 offset0:95 offset1:96
	s_waitcnt lgkmcnt(3)
	v_fmac_f32_e32 v3, v129, v121
	v_fmac_f32_e32 v3, v130, v122
	s_waitcnt lgkmcnt(2)
	s_delay_alu instid0(VALU_DEP_1) | instskip(SKIP_1) | instid1(VALU_DEP_1)
	v_fmac_f32_e32 v3, v131, v123
	s_waitcnt vmcnt(4)
	v_fmac_f32_e32 v3, v132, v124
	ds_load_2addr_b32 v[121:122], v2 offset0:97 offset1:98
	ds_load_2addr_b32 v[123:124], v2 offset0:99 offset1:100
	s_waitcnt lgkmcnt(3)
	v_fmac_f32_e32 v3, v133, v117
	s_delay_alu instid0(VALU_DEP_1) | instskip(SKIP_4) | instid1(VALU_DEP_1)
	v_fmac_f32_e32 v3, v134, v118
	ds_load_2addr_b32 v[117:118], v2 offset0:101 offset1:102
	s_waitcnt lgkmcnt(3)
	v_fmac_f32_e32 v3, v135, v119
	s_waitcnt vmcnt(3)
	v_fmac_f32_e32 v3, v136, v120
	ds_load_2addr_b32 v[119:120], v2 offset0:103 offset1:104
	s_waitcnt lgkmcnt(3)
	v_fmac_f32_e32 v3, v137, v121
	s_delay_alu instid0(VALU_DEP_1) | instskip(SKIP_1) | instid1(VALU_DEP_1)
	v_fmac_f32_e32 v3, v138, v122
	s_waitcnt lgkmcnt(2)
	v_fmac_f32_e32 v3, v139, v123
	s_waitcnt vmcnt(2)
	s_delay_alu instid0(VALU_DEP_1) | instskip(SKIP_4) | instid1(VALU_DEP_1)
	v_fmac_f32_e32 v3, v140, v124
	ds_load_2addr_b32 v[121:122], v2 offset0:105 offset1:106
	ds_load_2addr_b32 v[123:124], v2 offset0:107 offset1:108
	s_waitcnt lgkmcnt(3)
	v_fmac_f32_e32 v3, v141, v117
	v_fmac_f32_e32 v3, v142, v118
	ds_load_2addr_b32 v[117:118], v2 offset0:109 offset1:110
	s_waitcnt lgkmcnt(3)
	v_fmac_f32_e32 v3, v143, v119
	ds_load_b32 v119, v2 offset:444
	s_waitcnt vmcnt(1)
	v_fmac_f32_e32 v3, v144, v120
	s_waitcnt lgkmcnt(3)
	s_delay_alu instid0(VALU_DEP_1) | instskip(NEXT) | instid1(VALU_DEP_1)
	v_fmac_f32_e32 v3, v145, v121
	v_fmac_f32_e32 v3, v146, v122
	s_waitcnt lgkmcnt(2)
	s_delay_alu instid0(VALU_DEP_1) | instskip(SKIP_1) | instid1(VALU_DEP_1)
	v_fmac_f32_e32 v3, v147, v123
	s_waitcnt vmcnt(0)
	v_fmac_f32_e32 v3, v148, v124
	s_waitcnt lgkmcnt(1)
	s_delay_alu instid0(VALU_DEP_1) | instskip(NEXT) | instid1(VALU_DEP_1)
	v_fmac_f32_e32 v3, v149, v117
	v_fmac_f32_e32 v3, v150, v118
	s_waitcnt lgkmcnt(0)
	s_delay_alu instid0(VALU_DEP_1) | instskip(NEXT) | instid1(VALU_DEP_1)
	v_fmac_f32_e32 v3, v151, v119
	v_sub_f32_e32 v3, v116, v3
	scratch_store_b32 off, v3, off offset:80
	v_cmpx_lt_u32_e32 19, v0
	s_cbranch_execz .LBB55_305
; %bb.304:
	scratch_load_b32 v3, off, off offset:76
	scratch_store_b32 off, v2, off offset:76
	s_waitcnt vmcnt(0)
	ds_store_b32 v1, v3
.LBB55_305:
	s_or_b32 exec_lo, exec_lo, s0
	s_waitcnt lgkmcnt(0)
	s_waitcnt_vscnt null, 0x0
	s_barrier
	buffer_gl0_inv
	s_clause 0x9
	scratch_load_b128 v[116:119], off, off offset:76
	scratch_load_b128 v[120:123], off, off offset:92
	;; [unrolled: 1-line block ×9, first 2 shown]
	scratch_load_b32 v3, off, off offset:220
	ds_load_b128 v[152:155], v2 offset:304
	ds_load_b128 v[156:159], v2 offset:320
	s_mov_b32 s0, exec_lo
	s_waitcnt vmcnt(9) lgkmcnt(1)
	v_fma_f32 v152, v117, v152, 0
	s_delay_alu instid0(VALU_DEP_1) | instskip(NEXT) | instid1(VALU_DEP_1)
	v_fmac_f32_e32 v152, v118, v153
	v_fmac_f32_e32 v152, v119, v154
	s_waitcnt vmcnt(8)
	s_delay_alu instid0(VALU_DEP_1) | instskip(SKIP_3) | instid1(VALU_DEP_1)
	v_fmac_f32_e32 v152, v120, v155
	ds_load_b128 v[117:120], v2 offset:336
	s_waitcnt lgkmcnt(1)
	v_fmac_f32_e32 v152, v121, v156
	v_fmac_f32_e32 v152, v122, v157
	s_delay_alu instid0(VALU_DEP_1) | instskip(SKIP_1) | instid1(VALU_DEP_1)
	v_fmac_f32_e32 v152, v123, v158
	s_waitcnt vmcnt(7)
	v_fmac_f32_e32 v152, v124, v159
	ds_load_b128 v[121:124], v2 offset:352
	s_waitcnt lgkmcnt(1)
	v_fmac_f32_e32 v152, v125, v117
	s_delay_alu instid0(VALU_DEP_1) | instskip(NEXT) | instid1(VALU_DEP_1)
	v_fmac_f32_e32 v152, v126, v118
	v_fmac_f32_e32 v152, v127, v119
	s_waitcnt vmcnt(6)
	s_delay_alu instid0(VALU_DEP_1) | instskip(SKIP_3) | instid1(VALU_DEP_1)
	v_fmac_f32_e32 v152, v128, v120
	ds_load_b128 v[117:120], v2 offset:368
	s_waitcnt lgkmcnt(1)
	v_fmac_f32_e32 v152, v129, v121
	v_fmac_f32_e32 v152, v130, v122
	s_delay_alu instid0(VALU_DEP_1) | instskip(SKIP_1) | instid1(VALU_DEP_1)
	v_fmac_f32_e32 v152, v131, v123
	s_waitcnt vmcnt(5)
	v_fmac_f32_e32 v152, v132, v124
	ds_load_b128 v[121:124], v2 offset:384
	s_waitcnt lgkmcnt(1)
	v_fmac_f32_e32 v152, v133, v117
	;; [unrolled: 17-line block ×3, first 2 shown]
	s_delay_alu instid0(VALU_DEP_1) | instskip(NEXT) | instid1(VALU_DEP_1)
	v_fmac_f32_e32 v152, v142, v118
	v_fmac_f32_e32 v152, v143, v119
	s_waitcnt vmcnt(2)
	s_delay_alu instid0(VALU_DEP_1) | instskip(SKIP_3) | instid1(VALU_DEP_1)
	v_fmac_f32_e32 v152, v144, v120
	ds_load_b128 v[117:120], v2 offset:432
	s_waitcnt lgkmcnt(1)
	v_fmac_f32_e32 v152, v145, v121
	v_fmac_f32_e32 v152, v146, v122
	s_delay_alu instid0(VALU_DEP_1) | instskip(SKIP_1) | instid1(VALU_DEP_1)
	v_fmac_f32_e32 v152, v147, v123
	s_waitcnt vmcnt(1)
	v_fmac_f32_e32 v152, v148, v124
	s_waitcnt lgkmcnt(0)
	s_delay_alu instid0(VALU_DEP_1) | instskip(NEXT) | instid1(VALU_DEP_1)
	v_fmac_f32_e32 v152, v149, v117
	v_fmac_f32_e32 v152, v150, v118
	s_delay_alu instid0(VALU_DEP_1) | instskip(SKIP_1) | instid1(VALU_DEP_1)
	v_fmac_f32_e32 v152, v151, v119
	s_waitcnt vmcnt(0)
	v_fmac_f32_e32 v152, v3, v120
	s_delay_alu instid0(VALU_DEP_1)
	v_sub_f32_e32 v2, v116, v152
	scratch_store_b32 off, v2, off offset:76
	v_cmpx_lt_u32_e32 18, v0
	s_cbranch_execz .LBB55_307
; %bb.306:
	scratch_load_b32 v2, off, off offset:72
	v_mov_b32_e32 v3, 0
	scratch_store_b32 off, v3, off offset:72
	s_waitcnt vmcnt(0)
	ds_store_b32 v1, v2
.LBB55_307:
	s_or_b32 exec_lo, exec_lo, s0
	s_waitcnt lgkmcnt(0)
	s_waitcnt_vscnt null, 0x0
	s_barrier
	buffer_gl0_inv
	s_clause 0x9
	scratch_load_b128 v[116:119], off, off offset:72
	scratch_load_b128 v[120:123], off, off offset:88
	;; [unrolled: 1-line block ×9, first 2 shown]
	scratch_load_b64 v[152:153], off, off offset:216
	v_mov_b32_e32 v2, 0
	ds_load_2addr_b32 v[154:155], v2 offset0:75 offset1:76
	ds_load_2addr_b32 v[156:157], v2 offset0:77 offset1:78
	;; [unrolled: 1-line block ×4, first 2 shown]
	s_mov_b32 s0, exec_lo
	s_waitcnt vmcnt(9) lgkmcnt(3)
	v_fma_f32 v3, v117, v154, 0
	s_delay_alu instid0(VALU_DEP_1) | instskip(SKIP_4) | instid1(VALU_DEP_1)
	v_fmac_f32_e32 v3, v118, v155
	ds_load_2addr_b32 v[117:118], v2 offset0:83 offset1:84
	s_waitcnt lgkmcnt(3)
	v_fmac_f32_e32 v3, v119, v156
	s_waitcnt vmcnt(8)
	v_fmac_f32_e32 v3, v120, v157
	ds_load_2addr_b32 v[119:120], v2 offset0:85 offset1:86
	s_waitcnt lgkmcnt(3)
	v_fmac_f32_e32 v3, v121, v158
	s_delay_alu instid0(VALU_DEP_1) | instskip(SKIP_1) | instid1(VALU_DEP_1)
	v_fmac_f32_e32 v3, v122, v159
	s_waitcnt lgkmcnt(2)
	v_fmac_f32_e32 v3, v123, v160
	s_waitcnt vmcnt(7)
	s_delay_alu instid0(VALU_DEP_1) | instskip(SKIP_4) | instid1(VALU_DEP_1)
	v_fmac_f32_e32 v3, v124, v161
	ds_load_2addr_b32 v[121:122], v2 offset0:87 offset1:88
	ds_load_2addr_b32 v[123:124], v2 offset0:89 offset1:90
	s_waitcnt lgkmcnt(3)
	v_fmac_f32_e32 v3, v125, v117
	v_fmac_f32_e32 v3, v126, v118
	ds_load_2addr_b32 v[117:118], v2 offset0:91 offset1:92
	s_waitcnt lgkmcnt(3)
	v_fmac_f32_e32 v3, v127, v119
	s_waitcnt vmcnt(6)
	s_delay_alu instid0(VALU_DEP_1) | instskip(SKIP_3) | instid1(VALU_DEP_1)
	v_fmac_f32_e32 v3, v128, v120
	ds_load_2addr_b32 v[119:120], v2 offset0:93 offset1:94
	s_waitcnt lgkmcnt(3)
	v_fmac_f32_e32 v3, v129, v121
	v_fmac_f32_e32 v3, v130, v122
	s_waitcnt lgkmcnt(2)
	s_delay_alu instid0(VALU_DEP_1) | instskip(SKIP_1) | instid1(VALU_DEP_1)
	v_fmac_f32_e32 v3, v131, v123
	s_waitcnt vmcnt(5)
	v_fmac_f32_e32 v3, v132, v124
	ds_load_2addr_b32 v[121:122], v2 offset0:95 offset1:96
	ds_load_2addr_b32 v[123:124], v2 offset0:97 offset1:98
	s_waitcnt lgkmcnt(3)
	v_fmac_f32_e32 v3, v133, v117
	s_delay_alu instid0(VALU_DEP_1) | instskip(SKIP_4) | instid1(VALU_DEP_1)
	v_fmac_f32_e32 v3, v134, v118
	ds_load_2addr_b32 v[117:118], v2 offset0:99 offset1:100
	s_waitcnt lgkmcnt(3)
	v_fmac_f32_e32 v3, v135, v119
	s_waitcnt vmcnt(4)
	v_fmac_f32_e32 v3, v136, v120
	ds_load_2addr_b32 v[119:120], v2 offset0:101 offset1:102
	s_waitcnt lgkmcnt(3)
	v_fmac_f32_e32 v3, v137, v121
	s_delay_alu instid0(VALU_DEP_1) | instskip(SKIP_1) | instid1(VALU_DEP_1)
	v_fmac_f32_e32 v3, v138, v122
	s_waitcnt lgkmcnt(2)
	v_fmac_f32_e32 v3, v139, v123
	s_waitcnt vmcnt(3)
	s_delay_alu instid0(VALU_DEP_1) | instskip(SKIP_4) | instid1(VALU_DEP_1)
	v_fmac_f32_e32 v3, v140, v124
	ds_load_2addr_b32 v[121:122], v2 offset0:103 offset1:104
	ds_load_2addr_b32 v[123:124], v2 offset0:105 offset1:106
	s_waitcnt lgkmcnt(3)
	v_fmac_f32_e32 v3, v141, v117
	v_fmac_f32_e32 v3, v142, v118
	ds_load_2addr_b32 v[117:118], v2 offset0:107 offset1:108
	s_waitcnt lgkmcnt(3)
	v_fmac_f32_e32 v3, v143, v119
	s_waitcnt vmcnt(2)
	s_delay_alu instid0(VALU_DEP_1)
	v_fmac_f32_e32 v3, v144, v120
	ds_load_2addr_b32 v[119:120], v2 offset0:109 offset1:110
	s_waitcnt lgkmcnt(3)
	v_fmac_f32_e32 v3, v145, v121
	ds_load_b32 v121, v2 offset:444
	v_fmac_f32_e32 v3, v146, v122
	s_waitcnt lgkmcnt(3)
	s_delay_alu instid0(VALU_DEP_1) | instskip(SKIP_1) | instid1(VALU_DEP_1)
	v_fmac_f32_e32 v3, v147, v123
	s_waitcnt vmcnt(1)
	v_fmac_f32_e32 v3, v148, v124
	s_waitcnt lgkmcnt(2)
	s_delay_alu instid0(VALU_DEP_1) | instskip(NEXT) | instid1(VALU_DEP_1)
	v_fmac_f32_e32 v3, v149, v117
	v_fmac_f32_e32 v3, v150, v118
	s_waitcnt lgkmcnt(1)
	s_delay_alu instid0(VALU_DEP_1) | instskip(SKIP_1) | instid1(VALU_DEP_1)
	v_fmac_f32_e32 v3, v151, v119
	s_waitcnt vmcnt(0)
	v_fmac_f32_e32 v3, v152, v120
	s_waitcnt lgkmcnt(0)
	s_delay_alu instid0(VALU_DEP_1) | instskip(NEXT) | instid1(VALU_DEP_1)
	v_fmac_f32_e32 v3, v153, v121
	v_sub_f32_e32 v3, v116, v3
	scratch_store_b32 off, v3, off offset:72
	v_cmpx_lt_u32_e32 17, v0
	s_cbranch_execz .LBB55_309
; %bb.308:
	scratch_load_b32 v3, off, off offset:68
	scratch_store_b32 off, v2, off offset:68
	s_waitcnt vmcnt(0)
	ds_store_b32 v1, v3
.LBB55_309:
	s_or_b32 exec_lo, exec_lo, s0
	s_waitcnt lgkmcnt(0)
	s_waitcnt_vscnt null, 0x0
	s_barrier
	buffer_gl0_inv
	s_clause 0x9
	scratch_load_b128 v[116:119], off, off offset:68
	scratch_load_b128 v[120:123], off, off offset:84
	;; [unrolled: 1-line block ×9, first 2 shown]
	scratch_load_b96 v[160:162], off, off offset:212
	ds_load_2addr_b64 v[152:155], v2 offset0:37 offset1:38
	ds_load_2addr_b64 v[156:159], v2 offset0:39 offset1:40
	s_mov_b32 s0, exec_lo
	s_waitcnt vmcnt(9) lgkmcnt(1)
	v_fma_f32 v152, v117, v152, 0
	s_delay_alu instid0(VALU_DEP_1) | instskip(NEXT) | instid1(VALU_DEP_1)
	v_fmac_f32_e32 v152, v118, v153
	v_fmac_f32_e32 v152, v119, v154
	s_waitcnt vmcnt(8)
	s_delay_alu instid0(VALU_DEP_1) | instskip(SKIP_3) | instid1(VALU_DEP_1)
	v_fmac_f32_e32 v152, v120, v155
	ds_load_2addr_b64 v[117:120], v2 offset0:41 offset1:42
	s_waitcnt lgkmcnt(1)
	v_fmac_f32_e32 v152, v121, v156
	v_fmac_f32_e32 v152, v122, v157
	s_delay_alu instid0(VALU_DEP_1) | instskip(SKIP_1) | instid1(VALU_DEP_1)
	v_fmac_f32_e32 v152, v123, v158
	s_waitcnt vmcnt(7)
	v_fmac_f32_e32 v152, v124, v159
	ds_load_2addr_b64 v[121:124], v2 offset0:43 offset1:44
	s_waitcnt lgkmcnt(1)
	v_fmac_f32_e32 v152, v125, v117
	s_delay_alu instid0(VALU_DEP_1) | instskip(NEXT) | instid1(VALU_DEP_1)
	v_fmac_f32_e32 v152, v126, v118
	v_fmac_f32_e32 v152, v127, v119
	s_waitcnt vmcnt(6)
	s_delay_alu instid0(VALU_DEP_1) | instskip(SKIP_3) | instid1(VALU_DEP_1)
	v_fmac_f32_e32 v152, v128, v120
	ds_load_2addr_b64 v[117:120], v2 offset0:45 offset1:46
	s_waitcnt lgkmcnt(1)
	v_fmac_f32_e32 v152, v129, v121
	v_fmac_f32_e32 v152, v130, v122
	s_delay_alu instid0(VALU_DEP_1) | instskip(SKIP_1) | instid1(VALU_DEP_1)
	v_fmac_f32_e32 v152, v131, v123
	s_waitcnt vmcnt(5)
	v_fmac_f32_e32 v152, v132, v124
	ds_load_2addr_b64 v[121:124], v2 offset0:47 offset1:48
	s_waitcnt lgkmcnt(1)
	v_fmac_f32_e32 v152, v133, v117
	;; [unrolled: 17-line block ×3, first 2 shown]
	s_delay_alu instid0(VALU_DEP_1) | instskip(NEXT) | instid1(VALU_DEP_1)
	v_fmac_f32_e32 v152, v142, v118
	v_fmac_f32_e32 v152, v143, v119
	s_waitcnt vmcnt(2)
	s_delay_alu instid0(VALU_DEP_1) | instskip(SKIP_4) | instid1(VALU_DEP_1)
	v_fmac_f32_e32 v152, v144, v120
	ds_load_2addr_b64 v[117:120], v2 offset0:53 offset1:54
	ds_load_b64 v[2:3], v2 offset:440
	s_waitcnt lgkmcnt(2)
	v_fmac_f32_e32 v152, v145, v121
	v_fmac_f32_e32 v152, v146, v122
	s_delay_alu instid0(VALU_DEP_1) | instskip(SKIP_1) | instid1(VALU_DEP_1)
	v_fmac_f32_e32 v152, v147, v123
	s_waitcnt vmcnt(1)
	v_fmac_f32_e32 v152, v148, v124
	s_waitcnt lgkmcnt(1)
	s_delay_alu instid0(VALU_DEP_1) | instskip(NEXT) | instid1(VALU_DEP_1)
	v_fmac_f32_e32 v152, v149, v117
	v_fmac_f32_e32 v152, v150, v118
	s_delay_alu instid0(VALU_DEP_1) | instskip(SKIP_1) | instid1(VALU_DEP_1)
	v_fmac_f32_e32 v152, v151, v119
	s_waitcnt vmcnt(0)
	v_fmac_f32_e32 v152, v160, v120
	s_waitcnt lgkmcnt(0)
	s_delay_alu instid0(VALU_DEP_1) | instskip(NEXT) | instid1(VALU_DEP_1)
	v_fmac_f32_e32 v152, v161, v2
	v_fmac_f32_e32 v152, v162, v3
	s_delay_alu instid0(VALU_DEP_1)
	v_sub_f32_e32 v2, v116, v152
	scratch_store_b32 off, v2, off offset:68
	v_cmpx_lt_u32_e32 16, v0
	s_cbranch_execz .LBB55_311
; %bb.310:
	scratch_load_b32 v2, off, off offset:64
	v_mov_b32_e32 v3, 0
	scratch_store_b32 off, v3, off offset:64
	s_waitcnt vmcnt(0)
	ds_store_b32 v1, v2
.LBB55_311:
	s_or_b32 exec_lo, exec_lo, s0
	s_waitcnt lgkmcnt(0)
	s_waitcnt_vscnt null, 0x0
	s_barrier
	buffer_gl0_inv
	s_clause 0x9
	scratch_load_b128 v[116:119], off, off offset:64
	scratch_load_b128 v[120:123], off, off offset:80
	;; [unrolled: 1-line block ×10, first 2 shown]
	v_mov_b32_e32 v2, 0
	ds_load_2addr_b32 v[156:157], v2 offset0:73 offset1:74
	ds_load_2addr_b32 v[158:159], v2 offset0:75 offset1:76
	;; [unrolled: 1-line block ×4, first 2 shown]
	s_mov_b32 s0, exec_lo
	s_waitcnt vmcnt(9) lgkmcnt(3)
	v_fma_f32 v3, v117, v156, 0
	s_delay_alu instid0(VALU_DEP_1) | instskip(SKIP_4) | instid1(VALU_DEP_1)
	v_fmac_f32_e32 v3, v118, v157
	ds_load_2addr_b32 v[117:118], v2 offset0:81 offset1:82
	s_waitcnt lgkmcnt(3)
	v_fmac_f32_e32 v3, v119, v158
	s_waitcnt vmcnt(8)
	v_fmac_f32_e32 v3, v120, v159
	ds_load_2addr_b32 v[119:120], v2 offset0:83 offset1:84
	s_waitcnt lgkmcnt(3)
	v_fmac_f32_e32 v3, v121, v160
	s_delay_alu instid0(VALU_DEP_1) | instskip(SKIP_1) | instid1(VALU_DEP_1)
	v_fmac_f32_e32 v3, v122, v161
	s_waitcnt lgkmcnt(2)
	v_fmac_f32_e32 v3, v123, v162
	s_waitcnt vmcnt(7)
	s_delay_alu instid0(VALU_DEP_1) | instskip(SKIP_4) | instid1(VALU_DEP_1)
	v_fmac_f32_e32 v3, v124, v163
	ds_load_2addr_b32 v[121:122], v2 offset0:85 offset1:86
	ds_load_2addr_b32 v[123:124], v2 offset0:87 offset1:88
	s_waitcnt lgkmcnt(3)
	v_fmac_f32_e32 v3, v125, v117
	v_fmac_f32_e32 v3, v126, v118
	ds_load_2addr_b32 v[117:118], v2 offset0:89 offset1:90
	s_waitcnt lgkmcnt(3)
	v_fmac_f32_e32 v3, v127, v119
	s_waitcnt vmcnt(6)
	s_delay_alu instid0(VALU_DEP_1) | instskip(SKIP_3) | instid1(VALU_DEP_1)
	v_fmac_f32_e32 v3, v128, v120
	ds_load_2addr_b32 v[119:120], v2 offset0:91 offset1:92
	s_waitcnt lgkmcnt(3)
	v_fmac_f32_e32 v3, v129, v121
	v_fmac_f32_e32 v3, v130, v122
	s_waitcnt lgkmcnt(2)
	s_delay_alu instid0(VALU_DEP_1) | instskip(SKIP_1) | instid1(VALU_DEP_1)
	v_fmac_f32_e32 v3, v131, v123
	s_waitcnt vmcnt(5)
	v_fmac_f32_e32 v3, v132, v124
	ds_load_2addr_b32 v[121:122], v2 offset0:93 offset1:94
	ds_load_2addr_b32 v[123:124], v2 offset0:95 offset1:96
	s_waitcnt lgkmcnt(3)
	v_fmac_f32_e32 v3, v133, v117
	s_delay_alu instid0(VALU_DEP_1) | instskip(SKIP_4) | instid1(VALU_DEP_1)
	v_fmac_f32_e32 v3, v134, v118
	ds_load_2addr_b32 v[117:118], v2 offset0:97 offset1:98
	s_waitcnt lgkmcnt(3)
	v_fmac_f32_e32 v3, v135, v119
	s_waitcnt vmcnt(4)
	v_fmac_f32_e32 v3, v136, v120
	ds_load_2addr_b32 v[119:120], v2 offset0:99 offset1:100
	s_waitcnt lgkmcnt(3)
	v_fmac_f32_e32 v3, v137, v121
	s_delay_alu instid0(VALU_DEP_1) | instskip(SKIP_1) | instid1(VALU_DEP_1)
	v_fmac_f32_e32 v3, v138, v122
	s_waitcnt lgkmcnt(2)
	v_fmac_f32_e32 v3, v139, v123
	s_waitcnt vmcnt(3)
	s_delay_alu instid0(VALU_DEP_1) | instskip(SKIP_4) | instid1(VALU_DEP_1)
	v_fmac_f32_e32 v3, v140, v124
	ds_load_2addr_b32 v[121:122], v2 offset0:101 offset1:102
	ds_load_2addr_b32 v[123:124], v2 offset0:103 offset1:104
	s_waitcnt lgkmcnt(3)
	v_fmac_f32_e32 v3, v141, v117
	v_fmac_f32_e32 v3, v142, v118
	ds_load_2addr_b32 v[117:118], v2 offset0:105 offset1:106
	s_waitcnt lgkmcnt(3)
	v_fmac_f32_e32 v3, v143, v119
	s_waitcnt vmcnt(2)
	s_delay_alu instid0(VALU_DEP_1) | instskip(SKIP_3) | instid1(VALU_DEP_1)
	v_fmac_f32_e32 v3, v144, v120
	ds_load_2addr_b32 v[119:120], v2 offset0:107 offset1:108
	s_waitcnt lgkmcnt(3)
	v_fmac_f32_e32 v3, v145, v121
	v_fmac_f32_e32 v3, v146, v122
	s_waitcnt lgkmcnt(2)
	s_delay_alu instid0(VALU_DEP_1)
	v_fmac_f32_e32 v3, v147, v123
	ds_load_2addr_b32 v[121:122], v2 offset0:109 offset1:110
	ds_load_b32 v123, v2 offset:444
	s_waitcnt vmcnt(1)
	v_fmac_f32_e32 v3, v148, v124
	s_waitcnt lgkmcnt(3)
	s_delay_alu instid0(VALU_DEP_1) | instskip(NEXT) | instid1(VALU_DEP_1)
	v_fmac_f32_e32 v3, v149, v117
	v_fmac_f32_e32 v3, v150, v118
	s_waitcnt lgkmcnt(2)
	s_delay_alu instid0(VALU_DEP_1) | instskip(SKIP_1) | instid1(VALU_DEP_1)
	v_fmac_f32_e32 v3, v151, v119
	s_waitcnt vmcnt(0)
	v_fmac_f32_e32 v3, v152, v120
	s_waitcnt lgkmcnt(1)
	s_delay_alu instid0(VALU_DEP_1) | instskip(NEXT) | instid1(VALU_DEP_1)
	v_fmac_f32_e32 v3, v153, v121
	v_fmac_f32_e32 v3, v154, v122
	s_waitcnt lgkmcnt(0)
	s_delay_alu instid0(VALU_DEP_1) | instskip(NEXT) | instid1(VALU_DEP_1)
	v_fmac_f32_e32 v3, v155, v123
	v_sub_f32_e32 v3, v116, v3
	scratch_store_b32 off, v3, off offset:64
	v_cmpx_lt_u32_e32 15, v0
	s_cbranch_execz .LBB55_313
; %bb.312:
	scratch_load_b32 v3, off, off offset:60
	scratch_store_b32 off, v2, off offset:60
	s_waitcnt vmcnt(0)
	ds_store_b32 v1, v3
.LBB55_313:
	s_or_b32 exec_lo, exec_lo, s0
	s_waitcnt lgkmcnt(0)
	s_waitcnt_vscnt null, 0x0
	s_barrier
	buffer_gl0_inv
	s_clause 0xa
	scratch_load_b128 v[116:119], off, off offset:60
	scratch_load_b128 v[120:123], off, off offset:76
	scratch_load_b128 v[124:127], off, off offset:92
	scratch_load_b128 v[128:131], off, off offset:108
	scratch_load_b128 v[132:135], off, off offset:124
	scratch_load_b128 v[136:139], off, off offset:140
	scratch_load_b128 v[140:143], off, off offset:156
	scratch_load_b128 v[144:147], off, off offset:172
	scratch_load_b128 v[148:151], off, off offset:188
	scratch_load_b128 v[152:155], off, off offset:204
	scratch_load_b32 v3, off, off offset:220
	ds_load_b128 v[156:159], v2 offset:288
	ds_load_b128 v[160:163], v2 offset:304
	s_mov_b32 s0, exec_lo
	s_waitcnt vmcnt(10) lgkmcnt(1)
	v_fma_f32 v156, v117, v156, 0
	s_delay_alu instid0(VALU_DEP_1) | instskip(NEXT) | instid1(VALU_DEP_1)
	v_fmac_f32_e32 v156, v118, v157
	v_fmac_f32_e32 v156, v119, v158
	s_waitcnt vmcnt(9)
	s_delay_alu instid0(VALU_DEP_1) | instskip(SKIP_3) | instid1(VALU_DEP_1)
	v_fmac_f32_e32 v156, v120, v159
	ds_load_b128 v[117:120], v2 offset:320
	s_waitcnt lgkmcnt(1)
	v_fmac_f32_e32 v156, v121, v160
	v_fmac_f32_e32 v156, v122, v161
	s_delay_alu instid0(VALU_DEP_1) | instskip(SKIP_1) | instid1(VALU_DEP_1)
	v_fmac_f32_e32 v156, v123, v162
	s_waitcnt vmcnt(8)
	v_fmac_f32_e32 v156, v124, v163
	ds_load_b128 v[121:124], v2 offset:336
	s_waitcnt lgkmcnt(1)
	v_fmac_f32_e32 v156, v125, v117
	s_delay_alu instid0(VALU_DEP_1) | instskip(NEXT) | instid1(VALU_DEP_1)
	v_fmac_f32_e32 v156, v126, v118
	v_fmac_f32_e32 v156, v127, v119
	s_waitcnt vmcnt(7)
	s_delay_alu instid0(VALU_DEP_1) | instskip(SKIP_3) | instid1(VALU_DEP_1)
	v_fmac_f32_e32 v156, v128, v120
	ds_load_b128 v[117:120], v2 offset:352
	s_waitcnt lgkmcnt(1)
	v_fmac_f32_e32 v156, v129, v121
	v_fmac_f32_e32 v156, v130, v122
	s_delay_alu instid0(VALU_DEP_1) | instskip(SKIP_1) | instid1(VALU_DEP_1)
	v_fmac_f32_e32 v156, v131, v123
	s_waitcnt vmcnt(6)
	v_fmac_f32_e32 v156, v132, v124
	ds_load_b128 v[121:124], v2 offset:368
	s_waitcnt lgkmcnt(1)
	v_fmac_f32_e32 v156, v133, v117
	s_delay_alu instid0(VALU_DEP_1) | instskip(NEXT) | instid1(VALU_DEP_1)
	v_fmac_f32_e32 v156, v134, v118
	v_fmac_f32_e32 v156, v135, v119
	s_waitcnt vmcnt(5)
	s_delay_alu instid0(VALU_DEP_1) | instskip(SKIP_3) | instid1(VALU_DEP_1)
	v_fmac_f32_e32 v156, v136, v120
	ds_load_b128 v[117:120], v2 offset:384
	s_waitcnt lgkmcnt(1)
	v_fmac_f32_e32 v156, v137, v121
	v_fmac_f32_e32 v156, v138, v122
	s_delay_alu instid0(VALU_DEP_1) | instskip(SKIP_1) | instid1(VALU_DEP_1)
	v_fmac_f32_e32 v156, v139, v123
	s_waitcnt vmcnt(4)
	v_fmac_f32_e32 v156, v140, v124
	ds_load_b128 v[121:124], v2 offset:400
	s_waitcnt lgkmcnt(1)
	v_fmac_f32_e32 v156, v141, v117
	s_delay_alu instid0(VALU_DEP_1) | instskip(NEXT) | instid1(VALU_DEP_1)
	v_fmac_f32_e32 v156, v142, v118
	v_fmac_f32_e32 v156, v143, v119
	s_waitcnt vmcnt(3)
	s_delay_alu instid0(VALU_DEP_1) | instskip(SKIP_3) | instid1(VALU_DEP_1)
	v_fmac_f32_e32 v156, v144, v120
	ds_load_b128 v[117:120], v2 offset:416
	s_waitcnt lgkmcnt(1)
	v_fmac_f32_e32 v156, v145, v121
	v_fmac_f32_e32 v156, v146, v122
	s_delay_alu instid0(VALU_DEP_1) | instskip(SKIP_1) | instid1(VALU_DEP_1)
	v_fmac_f32_e32 v156, v147, v123
	s_waitcnt vmcnt(2)
	v_fmac_f32_e32 v156, v148, v124
	ds_load_b128 v[121:124], v2 offset:432
	s_waitcnt lgkmcnt(1)
	v_fmac_f32_e32 v156, v149, v117
	s_delay_alu instid0(VALU_DEP_1) | instskip(NEXT) | instid1(VALU_DEP_1)
	v_fmac_f32_e32 v156, v150, v118
	v_fmac_f32_e32 v156, v151, v119
	s_waitcnt vmcnt(1)
	s_delay_alu instid0(VALU_DEP_1) | instskip(SKIP_1) | instid1(VALU_DEP_1)
	v_fmac_f32_e32 v156, v152, v120
	s_waitcnt lgkmcnt(0)
	v_fmac_f32_e32 v156, v153, v121
	s_delay_alu instid0(VALU_DEP_1) | instskip(NEXT) | instid1(VALU_DEP_1)
	v_fmac_f32_e32 v156, v154, v122
	v_fmac_f32_e32 v156, v155, v123
	s_waitcnt vmcnt(0)
	s_delay_alu instid0(VALU_DEP_1) | instskip(NEXT) | instid1(VALU_DEP_1)
	v_fmac_f32_e32 v156, v3, v124
	v_sub_f32_e32 v2, v116, v156
	scratch_store_b32 off, v2, off offset:60
	v_cmpx_lt_u32_e32 14, v0
	s_cbranch_execz .LBB55_315
; %bb.314:
	scratch_load_b32 v2, off, off offset:56
	v_mov_b32_e32 v3, 0
	scratch_store_b32 off, v3, off offset:56
	s_waitcnt vmcnt(0)
	ds_store_b32 v1, v2
.LBB55_315:
	s_or_b32 exec_lo, exec_lo, s0
	s_waitcnt lgkmcnt(0)
	s_waitcnt_vscnt null, 0x0
	s_barrier
	buffer_gl0_inv
	s_clause 0xa
	scratch_load_b128 v[116:119], off, off offset:56
	scratch_load_b128 v[120:123], off, off offset:72
	;; [unrolled: 1-line block ×10, first 2 shown]
	scratch_load_b64 v[156:157], off, off offset:216
	v_mov_b32_e32 v2, 0
	ds_load_2addr_b32 v[158:159], v2 offset0:71 offset1:72
	ds_load_2addr_b32 v[160:161], v2 offset0:73 offset1:74
	;; [unrolled: 1-line block ×4, first 2 shown]
	s_mov_b32 s0, exec_lo
	s_waitcnt vmcnt(10) lgkmcnt(3)
	v_fma_f32 v3, v117, v158, 0
	s_delay_alu instid0(VALU_DEP_1) | instskip(SKIP_4) | instid1(VALU_DEP_1)
	v_fmac_f32_e32 v3, v118, v159
	ds_load_2addr_b32 v[117:118], v2 offset0:79 offset1:80
	s_waitcnt lgkmcnt(3)
	v_fmac_f32_e32 v3, v119, v160
	s_waitcnt vmcnt(9)
	v_fmac_f32_e32 v3, v120, v161
	ds_load_2addr_b32 v[119:120], v2 offset0:81 offset1:82
	s_waitcnt lgkmcnt(3)
	v_fmac_f32_e32 v3, v121, v162
	s_delay_alu instid0(VALU_DEP_1) | instskip(SKIP_1) | instid1(VALU_DEP_1)
	v_fmac_f32_e32 v3, v122, v163
	s_waitcnt lgkmcnt(2)
	v_fmac_f32_e32 v3, v123, v164
	s_waitcnt vmcnt(8)
	s_delay_alu instid0(VALU_DEP_1) | instskip(SKIP_4) | instid1(VALU_DEP_1)
	v_fmac_f32_e32 v3, v124, v165
	ds_load_2addr_b32 v[121:122], v2 offset0:83 offset1:84
	ds_load_2addr_b32 v[123:124], v2 offset0:85 offset1:86
	s_waitcnt lgkmcnt(3)
	v_fmac_f32_e32 v3, v125, v117
	v_fmac_f32_e32 v3, v126, v118
	ds_load_2addr_b32 v[117:118], v2 offset0:87 offset1:88
	s_waitcnt lgkmcnt(3)
	v_fmac_f32_e32 v3, v127, v119
	s_waitcnt vmcnt(7)
	s_delay_alu instid0(VALU_DEP_1) | instskip(SKIP_3) | instid1(VALU_DEP_1)
	v_fmac_f32_e32 v3, v128, v120
	ds_load_2addr_b32 v[119:120], v2 offset0:89 offset1:90
	s_waitcnt lgkmcnt(3)
	v_fmac_f32_e32 v3, v129, v121
	v_fmac_f32_e32 v3, v130, v122
	s_waitcnt lgkmcnt(2)
	s_delay_alu instid0(VALU_DEP_1) | instskip(SKIP_1) | instid1(VALU_DEP_1)
	v_fmac_f32_e32 v3, v131, v123
	s_waitcnt vmcnt(6)
	v_fmac_f32_e32 v3, v132, v124
	ds_load_2addr_b32 v[121:122], v2 offset0:91 offset1:92
	ds_load_2addr_b32 v[123:124], v2 offset0:93 offset1:94
	s_waitcnt lgkmcnt(3)
	v_fmac_f32_e32 v3, v133, v117
	s_delay_alu instid0(VALU_DEP_1) | instskip(SKIP_4) | instid1(VALU_DEP_1)
	v_fmac_f32_e32 v3, v134, v118
	ds_load_2addr_b32 v[117:118], v2 offset0:95 offset1:96
	s_waitcnt lgkmcnt(3)
	v_fmac_f32_e32 v3, v135, v119
	s_waitcnt vmcnt(5)
	v_fmac_f32_e32 v3, v136, v120
	ds_load_2addr_b32 v[119:120], v2 offset0:97 offset1:98
	s_waitcnt lgkmcnt(3)
	v_fmac_f32_e32 v3, v137, v121
	s_delay_alu instid0(VALU_DEP_1) | instskip(SKIP_1) | instid1(VALU_DEP_1)
	v_fmac_f32_e32 v3, v138, v122
	s_waitcnt lgkmcnt(2)
	v_fmac_f32_e32 v3, v139, v123
	s_waitcnt vmcnt(4)
	s_delay_alu instid0(VALU_DEP_1) | instskip(SKIP_4) | instid1(VALU_DEP_1)
	v_fmac_f32_e32 v3, v140, v124
	ds_load_2addr_b32 v[121:122], v2 offset0:99 offset1:100
	ds_load_2addr_b32 v[123:124], v2 offset0:101 offset1:102
	s_waitcnt lgkmcnt(3)
	v_fmac_f32_e32 v3, v141, v117
	v_fmac_f32_e32 v3, v142, v118
	ds_load_2addr_b32 v[117:118], v2 offset0:103 offset1:104
	s_waitcnt lgkmcnt(3)
	v_fmac_f32_e32 v3, v143, v119
	s_waitcnt vmcnt(3)
	s_delay_alu instid0(VALU_DEP_1) | instskip(SKIP_3) | instid1(VALU_DEP_1)
	v_fmac_f32_e32 v3, v144, v120
	ds_load_2addr_b32 v[119:120], v2 offset0:105 offset1:106
	s_waitcnt lgkmcnt(3)
	v_fmac_f32_e32 v3, v145, v121
	v_fmac_f32_e32 v3, v146, v122
	s_waitcnt lgkmcnt(2)
	s_delay_alu instid0(VALU_DEP_1) | instskip(SKIP_1) | instid1(VALU_DEP_1)
	v_fmac_f32_e32 v3, v147, v123
	s_waitcnt vmcnt(2)
	v_fmac_f32_e32 v3, v148, v124
	ds_load_2addr_b32 v[121:122], v2 offset0:107 offset1:108
	ds_load_2addr_b32 v[123:124], v2 offset0:109 offset1:110
	s_waitcnt lgkmcnt(3)
	v_fmac_f32_e32 v3, v149, v117
	ds_load_b32 v117, v2 offset:444
	v_fmac_f32_e32 v3, v150, v118
	s_waitcnt lgkmcnt(3)
	s_delay_alu instid0(VALU_DEP_1) | instskip(SKIP_1) | instid1(VALU_DEP_1)
	v_fmac_f32_e32 v3, v151, v119
	s_waitcnt vmcnt(1)
	v_fmac_f32_e32 v3, v152, v120
	s_waitcnt lgkmcnt(2)
	s_delay_alu instid0(VALU_DEP_1) | instskip(NEXT) | instid1(VALU_DEP_1)
	v_fmac_f32_e32 v3, v153, v121
	v_fmac_f32_e32 v3, v154, v122
	s_waitcnt lgkmcnt(1)
	s_delay_alu instid0(VALU_DEP_1) | instskip(SKIP_1) | instid1(VALU_DEP_1)
	v_fmac_f32_e32 v3, v155, v123
	s_waitcnt vmcnt(0)
	v_fmac_f32_e32 v3, v156, v124
	s_waitcnt lgkmcnt(0)
	s_delay_alu instid0(VALU_DEP_1) | instskip(NEXT) | instid1(VALU_DEP_1)
	v_fmac_f32_e32 v3, v157, v117
	v_sub_f32_e32 v3, v116, v3
	scratch_store_b32 off, v3, off offset:56
	v_cmpx_lt_u32_e32 13, v0
	s_cbranch_execz .LBB55_317
; %bb.316:
	scratch_load_b32 v3, off, off offset:52
	scratch_store_b32 off, v2, off offset:52
	s_waitcnt vmcnt(0)
	ds_store_b32 v1, v3
.LBB55_317:
	s_or_b32 exec_lo, exec_lo, s0
	s_waitcnt lgkmcnt(0)
	s_waitcnt_vscnt null, 0x0
	s_barrier
	buffer_gl0_inv
	s_clause 0xa
	scratch_load_b128 v[116:119], off, off offset:52
	scratch_load_b128 v[120:123], off, off offset:68
	;; [unrolled: 1-line block ×10, first 2 shown]
	scratch_load_b96 v[164:166], off, off offset:212
	ds_load_2addr_b64 v[156:159], v2 offset0:35 offset1:36
	ds_load_2addr_b64 v[160:163], v2 offset0:37 offset1:38
	s_mov_b32 s0, exec_lo
	s_waitcnt vmcnt(10) lgkmcnt(1)
	v_fma_f32 v156, v117, v156, 0
	s_delay_alu instid0(VALU_DEP_1) | instskip(NEXT) | instid1(VALU_DEP_1)
	v_fmac_f32_e32 v156, v118, v157
	v_fmac_f32_e32 v156, v119, v158
	s_waitcnt vmcnt(9)
	s_delay_alu instid0(VALU_DEP_1) | instskip(SKIP_3) | instid1(VALU_DEP_1)
	v_fmac_f32_e32 v156, v120, v159
	ds_load_2addr_b64 v[117:120], v2 offset0:39 offset1:40
	s_waitcnt lgkmcnt(1)
	v_fmac_f32_e32 v156, v121, v160
	v_fmac_f32_e32 v156, v122, v161
	s_delay_alu instid0(VALU_DEP_1) | instskip(SKIP_1) | instid1(VALU_DEP_1)
	v_fmac_f32_e32 v156, v123, v162
	s_waitcnt vmcnt(8)
	v_fmac_f32_e32 v156, v124, v163
	ds_load_2addr_b64 v[121:124], v2 offset0:41 offset1:42
	s_waitcnt lgkmcnt(1)
	v_fmac_f32_e32 v156, v125, v117
	s_delay_alu instid0(VALU_DEP_1) | instskip(NEXT) | instid1(VALU_DEP_1)
	v_fmac_f32_e32 v156, v126, v118
	v_fmac_f32_e32 v156, v127, v119
	s_waitcnt vmcnt(7)
	s_delay_alu instid0(VALU_DEP_1) | instskip(SKIP_3) | instid1(VALU_DEP_1)
	v_fmac_f32_e32 v156, v128, v120
	ds_load_2addr_b64 v[117:120], v2 offset0:43 offset1:44
	s_waitcnt lgkmcnt(1)
	v_fmac_f32_e32 v156, v129, v121
	v_fmac_f32_e32 v156, v130, v122
	s_delay_alu instid0(VALU_DEP_1) | instskip(SKIP_1) | instid1(VALU_DEP_1)
	v_fmac_f32_e32 v156, v131, v123
	s_waitcnt vmcnt(6)
	v_fmac_f32_e32 v156, v132, v124
	ds_load_2addr_b64 v[121:124], v2 offset0:45 offset1:46
	s_waitcnt lgkmcnt(1)
	v_fmac_f32_e32 v156, v133, v117
	s_delay_alu instid0(VALU_DEP_1) | instskip(NEXT) | instid1(VALU_DEP_1)
	v_fmac_f32_e32 v156, v134, v118
	v_fmac_f32_e32 v156, v135, v119
	s_waitcnt vmcnt(5)
	s_delay_alu instid0(VALU_DEP_1) | instskip(SKIP_3) | instid1(VALU_DEP_1)
	v_fmac_f32_e32 v156, v136, v120
	ds_load_2addr_b64 v[117:120], v2 offset0:47 offset1:48
	s_waitcnt lgkmcnt(1)
	v_fmac_f32_e32 v156, v137, v121
	v_fmac_f32_e32 v156, v138, v122
	s_delay_alu instid0(VALU_DEP_1) | instskip(SKIP_1) | instid1(VALU_DEP_1)
	v_fmac_f32_e32 v156, v139, v123
	s_waitcnt vmcnt(4)
	v_fmac_f32_e32 v156, v140, v124
	ds_load_2addr_b64 v[121:124], v2 offset0:49 offset1:50
	s_waitcnt lgkmcnt(1)
	v_fmac_f32_e32 v156, v141, v117
	s_delay_alu instid0(VALU_DEP_1) | instskip(NEXT) | instid1(VALU_DEP_1)
	v_fmac_f32_e32 v156, v142, v118
	v_fmac_f32_e32 v156, v143, v119
	s_waitcnt vmcnt(3)
	s_delay_alu instid0(VALU_DEP_1) | instskip(SKIP_3) | instid1(VALU_DEP_1)
	v_fmac_f32_e32 v156, v144, v120
	ds_load_2addr_b64 v[117:120], v2 offset0:51 offset1:52
	s_waitcnt lgkmcnt(1)
	v_fmac_f32_e32 v156, v145, v121
	v_fmac_f32_e32 v156, v146, v122
	s_delay_alu instid0(VALU_DEP_1) | instskip(SKIP_1) | instid1(VALU_DEP_1)
	v_fmac_f32_e32 v156, v147, v123
	s_waitcnt vmcnt(2)
	v_fmac_f32_e32 v156, v148, v124
	ds_load_2addr_b64 v[121:124], v2 offset0:53 offset1:54
	ds_load_b64 v[2:3], v2 offset:440
	s_waitcnt lgkmcnt(2)
	v_fmac_f32_e32 v156, v149, v117
	s_delay_alu instid0(VALU_DEP_1) | instskip(NEXT) | instid1(VALU_DEP_1)
	v_fmac_f32_e32 v156, v150, v118
	v_fmac_f32_e32 v156, v151, v119
	s_waitcnt vmcnt(1)
	s_delay_alu instid0(VALU_DEP_1) | instskip(SKIP_1) | instid1(VALU_DEP_1)
	v_fmac_f32_e32 v156, v152, v120
	s_waitcnt lgkmcnt(1)
	v_fmac_f32_e32 v156, v153, v121
	s_delay_alu instid0(VALU_DEP_1) | instskip(NEXT) | instid1(VALU_DEP_1)
	v_fmac_f32_e32 v156, v154, v122
	v_fmac_f32_e32 v156, v155, v123
	s_waitcnt vmcnt(0)
	s_delay_alu instid0(VALU_DEP_1) | instskip(SKIP_1) | instid1(VALU_DEP_1)
	v_fmac_f32_e32 v156, v164, v124
	s_waitcnt lgkmcnt(0)
	v_fmac_f32_e32 v156, v165, v2
	s_delay_alu instid0(VALU_DEP_1) | instskip(NEXT) | instid1(VALU_DEP_1)
	v_fmac_f32_e32 v156, v166, v3
	v_sub_f32_e32 v2, v116, v156
	scratch_store_b32 off, v2, off offset:52
	v_cmpx_lt_u32_e32 12, v0
	s_cbranch_execz .LBB55_319
; %bb.318:
	scratch_load_b32 v2, off, off offset:48
	v_mov_b32_e32 v3, 0
	scratch_store_b32 off, v3, off offset:48
	s_waitcnt vmcnt(0)
	ds_store_b32 v1, v2
.LBB55_319:
	s_or_b32 exec_lo, exec_lo, s0
	s_waitcnt lgkmcnt(0)
	s_waitcnt_vscnt null, 0x0
	s_barrier
	buffer_gl0_inv
	s_clause 0xa
	scratch_load_b128 v[116:119], off, off offset:48
	scratch_load_b128 v[120:123], off, off offset:64
	scratch_load_b128 v[124:127], off, off offset:80
	scratch_load_b128 v[128:131], off, off offset:96
	scratch_load_b128 v[132:135], off, off offset:112
	scratch_load_b128 v[136:139], off, off offset:128
	scratch_load_b128 v[140:143], off, off offset:144
	scratch_load_b128 v[144:147], off, off offset:160
	scratch_load_b128 v[148:151], off, off offset:176
	scratch_load_b128 v[152:155], off, off offset:192
	scratch_load_b128 v[156:159], off, off offset:208
	v_mov_b32_e32 v2, 0
	ds_load_2addr_b32 v[160:161], v2 offset0:69 offset1:70
	ds_load_2addr_b32 v[162:163], v2 offset0:71 offset1:72
	;; [unrolled: 1-line block ×4, first 2 shown]
	s_mov_b32 s0, exec_lo
	s_waitcnt vmcnt(10) lgkmcnt(3)
	v_fma_f32 v3, v117, v160, 0
	s_delay_alu instid0(VALU_DEP_1) | instskip(SKIP_4) | instid1(VALU_DEP_1)
	v_fmac_f32_e32 v3, v118, v161
	ds_load_2addr_b32 v[117:118], v2 offset0:77 offset1:78
	s_waitcnt lgkmcnt(3)
	v_fmac_f32_e32 v3, v119, v162
	s_waitcnt vmcnt(9)
	v_fmac_f32_e32 v3, v120, v163
	ds_load_2addr_b32 v[119:120], v2 offset0:79 offset1:80
	s_waitcnt lgkmcnt(3)
	v_fmac_f32_e32 v3, v121, v164
	s_delay_alu instid0(VALU_DEP_1) | instskip(SKIP_1) | instid1(VALU_DEP_1)
	v_fmac_f32_e32 v3, v122, v165
	s_waitcnt lgkmcnt(2)
	v_fmac_f32_e32 v3, v123, v166
	s_waitcnt vmcnt(8)
	s_delay_alu instid0(VALU_DEP_1) | instskip(SKIP_4) | instid1(VALU_DEP_1)
	v_fmac_f32_e32 v3, v124, v167
	ds_load_2addr_b32 v[121:122], v2 offset0:81 offset1:82
	ds_load_2addr_b32 v[123:124], v2 offset0:83 offset1:84
	s_waitcnt lgkmcnt(3)
	v_fmac_f32_e32 v3, v125, v117
	v_fmac_f32_e32 v3, v126, v118
	ds_load_2addr_b32 v[117:118], v2 offset0:85 offset1:86
	s_waitcnt lgkmcnt(3)
	v_fmac_f32_e32 v3, v127, v119
	s_waitcnt vmcnt(7)
	s_delay_alu instid0(VALU_DEP_1) | instskip(SKIP_3) | instid1(VALU_DEP_1)
	v_fmac_f32_e32 v3, v128, v120
	ds_load_2addr_b32 v[119:120], v2 offset0:87 offset1:88
	s_waitcnt lgkmcnt(3)
	v_fmac_f32_e32 v3, v129, v121
	v_fmac_f32_e32 v3, v130, v122
	s_waitcnt lgkmcnt(2)
	s_delay_alu instid0(VALU_DEP_1) | instskip(SKIP_1) | instid1(VALU_DEP_1)
	v_fmac_f32_e32 v3, v131, v123
	s_waitcnt vmcnt(6)
	v_fmac_f32_e32 v3, v132, v124
	ds_load_2addr_b32 v[121:122], v2 offset0:89 offset1:90
	ds_load_2addr_b32 v[123:124], v2 offset0:91 offset1:92
	s_waitcnt lgkmcnt(3)
	v_fmac_f32_e32 v3, v133, v117
	s_delay_alu instid0(VALU_DEP_1) | instskip(SKIP_4) | instid1(VALU_DEP_1)
	v_fmac_f32_e32 v3, v134, v118
	ds_load_2addr_b32 v[117:118], v2 offset0:93 offset1:94
	s_waitcnt lgkmcnt(3)
	v_fmac_f32_e32 v3, v135, v119
	s_waitcnt vmcnt(5)
	v_fmac_f32_e32 v3, v136, v120
	ds_load_2addr_b32 v[119:120], v2 offset0:95 offset1:96
	s_waitcnt lgkmcnt(3)
	v_fmac_f32_e32 v3, v137, v121
	s_delay_alu instid0(VALU_DEP_1) | instskip(SKIP_1) | instid1(VALU_DEP_1)
	v_fmac_f32_e32 v3, v138, v122
	s_waitcnt lgkmcnt(2)
	v_fmac_f32_e32 v3, v139, v123
	s_waitcnt vmcnt(4)
	s_delay_alu instid0(VALU_DEP_1) | instskip(SKIP_4) | instid1(VALU_DEP_1)
	v_fmac_f32_e32 v3, v140, v124
	ds_load_2addr_b32 v[121:122], v2 offset0:97 offset1:98
	ds_load_2addr_b32 v[123:124], v2 offset0:99 offset1:100
	s_waitcnt lgkmcnt(3)
	v_fmac_f32_e32 v3, v141, v117
	v_fmac_f32_e32 v3, v142, v118
	ds_load_2addr_b32 v[117:118], v2 offset0:101 offset1:102
	s_waitcnt lgkmcnt(3)
	v_fmac_f32_e32 v3, v143, v119
	s_waitcnt vmcnt(3)
	s_delay_alu instid0(VALU_DEP_1) | instskip(SKIP_3) | instid1(VALU_DEP_1)
	v_fmac_f32_e32 v3, v144, v120
	ds_load_2addr_b32 v[119:120], v2 offset0:103 offset1:104
	s_waitcnt lgkmcnt(3)
	v_fmac_f32_e32 v3, v145, v121
	v_fmac_f32_e32 v3, v146, v122
	s_waitcnt lgkmcnt(2)
	s_delay_alu instid0(VALU_DEP_1) | instskip(SKIP_1) | instid1(VALU_DEP_1)
	v_fmac_f32_e32 v3, v147, v123
	s_waitcnt vmcnt(2)
	v_fmac_f32_e32 v3, v148, v124
	ds_load_2addr_b32 v[121:122], v2 offset0:105 offset1:106
	ds_load_2addr_b32 v[123:124], v2 offset0:107 offset1:108
	s_waitcnt lgkmcnt(3)
	v_fmac_f32_e32 v3, v149, v117
	s_delay_alu instid0(VALU_DEP_1)
	v_fmac_f32_e32 v3, v150, v118
	ds_load_2addr_b32 v[117:118], v2 offset0:109 offset1:110
	s_waitcnt lgkmcnt(3)
	v_fmac_f32_e32 v3, v151, v119
	ds_load_b32 v119, v2 offset:444
	s_waitcnt vmcnt(1)
	v_fmac_f32_e32 v3, v152, v120
	s_waitcnt lgkmcnt(3)
	s_delay_alu instid0(VALU_DEP_1) | instskip(NEXT) | instid1(VALU_DEP_1)
	v_fmac_f32_e32 v3, v153, v121
	v_fmac_f32_e32 v3, v154, v122
	s_waitcnt lgkmcnt(2)
	s_delay_alu instid0(VALU_DEP_1) | instskip(SKIP_1) | instid1(VALU_DEP_1)
	v_fmac_f32_e32 v3, v155, v123
	s_waitcnt vmcnt(0)
	v_fmac_f32_e32 v3, v156, v124
	s_waitcnt lgkmcnt(1)
	s_delay_alu instid0(VALU_DEP_1) | instskip(NEXT) | instid1(VALU_DEP_1)
	v_fmac_f32_e32 v3, v157, v117
	v_fmac_f32_e32 v3, v158, v118
	s_waitcnt lgkmcnt(0)
	s_delay_alu instid0(VALU_DEP_1) | instskip(NEXT) | instid1(VALU_DEP_1)
	v_fmac_f32_e32 v3, v159, v119
	v_sub_f32_e32 v3, v116, v3
	scratch_store_b32 off, v3, off offset:48
	v_cmpx_lt_u32_e32 11, v0
	s_cbranch_execz .LBB55_321
; %bb.320:
	scratch_load_b32 v3, off, off offset:44
	scratch_store_b32 off, v2, off offset:44
	s_waitcnt vmcnt(0)
	ds_store_b32 v1, v3
.LBB55_321:
	s_or_b32 exec_lo, exec_lo, s0
	s_waitcnt lgkmcnt(0)
	s_waitcnt_vscnt null, 0x0
	s_barrier
	buffer_gl0_inv
	s_clause 0xb
	scratch_load_b128 v[116:119], off, off offset:44
	scratch_load_b128 v[120:123], off, off offset:60
	scratch_load_b128 v[124:127], off, off offset:76
	scratch_load_b128 v[128:131], off, off offset:92
	scratch_load_b128 v[132:135], off, off offset:108
	scratch_load_b128 v[136:139], off, off offset:124
	scratch_load_b128 v[140:143], off, off offset:140
	scratch_load_b128 v[144:147], off, off offset:156
	scratch_load_b128 v[148:151], off, off offset:172
	scratch_load_b128 v[152:155], off, off offset:188
	scratch_load_b128 v[156:159], off, off offset:204
	scratch_load_b32 v3, off, off offset:220
	ds_load_b128 v[160:163], v2 offset:272
	ds_load_b128 v[164:167], v2 offset:288
	s_mov_b32 s0, exec_lo
	s_waitcnt vmcnt(11) lgkmcnt(1)
	v_fma_f32 v160, v117, v160, 0
	s_delay_alu instid0(VALU_DEP_1) | instskip(NEXT) | instid1(VALU_DEP_1)
	v_fmac_f32_e32 v160, v118, v161
	v_fmac_f32_e32 v160, v119, v162
	s_waitcnt vmcnt(10)
	s_delay_alu instid0(VALU_DEP_1) | instskip(SKIP_3) | instid1(VALU_DEP_1)
	v_fmac_f32_e32 v160, v120, v163
	ds_load_b128 v[117:120], v2 offset:304
	s_waitcnt lgkmcnt(1)
	v_fmac_f32_e32 v160, v121, v164
	v_fmac_f32_e32 v160, v122, v165
	s_delay_alu instid0(VALU_DEP_1) | instskip(SKIP_1) | instid1(VALU_DEP_1)
	v_fmac_f32_e32 v160, v123, v166
	s_waitcnt vmcnt(9)
	v_fmac_f32_e32 v160, v124, v167
	ds_load_b128 v[121:124], v2 offset:320
	s_waitcnt lgkmcnt(1)
	v_fmac_f32_e32 v160, v125, v117
	s_delay_alu instid0(VALU_DEP_1) | instskip(NEXT) | instid1(VALU_DEP_1)
	v_fmac_f32_e32 v160, v126, v118
	v_fmac_f32_e32 v160, v127, v119
	s_waitcnt vmcnt(8)
	s_delay_alu instid0(VALU_DEP_1) | instskip(SKIP_3) | instid1(VALU_DEP_1)
	v_fmac_f32_e32 v160, v128, v120
	ds_load_b128 v[117:120], v2 offset:336
	s_waitcnt lgkmcnt(1)
	v_fmac_f32_e32 v160, v129, v121
	v_fmac_f32_e32 v160, v130, v122
	s_delay_alu instid0(VALU_DEP_1) | instskip(SKIP_1) | instid1(VALU_DEP_1)
	v_fmac_f32_e32 v160, v131, v123
	s_waitcnt vmcnt(7)
	v_fmac_f32_e32 v160, v132, v124
	ds_load_b128 v[121:124], v2 offset:352
	s_waitcnt lgkmcnt(1)
	v_fmac_f32_e32 v160, v133, v117
	;; [unrolled: 17-line block ×4, first 2 shown]
	s_delay_alu instid0(VALU_DEP_1) | instskip(NEXT) | instid1(VALU_DEP_1)
	v_fmac_f32_e32 v160, v150, v118
	v_fmac_f32_e32 v160, v151, v119
	s_waitcnt vmcnt(2)
	s_delay_alu instid0(VALU_DEP_1) | instskip(SKIP_3) | instid1(VALU_DEP_1)
	v_fmac_f32_e32 v160, v152, v120
	ds_load_b128 v[117:120], v2 offset:432
	s_waitcnt lgkmcnt(1)
	v_fmac_f32_e32 v160, v153, v121
	v_fmac_f32_e32 v160, v154, v122
	s_delay_alu instid0(VALU_DEP_1) | instskip(SKIP_1) | instid1(VALU_DEP_1)
	v_fmac_f32_e32 v160, v155, v123
	s_waitcnt vmcnt(1)
	v_fmac_f32_e32 v160, v156, v124
	s_waitcnt lgkmcnt(0)
	s_delay_alu instid0(VALU_DEP_1) | instskip(NEXT) | instid1(VALU_DEP_1)
	v_fmac_f32_e32 v160, v157, v117
	v_fmac_f32_e32 v160, v158, v118
	s_delay_alu instid0(VALU_DEP_1) | instskip(SKIP_1) | instid1(VALU_DEP_1)
	v_fmac_f32_e32 v160, v159, v119
	s_waitcnt vmcnt(0)
	v_fmac_f32_e32 v160, v3, v120
	s_delay_alu instid0(VALU_DEP_1)
	v_sub_f32_e32 v2, v116, v160
	scratch_store_b32 off, v2, off offset:44
	v_cmpx_lt_u32_e32 10, v0
	s_cbranch_execz .LBB55_323
; %bb.322:
	scratch_load_b32 v2, off, off offset:40
	v_mov_b32_e32 v3, 0
	scratch_store_b32 off, v3, off offset:40
	s_waitcnt vmcnt(0)
	ds_store_b32 v1, v2
.LBB55_323:
	s_or_b32 exec_lo, exec_lo, s0
	s_waitcnt lgkmcnt(0)
	s_waitcnt_vscnt null, 0x0
	s_barrier
	buffer_gl0_inv
	s_clause 0xb
	scratch_load_b128 v[116:119], off, off offset:40
	scratch_load_b128 v[120:123], off, off offset:56
	;; [unrolled: 1-line block ×11, first 2 shown]
	scratch_load_b64 v[160:161], off, off offset:216
	v_mov_b32_e32 v2, 0
	ds_load_2addr_b32 v[162:163], v2 offset0:67 offset1:68
	ds_load_2addr_b32 v[164:165], v2 offset0:69 offset1:70
	;; [unrolled: 1-line block ×4, first 2 shown]
	s_mov_b32 s0, exec_lo
	s_waitcnt vmcnt(11) lgkmcnt(3)
	v_fma_f32 v3, v117, v162, 0
	s_delay_alu instid0(VALU_DEP_1) | instskip(SKIP_4) | instid1(VALU_DEP_1)
	v_fmac_f32_e32 v3, v118, v163
	ds_load_2addr_b32 v[117:118], v2 offset0:75 offset1:76
	s_waitcnt lgkmcnt(3)
	v_fmac_f32_e32 v3, v119, v164
	s_waitcnt vmcnt(10)
	v_fmac_f32_e32 v3, v120, v165
	ds_load_2addr_b32 v[119:120], v2 offset0:77 offset1:78
	s_waitcnt lgkmcnt(3)
	v_fmac_f32_e32 v3, v121, v166
	s_delay_alu instid0(VALU_DEP_1) | instskip(SKIP_1) | instid1(VALU_DEP_1)
	v_fmac_f32_e32 v3, v122, v167
	s_waitcnt lgkmcnt(2)
	v_fmac_f32_e32 v3, v123, v168
	s_waitcnt vmcnt(9)
	s_delay_alu instid0(VALU_DEP_1) | instskip(SKIP_4) | instid1(VALU_DEP_1)
	v_fmac_f32_e32 v3, v124, v169
	ds_load_2addr_b32 v[121:122], v2 offset0:79 offset1:80
	ds_load_2addr_b32 v[123:124], v2 offset0:81 offset1:82
	s_waitcnt lgkmcnt(3)
	v_fmac_f32_e32 v3, v125, v117
	v_fmac_f32_e32 v3, v126, v118
	ds_load_2addr_b32 v[117:118], v2 offset0:83 offset1:84
	s_waitcnt lgkmcnt(3)
	v_fmac_f32_e32 v3, v127, v119
	s_waitcnt vmcnt(8)
	s_delay_alu instid0(VALU_DEP_1) | instskip(SKIP_3) | instid1(VALU_DEP_1)
	v_fmac_f32_e32 v3, v128, v120
	ds_load_2addr_b32 v[119:120], v2 offset0:85 offset1:86
	s_waitcnt lgkmcnt(3)
	v_fmac_f32_e32 v3, v129, v121
	v_fmac_f32_e32 v3, v130, v122
	s_waitcnt lgkmcnt(2)
	s_delay_alu instid0(VALU_DEP_1) | instskip(SKIP_1) | instid1(VALU_DEP_1)
	v_fmac_f32_e32 v3, v131, v123
	s_waitcnt vmcnt(7)
	v_fmac_f32_e32 v3, v132, v124
	ds_load_2addr_b32 v[121:122], v2 offset0:87 offset1:88
	ds_load_2addr_b32 v[123:124], v2 offset0:89 offset1:90
	s_waitcnt lgkmcnt(3)
	v_fmac_f32_e32 v3, v133, v117
	s_delay_alu instid0(VALU_DEP_1) | instskip(SKIP_4) | instid1(VALU_DEP_1)
	v_fmac_f32_e32 v3, v134, v118
	ds_load_2addr_b32 v[117:118], v2 offset0:91 offset1:92
	s_waitcnt lgkmcnt(3)
	v_fmac_f32_e32 v3, v135, v119
	s_waitcnt vmcnt(6)
	v_fmac_f32_e32 v3, v136, v120
	ds_load_2addr_b32 v[119:120], v2 offset0:93 offset1:94
	s_waitcnt lgkmcnt(3)
	v_fmac_f32_e32 v3, v137, v121
	s_delay_alu instid0(VALU_DEP_1) | instskip(SKIP_1) | instid1(VALU_DEP_1)
	v_fmac_f32_e32 v3, v138, v122
	s_waitcnt lgkmcnt(2)
	v_fmac_f32_e32 v3, v139, v123
	s_waitcnt vmcnt(5)
	s_delay_alu instid0(VALU_DEP_1) | instskip(SKIP_4) | instid1(VALU_DEP_1)
	v_fmac_f32_e32 v3, v140, v124
	ds_load_2addr_b32 v[121:122], v2 offset0:95 offset1:96
	ds_load_2addr_b32 v[123:124], v2 offset0:97 offset1:98
	s_waitcnt lgkmcnt(3)
	v_fmac_f32_e32 v3, v141, v117
	v_fmac_f32_e32 v3, v142, v118
	ds_load_2addr_b32 v[117:118], v2 offset0:99 offset1:100
	s_waitcnt lgkmcnt(3)
	v_fmac_f32_e32 v3, v143, v119
	s_waitcnt vmcnt(4)
	s_delay_alu instid0(VALU_DEP_1) | instskip(SKIP_3) | instid1(VALU_DEP_1)
	v_fmac_f32_e32 v3, v144, v120
	ds_load_2addr_b32 v[119:120], v2 offset0:101 offset1:102
	s_waitcnt lgkmcnt(3)
	v_fmac_f32_e32 v3, v145, v121
	v_fmac_f32_e32 v3, v146, v122
	s_waitcnt lgkmcnt(2)
	s_delay_alu instid0(VALU_DEP_1) | instskip(SKIP_1) | instid1(VALU_DEP_1)
	v_fmac_f32_e32 v3, v147, v123
	s_waitcnt vmcnt(3)
	v_fmac_f32_e32 v3, v148, v124
	ds_load_2addr_b32 v[121:122], v2 offset0:103 offset1:104
	ds_load_2addr_b32 v[123:124], v2 offset0:105 offset1:106
	s_waitcnt lgkmcnt(3)
	v_fmac_f32_e32 v3, v149, v117
	s_delay_alu instid0(VALU_DEP_1) | instskip(SKIP_4) | instid1(VALU_DEP_1)
	v_fmac_f32_e32 v3, v150, v118
	ds_load_2addr_b32 v[117:118], v2 offset0:107 offset1:108
	s_waitcnt lgkmcnt(3)
	v_fmac_f32_e32 v3, v151, v119
	s_waitcnt vmcnt(2)
	v_fmac_f32_e32 v3, v152, v120
	ds_load_2addr_b32 v[119:120], v2 offset0:109 offset1:110
	s_waitcnt lgkmcnt(3)
	v_fmac_f32_e32 v3, v153, v121
	ds_load_b32 v121, v2 offset:444
	v_fmac_f32_e32 v3, v154, v122
	s_waitcnt lgkmcnt(3)
	s_delay_alu instid0(VALU_DEP_1) | instskip(SKIP_1) | instid1(VALU_DEP_1)
	v_fmac_f32_e32 v3, v155, v123
	s_waitcnt vmcnt(1)
	v_fmac_f32_e32 v3, v156, v124
	s_waitcnt lgkmcnt(2)
	s_delay_alu instid0(VALU_DEP_1) | instskip(NEXT) | instid1(VALU_DEP_1)
	v_fmac_f32_e32 v3, v157, v117
	v_fmac_f32_e32 v3, v158, v118
	s_waitcnt lgkmcnt(1)
	s_delay_alu instid0(VALU_DEP_1) | instskip(SKIP_1) | instid1(VALU_DEP_1)
	v_fmac_f32_e32 v3, v159, v119
	s_waitcnt vmcnt(0)
	v_fmac_f32_e32 v3, v160, v120
	s_waitcnt lgkmcnt(0)
	s_delay_alu instid0(VALU_DEP_1) | instskip(NEXT) | instid1(VALU_DEP_1)
	v_fmac_f32_e32 v3, v161, v121
	v_sub_f32_e32 v3, v116, v3
	scratch_store_b32 off, v3, off offset:40
	v_cmpx_lt_u32_e32 9, v0
	s_cbranch_execz .LBB55_325
; %bb.324:
	scratch_load_b32 v3, off, off offset:36
	scratch_store_b32 off, v2, off offset:36
	s_waitcnt vmcnt(0)
	ds_store_b32 v1, v3
.LBB55_325:
	s_or_b32 exec_lo, exec_lo, s0
	s_waitcnt lgkmcnt(0)
	s_waitcnt_vscnt null, 0x0
	s_barrier
	buffer_gl0_inv
	s_clause 0xb
	scratch_load_b128 v[116:119], off, off offset:36
	scratch_load_b128 v[120:123], off, off offset:52
	;; [unrolled: 1-line block ×11, first 2 shown]
	scratch_load_b96 v[168:170], off, off offset:212
	ds_load_2addr_b64 v[160:163], v2 offset0:33 offset1:34
	ds_load_2addr_b64 v[164:167], v2 offset0:35 offset1:36
	s_mov_b32 s0, exec_lo
	s_waitcnt vmcnt(11) lgkmcnt(1)
	v_fma_f32 v160, v117, v160, 0
	s_delay_alu instid0(VALU_DEP_1) | instskip(NEXT) | instid1(VALU_DEP_1)
	v_fmac_f32_e32 v160, v118, v161
	v_fmac_f32_e32 v160, v119, v162
	s_waitcnt vmcnt(10)
	s_delay_alu instid0(VALU_DEP_1) | instskip(SKIP_3) | instid1(VALU_DEP_1)
	v_fmac_f32_e32 v160, v120, v163
	ds_load_2addr_b64 v[117:120], v2 offset0:37 offset1:38
	s_waitcnt lgkmcnt(1)
	v_fmac_f32_e32 v160, v121, v164
	v_fmac_f32_e32 v160, v122, v165
	s_delay_alu instid0(VALU_DEP_1) | instskip(SKIP_1) | instid1(VALU_DEP_1)
	v_fmac_f32_e32 v160, v123, v166
	s_waitcnt vmcnt(9)
	v_fmac_f32_e32 v160, v124, v167
	ds_load_2addr_b64 v[121:124], v2 offset0:39 offset1:40
	s_waitcnt lgkmcnt(1)
	v_fmac_f32_e32 v160, v125, v117
	s_delay_alu instid0(VALU_DEP_1) | instskip(NEXT) | instid1(VALU_DEP_1)
	v_fmac_f32_e32 v160, v126, v118
	v_fmac_f32_e32 v160, v127, v119
	s_waitcnt vmcnt(8)
	s_delay_alu instid0(VALU_DEP_1) | instskip(SKIP_3) | instid1(VALU_DEP_1)
	v_fmac_f32_e32 v160, v128, v120
	ds_load_2addr_b64 v[117:120], v2 offset0:41 offset1:42
	s_waitcnt lgkmcnt(1)
	v_fmac_f32_e32 v160, v129, v121
	v_fmac_f32_e32 v160, v130, v122
	s_delay_alu instid0(VALU_DEP_1) | instskip(SKIP_1) | instid1(VALU_DEP_1)
	v_fmac_f32_e32 v160, v131, v123
	s_waitcnt vmcnt(7)
	v_fmac_f32_e32 v160, v132, v124
	ds_load_2addr_b64 v[121:124], v2 offset0:43 offset1:44
	s_waitcnt lgkmcnt(1)
	v_fmac_f32_e32 v160, v133, v117
	;; [unrolled: 17-line block ×4, first 2 shown]
	s_delay_alu instid0(VALU_DEP_1) | instskip(NEXT) | instid1(VALU_DEP_1)
	v_fmac_f32_e32 v160, v150, v118
	v_fmac_f32_e32 v160, v151, v119
	s_waitcnt vmcnt(2)
	s_delay_alu instid0(VALU_DEP_1) | instskip(SKIP_4) | instid1(VALU_DEP_1)
	v_fmac_f32_e32 v160, v152, v120
	ds_load_2addr_b64 v[117:120], v2 offset0:53 offset1:54
	ds_load_b64 v[2:3], v2 offset:440
	s_waitcnt lgkmcnt(2)
	v_fmac_f32_e32 v160, v153, v121
	v_fmac_f32_e32 v160, v154, v122
	s_delay_alu instid0(VALU_DEP_1) | instskip(SKIP_1) | instid1(VALU_DEP_1)
	v_fmac_f32_e32 v160, v155, v123
	s_waitcnt vmcnt(1)
	v_fmac_f32_e32 v160, v156, v124
	s_waitcnt lgkmcnt(1)
	s_delay_alu instid0(VALU_DEP_1) | instskip(NEXT) | instid1(VALU_DEP_1)
	v_fmac_f32_e32 v160, v157, v117
	v_fmac_f32_e32 v160, v158, v118
	s_delay_alu instid0(VALU_DEP_1) | instskip(SKIP_1) | instid1(VALU_DEP_1)
	v_fmac_f32_e32 v160, v159, v119
	s_waitcnt vmcnt(0)
	v_fmac_f32_e32 v160, v168, v120
	s_waitcnt lgkmcnt(0)
	s_delay_alu instid0(VALU_DEP_1) | instskip(NEXT) | instid1(VALU_DEP_1)
	v_fmac_f32_e32 v160, v169, v2
	v_fmac_f32_e32 v160, v170, v3
	s_delay_alu instid0(VALU_DEP_1)
	v_sub_f32_e32 v2, v116, v160
	scratch_store_b32 off, v2, off offset:36
	v_cmpx_lt_u32_e32 8, v0
	s_cbranch_execz .LBB55_327
; %bb.326:
	scratch_load_b32 v2, off, off offset:32
	v_mov_b32_e32 v3, 0
	scratch_store_b32 off, v3, off offset:32
	s_waitcnt vmcnt(0)
	ds_store_b32 v1, v2
.LBB55_327:
	s_or_b32 exec_lo, exec_lo, s0
	s_waitcnt lgkmcnt(0)
	s_waitcnt_vscnt null, 0x0
	s_barrier
	buffer_gl0_inv
	s_clause 0xb
	scratch_load_b128 v[116:119], off, off offset:32
	scratch_load_b128 v[120:123], off, off offset:48
	;; [unrolled: 1-line block ×12, first 2 shown]
	v_mov_b32_e32 v2, 0
	ds_load_2addr_b32 v[164:165], v2 offset0:65 offset1:66
	ds_load_2addr_b32 v[166:167], v2 offset0:67 offset1:68
	;; [unrolled: 1-line block ×4, first 2 shown]
	s_mov_b32 s0, exec_lo
	s_waitcnt vmcnt(11) lgkmcnt(3)
	v_fma_f32 v3, v117, v164, 0
	s_delay_alu instid0(VALU_DEP_1) | instskip(SKIP_4) | instid1(VALU_DEP_1)
	v_fmac_f32_e32 v3, v118, v165
	ds_load_2addr_b32 v[117:118], v2 offset0:73 offset1:74
	s_waitcnt lgkmcnt(3)
	v_fmac_f32_e32 v3, v119, v166
	s_waitcnt vmcnt(10)
	v_fmac_f32_e32 v3, v120, v167
	ds_load_2addr_b32 v[119:120], v2 offset0:75 offset1:76
	s_waitcnt lgkmcnt(3)
	v_fmac_f32_e32 v3, v121, v168
	s_delay_alu instid0(VALU_DEP_1) | instskip(SKIP_1) | instid1(VALU_DEP_1)
	v_fmac_f32_e32 v3, v122, v169
	s_waitcnt lgkmcnt(2)
	v_fmac_f32_e32 v3, v123, v170
	s_waitcnt vmcnt(9)
	s_delay_alu instid0(VALU_DEP_1) | instskip(SKIP_4) | instid1(VALU_DEP_1)
	v_fmac_f32_e32 v3, v124, v171
	ds_load_2addr_b32 v[121:122], v2 offset0:77 offset1:78
	ds_load_2addr_b32 v[123:124], v2 offset0:79 offset1:80
	s_waitcnt lgkmcnt(3)
	v_fmac_f32_e32 v3, v125, v117
	v_fmac_f32_e32 v3, v126, v118
	ds_load_2addr_b32 v[117:118], v2 offset0:81 offset1:82
	s_waitcnt lgkmcnt(3)
	v_fmac_f32_e32 v3, v127, v119
	s_waitcnt vmcnt(8)
	s_delay_alu instid0(VALU_DEP_1) | instskip(SKIP_3) | instid1(VALU_DEP_1)
	v_fmac_f32_e32 v3, v128, v120
	ds_load_2addr_b32 v[119:120], v2 offset0:83 offset1:84
	s_waitcnt lgkmcnt(3)
	v_fmac_f32_e32 v3, v129, v121
	v_fmac_f32_e32 v3, v130, v122
	s_waitcnt lgkmcnt(2)
	s_delay_alu instid0(VALU_DEP_1) | instskip(SKIP_1) | instid1(VALU_DEP_1)
	v_fmac_f32_e32 v3, v131, v123
	s_waitcnt vmcnt(7)
	v_fmac_f32_e32 v3, v132, v124
	ds_load_2addr_b32 v[121:122], v2 offset0:85 offset1:86
	ds_load_2addr_b32 v[123:124], v2 offset0:87 offset1:88
	s_waitcnt lgkmcnt(3)
	v_fmac_f32_e32 v3, v133, v117
	s_delay_alu instid0(VALU_DEP_1) | instskip(SKIP_4) | instid1(VALU_DEP_1)
	v_fmac_f32_e32 v3, v134, v118
	ds_load_2addr_b32 v[117:118], v2 offset0:89 offset1:90
	s_waitcnt lgkmcnt(3)
	v_fmac_f32_e32 v3, v135, v119
	s_waitcnt vmcnt(6)
	v_fmac_f32_e32 v3, v136, v120
	ds_load_2addr_b32 v[119:120], v2 offset0:91 offset1:92
	s_waitcnt lgkmcnt(3)
	v_fmac_f32_e32 v3, v137, v121
	s_delay_alu instid0(VALU_DEP_1) | instskip(SKIP_1) | instid1(VALU_DEP_1)
	v_fmac_f32_e32 v3, v138, v122
	s_waitcnt lgkmcnt(2)
	v_fmac_f32_e32 v3, v139, v123
	s_waitcnt vmcnt(5)
	s_delay_alu instid0(VALU_DEP_1) | instskip(SKIP_4) | instid1(VALU_DEP_1)
	v_fmac_f32_e32 v3, v140, v124
	ds_load_2addr_b32 v[121:122], v2 offset0:93 offset1:94
	ds_load_2addr_b32 v[123:124], v2 offset0:95 offset1:96
	s_waitcnt lgkmcnt(3)
	v_fmac_f32_e32 v3, v141, v117
	v_fmac_f32_e32 v3, v142, v118
	ds_load_2addr_b32 v[117:118], v2 offset0:97 offset1:98
	s_waitcnt lgkmcnt(3)
	v_fmac_f32_e32 v3, v143, v119
	s_waitcnt vmcnt(4)
	s_delay_alu instid0(VALU_DEP_1) | instskip(SKIP_3) | instid1(VALU_DEP_1)
	v_fmac_f32_e32 v3, v144, v120
	ds_load_2addr_b32 v[119:120], v2 offset0:99 offset1:100
	s_waitcnt lgkmcnt(3)
	v_fmac_f32_e32 v3, v145, v121
	v_fmac_f32_e32 v3, v146, v122
	s_waitcnt lgkmcnt(2)
	s_delay_alu instid0(VALU_DEP_1) | instskip(SKIP_1) | instid1(VALU_DEP_1)
	v_fmac_f32_e32 v3, v147, v123
	s_waitcnt vmcnt(3)
	v_fmac_f32_e32 v3, v148, v124
	ds_load_2addr_b32 v[121:122], v2 offset0:101 offset1:102
	ds_load_2addr_b32 v[123:124], v2 offset0:103 offset1:104
	s_waitcnt lgkmcnt(3)
	v_fmac_f32_e32 v3, v149, v117
	s_delay_alu instid0(VALU_DEP_1) | instskip(SKIP_4) | instid1(VALU_DEP_1)
	v_fmac_f32_e32 v3, v150, v118
	ds_load_2addr_b32 v[117:118], v2 offset0:105 offset1:106
	s_waitcnt lgkmcnt(3)
	v_fmac_f32_e32 v3, v151, v119
	s_waitcnt vmcnt(2)
	v_fmac_f32_e32 v3, v152, v120
	ds_load_2addr_b32 v[119:120], v2 offset0:107 offset1:108
	s_waitcnt lgkmcnt(3)
	v_fmac_f32_e32 v3, v153, v121
	s_delay_alu instid0(VALU_DEP_1) | instskip(SKIP_1) | instid1(VALU_DEP_1)
	v_fmac_f32_e32 v3, v154, v122
	s_waitcnt lgkmcnt(2)
	v_fmac_f32_e32 v3, v155, v123
	ds_load_2addr_b32 v[121:122], v2 offset0:109 offset1:110
	ds_load_b32 v123, v2 offset:444
	s_waitcnt vmcnt(1)
	v_fmac_f32_e32 v3, v156, v124
	s_waitcnt lgkmcnt(3)
	s_delay_alu instid0(VALU_DEP_1) | instskip(NEXT) | instid1(VALU_DEP_1)
	v_fmac_f32_e32 v3, v157, v117
	v_fmac_f32_e32 v3, v158, v118
	s_waitcnt lgkmcnt(2)
	s_delay_alu instid0(VALU_DEP_1) | instskip(SKIP_1) | instid1(VALU_DEP_1)
	v_fmac_f32_e32 v3, v159, v119
	s_waitcnt vmcnt(0)
	v_fmac_f32_e32 v3, v160, v120
	s_waitcnt lgkmcnt(1)
	s_delay_alu instid0(VALU_DEP_1) | instskip(NEXT) | instid1(VALU_DEP_1)
	v_fmac_f32_e32 v3, v161, v121
	v_fmac_f32_e32 v3, v162, v122
	s_waitcnt lgkmcnt(0)
	s_delay_alu instid0(VALU_DEP_1) | instskip(NEXT) | instid1(VALU_DEP_1)
	v_fmac_f32_e32 v3, v163, v123
	v_sub_f32_e32 v3, v116, v3
	scratch_store_b32 off, v3, off offset:32
	v_cmpx_lt_u32_e32 7, v0
	s_cbranch_execz .LBB55_329
; %bb.328:
	scratch_load_b32 v3, off, off offset:28
	scratch_store_b32 off, v2, off offset:28
	s_waitcnt vmcnt(0)
	ds_store_b32 v1, v3
.LBB55_329:
	s_or_b32 exec_lo, exec_lo, s0
	s_waitcnt lgkmcnt(0)
	s_waitcnt_vscnt null, 0x0
	s_barrier
	buffer_gl0_inv
	s_clause 0xc
	scratch_load_b128 v[116:119], off, off offset:28
	scratch_load_b128 v[120:123], off, off offset:44
	scratch_load_b128 v[124:127], off, off offset:60
	scratch_load_b128 v[128:131], off, off offset:76
	scratch_load_b128 v[132:135], off, off offset:92
	scratch_load_b128 v[136:139], off, off offset:108
	scratch_load_b128 v[140:143], off, off offset:124
	scratch_load_b128 v[144:147], off, off offset:140
	scratch_load_b128 v[148:151], off, off offset:156
	scratch_load_b128 v[152:155], off, off offset:172
	scratch_load_b128 v[156:159], off, off offset:188
	scratch_load_b128 v[160:163], off, off offset:204
	scratch_load_b32 v3, off, off offset:220
	ds_load_b128 v[164:167], v2 offset:256
	ds_load_b128 v[168:171], v2 offset:272
	s_mov_b32 s0, exec_lo
	s_waitcnt vmcnt(12) lgkmcnt(1)
	v_fma_f32 v164, v117, v164, 0
	s_delay_alu instid0(VALU_DEP_1) | instskip(NEXT) | instid1(VALU_DEP_1)
	v_fmac_f32_e32 v164, v118, v165
	v_fmac_f32_e32 v164, v119, v166
	s_waitcnt vmcnt(11)
	s_delay_alu instid0(VALU_DEP_1) | instskip(SKIP_3) | instid1(VALU_DEP_1)
	v_fmac_f32_e32 v164, v120, v167
	ds_load_b128 v[117:120], v2 offset:288
	s_waitcnt lgkmcnt(1)
	v_fmac_f32_e32 v164, v121, v168
	v_fmac_f32_e32 v164, v122, v169
	s_delay_alu instid0(VALU_DEP_1) | instskip(SKIP_1) | instid1(VALU_DEP_1)
	v_fmac_f32_e32 v164, v123, v170
	s_waitcnt vmcnt(10)
	v_fmac_f32_e32 v164, v124, v171
	ds_load_b128 v[121:124], v2 offset:304
	s_waitcnt lgkmcnt(1)
	v_fmac_f32_e32 v164, v125, v117
	s_delay_alu instid0(VALU_DEP_1) | instskip(NEXT) | instid1(VALU_DEP_1)
	v_fmac_f32_e32 v164, v126, v118
	v_fmac_f32_e32 v164, v127, v119
	s_waitcnt vmcnt(9)
	s_delay_alu instid0(VALU_DEP_1) | instskip(SKIP_3) | instid1(VALU_DEP_1)
	v_fmac_f32_e32 v164, v128, v120
	ds_load_b128 v[117:120], v2 offset:320
	s_waitcnt lgkmcnt(1)
	v_fmac_f32_e32 v164, v129, v121
	v_fmac_f32_e32 v164, v130, v122
	s_delay_alu instid0(VALU_DEP_1) | instskip(SKIP_1) | instid1(VALU_DEP_1)
	v_fmac_f32_e32 v164, v131, v123
	s_waitcnt vmcnt(8)
	v_fmac_f32_e32 v164, v132, v124
	ds_load_b128 v[121:124], v2 offset:336
	s_waitcnt lgkmcnt(1)
	v_fmac_f32_e32 v164, v133, v117
	;; [unrolled: 17-line block ×5, first 2 shown]
	s_delay_alu instid0(VALU_DEP_1) | instskip(NEXT) | instid1(VALU_DEP_1)
	v_fmac_f32_e32 v164, v158, v118
	v_fmac_f32_e32 v164, v159, v119
	s_waitcnt vmcnt(1)
	s_delay_alu instid0(VALU_DEP_1) | instskip(SKIP_1) | instid1(VALU_DEP_1)
	v_fmac_f32_e32 v164, v160, v120
	s_waitcnt lgkmcnt(0)
	v_fmac_f32_e32 v164, v161, v121
	s_delay_alu instid0(VALU_DEP_1) | instskip(NEXT) | instid1(VALU_DEP_1)
	v_fmac_f32_e32 v164, v162, v122
	v_fmac_f32_e32 v164, v163, v123
	s_waitcnt vmcnt(0)
	s_delay_alu instid0(VALU_DEP_1) | instskip(NEXT) | instid1(VALU_DEP_1)
	v_fmac_f32_e32 v164, v3, v124
	v_sub_f32_e32 v2, v116, v164
	scratch_store_b32 off, v2, off offset:28
	v_cmpx_lt_u32_e32 6, v0
	s_cbranch_execz .LBB55_331
; %bb.330:
	scratch_load_b32 v2, off, off offset:24
	v_mov_b32_e32 v3, 0
	scratch_store_b32 off, v3, off offset:24
	s_waitcnt vmcnt(0)
	ds_store_b32 v1, v2
.LBB55_331:
	s_or_b32 exec_lo, exec_lo, s0
	s_waitcnt lgkmcnt(0)
	s_waitcnt_vscnt null, 0x0
	s_barrier
	buffer_gl0_inv
	s_clause 0xc
	scratch_load_b128 v[116:119], off, off offset:24
	scratch_load_b128 v[120:123], off, off offset:40
	scratch_load_b128 v[124:127], off, off offset:56
	scratch_load_b128 v[128:131], off, off offset:72
	scratch_load_b128 v[132:135], off, off offset:88
	scratch_load_b128 v[136:139], off, off offset:104
	scratch_load_b128 v[140:143], off, off offset:120
	scratch_load_b128 v[144:147], off, off offset:136
	scratch_load_b128 v[148:151], off, off offset:152
	scratch_load_b128 v[152:155], off, off offset:168
	scratch_load_b128 v[156:159], off, off offset:184
	scratch_load_b128 v[160:163], off, off offset:200
	scratch_load_b64 v[164:165], off, off offset:216
	v_mov_b32_e32 v2, 0
	ds_load_2addr_b32 v[166:167], v2 offset0:63 offset1:64
	ds_load_2addr_b32 v[168:169], v2 offset0:65 offset1:66
	;; [unrolled: 1-line block ×4, first 2 shown]
	s_mov_b32 s0, exec_lo
	s_waitcnt vmcnt(12) lgkmcnt(3)
	v_fma_f32 v3, v117, v166, 0
	s_delay_alu instid0(VALU_DEP_1) | instskip(SKIP_4) | instid1(VALU_DEP_1)
	v_fmac_f32_e32 v3, v118, v167
	ds_load_2addr_b32 v[117:118], v2 offset0:71 offset1:72
	s_waitcnt lgkmcnt(3)
	v_fmac_f32_e32 v3, v119, v168
	s_waitcnt vmcnt(11)
	v_fmac_f32_e32 v3, v120, v169
	ds_load_2addr_b32 v[119:120], v2 offset0:73 offset1:74
	s_waitcnt lgkmcnt(3)
	v_fmac_f32_e32 v3, v121, v170
	s_delay_alu instid0(VALU_DEP_1) | instskip(SKIP_1) | instid1(VALU_DEP_1)
	v_fmac_f32_e32 v3, v122, v171
	s_waitcnt lgkmcnt(2)
	v_fmac_f32_e32 v3, v123, v172
	s_waitcnt vmcnt(10)
	s_delay_alu instid0(VALU_DEP_1) | instskip(SKIP_4) | instid1(VALU_DEP_1)
	v_fmac_f32_e32 v3, v124, v173
	ds_load_2addr_b32 v[121:122], v2 offset0:75 offset1:76
	ds_load_2addr_b32 v[123:124], v2 offset0:77 offset1:78
	s_waitcnt lgkmcnt(3)
	v_fmac_f32_e32 v3, v125, v117
	v_fmac_f32_e32 v3, v126, v118
	ds_load_2addr_b32 v[117:118], v2 offset0:79 offset1:80
	s_waitcnt lgkmcnt(3)
	v_fmac_f32_e32 v3, v127, v119
	s_waitcnt vmcnt(9)
	s_delay_alu instid0(VALU_DEP_1) | instskip(SKIP_3) | instid1(VALU_DEP_1)
	v_fmac_f32_e32 v3, v128, v120
	ds_load_2addr_b32 v[119:120], v2 offset0:81 offset1:82
	s_waitcnt lgkmcnt(3)
	v_fmac_f32_e32 v3, v129, v121
	v_fmac_f32_e32 v3, v130, v122
	s_waitcnt lgkmcnt(2)
	s_delay_alu instid0(VALU_DEP_1) | instskip(SKIP_1) | instid1(VALU_DEP_1)
	v_fmac_f32_e32 v3, v131, v123
	s_waitcnt vmcnt(8)
	v_fmac_f32_e32 v3, v132, v124
	ds_load_2addr_b32 v[121:122], v2 offset0:83 offset1:84
	ds_load_2addr_b32 v[123:124], v2 offset0:85 offset1:86
	s_waitcnt lgkmcnt(3)
	v_fmac_f32_e32 v3, v133, v117
	s_delay_alu instid0(VALU_DEP_1) | instskip(SKIP_4) | instid1(VALU_DEP_1)
	v_fmac_f32_e32 v3, v134, v118
	ds_load_2addr_b32 v[117:118], v2 offset0:87 offset1:88
	s_waitcnt lgkmcnt(3)
	v_fmac_f32_e32 v3, v135, v119
	s_waitcnt vmcnt(7)
	v_fmac_f32_e32 v3, v136, v120
	ds_load_2addr_b32 v[119:120], v2 offset0:89 offset1:90
	s_waitcnt lgkmcnt(3)
	v_fmac_f32_e32 v3, v137, v121
	s_delay_alu instid0(VALU_DEP_1) | instskip(SKIP_1) | instid1(VALU_DEP_1)
	v_fmac_f32_e32 v3, v138, v122
	s_waitcnt lgkmcnt(2)
	v_fmac_f32_e32 v3, v139, v123
	s_waitcnt vmcnt(6)
	s_delay_alu instid0(VALU_DEP_1) | instskip(SKIP_4) | instid1(VALU_DEP_1)
	v_fmac_f32_e32 v3, v140, v124
	ds_load_2addr_b32 v[121:122], v2 offset0:91 offset1:92
	ds_load_2addr_b32 v[123:124], v2 offset0:93 offset1:94
	s_waitcnt lgkmcnt(3)
	v_fmac_f32_e32 v3, v141, v117
	v_fmac_f32_e32 v3, v142, v118
	ds_load_2addr_b32 v[117:118], v2 offset0:95 offset1:96
	s_waitcnt lgkmcnt(3)
	v_fmac_f32_e32 v3, v143, v119
	s_waitcnt vmcnt(5)
	s_delay_alu instid0(VALU_DEP_1) | instskip(SKIP_3) | instid1(VALU_DEP_1)
	v_fmac_f32_e32 v3, v144, v120
	ds_load_2addr_b32 v[119:120], v2 offset0:97 offset1:98
	s_waitcnt lgkmcnt(3)
	v_fmac_f32_e32 v3, v145, v121
	v_fmac_f32_e32 v3, v146, v122
	s_waitcnt lgkmcnt(2)
	s_delay_alu instid0(VALU_DEP_1) | instskip(SKIP_1) | instid1(VALU_DEP_1)
	v_fmac_f32_e32 v3, v147, v123
	s_waitcnt vmcnt(4)
	v_fmac_f32_e32 v3, v148, v124
	ds_load_2addr_b32 v[121:122], v2 offset0:99 offset1:100
	ds_load_2addr_b32 v[123:124], v2 offset0:101 offset1:102
	s_waitcnt lgkmcnt(3)
	v_fmac_f32_e32 v3, v149, v117
	s_delay_alu instid0(VALU_DEP_1) | instskip(SKIP_4) | instid1(VALU_DEP_1)
	v_fmac_f32_e32 v3, v150, v118
	ds_load_2addr_b32 v[117:118], v2 offset0:103 offset1:104
	s_waitcnt lgkmcnt(3)
	v_fmac_f32_e32 v3, v151, v119
	s_waitcnt vmcnt(3)
	v_fmac_f32_e32 v3, v152, v120
	ds_load_2addr_b32 v[119:120], v2 offset0:105 offset1:106
	s_waitcnt lgkmcnt(3)
	v_fmac_f32_e32 v3, v153, v121
	s_delay_alu instid0(VALU_DEP_1) | instskip(SKIP_1) | instid1(VALU_DEP_1)
	v_fmac_f32_e32 v3, v154, v122
	s_waitcnt lgkmcnt(2)
	v_fmac_f32_e32 v3, v155, v123
	s_waitcnt vmcnt(2)
	s_delay_alu instid0(VALU_DEP_1)
	v_fmac_f32_e32 v3, v156, v124
	ds_load_2addr_b32 v[121:122], v2 offset0:107 offset1:108
	ds_load_2addr_b32 v[123:124], v2 offset0:109 offset1:110
	s_waitcnt lgkmcnt(3)
	v_fmac_f32_e32 v3, v157, v117
	ds_load_b32 v117, v2 offset:444
	v_fmac_f32_e32 v3, v158, v118
	s_waitcnt lgkmcnt(3)
	s_delay_alu instid0(VALU_DEP_1) | instskip(SKIP_1) | instid1(VALU_DEP_1)
	v_fmac_f32_e32 v3, v159, v119
	s_waitcnt vmcnt(1)
	v_fmac_f32_e32 v3, v160, v120
	s_waitcnt lgkmcnt(2)
	s_delay_alu instid0(VALU_DEP_1) | instskip(NEXT) | instid1(VALU_DEP_1)
	v_fmac_f32_e32 v3, v161, v121
	v_fmac_f32_e32 v3, v162, v122
	s_waitcnt lgkmcnt(1)
	s_delay_alu instid0(VALU_DEP_1) | instskip(SKIP_1) | instid1(VALU_DEP_1)
	v_fmac_f32_e32 v3, v163, v123
	s_waitcnt vmcnt(0)
	v_fmac_f32_e32 v3, v164, v124
	s_waitcnt lgkmcnt(0)
	s_delay_alu instid0(VALU_DEP_1) | instskip(NEXT) | instid1(VALU_DEP_1)
	v_fmac_f32_e32 v3, v165, v117
	v_sub_f32_e32 v3, v116, v3
	scratch_store_b32 off, v3, off offset:24
	v_cmpx_lt_u32_e32 5, v0
	s_cbranch_execz .LBB55_333
; %bb.332:
	scratch_load_b32 v3, off, off offset:20
	scratch_store_b32 off, v2, off offset:20
	s_waitcnt vmcnt(0)
	ds_store_b32 v1, v3
.LBB55_333:
	s_or_b32 exec_lo, exec_lo, s0
	s_waitcnt lgkmcnt(0)
	s_waitcnt_vscnt null, 0x0
	s_barrier
	buffer_gl0_inv
	s_clause 0xc
	scratch_load_b128 v[116:119], off, off offset:20
	scratch_load_b128 v[120:123], off, off offset:36
	;; [unrolled: 1-line block ×12, first 2 shown]
	scratch_load_b96 v[172:174], off, off offset:212
	ds_load_2addr_b64 v[164:167], v2 offset0:31 offset1:32
	ds_load_2addr_b64 v[168:171], v2 offset0:33 offset1:34
	s_mov_b32 s0, exec_lo
	s_waitcnt vmcnt(12) lgkmcnt(1)
	v_fma_f32 v164, v117, v164, 0
	s_delay_alu instid0(VALU_DEP_1) | instskip(NEXT) | instid1(VALU_DEP_1)
	v_fmac_f32_e32 v164, v118, v165
	v_fmac_f32_e32 v164, v119, v166
	s_waitcnt vmcnt(11)
	s_delay_alu instid0(VALU_DEP_1) | instskip(SKIP_3) | instid1(VALU_DEP_1)
	v_fmac_f32_e32 v164, v120, v167
	ds_load_2addr_b64 v[117:120], v2 offset0:35 offset1:36
	s_waitcnt lgkmcnt(1)
	v_fmac_f32_e32 v164, v121, v168
	v_fmac_f32_e32 v164, v122, v169
	s_delay_alu instid0(VALU_DEP_1) | instskip(SKIP_1) | instid1(VALU_DEP_1)
	v_fmac_f32_e32 v164, v123, v170
	s_waitcnt vmcnt(10)
	v_fmac_f32_e32 v164, v124, v171
	ds_load_2addr_b64 v[121:124], v2 offset0:37 offset1:38
	s_waitcnt lgkmcnt(1)
	v_fmac_f32_e32 v164, v125, v117
	s_delay_alu instid0(VALU_DEP_1) | instskip(NEXT) | instid1(VALU_DEP_1)
	v_fmac_f32_e32 v164, v126, v118
	v_fmac_f32_e32 v164, v127, v119
	s_waitcnt vmcnt(9)
	s_delay_alu instid0(VALU_DEP_1) | instskip(SKIP_3) | instid1(VALU_DEP_1)
	v_fmac_f32_e32 v164, v128, v120
	ds_load_2addr_b64 v[117:120], v2 offset0:39 offset1:40
	s_waitcnt lgkmcnt(1)
	v_fmac_f32_e32 v164, v129, v121
	v_fmac_f32_e32 v164, v130, v122
	s_delay_alu instid0(VALU_DEP_1) | instskip(SKIP_1) | instid1(VALU_DEP_1)
	v_fmac_f32_e32 v164, v131, v123
	s_waitcnt vmcnt(8)
	v_fmac_f32_e32 v164, v132, v124
	ds_load_2addr_b64 v[121:124], v2 offset0:41 offset1:42
	s_waitcnt lgkmcnt(1)
	v_fmac_f32_e32 v164, v133, v117
	;; [unrolled: 17-line block ×4, first 2 shown]
	s_delay_alu instid0(VALU_DEP_1) | instskip(NEXT) | instid1(VALU_DEP_1)
	v_fmac_f32_e32 v164, v150, v118
	v_fmac_f32_e32 v164, v151, v119
	s_waitcnt vmcnt(3)
	s_delay_alu instid0(VALU_DEP_1) | instskip(SKIP_3) | instid1(VALU_DEP_1)
	v_fmac_f32_e32 v164, v152, v120
	ds_load_2addr_b64 v[117:120], v2 offset0:51 offset1:52
	s_waitcnt lgkmcnt(1)
	v_fmac_f32_e32 v164, v153, v121
	v_fmac_f32_e32 v164, v154, v122
	s_delay_alu instid0(VALU_DEP_1) | instskip(SKIP_1) | instid1(VALU_DEP_1)
	v_fmac_f32_e32 v164, v155, v123
	s_waitcnt vmcnt(2)
	v_fmac_f32_e32 v164, v156, v124
	ds_load_2addr_b64 v[121:124], v2 offset0:53 offset1:54
	ds_load_b64 v[2:3], v2 offset:440
	s_waitcnt lgkmcnt(2)
	v_fmac_f32_e32 v164, v157, v117
	s_delay_alu instid0(VALU_DEP_1) | instskip(NEXT) | instid1(VALU_DEP_1)
	v_fmac_f32_e32 v164, v158, v118
	v_fmac_f32_e32 v164, v159, v119
	s_waitcnt vmcnt(1)
	s_delay_alu instid0(VALU_DEP_1) | instskip(SKIP_1) | instid1(VALU_DEP_1)
	v_fmac_f32_e32 v164, v160, v120
	s_waitcnt lgkmcnt(1)
	v_fmac_f32_e32 v164, v161, v121
	s_delay_alu instid0(VALU_DEP_1) | instskip(NEXT) | instid1(VALU_DEP_1)
	v_fmac_f32_e32 v164, v162, v122
	v_fmac_f32_e32 v164, v163, v123
	s_waitcnt vmcnt(0)
	s_delay_alu instid0(VALU_DEP_1) | instskip(SKIP_1) | instid1(VALU_DEP_1)
	v_fmac_f32_e32 v164, v172, v124
	s_waitcnt lgkmcnt(0)
	v_fmac_f32_e32 v164, v173, v2
	s_delay_alu instid0(VALU_DEP_1) | instskip(NEXT) | instid1(VALU_DEP_1)
	v_fmac_f32_e32 v164, v174, v3
	v_sub_f32_e32 v2, v116, v164
	scratch_store_b32 off, v2, off offset:20
	v_cmpx_lt_u32_e32 4, v0
	s_cbranch_execz .LBB55_335
; %bb.334:
	scratch_load_b32 v2, off, off offset:16
	v_mov_b32_e32 v3, 0
	scratch_store_b32 off, v3, off offset:16
	s_waitcnt vmcnt(0)
	ds_store_b32 v1, v2
.LBB55_335:
	s_or_b32 exec_lo, exec_lo, s0
	s_waitcnt lgkmcnt(0)
	s_waitcnt_vscnt null, 0x0
	s_barrier
	buffer_gl0_inv
	s_clause 0xc
	scratch_load_b128 v[116:119], off, off offset:16
	scratch_load_b128 v[120:123], off, off offset:32
	;; [unrolled: 1-line block ×13, first 2 shown]
	v_mov_b32_e32 v2, 0
	ds_load_2addr_b32 v[168:169], v2 offset0:61 offset1:62
	ds_load_2addr_b32 v[170:171], v2 offset0:63 offset1:64
	;; [unrolled: 1-line block ×4, first 2 shown]
	s_mov_b32 s0, exec_lo
	s_waitcnt vmcnt(12) lgkmcnt(3)
	v_fma_f32 v3, v117, v168, 0
	s_delay_alu instid0(VALU_DEP_1) | instskip(SKIP_4) | instid1(VALU_DEP_1)
	v_fmac_f32_e32 v3, v118, v169
	ds_load_2addr_b32 v[117:118], v2 offset0:69 offset1:70
	s_waitcnt lgkmcnt(3)
	v_fmac_f32_e32 v3, v119, v170
	s_waitcnt vmcnt(11)
	v_fmac_f32_e32 v3, v120, v171
	ds_load_2addr_b32 v[119:120], v2 offset0:71 offset1:72
	s_waitcnt lgkmcnt(3)
	v_fmac_f32_e32 v3, v121, v172
	s_delay_alu instid0(VALU_DEP_1) | instskip(SKIP_1) | instid1(VALU_DEP_1)
	v_fmac_f32_e32 v3, v122, v173
	s_waitcnt lgkmcnt(2)
	v_fmac_f32_e32 v3, v123, v174
	s_waitcnt vmcnt(10)
	s_delay_alu instid0(VALU_DEP_1) | instskip(SKIP_4) | instid1(VALU_DEP_1)
	v_fmac_f32_e32 v3, v124, v175
	ds_load_2addr_b32 v[121:122], v2 offset0:73 offset1:74
	ds_load_2addr_b32 v[123:124], v2 offset0:75 offset1:76
	s_waitcnt lgkmcnt(3)
	v_fmac_f32_e32 v3, v125, v117
	v_fmac_f32_e32 v3, v126, v118
	ds_load_2addr_b32 v[117:118], v2 offset0:77 offset1:78
	s_waitcnt lgkmcnt(3)
	v_fmac_f32_e32 v3, v127, v119
	s_waitcnt vmcnt(9)
	s_delay_alu instid0(VALU_DEP_1) | instskip(SKIP_3) | instid1(VALU_DEP_1)
	v_fmac_f32_e32 v3, v128, v120
	ds_load_2addr_b32 v[119:120], v2 offset0:79 offset1:80
	s_waitcnt lgkmcnt(3)
	v_fmac_f32_e32 v3, v129, v121
	v_fmac_f32_e32 v3, v130, v122
	s_waitcnt lgkmcnt(2)
	s_delay_alu instid0(VALU_DEP_1) | instskip(SKIP_1) | instid1(VALU_DEP_1)
	v_fmac_f32_e32 v3, v131, v123
	s_waitcnt vmcnt(8)
	v_fmac_f32_e32 v3, v132, v124
	ds_load_2addr_b32 v[121:122], v2 offset0:81 offset1:82
	ds_load_2addr_b32 v[123:124], v2 offset0:83 offset1:84
	s_waitcnt lgkmcnt(3)
	v_fmac_f32_e32 v3, v133, v117
	s_delay_alu instid0(VALU_DEP_1) | instskip(SKIP_4) | instid1(VALU_DEP_1)
	v_fmac_f32_e32 v3, v134, v118
	ds_load_2addr_b32 v[117:118], v2 offset0:85 offset1:86
	s_waitcnt lgkmcnt(3)
	v_fmac_f32_e32 v3, v135, v119
	s_waitcnt vmcnt(7)
	v_fmac_f32_e32 v3, v136, v120
	ds_load_2addr_b32 v[119:120], v2 offset0:87 offset1:88
	s_waitcnt lgkmcnt(3)
	v_fmac_f32_e32 v3, v137, v121
	s_delay_alu instid0(VALU_DEP_1) | instskip(SKIP_1) | instid1(VALU_DEP_1)
	v_fmac_f32_e32 v3, v138, v122
	s_waitcnt lgkmcnt(2)
	v_fmac_f32_e32 v3, v139, v123
	s_waitcnt vmcnt(6)
	s_delay_alu instid0(VALU_DEP_1) | instskip(SKIP_4) | instid1(VALU_DEP_1)
	v_fmac_f32_e32 v3, v140, v124
	ds_load_2addr_b32 v[121:122], v2 offset0:89 offset1:90
	ds_load_2addr_b32 v[123:124], v2 offset0:91 offset1:92
	s_waitcnt lgkmcnt(3)
	v_fmac_f32_e32 v3, v141, v117
	v_fmac_f32_e32 v3, v142, v118
	ds_load_2addr_b32 v[117:118], v2 offset0:93 offset1:94
	s_waitcnt lgkmcnt(3)
	v_fmac_f32_e32 v3, v143, v119
	s_waitcnt vmcnt(5)
	s_delay_alu instid0(VALU_DEP_1) | instskip(SKIP_3) | instid1(VALU_DEP_1)
	v_fmac_f32_e32 v3, v144, v120
	ds_load_2addr_b32 v[119:120], v2 offset0:95 offset1:96
	s_waitcnt lgkmcnt(3)
	v_fmac_f32_e32 v3, v145, v121
	v_fmac_f32_e32 v3, v146, v122
	s_waitcnt lgkmcnt(2)
	s_delay_alu instid0(VALU_DEP_1) | instskip(SKIP_1) | instid1(VALU_DEP_1)
	v_fmac_f32_e32 v3, v147, v123
	s_waitcnt vmcnt(4)
	v_fmac_f32_e32 v3, v148, v124
	ds_load_2addr_b32 v[121:122], v2 offset0:97 offset1:98
	ds_load_2addr_b32 v[123:124], v2 offset0:99 offset1:100
	s_waitcnt lgkmcnt(3)
	v_fmac_f32_e32 v3, v149, v117
	s_delay_alu instid0(VALU_DEP_1) | instskip(SKIP_4) | instid1(VALU_DEP_1)
	v_fmac_f32_e32 v3, v150, v118
	ds_load_2addr_b32 v[117:118], v2 offset0:101 offset1:102
	s_waitcnt lgkmcnt(3)
	v_fmac_f32_e32 v3, v151, v119
	s_waitcnt vmcnt(3)
	v_fmac_f32_e32 v3, v152, v120
	ds_load_2addr_b32 v[119:120], v2 offset0:103 offset1:104
	s_waitcnt lgkmcnt(3)
	v_fmac_f32_e32 v3, v153, v121
	s_delay_alu instid0(VALU_DEP_1) | instskip(SKIP_1) | instid1(VALU_DEP_1)
	v_fmac_f32_e32 v3, v154, v122
	s_waitcnt lgkmcnt(2)
	v_fmac_f32_e32 v3, v155, v123
	s_waitcnt vmcnt(2)
	s_delay_alu instid0(VALU_DEP_1) | instskip(SKIP_4) | instid1(VALU_DEP_1)
	v_fmac_f32_e32 v3, v156, v124
	ds_load_2addr_b32 v[121:122], v2 offset0:105 offset1:106
	ds_load_2addr_b32 v[123:124], v2 offset0:107 offset1:108
	s_waitcnt lgkmcnt(3)
	v_fmac_f32_e32 v3, v157, v117
	v_fmac_f32_e32 v3, v158, v118
	ds_load_2addr_b32 v[117:118], v2 offset0:109 offset1:110
	s_waitcnt lgkmcnt(3)
	v_fmac_f32_e32 v3, v159, v119
	ds_load_b32 v119, v2 offset:444
	s_waitcnt vmcnt(1)
	v_fmac_f32_e32 v3, v160, v120
	s_waitcnt lgkmcnt(3)
	s_delay_alu instid0(VALU_DEP_1) | instskip(NEXT) | instid1(VALU_DEP_1)
	v_fmac_f32_e32 v3, v161, v121
	v_fmac_f32_e32 v3, v162, v122
	s_waitcnt lgkmcnt(2)
	s_delay_alu instid0(VALU_DEP_1) | instskip(SKIP_1) | instid1(VALU_DEP_1)
	v_fmac_f32_e32 v3, v163, v123
	s_waitcnt vmcnt(0)
	v_fmac_f32_e32 v3, v164, v124
	s_waitcnt lgkmcnt(1)
	s_delay_alu instid0(VALU_DEP_1) | instskip(NEXT) | instid1(VALU_DEP_1)
	v_fmac_f32_e32 v3, v165, v117
	v_fmac_f32_e32 v3, v166, v118
	s_waitcnt lgkmcnt(0)
	s_delay_alu instid0(VALU_DEP_1) | instskip(NEXT) | instid1(VALU_DEP_1)
	v_fmac_f32_e32 v3, v167, v119
	v_sub_f32_e32 v3, v116, v3
	scratch_store_b32 off, v3, off offset:16
	v_cmpx_lt_u32_e32 3, v0
	s_cbranch_execz .LBB55_337
; %bb.336:
	scratch_load_b32 v3, off, off offset:12
	scratch_store_b32 off, v2, off offset:12
	s_waitcnt vmcnt(0)
	ds_store_b32 v1, v3
.LBB55_337:
	s_or_b32 exec_lo, exec_lo, s0
	s_waitcnt lgkmcnt(0)
	s_waitcnt_vscnt null, 0x0
	s_barrier
	buffer_gl0_inv
	s_clause 0xd
	scratch_load_b128 v[116:119], off, off offset:12
	scratch_load_b128 v[120:123], off, off offset:28
	;; [unrolled: 1-line block ×13, first 2 shown]
	scratch_load_b32 v3, off, off offset:220
	ds_load_b128 v[168:171], v2 offset:240
	ds_load_b128 v[172:175], v2 offset:256
	s_mov_b32 s0, exec_lo
	s_waitcnt vmcnt(13) lgkmcnt(1)
	v_fma_f32 v168, v117, v168, 0
	s_delay_alu instid0(VALU_DEP_1) | instskip(NEXT) | instid1(VALU_DEP_1)
	v_fmac_f32_e32 v168, v118, v169
	v_fmac_f32_e32 v168, v119, v170
	s_waitcnt vmcnt(12)
	s_delay_alu instid0(VALU_DEP_1) | instskip(SKIP_3) | instid1(VALU_DEP_1)
	v_fmac_f32_e32 v168, v120, v171
	ds_load_b128 v[117:120], v2 offset:272
	s_waitcnt lgkmcnt(1)
	v_fmac_f32_e32 v168, v121, v172
	v_fmac_f32_e32 v168, v122, v173
	s_delay_alu instid0(VALU_DEP_1) | instskip(SKIP_1) | instid1(VALU_DEP_1)
	v_fmac_f32_e32 v168, v123, v174
	s_waitcnt vmcnt(11)
	v_fmac_f32_e32 v168, v124, v175
	ds_load_b128 v[121:124], v2 offset:288
	s_waitcnt lgkmcnt(1)
	v_fmac_f32_e32 v168, v125, v117
	s_delay_alu instid0(VALU_DEP_1) | instskip(NEXT) | instid1(VALU_DEP_1)
	v_fmac_f32_e32 v168, v126, v118
	v_fmac_f32_e32 v168, v127, v119
	s_waitcnt vmcnt(10)
	s_delay_alu instid0(VALU_DEP_1) | instskip(SKIP_3) | instid1(VALU_DEP_1)
	v_fmac_f32_e32 v168, v128, v120
	ds_load_b128 v[117:120], v2 offset:304
	s_waitcnt lgkmcnt(1)
	v_fmac_f32_e32 v168, v129, v121
	v_fmac_f32_e32 v168, v130, v122
	s_delay_alu instid0(VALU_DEP_1) | instskip(SKIP_1) | instid1(VALU_DEP_1)
	v_fmac_f32_e32 v168, v131, v123
	s_waitcnt vmcnt(9)
	v_fmac_f32_e32 v168, v132, v124
	ds_load_b128 v[121:124], v2 offset:320
	s_waitcnt lgkmcnt(1)
	v_fmac_f32_e32 v168, v133, v117
	;; [unrolled: 17-line block ×5, first 2 shown]
	s_delay_alu instid0(VALU_DEP_1) | instskip(NEXT) | instid1(VALU_DEP_1)
	v_fmac_f32_e32 v168, v158, v118
	v_fmac_f32_e32 v168, v159, v119
	s_waitcnt vmcnt(2)
	s_delay_alu instid0(VALU_DEP_1) | instskip(SKIP_3) | instid1(VALU_DEP_1)
	v_fmac_f32_e32 v168, v160, v120
	ds_load_b128 v[117:120], v2 offset:432
	s_waitcnt lgkmcnt(1)
	v_fmac_f32_e32 v168, v161, v121
	v_fmac_f32_e32 v168, v162, v122
	s_delay_alu instid0(VALU_DEP_1) | instskip(SKIP_1) | instid1(VALU_DEP_1)
	v_fmac_f32_e32 v168, v163, v123
	s_waitcnt vmcnt(1)
	v_fmac_f32_e32 v168, v164, v124
	s_waitcnt lgkmcnt(0)
	s_delay_alu instid0(VALU_DEP_1) | instskip(NEXT) | instid1(VALU_DEP_1)
	v_fmac_f32_e32 v168, v165, v117
	v_fmac_f32_e32 v168, v166, v118
	s_delay_alu instid0(VALU_DEP_1) | instskip(SKIP_1) | instid1(VALU_DEP_1)
	v_fmac_f32_e32 v168, v167, v119
	s_waitcnt vmcnt(0)
	v_fmac_f32_e32 v168, v3, v120
	s_delay_alu instid0(VALU_DEP_1)
	v_sub_f32_e32 v2, v116, v168
	scratch_store_b32 off, v2, off offset:12
	v_cmpx_lt_u32_e32 2, v0
	s_cbranch_execz .LBB55_339
; %bb.338:
	scratch_load_b32 v2, off, off offset:8
	v_mov_b32_e32 v3, 0
	scratch_store_b32 off, v3, off offset:8
	s_waitcnt vmcnt(0)
	ds_store_b32 v1, v2
.LBB55_339:
	s_or_b32 exec_lo, exec_lo, s0
	s_waitcnt lgkmcnt(0)
	s_waitcnt_vscnt null, 0x0
	s_barrier
	buffer_gl0_inv
	s_clause 0xd
	scratch_load_b128 v[116:119], off, off offset:8
	scratch_load_b128 v[120:123], off, off offset:24
	;; [unrolled: 1-line block ×13, first 2 shown]
	scratch_load_b64 v[168:169], off, off offset:216
	v_mov_b32_e32 v2, 0
	ds_load_2addr_b32 v[170:171], v2 offset0:59 offset1:60
	ds_load_2addr_b32 v[172:173], v2 offset0:61 offset1:62
	;; [unrolled: 1-line block ×4, first 2 shown]
	s_mov_b32 s0, exec_lo
	s_waitcnt vmcnt(13) lgkmcnt(3)
	v_fma_f32 v3, v117, v170, 0
	s_delay_alu instid0(VALU_DEP_1) | instskip(SKIP_4) | instid1(VALU_DEP_1)
	v_fmac_f32_e32 v3, v118, v171
	ds_load_2addr_b32 v[117:118], v2 offset0:67 offset1:68
	s_waitcnt lgkmcnt(3)
	v_fmac_f32_e32 v3, v119, v172
	s_waitcnt vmcnt(12)
	v_fmac_f32_e32 v3, v120, v173
	ds_load_2addr_b32 v[119:120], v2 offset0:69 offset1:70
	s_waitcnt lgkmcnt(3)
	v_fmac_f32_e32 v3, v121, v174
	s_delay_alu instid0(VALU_DEP_1) | instskip(SKIP_1) | instid1(VALU_DEP_1)
	v_fmac_f32_e32 v3, v122, v175
	s_waitcnt lgkmcnt(2)
	v_fmac_f32_e32 v3, v123, v176
	s_waitcnt vmcnt(11)
	s_delay_alu instid0(VALU_DEP_1) | instskip(SKIP_4) | instid1(VALU_DEP_1)
	v_fmac_f32_e32 v3, v124, v177
	ds_load_2addr_b32 v[121:122], v2 offset0:71 offset1:72
	ds_load_2addr_b32 v[123:124], v2 offset0:73 offset1:74
	s_waitcnt lgkmcnt(3)
	v_fmac_f32_e32 v3, v125, v117
	v_fmac_f32_e32 v3, v126, v118
	ds_load_2addr_b32 v[117:118], v2 offset0:75 offset1:76
	s_waitcnt lgkmcnt(3)
	v_fmac_f32_e32 v3, v127, v119
	s_waitcnt vmcnt(10)
	s_delay_alu instid0(VALU_DEP_1) | instskip(SKIP_3) | instid1(VALU_DEP_1)
	v_fmac_f32_e32 v3, v128, v120
	ds_load_2addr_b32 v[119:120], v2 offset0:77 offset1:78
	s_waitcnt lgkmcnt(3)
	v_fmac_f32_e32 v3, v129, v121
	v_fmac_f32_e32 v3, v130, v122
	s_waitcnt lgkmcnt(2)
	s_delay_alu instid0(VALU_DEP_1) | instskip(SKIP_1) | instid1(VALU_DEP_1)
	v_fmac_f32_e32 v3, v131, v123
	s_waitcnt vmcnt(9)
	v_fmac_f32_e32 v3, v132, v124
	ds_load_2addr_b32 v[121:122], v2 offset0:79 offset1:80
	ds_load_2addr_b32 v[123:124], v2 offset0:81 offset1:82
	s_waitcnt lgkmcnt(3)
	v_fmac_f32_e32 v3, v133, v117
	s_delay_alu instid0(VALU_DEP_1) | instskip(SKIP_4) | instid1(VALU_DEP_1)
	v_fmac_f32_e32 v3, v134, v118
	ds_load_2addr_b32 v[117:118], v2 offset0:83 offset1:84
	s_waitcnt lgkmcnt(3)
	v_fmac_f32_e32 v3, v135, v119
	s_waitcnt vmcnt(8)
	v_fmac_f32_e32 v3, v136, v120
	ds_load_2addr_b32 v[119:120], v2 offset0:85 offset1:86
	s_waitcnt lgkmcnt(3)
	v_fmac_f32_e32 v3, v137, v121
	s_delay_alu instid0(VALU_DEP_1) | instskip(SKIP_1) | instid1(VALU_DEP_1)
	v_fmac_f32_e32 v3, v138, v122
	s_waitcnt lgkmcnt(2)
	v_fmac_f32_e32 v3, v139, v123
	s_waitcnt vmcnt(7)
	s_delay_alu instid0(VALU_DEP_1) | instskip(SKIP_4) | instid1(VALU_DEP_1)
	v_fmac_f32_e32 v3, v140, v124
	ds_load_2addr_b32 v[121:122], v2 offset0:87 offset1:88
	ds_load_2addr_b32 v[123:124], v2 offset0:89 offset1:90
	s_waitcnt lgkmcnt(3)
	v_fmac_f32_e32 v3, v141, v117
	v_fmac_f32_e32 v3, v142, v118
	ds_load_2addr_b32 v[117:118], v2 offset0:91 offset1:92
	s_waitcnt lgkmcnt(3)
	v_fmac_f32_e32 v3, v143, v119
	s_waitcnt vmcnt(6)
	s_delay_alu instid0(VALU_DEP_1) | instskip(SKIP_3) | instid1(VALU_DEP_1)
	v_fmac_f32_e32 v3, v144, v120
	ds_load_2addr_b32 v[119:120], v2 offset0:93 offset1:94
	s_waitcnt lgkmcnt(3)
	v_fmac_f32_e32 v3, v145, v121
	v_fmac_f32_e32 v3, v146, v122
	s_waitcnt lgkmcnt(2)
	s_delay_alu instid0(VALU_DEP_1) | instskip(SKIP_1) | instid1(VALU_DEP_1)
	v_fmac_f32_e32 v3, v147, v123
	s_waitcnt vmcnt(5)
	v_fmac_f32_e32 v3, v148, v124
	ds_load_2addr_b32 v[121:122], v2 offset0:95 offset1:96
	ds_load_2addr_b32 v[123:124], v2 offset0:97 offset1:98
	s_waitcnt lgkmcnt(3)
	v_fmac_f32_e32 v3, v149, v117
	s_delay_alu instid0(VALU_DEP_1) | instskip(SKIP_4) | instid1(VALU_DEP_1)
	v_fmac_f32_e32 v3, v150, v118
	ds_load_2addr_b32 v[117:118], v2 offset0:99 offset1:100
	s_waitcnt lgkmcnt(3)
	v_fmac_f32_e32 v3, v151, v119
	s_waitcnt vmcnt(4)
	v_fmac_f32_e32 v3, v152, v120
	ds_load_2addr_b32 v[119:120], v2 offset0:101 offset1:102
	s_waitcnt lgkmcnt(3)
	v_fmac_f32_e32 v3, v153, v121
	s_delay_alu instid0(VALU_DEP_1) | instskip(SKIP_1) | instid1(VALU_DEP_1)
	v_fmac_f32_e32 v3, v154, v122
	s_waitcnt lgkmcnt(2)
	v_fmac_f32_e32 v3, v155, v123
	s_waitcnt vmcnt(3)
	s_delay_alu instid0(VALU_DEP_1) | instskip(SKIP_4) | instid1(VALU_DEP_1)
	v_fmac_f32_e32 v3, v156, v124
	ds_load_2addr_b32 v[121:122], v2 offset0:103 offset1:104
	ds_load_2addr_b32 v[123:124], v2 offset0:105 offset1:106
	s_waitcnt lgkmcnt(3)
	v_fmac_f32_e32 v3, v157, v117
	v_fmac_f32_e32 v3, v158, v118
	ds_load_2addr_b32 v[117:118], v2 offset0:107 offset1:108
	s_waitcnt lgkmcnt(3)
	v_fmac_f32_e32 v3, v159, v119
	s_waitcnt vmcnt(2)
	s_delay_alu instid0(VALU_DEP_1)
	v_fmac_f32_e32 v3, v160, v120
	ds_load_2addr_b32 v[119:120], v2 offset0:109 offset1:110
	s_waitcnt lgkmcnt(3)
	v_fmac_f32_e32 v3, v161, v121
	ds_load_b32 v121, v2 offset:444
	v_fmac_f32_e32 v3, v162, v122
	s_waitcnt lgkmcnt(3)
	s_delay_alu instid0(VALU_DEP_1) | instskip(SKIP_1) | instid1(VALU_DEP_1)
	v_fmac_f32_e32 v3, v163, v123
	s_waitcnt vmcnt(1)
	v_fmac_f32_e32 v3, v164, v124
	s_waitcnt lgkmcnt(2)
	s_delay_alu instid0(VALU_DEP_1) | instskip(NEXT) | instid1(VALU_DEP_1)
	v_fmac_f32_e32 v3, v165, v117
	v_fmac_f32_e32 v3, v166, v118
	s_waitcnt lgkmcnt(1)
	s_delay_alu instid0(VALU_DEP_1) | instskip(SKIP_1) | instid1(VALU_DEP_1)
	v_fmac_f32_e32 v3, v167, v119
	s_waitcnt vmcnt(0)
	v_fmac_f32_e32 v3, v168, v120
	s_waitcnt lgkmcnt(0)
	s_delay_alu instid0(VALU_DEP_1) | instskip(NEXT) | instid1(VALU_DEP_1)
	v_fmac_f32_e32 v3, v169, v121
	v_sub_f32_e32 v3, v116, v3
	scratch_store_b32 off, v3, off offset:8
	v_cmpx_lt_u32_e32 1, v0
	s_cbranch_execz .LBB55_341
; %bb.340:
	scratch_load_b32 v3, off, off offset:4
	scratch_store_b32 off, v2, off offset:4
	s_waitcnt vmcnt(0)
	ds_store_b32 v1, v3
.LBB55_341:
	s_or_b32 exec_lo, exec_lo, s0
	s_waitcnt lgkmcnt(0)
	s_waitcnt_vscnt null, 0x0
	s_barrier
	buffer_gl0_inv
	s_clause 0xd
	scratch_load_b128 v[116:119], off, off offset:4
	scratch_load_b128 v[120:123], off, off offset:20
	;; [unrolled: 1-line block ×13, first 2 shown]
	scratch_load_b96 v[176:178], off, off offset:212
	ds_load_2addr_b64 v[168:171], v2 offset0:29 offset1:30
	ds_load_2addr_b64 v[172:175], v2 offset0:31 offset1:32
	s_mov_b32 s0, exec_lo
	s_waitcnt vmcnt(13) lgkmcnt(1)
	v_fma_f32 v168, v117, v168, 0
	s_delay_alu instid0(VALU_DEP_1) | instskip(NEXT) | instid1(VALU_DEP_1)
	v_fmac_f32_e32 v168, v118, v169
	v_fmac_f32_e32 v168, v119, v170
	s_waitcnt vmcnt(12)
	s_delay_alu instid0(VALU_DEP_1) | instskip(SKIP_3) | instid1(VALU_DEP_1)
	v_fmac_f32_e32 v168, v120, v171
	ds_load_2addr_b64 v[117:120], v2 offset0:33 offset1:34
	s_waitcnt lgkmcnt(1)
	v_fmac_f32_e32 v168, v121, v172
	v_fmac_f32_e32 v168, v122, v173
	s_delay_alu instid0(VALU_DEP_1) | instskip(SKIP_1) | instid1(VALU_DEP_1)
	v_fmac_f32_e32 v168, v123, v174
	s_waitcnt vmcnt(11)
	v_fmac_f32_e32 v168, v124, v175
	ds_load_2addr_b64 v[121:124], v2 offset0:35 offset1:36
	s_waitcnt lgkmcnt(1)
	v_fmac_f32_e32 v168, v125, v117
	s_delay_alu instid0(VALU_DEP_1) | instskip(NEXT) | instid1(VALU_DEP_1)
	v_fmac_f32_e32 v168, v126, v118
	v_fmac_f32_e32 v168, v127, v119
	s_waitcnt vmcnt(10)
	s_delay_alu instid0(VALU_DEP_1) | instskip(SKIP_3) | instid1(VALU_DEP_1)
	v_fmac_f32_e32 v168, v128, v120
	ds_load_2addr_b64 v[117:120], v2 offset0:37 offset1:38
	s_waitcnt lgkmcnt(1)
	v_fmac_f32_e32 v168, v129, v121
	v_fmac_f32_e32 v168, v130, v122
	s_delay_alu instid0(VALU_DEP_1) | instskip(SKIP_1) | instid1(VALU_DEP_1)
	v_fmac_f32_e32 v168, v131, v123
	s_waitcnt vmcnt(9)
	v_fmac_f32_e32 v168, v132, v124
	ds_load_2addr_b64 v[121:124], v2 offset0:39 offset1:40
	s_waitcnt lgkmcnt(1)
	v_fmac_f32_e32 v168, v133, v117
	;; [unrolled: 17-line block ×5, first 2 shown]
	s_delay_alu instid0(VALU_DEP_1) | instskip(NEXT) | instid1(VALU_DEP_1)
	v_fmac_f32_e32 v168, v158, v118
	v_fmac_f32_e32 v168, v159, v119
	s_waitcnt vmcnt(2)
	s_delay_alu instid0(VALU_DEP_1) | instskip(SKIP_4) | instid1(VALU_DEP_1)
	v_fmac_f32_e32 v168, v160, v120
	ds_load_2addr_b64 v[117:120], v2 offset0:53 offset1:54
	ds_load_b64 v[2:3], v2 offset:440
	s_waitcnt lgkmcnt(2)
	v_fmac_f32_e32 v168, v161, v121
	v_fmac_f32_e32 v168, v162, v122
	s_delay_alu instid0(VALU_DEP_1) | instskip(SKIP_1) | instid1(VALU_DEP_1)
	v_fmac_f32_e32 v168, v163, v123
	s_waitcnt vmcnt(1)
	v_fmac_f32_e32 v168, v164, v124
	s_waitcnt lgkmcnt(1)
	s_delay_alu instid0(VALU_DEP_1) | instskip(NEXT) | instid1(VALU_DEP_1)
	v_fmac_f32_e32 v168, v165, v117
	v_fmac_f32_e32 v168, v166, v118
	s_delay_alu instid0(VALU_DEP_1) | instskip(SKIP_1) | instid1(VALU_DEP_1)
	v_fmac_f32_e32 v168, v167, v119
	s_waitcnt vmcnt(0)
	v_fmac_f32_e32 v168, v176, v120
	s_waitcnt lgkmcnt(0)
	s_delay_alu instid0(VALU_DEP_1) | instskip(NEXT) | instid1(VALU_DEP_1)
	v_fmac_f32_e32 v168, v177, v2
	v_fmac_f32_e32 v168, v178, v3
	s_delay_alu instid0(VALU_DEP_1)
	v_sub_f32_e32 v2, v116, v168
	scratch_store_b32 off, v2, off offset:4
	v_cmpx_ne_u32_e32 0, v0
	s_cbranch_execz .LBB55_343
; %bb.342:
	scratch_load_b32 v0, off, off
	v_mov_b32_e32 v2, 0
	scratch_store_b32 off, v2, off
	s_waitcnt vmcnt(0)
	ds_store_b32 v1, v0
.LBB55_343:
	s_or_b32 exec_lo, exec_lo, s0
	s_waitcnt lgkmcnt(0)
	s_waitcnt_vscnt null, 0x0
	s_barrier
	buffer_gl0_inv
	s_clause 0xd
	scratch_load_b128 v[116:119], off, off
	scratch_load_b128 v[120:123], off, off offset:16
	scratch_load_b128 v[124:127], off, off offset:32
	;; [unrolled: 1-line block ×13, first 2 shown]
	v_mov_b32_e32 v176, 0
	ds_load_2addr_b32 v[168:169], v176 offset0:57 offset1:58
	ds_load_2addr_b32 v[170:171], v176 offset0:59 offset1:60
	;; [unrolled: 1-line block ×4, first 2 shown]
	s_and_b32 vcc_lo, exec_lo, s16
	s_waitcnt vmcnt(13) lgkmcnt(3)
	v_fma_f32 v168, v117, v168, 0
	s_delay_alu instid0(VALU_DEP_1) | instskip(SKIP_4) | instid1(VALU_DEP_1)
	v_fmac_f32_e32 v168, v118, v169
	ds_load_2addr_b32 v[117:118], v176 offset0:65 offset1:66
	s_waitcnt lgkmcnt(3)
	v_fmac_f32_e32 v168, v119, v170
	s_waitcnt vmcnt(12)
	v_fmac_f32_e32 v168, v120, v171
	ds_load_2addr_b32 v[119:120], v176 offset0:67 offset1:68
	s_waitcnt lgkmcnt(3)
	v_fmac_f32_e32 v168, v121, v172
	s_delay_alu instid0(VALU_DEP_1) | instskip(SKIP_1) | instid1(VALU_DEP_1)
	v_fmac_f32_e32 v168, v122, v173
	s_waitcnt lgkmcnt(2)
	v_fmac_f32_e32 v168, v123, v174
	s_waitcnt vmcnt(11)
	s_delay_alu instid0(VALU_DEP_1) | instskip(SKIP_4) | instid1(VALU_DEP_1)
	v_fmac_f32_e32 v168, v124, v175
	ds_load_2addr_b32 v[121:122], v176 offset0:69 offset1:70
	ds_load_2addr_b32 v[123:124], v176 offset0:71 offset1:72
	s_waitcnt lgkmcnt(3)
	v_fmac_f32_e32 v168, v125, v117
	v_fmac_f32_e32 v168, v126, v118
	ds_load_2addr_b32 v[117:118], v176 offset0:73 offset1:74
	s_waitcnt lgkmcnt(3)
	v_fmac_f32_e32 v168, v127, v119
	s_waitcnt vmcnt(10)
	s_delay_alu instid0(VALU_DEP_1) | instskip(SKIP_3) | instid1(VALU_DEP_1)
	v_fmac_f32_e32 v168, v128, v120
	ds_load_2addr_b32 v[119:120], v176 offset0:75 offset1:76
	s_waitcnt lgkmcnt(3)
	v_fmac_f32_e32 v168, v129, v121
	v_fmac_f32_e32 v168, v130, v122
	s_waitcnt lgkmcnt(2)
	s_delay_alu instid0(VALU_DEP_1) | instskip(SKIP_1) | instid1(VALU_DEP_1)
	v_fmac_f32_e32 v168, v131, v123
	s_waitcnt vmcnt(9)
	v_fmac_f32_e32 v168, v132, v124
	ds_load_2addr_b32 v[121:122], v176 offset0:77 offset1:78
	ds_load_2addr_b32 v[123:124], v176 offset0:79 offset1:80
	s_waitcnt lgkmcnt(3)
	v_fmac_f32_e32 v168, v133, v117
	s_delay_alu instid0(VALU_DEP_1) | instskip(SKIP_4) | instid1(VALU_DEP_1)
	v_fmac_f32_e32 v168, v134, v118
	ds_load_2addr_b32 v[117:118], v176 offset0:81 offset1:82
	s_waitcnt lgkmcnt(3)
	v_fmac_f32_e32 v168, v135, v119
	s_waitcnt vmcnt(8)
	v_fmac_f32_e32 v168, v136, v120
	ds_load_2addr_b32 v[119:120], v176 offset0:83 offset1:84
	s_waitcnt lgkmcnt(3)
	v_fmac_f32_e32 v168, v137, v121
	s_delay_alu instid0(VALU_DEP_1) | instskip(SKIP_1) | instid1(VALU_DEP_1)
	v_fmac_f32_e32 v168, v138, v122
	s_waitcnt lgkmcnt(2)
	v_fmac_f32_e32 v168, v139, v123
	s_waitcnt vmcnt(7)
	s_delay_alu instid0(VALU_DEP_1) | instskip(SKIP_4) | instid1(VALU_DEP_1)
	v_fmac_f32_e32 v168, v140, v124
	ds_load_2addr_b32 v[121:122], v176 offset0:85 offset1:86
	ds_load_2addr_b32 v[123:124], v176 offset0:87 offset1:88
	s_waitcnt lgkmcnt(3)
	v_fmac_f32_e32 v168, v141, v117
	v_fmac_f32_e32 v168, v142, v118
	ds_load_2addr_b32 v[117:118], v176 offset0:89 offset1:90
	s_waitcnt lgkmcnt(3)
	v_fmac_f32_e32 v168, v143, v119
	s_waitcnt vmcnt(6)
	s_delay_alu instid0(VALU_DEP_1) | instskip(SKIP_3) | instid1(VALU_DEP_1)
	v_fmac_f32_e32 v168, v144, v120
	ds_load_2addr_b32 v[119:120], v176 offset0:91 offset1:92
	s_waitcnt lgkmcnt(3)
	v_fmac_f32_e32 v168, v145, v121
	v_fmac_f32_e32 v168, v146, v122
	s_waitcnt lgkmcnt(2)
	s_delay_alu instid0(VALU_DEP_1) | instskip(SKIP_1) | instid1(VALU_DEP_1)
	v_fmac_f32_e32 v168, v147, v123
	s_waitcnt vmcnt(5)
	v_fmac_f32_e32 v168, v148, v124
	ds_load_2addr_b32 v[121:122], v176 offset0:93 offset1:94
	ds_load_2addr_b32 v[123:124], v176 offset0:95 offset1:96
	s_waitcnt lgkmcnt(3)
	v_fmac_f32_e32 v168, v149, v117
	s_delay_alu instid0(VALU_DEP_1) | instskip(SKIP_4) | instid1(VALU_DEP_1)
	v_fmac_f32_e32 v168, v150, v118
	ds_load_2addr_b32 v[117:118], v176 offset0:97 offset1:98
	s_waitcnt lgkmcnt(3)
	v_fmac_f32_e32 v168, v151, v119
	s_waitcnt vmcnt(4)
	v_fmac_f32_e32 v168, v152, v120
	ds_load_2addr_b32 v[119:120], v176 offset0:99 offset1:100
	s_waitcnt lgkmcnt(3)
	v_fmac_f32_e32 v168, v153, v121
	s_delay_alu instid0(VALU_DEP_1) | instskip(SKIP_1) | instid1(VALU_DEP_1)
	v_fmac_f32_e32 v168, v154, v122
	s_waitcnt lgkmcnt(2)
	v_fmac_f32_e32 v168, v155, v123
	s_waitcnt vmcnt(3)
	s_delay_alu instid0(VALU_DEP_1) | instskip(SKIP_4) | instid1(VALU_DEP_1)
	v_fmac_f32_e32 v168, v156, v124
	ds_load_2addr_b32 v[121:122], v176 offset0:101 offset1:102
	ds_load_2addr_b32 v[123:124], v176 offset0:103 offset1:104
	s_waitcnt lgkmcnt(3)
	v_fmac_f32_e32 v168, v157, v117
	v_fmac_f32_e32 v168, v158, v118
	ds_load_2addr_b32 v[117:118], v176 offset0:105 offset1:106
	s_waitcnt lgkmcnt(3)
	v_fmac_f32_e32 v168, v159, v119
	s_waitcnt vmcnt(2)
	s_delay_alu instid0(VALU_DEP_1) | instskip(SKIP_3) | instid1(VALU_DEP_1)
	v_fmac_f32_e32 v168, v160, v120
	ds_load_2addr_b32 v[119:120], v176 offset0:107 offset1:108
	s_waitcnt lgkmcnt(3)
	v_fmac_f32_e32 v168, v161, v121
	v_fmac_f32_e32 v168, v162, v122
	s_waitcnt lgkmcnt(2)
	s_delay_alu instid0(VALU_DEP_1)
	v_fmac_f32_e32 v168, v163, v123
	ds_load_2addr_b32 v[121:122], v176 offset0:109 offset1:110
	ds_load_b32 v123, v176 offset:444
	s_waitcnt vmcnt(1)
	v_fmac_f32_e32 v168, v164, v124
	s_waitcnt lgkmcnt(3)
	s_delay_alu instid0(VALU_DEP_1) | instskip(NEXT) | instid1(VALU_DEP_1)
	v_fmac_f32_e32 v168, v165, v117
	v_fmac_f32_e32 v168, v166, v118
	s_waitcnt lgkmcnt(2)
	s_delay_alu instid0(VALU_DEP_1) | instskip(SKIP_1) | instid1(VALU_DEP_1)
	v_fmac_f32_e32 v168, v167, v119
	s_waitcnt vmcnt(0)
	v_fmac_f32_e32 v168, v0, v120
	s_waitcnt lgkmcnt(1)
	s_delay_alu instid0(VALU_DEP_1) | instskip(NEXT) | instid1(VALU_DEP_1)
	v_fmac_f32_e32 v168, v1, v121
	v_fmac_f32_e32 v168, v2, v122
	s_waitcnt lgkmcnt(0)
	s_delay_alu instid0(VALU_DEP_1) | instskip(NEXT) | instid1(VALU_DEP_1)
	v_fmac_f32_e32 v168, v3, v123
	v_sub_f32_e32 v0, v116, v168
	scratch_store_b32 off, v0, off
	s_cbranch_vccz .LBB55_455
; %bb.344:
	v_dual_mov_b32 v0, s12 :: v_dual_mov_b32 v1, s13
	s_mov_b32 s0, exec_lo
	flat_load_b32 v0, v[0:1] offset:216
	s_waitcnt vmcnt(0) lgkmcnt(0)
	v_cmpx_ne_u32_e32 55, v0
	s_cbranch_execz .LBB55_346
; %bb.345:
	v_lshl_add_u32 v0, v0, 2, 0
	scratch_load_b32 v1, v0, off offset:-4
	s_waitcnt vmcnt(0)
	scratch_store_b32 off, v1, off offset:216
	scratch_store_b32 v0, v2, off offset:-4
.LBB55_346:
	s_or_b32 exec_lo, exec_lo, s0
	v_dual_mov_b32 v0, s12 :: v_dual_mov_b32 v1, s13
	s_mov_b32 s0, exec_lo
	flat_load_b32 v0, v[0:1] offset:212
	s_waitcnt vmcnt(0) lgkmcnt(0)
	v_cmpx_ne_u32_e32 54, v0
	s_cbranch_execz .LBB55_348
; %bb.347:
	v_lshl_add_u32 v0, v0, 2, 0
	scratch_load_b32 v1, v0, off offset:-4
	scratch_load_b32 v2, off, off offset:212
	s_waitcnt vmcnt(1)
	scratch_store_b32 off, v1, off offset:212
	s_waitcnt vmcnt(0)
	scratch_store_b32 v0, v2, off offset:-4
.LBB55_348:
	s_or_b32 exec_lo, exec_lo, s0
	v_dual_mov_b32 v0, s12 :: v_dual_mov_b32 v1, s13
	s_mov_b32 s0, exec_lo
	flat_load_b32 v0, v[0:1] offset:208
	s_waitcnt vmcnt(0) lgkmcnt(0)
	v_cmpx_ne_u32_e32 53, v0
	s_cbranch_execz .LBB55_350
; %bb.349:
	v_lshl_add_u32 v0, v0, 2, 0
	scratch_load_b32 v1, v0, off offset:-4
	scratch_load_b32 v2, off, off offset:208
	s_waitcnt vmcnt(1)
	scratch_store_b32 off, v1, off offset:208
	s_waitcnt vmcnt(0)
	scratch_store_b32 v0, v2, off offset:-4
.LBB55_350:
	;; [unrolled: 16-line block ×53, first 2 shown]
	s_or_b32 exec_lo, exec_lo, s0
	v_dual_mov_b32 v0, s12 :: v_dual_mov_b32 v1, s13
	s_mov_b32 s0, exec_lo
	flat_load_b32 v1, v[0:1]
	scratch_load_b32 v0, off, off
	s_waitcnt vmcnt(1) lgkmcnt(0)
	v_cmpx_ne_u32_e32 1, v1
	s_cbranch_execz .LBB55_454
; %bb.453:
	v_lshl_add_u32 v1, v1, 2, 0
	scratch_load_b32 v2, v1, off offset:-4
	s_waitcnt vmcnt(0)
	scratch_store_b32 off, v2, off
	scratch_store_b32 v1, v0, off offset:-4
	scratch_load_b32 v0, off, off
.LBB55_454:
	s_or_b32 exec_lo, exec_lo, s0
.LBB55_455:
	s_clause 0xd
	scratch_load_b128 v[116:119], off, off offset:4
	scratch_load_b128 v[120:123], off, off offset:20
	;; [unrolled: 1-line block ×13, first 2 shown]
	scratch_load_b96 v[1:3], off, off offset:212
	s_waitcnt vmcnt(14)
	global_store_b32 v[4:5], v0, off
	s_waitcnt vmcnt(13)
	s_clause 0x3
	global_store_b32 v[6:7], v116, off
	global_store_b32 v[8:9], v117, off
	global_store_b32 v[10:11], v118, off
	global_store_b32 v[12:13], v119, off
	s_waitcnt vmcnt(12)
	s_clause 0x3
	global_store_b32 v[14:15], v120, off
	global_store_b32 v[16:17], v121, off
	global_store_b32 v[18:19], v122, off
	;; [unrolled: 6-line block ×14, first 2 shown]
	s_endpgm
	.section	.rodata,"a",@progbits
	.p2align	6, 0x0
	.amdhsa_kernel _ZN9rocsolver6v33100L18getri_kernel_smallILi56EfPfEEvT1_iilPiilS4_bb
		.amdhsa_group_segment_fixed_size 452
		.amdhsa_private_segment_fixed_size 240
		.amdhsa_kernarg_size 60
		.amdhsa_user_sgpr_count 15
		.amdhsa_user_sgpr_dispatch_ptr 0
		.amdhsa_user_sgpr_queue_ptr 0
		.amdhsa_user_sgpr_kernarg_segment_ptr 1
		.amdhsa_user_sgpr_dispatch_id 0
		.amdhsa_user_sgpr_private_segment_size 0
		.amdhsa_wavefront_size32 1
		.amdhsa_uses_dynamic_stack 0
		.amdhsa_enable_private_segment 1
		.amdhsa_system_sgpr_workgroup_id_x 1
		.amdhsa_system_sgpr_workgroup_id_y 0
		.amdhsa_system_sgpr_workgroup_id_z 0
		.amdhsa_system_sgpr_workgroup_info 0
		.amdhsa_system_vgpr_workitem_id 0
		.amdhsa_next_free_vgpr 179
		.amdhsa_next_free_sgpr 18
		.amdhsa_reserve_vcc 1
		.amdhsa_float_round_mode_32 0
		.amdhsa_float_round_mode_16_64 0
		.amdhsa_float_denorm_mode_32 3
		.amdhsa_float_denorm_mode_16_64 3
		.amdhsa_dx10_clamp 1
		.amdhsa_ieee_mode 1
		.amdhsa_fp16_overflow 0
		.amdhsa_workgroup_processor_mode 1
		.amdhsa_memory_ordered 1
		.amdhsa_forward_progress 0
		.amdhsa_shared_vgpr_count 0
		.amdhsa_exception_fp_ieee_invalid_op 0
		.amdhsa_exception_fp_denorm_src 0
		.amdhsa_exception_fp_ieee_div_zero 0
		.amdhsa_exception_fp_ieee_overflow 0
		.amdhsa_exception_fp_ieee_underflow 0
		.amdhsa_exception_fp_ieee_inexact 0
		.amdhsa_exception_int_div_zero 0
	.end_amdhsa_kernel
	.section	.text._ZN9rocsolver6v33100L18getri_kernel_smallILi56EfPfEEvT1_iilPiilS4_bb,"axG",@progbits,_ZN9rocsolver6v33100L18getri_kernel_smallILi56EfPfEEvT1_iilPiilS4_bb,comdat
.Lfunc_end55:
	.size	_ZN9rocsolver6v33100L18getri_kernel_smallILi56EfPfEEvT1_iilPiilS4_bb, .Lfunc_end55-_ZN9rocsolver6v33100L18getri_kernel_smallILi56EfPfEEvT1_iilPiilS4_bb
                                        ; -- End function
	.section	.AMDGPU.csdata,"",@progbits
; Kernel info:
; codeLenInByte = 43564
; NumSgprs: 20
; NumVgprs: 179
; ScratchSize: 240
; MemoryBound: 0
; FloatMode: 240
; IeeeMode: 1
; LDSByteSize: 452 bytes/workgroup (compile time only)
; SGPRBlocks: 2
; VGPRBlocks: 22
; NumSGPRsForWavesPerEU: 20
; NumVGPRsForWavesPerEU: 179
; Occupancy: 8
; WaveLimiterHint : 1
; COMPUTE_PGM_RSRC2:SCRATCH_EN: 1
; COMPUTE_PGM_RSRC2:USER_SGPR: 15
; COMPUTE_PGM_RSRC2:TRAP_HANDLER: 0
; COMPUTE_PGM_RSRC2:TGID_X_EN: 1
; COMPUTE_PGM_RSRC2:TGID_Y_EN: 0
; COMPUTE_PGM_RSRC2:TGID_Z_EN: 0
; COMPUTE_PGM_RSRC2:TIDIG_COMP_CNT: 0
	.section	.text._ZN9rocsolver6v33100L18getri_kernel_smallILi57EfPfEEvT1_iilPiilS4_bb,"axG",@progbits,_ZN9rocsolver6v33100L18getri_kernel_smallILi57EfPfEEvT1_iilPiilS4_bb,comdat
	.globl	_ZN9rocsolver6v33100L18getri_kernel_smallILi57EfPfEEvT1_iilPiilS4_bb ; -- Begin function _ZN9rocsolver6v33100L18getri_kernel_smallILi57EfPfEEvT1_iilPiilS4_bb
	.p2align	8
	.type	_ZN9rocsolver6v33100L18getri_kernel_smallILi57EfPfEEvT1_iilPiilS4_bb,@function
_ZN9rocsolver6v33100L18getri_kernel_smallILi57EfPfEEvT1_iilPiilS4_bb: ; @_ZN9rocsolver6v33100L18getri_kernel_smallILi57EfPfEEvT1_iilPiilS4_bb
; %bb.0:
	s_mov_b32 s2, exec_lo
	v_cmpx_gt_u32_e32 57, v0
	s_cbranch_execz .LBB56_236
; %bb.1:
	s_clause 0x2
	s_load_b32 s17, s[0:1], 0x38
	s_load_b128 s[8:11], s[0:1], 0x10
	s_load_b128 s[4:7], s[0:1], 0x28
	s_mov_b32 s14, s15
                                        ; implicit-def: $sgpr12_sgpr13
	s_waitcnt lgkmcnt(0)
	s_bitcmp1_b32 s17, 8
	s_cselect_b32 s16, -1, 0
	s_bfe_u32 s2, s17, 0x10008
	s_ashr_i32 s15, s15, 31
	s_cmp_eq_u32 s2, 0
	s_cbranch_scc1 .LBB56_3
; %bb.2:
	s_load_b32 s2, s[0:1], 0x20
	s_mul_i32 s3, s14, s5
	s_mul_hi_u32 s5, s14, s4
	s_mul_i32 s12, s15, s4
	s_add_i32 s3, s5, s3
	s_mul_i32 s4, s14, s4
	s_add_i32 s5, s3, s12
	s_delay_alu instid0(SALU_CYCLE_1)
	s_lshl_b64 s[4:5], s[4:5], 2
	s_waitcnt lgkmcnt(0)
	s_ashr_i32 s3, s2, 31
	s_add_u32 s4, s10, s4
	s_addc_u32 s5, s11, s5
	s_lshl_b64 s[2:3], s[2:3], 2
	s_delay_alu instid0(SALU_CYCLE_1)
	s_add_u32 s12, s4, s2
	s_addc_u32 s13, s5, s3
.LBB56_3:
	s_load_b128 s[0:3], s[0:1], 0x0
	s_mul_i32 s4, s14, s9
	s_mul_hi_u32 s5, s14, s8
	s_mul_i32 s9, s15, s8
	s_add_i32 s5, s5, s4
	s_mul_i32 s4, s14, s8
	s_add_i32 s5, s5, s9
	v_lshlrev_b32_e32 v135, 2, v0
	s_lshl_b64 s[4:5], s[4:5], 2
	s_waitcnt lgkmcnt(0)
	v_add3_u32 v2, s3, s3, v0
	s_ashr_i32 s9, s2, 31
	s_mov_b32 s8, s2
	s_add_u32 s2, s0, s4
	s_addc_u32 s5, s1, s5
	v_add_nc_u32_e32 v4, s3, v2
	s_lshl_b64 s[0:1], s[8:9], 2
	v_ashrrev_i32_e32 v3, 31, v2
	s_add_u32 s0, s2, s0
	s_addc_u32 s1, s5, s1
	v_add_co_u32 v21, s2, s0, v135
	v_add_nc_u32_e32 v6, s3, v4
	s_mov_b32 s4, s3
	s_ashr_i32 s5, s3, 31
	v_add_co_ci_u32_e64 v22, null, s1, 0, s2
	v_lshlrev_b64 v[2:3], 2, v[2:3]
	v_ashrrev_i32_e32 v5, 31, v4
	s_lshl_b64 s[4:5], s[4:5], 2
	v_ashrrev_i32_e32 v7, 31, v6
	v_add_co_u32 v23, vcc_lo, v21, s4
	v_add_nc_u32_e32 v8, s3, v6
	v_add_co_ci_u32_e32 v24, vcc_lo, s5, v22, vcc_lo
	v_lshlrev_b64 v[4:5], 2, v[4:5]
	v_add_co_u32 v25, vcc_lo, s0, v2
	v_add_co_ci_u32_e32 v26, vcc_lo, s1, v3, vcc_lo
	v_lshlrev_b64 v[2:3], 2, v[6:7]
	v_ashrrev_i32_e32 v9, 31, v8
	v_add_nc_u32_e32 v6, s3, v8
	v_add_co_u32 v27, vcc_lo, s0, v4
	v_add_co_ci_u32_e32 v28, vcc_lo, s1, v5, vcc_lo
	s_delay_alu instid0(VALU_DEP_4) | instskip(NEXT) | instid1(VALU_DEP_4)
	v_lshlrev_b64 v[4:5], 2, v[8:9]
	v_ashrrev_i32_e32 v7, 31, v6
	v_add_nc_u32_e32 v8, s3, v6
	v_add_co_u32 v29, vcc_lo, s0, v2
	v_add_co_ci_u32_e32 v30, vcc_lo, s1, v3, vcc_lo
	s_delay_alu instid0(VALU_DEP_4) | instskip(NEXT) | instid1(VALU_DEP_4)
	;; [unrolled: 6-line block ×3, first 2 shown]
	v_lshlrev_b64 v[4:5], 2, v[8:9]
	v_add_nc_u32_e32 v8, s3, v6
	v_add_co_u32 v33, vcc_lo, s0, v2
	v_ashrrev_i32_e32 v7, 31, v6
	v_add_co_ci_u32_e32 v34, vcc_lo, s1, v3, vcc_lo
	s_delay_alu instid0(VALU_DEP_4) | instskip(SKIP_1) | instid1(VALU_DEP_4)
	v_add_nc_u32_e32 v2, s3, v8
	v_ashrrev_i32_e32 v9, 31, v8
	v_lshlrev_b64 v[6:7], 2, v[6:7]
	v_add_co_u32 v35, vcc_lo, s0, v4
	s_delay_alu instid0(VALU_DEP_4) | instskip(SKIP_3) | instid1(VALU_DEP_4)
	v_add_nc_u32_e32 v10, s3, v2
	v_ashrrev_i32_e32 v3, 31, v2
	v_lshlrev_b64 v[12:13], 2, v[8:9]
	v_add_co_ci_u32_e32 v36, vcc_lo, s1, v5, vcc_lo
	v_add_nc_u32_e32 v16, s3, v10
	v_add_co_u32 v37, vcc_lo, s0, v6
	v_lshlrev_b64 v[14:15], 2, v[2:3]
	v_ashrrev_i32_e32 v11, 31, v10
	v_add_co_ci_u32_e32 v38, vcc_lo, s1, v7, vcc_lo
	v_add_co_u32 v39, vcc_lo, s0, v12
	v_ashrrev_i32_e32 v17, 31, v16
	v_add_nc_u32_e32 v12, s3, v16
	v_add_co_ci_u32_e32 v40, vcc_lo, s1, v13, vcc_lo
	v_lshlrev_b64 v[10:11], 2, v[10:11]
	v_add_co_u32 v41, vcc_lo, s0, v14
	v_add_co_ci_u32_e32 v42, vcc_lo, s1, v15, vcc_lo
	v_lshlrev_b64 v[14:15], 2, v[16:17]
	v_ashrrev_i32_e32 v13, 31, v12
	v_add_nc_u32_e32 v16, s3, v12
	v_add_co_u32 v43, vcc_lo, s0, v10
	v_add_co_ci_u32_e32 v44, vcc_lo, s1, v11, vcc_lo
	s_delay_alu instid0(VALU_DEP_4) | instskip(NEXT) | instid1(VALU_DEP_4)
	v_lshlrev_b64 v[10:11], 2, v[12:13]
	v_ashrrev_i32_e32 v17, 31, v16
	v_add_nc_u32_e32 v12, s3, v16
	v_add_co_u32 v45, vcc_lo, s0, v14
	v_add_co_ci_u32_e32 v46, vcc_lo, s1, v15, vcc_lo
	s_delay_alu instid0(VALU_DEP_4) | instskip(NEXT) | instid1(VALU_DEP_4)
	;; [unrolled: 6-line block ×4, first 2 shown]
	v_lshlrev_b64 v[14:15], 2, v[16:17]
	v_add_nc_u32_e32 v16, s3, v12
	v_ashrrev_i32_e32 v13, 31, v12
	v_add_co_u32 v51, vcc_lo, s0, v10
	v_add_co_ci_u32_e32 v52, vcc_lo, s1, v11, vcc_lo
	s_delay_alu instid0(VALU_DEP_4) | instskip(NEXT) | instid1(VALU_DEP_4)
	v_add_nc_u32_e32 v57, s3, v16
	v_lshlrev_b64 v[18:19], 2, v[12:13]
	v_ashrrev_i32_e32 v17, 31, v16
	v_add_co_u32 v53, vcc_lo, s0, v14
	s_delay_alu instid0(VALU_DEP_4) | instskip(SKIP_3) | instid1(VALU_DEP_4)
	v_add_nc_u32_e32 v61, s3, v57
	v_ashrrev_i32_e32 v58, 31, v57
	v_add_co_ci_u32_e32 v54, vcc_lo, s1, v15, vcc_lo
	v_lshlrev_b64 v[59:60], 2, v[16:17]
	v_add_nc_u32_e32 v63, s3, v61
	v_add_co_u32 v55, vcc_lo, s0, v18
	v_add_co_ci_u32_e32 v56, vcc_lo, s1, v19, vcc_lo
	s_delay_alu instid0(VALU_DEP_3) | instskip(SKIP_3) | instid1(VALU_DEP_4)
	v_add_nc_u32_e32 v65, s3, v63
	v_lshlrev_b64 v[18:19], 2, v[57:58]
	v_ashrrev_i32_e32 v62, 31, v61
	v_add_co_u32 v57, vcc_lo, s0, v59
	v_add_nc_u32_e32 v67, s3, v65
	v_ashrrev_i32_e32 v64, 31, v63
	v_add_co_ci_u32_e32 v58, vcc_lo, s1, v60, vcc_lo
	v_lshlrev_b64 v[61:62], 2, v[61:62]
	s_delay_alu instid0(VALU_DEP_4) | instskip(SKIP_2) | instid1(VALU_DEP_3)
	v_add_nc_u32_e32 v69, s3, v67
	v_add_co_u32 v59, vcc_lo, s0, v18
	v_add_co_ci_u32_e32 v60, vcc_lo, s1, v19, vcc_lo
	v_add_nc_u32_e32 v71, s3, v69
	v_lshlrev_b64 v[18:19], 2, v[63:64]
	v_ashrrev_i32_e32 v66, 31, v65
	v_add_co_u32 v61, vcc_lo, s0, v61
	s_delay_alu instid0(VALU_DEP_4) | instskip(SKIP_3) | instid1(VALU_DEP_4)
	v_add_nc_u32_e32 v73, s3, v71
	v_ashrrev_i32_e32 v68, 31, v67
	v_add_co_ci_u32_e32 v62, vcc_lo, s1, v62, vcc_lo
	v_lshlrev_b64 v[65:66], 2, v[65:66]
	v_add_nc_u32_e32 v75, s3, v73
	v_add_co_u32 v63, vcc_lo, s0, v18
	v_add_co_ci_u32_e32 v64, vcc_lo, s1, v19, vcc_lo
	s_delay_alu instid0(VALU_DEP_3) | instskip(SKIP_3) | instid1(VALU_DEP_4)
	v_add_nc_u32_e32 v77, s3, v75
	v_lshlrev_b64 v[18:19], 2, v[67:68]
	v_ashrrev_i32_e32 v70, 31, v69
	v_add_co_u32 v65, vcc_lo, s0, v65
	v_add_nc_u32_e32 v79, s3, v77
	v_ashrrev_i32_e32 v72, 31, v71
	v_add_co_ci_u32_e32 v66, vcc_lo, s1, v66, vcc_lo
	v_lshlrev_b64 v[69:70], 2, v[69:70]
	s_delay_alu instid0(VALU_DEP_4) | instskip(SKIP_2) | instid1(VALU_DEP_3)
	v_add_nc_u32_e32 v81, s3, v79
	v_add_co_u32 v67, vcc_lo, s0, v18
	v_add_co_ci_u32_e32 v68, vcc_lo, s1, v19, vcc_lo
	v_add_nc_u32_e32 v83, s3, v81
	v_lshlrev_b64 v[18:19], 2, v[71:72]
	v_ashrrev_i32_e32 v74, 31, v73
	v_add_co_u32 v69, vcc_lo, s0, v69
	s_delay_alu instid0(VALU_DEP_4)
	v_add_nc_u32_e32 v85, s3, v83
	v_ashrrev_i32_e32 v76, 31, v75
	v_add_co_ci_u32_e32 v70, vcc_lo, s1, v70, vcc_lo
	v_lshlrev_b64 v[73:74], 2, v[73:74]
	v_add_co_u32 v71, vcc_lo, s0, v18
	v_add_nc_u32_e32 v87, s3, v85
	v_add_co_ci_u32_e32 v72, vcc_lo, s1, v19, vcc_lo
	v_lshlrev_b64 v[18:19], 2, v[75:76]
	v_ashrrev_i32_e32 v78, 31, v77
	v_add_co_u32 v73, vcc_lo, s0, v73
	v_ashrrev_i32_e32 v80, 31, v79
	v_add_nc_u32_e32 v89, s3, v87
	v_add_co_ci_u32_e32 v74, vcc_lo, s1, v74, vcc_lo
	v_lshlrev_b64 v[77:78], 2, v[77:78]
	v_add_co_u32 v75, vcc_lo, s0, v18
	v_add_co_ci_u32_e32 v76, vcc_lo, s1, v19, vcc_lo
	v_lshlrev_b64 v[18:19], 2, v[79:80]
	v_ashrrev_i32_e32 v82, 31, v81
	v_add_nc_u32_e32 v91, s3, v89
	v_add_co_u32 v77, vcc_lo, s0, v77
	v_ashrrev_i32_e32 v84, 31, v83
	v_add_co_ci_u32_e32 v78, vcc_lo, s1, v78, vcc_lo
	v_lshlrev_b64 v[81:82], 2, v[81:82]
	v_add_nc_u32_e32 v93, s3, v91
	v_add_co_u32 v79, vcc_lo, s0, v18
	v_ashrrev_i32_e32 v86, 31, v85
	v_add_co_ci_u32_e32 v80, vcc_lo, s1, v19, vcc_lo
	v_lshlrev_b64 v[18:19], 2, v[83:84]
	v_ashrrev_i32_e32 v88, 31, v87
	v_add_nc_u32_e32 v95, s3, v93
	v_add_co_u32 v81, vcc_lo, s0, v81
	v_lshlrev_b64 v[85:86], 2, v[85:86]
	v_ashrrev_i32_e32 v90, 31, v89
	v_add_co_ci_u32_e32 v82, vcc_lo, s1, v82, vcc_lo
	v_add_co_u32 v83, vcc_lo, s0, v18
	v_lshlrev_b64 v[87:88], 2, v[87:88]
	v_ashrrev_i32_e32 v92, 31, v91
	v_add_nc_u32_e32 v97, s3, v95
	v_add_co_ci_u32_e32 v84, vcc_lo, s1, v19, vcc_lo
	v_add_co_u32 v85, vcc_lo, s0, v85
	v_lshlrev_b64 v[89:90], 2, v[89:90]
	v_ashrrev_i32_e32 v94, 31, v93
	v_add_co_ci_u32_e32 v86, vcc_lo, s1, v86, vcc_lo
	v_add_co_u32 v87, vcc_lo, s0, v87
	v_lshlrev_b64 v[91:92], 2, v[91:92]
	v_add_nc_u32_e32 v99, s3, v97
	v_ashrrev_i32_e32 v96, 31, v95
	v_add_co_ci_u32_e32 v88, vcc_lo, s1, v88, vcc_lo
	v_add_co_u32 v89, vcc_lo, s0, v89
	v_lshlrev_b64 v[93:94], 2, v[93:94]
	v_ashrrev_i32_e32 v98, 31, v97
	v_add_co_ci_u32_e32 v90, vcc_lo, s1, v90, vcc_lo
	v_add_nc_u32_e32 v101, s3, v99
	v_add_co_u32 v91, vcc_lo, s0, v91
	v_lshlrev_b64 v[95:96], 2, v[95:96]
	v_ashrrev_i32_e32 v100, 31, v99
	v_add_co_ci_u32_e32 v92, vcc_lo, s1, v92, vcc_lo
	v_add_co_u32 v93, vcc_lo, s0, v93
	v_lshlrev_b64 v[97:98], 2, v[97:98]
	v_ashrrev_i32_e32 v102, 31, v101
	v_add_co_ci_u32_e32 v94, vcc_lo, s1, v94, vcc_lo
	v_add_co_u32 v95, vcc_lo, s0, v95
	v_lshlrev_b64 v[99:100], 2, v[99:100]
	v_add_nc_u32_e32 v104, s3, v101
	v_add_co_ci_u32_e32 v96, vcc_lo, s1, v96, vcc_lo
	v_add_co_u32 v97, vcc_lo, s0, v97
	v_lshlrev_b64 v[102:103], 2, v[101:102]
	v_add_co_ci_u32_e32 v98, vcc_lo, s1, v98, vcc_lo
	v_add_co_u32 v99, vcc_lo, s0, v99
	v_ashrrev_i32_e32 v105, 31, v104
	v_add_nc_u32_e32 v106, s3, v104
	v_add_co_ci_u32_e32 v100, vcc_lo, s1, v100, vcc_lo
	v_add_co_u32 v101, vcc_lo, s0, v102
	v_add_co_ci_u32_e32 v102, vcc_lo, s1, v103, vcc_lo
	v_lshlrev_b64 v[103:104], 2, v[104:105]
	v_add_nc_u32_e32 v105, s3, v106
	v_ashrrev_i32_e32 v107, 31, v106
	s_clause 0x10
	global_load_b32 v1, v135, s[0:1]
	global_load_b32 v2, v[23:24], off
	global_load_b32 v3, v[25:26], off
	global_load_b32 v4, v[27:28], off
	global_load_b32 v5, v[29:30], off
	global_load_b32 v6, v[31:32], off
	global_load_b32 v7, v[33:34], off
	global_load_b32 v8, v[35:36], off
	global_load_b32 v9, v[37:38], off
	global_load_b32 v10, v[39:40], off
	global_load_b32 v11, v[41:42], off
	global_load_b32 v12, v[43:44], off
	global_load_b32 v13, v[45:46], off
	global_load_b32 v14, v[47:48], off
	global_load_b32 v15, v[49:50], off
	global_load_b32 v16, v[51:52], off
	global_load_b32 v17, v[53:54], off
	v_add_nc_u32_e32 v109, s3, v105
	v_lshlrev_b64 v[107:108], 2, v[106:107]
	v_ashrrev_i32_e32 v106, 31, v105
	v_add_co_u32 v103, vcc_lo, s0, v103
	s_delay_alu instid0(VALU_DEP_4) | instskip(SKIP_1) | instid1(VALU_DEP_4)
	v_add_nc_u32_e32 v113, s3, v109
	v_add_co_ci_u32_e32 v104, vcc_lo, s1, v104, vcc_lo
	v_lshlrev_b64 v[111:112], 2, v[105:106]
	v_add_co_u32 v105, vcc_lo, s0, v107
	s_delay_alu instid0(VALU_DEP_4)
	v_ashrrev_i32_e32 v114, 31, v113
	v_add_nc_u32_e32 v115, s3, v113
	v_add_co_ci_u32_e32 v106, vcc_lo, s1, v108, vcc_lo
	v_ashrrev_i32_e32 v110, 31, v109
	v_add_co_u32 v107, vcc_lo, s0, v111
	v_add_co_ci_u32_e32 v108, vcc_lo, s1, v112, vcc_lo
	v_lshlrev_b64 v[111:112], 2, v[113:114]
	v_add_nc_u32_e32 v113, s3, v115
	v_lshlrev_b64 v[109:110], 2, v[109:110]
	v_ashrrev_i32_e32 v116, 31, v115
	s_clause 0xf
	global_load_b32 v18, v[55:56], off
	global_load_b32 v19, v[57:58], off
	;; [unrolled: 1-line block ×16, first 2 shown]
	v_add_nc_u32_e32 v117, s3, v113
	v_ashrrev_i32_e32 v114, 31, v113
	v_add_co_u32 v109, vcc_lo, s0, v109
	v_lshlrev_b64 v[115:116], 2, v[115:116]
	s_delay_alu instid0(VALU_DEP_4)
	v_ashrrev_i32_e32 v118, 31, v117
	v_add_co_ci_u32_e32 v110, vcc_lo, s1, v110, vcc_lo
	v_add_co_u32 v111, vcc_lo, s0, v111
	v_lshlrev_b64 v[119:120], 2, v[113:114]
	v_add_nc_u32_e32 v123, s3, v117
	v_add_co_ci_u32_e32 v112, vcc_lo, s1, v112, vcc_lo
	v_add_co_u32 v113, vcc_lo, s0, v115
	v_lshlrev_b64 v[121:122], 2, v[117:118]
	v_add_co_ci_u32_e32 v114, vcc_lo, s1, v116, vcc_lo
	v_add_co_u32 v115, vcc_lo, s0, v119
	v_ashrrev_i32_e32 v124, 31, v123
	v_add_nc_u32_e32 v119, s3, v123
	v_add_co_ci_u32_e32 v116, vcc_lo, s1, v120, vcc_lo
	v_add_co_u32 v117, vcc_lo, s0, v121
	v_add_co_ci_u32_e32 v118, vcc_lo, s1, v122, vcc_lo
	v_lshlrev_b64 v[121:122], 2, v[123:124]
	v_add_nc_u32_e32 v123, s3, v119
	v_ashrrev_i32_e32 v120, 31, v119
	s_clause 0xf
	global_load_b32 v149, v[87:88], off
	global_load_b32 v150, v[89:90], off
	global_load_b32 v151, v[91:92], off
	global_load_b32 v152, v[93:94], off
	global_load_b32 v153, v[95:96], off
	global_load_b32 v154, v[97:98], off
	global_load_b32 v155, v[99:100], off
	global_load_b32 v156, v[101:102], off
	global_load_b32 v157, v[103:104], off
	global_load_b32 v158, v[105:106], off
	global_load_b32 v159, v[107:108], off
	global_load_b32 v160, v[109:110], off
	global_load_b32 v161, v[111:112], off
	global_load_b32 v162, v[113:114], off
	global_load_b32 v163, v[115:116], off
	global_load_b32 v164, v[117:118], off
	s_bitcmp0_b32 s17, 0
	v_add_nc_u32_e32 v127, s3, v123
	v_lshlrev_b64 v[125:126], 2, v[119:120]
	v_add_co_u32 v119, vcc_lo, s0, v121
	v_add_co_ci_u32_e32 v120, vcc_lo, s1, v122, vcc_lo
	s_delay_alu instid0(VALU_DEP_4)
	v_ashrrev_i32_e32 v128, 31, v127
	v_add_nc_u32_e32 v129, s3, v127
	v_ashrrev_i32_e32 v124, 31, v123
	v_add_co_u32 v121, vcc_lo, s0, v125
	v_add_co_ci_u32_e32 v122, vcc_lo, s1, v126, vcc_lo
	v_lshlrev_b64 v[125:126], 2, v[127:128]
	v_add_nc_u32_e32 v127, s3, v129
	v_lshlrev_b64 v[123:124], 2, v[123:124]
	v_ashrrev_i32_e32 v130, 31, v129
	s_delay_alu instid0(VALU_DEP_3) | instskip(SKIP_1) | instid1(VALU_DEP_4)
	v_add_nc_u32_e32 v131, s3, v127
	v_ashrrev_i32_e32 v128, 31, v127
	v_add_co_u32 v123, vcc_lo, s0, v123
	s_delay_alu instid0(VALU_DEP_4) | instskip(NEXT) | instid1(VALU_DEP_4)
	v_lshlrev_b64 v[129:130], 2, v[129:130]
	v_add_nc_u32_e32 v165, s3, v131
	v_add_co_ci_u32_e32 v124, vcc_lo, s1, v124, vcc_lo
	v_add_co_u32 v125, vcc_lo, s0, v125
	v_lshlrev_b64 v[133:134], 2, v[127:128]
	v_ashrrev_i32_e32 v132, 31, v131
	v_add_co_ci_u32_e32 v126, vcc_lo, s1, v126, vcc_lo
	v_add_co_u32 v127, vcc_lo, s0, v129
	v_ashrrev_i32_e32 v166, 31, v165
	v_add_co_ci_u32_e32 v128, vcc_lo, s1, v130, vcc_lo
	v_lshlrev_b64 v[131:132], 2, v[131:132]
	v_add_co_u32 v129, vcc_lo, s0, v133
	v_add_co_ci_u32_e32 v130, vcc_lo, s1, v134, vcc_lo
	v_lshlrev_b64 v[133:134], 2, v[165:166]
	s_delay_alu instid0(VALU_DEP_4) | instskip(SKIP_1) | instid1(VALU_DEP_3)
	v_add_co_u32 v131, vcc_lo, s0, v131
	v_add_co_ci_u32_e32 v132, vcc_lo, s1, v132, vcc_lo
	v_add_co_u32 v133, vcc_lo, s0, v133
	s_delay_alu instid0(VALU_DEP_4)
	v_add_co_ci_u32_e32 v134, vcc_lo, s1, v134, vcc_lo
	s_clause 0x7
	global_load_b32 v165, v[119:120], off
	global_load_b32 v166, v[121:122], off
	;; [unrolled: 1-line block ×8, first 2 shown]
	s_mov_b32 s1, -1
	s_waitcnt vmcnt(53)
	scratch_store_b128 off, v[1:4], off
	s_waitcnt vmcnt(49)
	scratch_store_b128 off, v[5:8], off offset:16
	s_waitcnt vmcnt(45)
	scratch_store_b128 off, v[9:12], off offset:32
	;; [unrolled: 2-line block ×13, first 2 shown]
	s_waitcnt vmcnt(0)
	scratch_store_b32 off, v172, off offset:224
	s_cbranch_scc1 .LBB56_234
; %bb.4:
	v_cmp_eq_u32_e64 s0, 0, v0
	s_delay_alu instid0(VALU_DEP_1)
	s_and_saveexec_b32 s1, s0
	s_cbranch_execz .LBB56_6
; %bb.5:
	v_mov_b32_e32 v1, 0
	ds_store_b32 v1, v1 offset:228
.LBB56_6:
	s_or_b32 exec_lo, exec_lo, s1
	s_waitcnt lgkmcnt(0)
	s_waitcnt_vscnt null, 0x0
	s_barrier
	buffer_gl0_inv
	scratch_load_b32 v1, v135, off
	s_mov_b32 s2, exec_lo
	s_waitcnt vmcnt(0)
	v_cmpx_eq_f32_e32 0, v1
	s_cbranch_execz .LBB56_10
; %bb.7:
	v_mov_b32_e32 v1, 0
	s_mov_b32 s3, 0
	ds_load_b32 v2, v1 offset:228
	s_waitcnt lgkmcnt(0)
	v_readfirstlane_b32 s1, v2
	v_add_nc_u32_e32 v2, 1, v0
	s_delay_alu instid0(VALU_DEP_2) | instskip(NEXT) | instid1(VALU_DEP_1)
	s_cmp_eq_u32 s1, 0
	v_cmp_gt_i32_e32 vcc_lo, s1, v2
	s_cselect_b32 s4, -1, 0
	s_delay_alu instid0(SALU_CYCLE_1) | instskip(NEXT) | instid1(SALU_CYCLE_1)
	s_or_b32 s4, s4, vcc_lo
	s_and_b32 exec_lo, exec_lo, s4
	s_cbranch_execz .LBB56_10
; %bb.8:
	v_mov_b32_e32 v3, s1
.LBB56_9:                               ; =>This Inner Loop Header: Depth=1
	ds_cmpstore_rtn_b32 v3, v1, v2, v3 offset:228
	s_waitcnt lgkmcnt(0)
	v_cmp_ne_u32_e32 vcc_lo, 0, v3
	v_cmp_le_i32_e64 s1, v3, v2
	s_delay_alu instid0(VALU_DEP_1) | instskip(NEXT) | instid1(SALU_CYCLE_1)
	s_and_b32 s1, vcc_lo, s1
	s_and_b32 s1, exec_lo, s1
	s_delay_alu instid0(SALU_CYCLE_1) | instskip(NEXT) | instid1(SALU_CYCLE_1)
	s_or_b32 s3, s1, s3
	s_and_not1_b32 exec_lo, exec_lo, s3
	s_cbranch_execnz .LBB56_9
.LBB56_10:
	s_or_b32 exec_lo, exec_lo, s2
	v_mov_b32_e32 v1, 0
	s_barrier
	buffer_gl0_inv
	ds_load_b32 v2, v1 offset:228
	s_and_saveexec_b32 s1, s0
	s_cbranch_execz .LBB56_12
; %bb.11:
	s_lshl_b64 s[2:3], s[14:15], 2
	s_delay_alu instid0(SALU_CYCLE_1)
	s_add_u32 s2, s6, s2
	s_addc_u32 s3, s7, s3
	s_waitcnt lgkmcnt(0)
	global_store_b32 v1, v2, s[2:3]
.LBB56_12:
	s_or_b32 exec_lo, exec_lo, s1
	s_waitcnt lgkmcnt(0)
	v_cmp_ne_u32_e32 vcc_lo, 0, v2
	s_mov_b32 s1, 0
	s_cbranch_vccnz .LBB56_234
; %bb.13:
	v_add_nc_u32_e32 v1, 0, v135
	scratch_load_b32 v2, v1, off
	s_waitcnt vmcnt(0)
	v_div_scale_f32 v3, null, v2, v2, 1.0
	v_div_scale_f32 v6, vcc_lo, 1.0, v2, 1.0
	s_delay_alu instid0(VALU_DEP_2) | instskip(SKIP_2) | instid1(VALU_DEP_1)
	v_rcp_f32_e32 v4, v3
	s_waitcnt_depctr 0xfff
	v_fma_f32 v5, -v3, v4, 1.0
	v_fmac_f32_e32 v4, v5, v4
	s_delay_alu instid0(VALU_DEP_1) | instskip(NEXT) | instid1(VALU_DEP_1)
	v_mul_f32_e32 v5, v6, v4
	v_fma_f32 v7, -v3, v5, v6
	s_delay_alu instid0(VALU_DEP_1) | instskip(NEXT) | instid1(VALU_DEP_1)
	v_fmac_f32_e32 v5, v7, v4
	v_fma_f32 v3, -v3, v5, v6
	s_delay_alu instid0(VALU_DEP_1) | instskip(NEXT) | instid1(VALU_DEP_1)
	v_div_fmas_f32 v3, v3, v4, v5
	v_div_fixup_f32 v2, v3, v2, 1.0
	scratch_store_b32 v1, v2, off
	scratch_load_b32 v3, off, off offset:4
	v_xor_b32_e32 v4, 0x80000000, v2
	v_add_nc_u32_e32 v2, 0xf0, v135
	s_waitcnt vmcnt(0)
	ds_store_2addr_b32 v135, v4, v3 offset1:60
	s_waitcnt lgkmcnt(0)
	s_waitcnt_vscnt null, 0x0
	s_barrier
	buffer_gl0_inv
	s_and_saveexec_b32 s1, s0
	s_cbranch_execz .LBB56_15
; %bb.14:
	scratch_load_b32 v3, v1, off
	ds_load_b32 v4, v2
	v_mov_b32_e32 v5, 0
	ds_load_b32 v5, v5 offset:4
	s_waitcnt vmcnt(0) lgkmcnt(1)
	v_fma_f32 v3, v3, v4, 0
	s_waitcnt lgkmcnt(0)
	s_delay_alu instid0(VALU_DEP_1)
	v_mul_f32_e32 v3, v3, v5
	scratch_store_b32 off, v3, off offset:4
.LBB56_15:
	s_or_b32 exec_lo, exec_lo, s1
	s_waitcnt_vscnt null, 0x0
	s_barrier
	buffer_gl0_inv
	scratch_load_b32 v3, off, off offset:8
	s_mov_b32 s1, exec_lo
	s_waitcnt vmcnt(0)
	ds_store_b32 v2, v3
	s_waitcnt lgkmcnt(0)
	s_barrier
	buffer_gl0_inv
	v_cmpx_gt_u32_e32 2, v0
	s_cbranch_execz .LBB56_17
; %bb.16:
	scratch_load_b32 v5, v1, off
	scratch_load_b32 v6, off, off offset:4
	ds_load_b32 v7, v2
	v_mov_b32_e32 v3, 0
	ds_load_2addr_b32 v[3:4], v3 offset0:2 offset1:61
	s_waitcnt vmcnt(1) lgkmcnt(1)
	v_fma_f32 v5, v5, v7, 0
	s_waitcnt vmcnt(0) lgkmcnt(0)
	s_delay_alu instid0(VALU_DEP_1) | instskip(NEXT) | instid1(VALU_DEP_1)
	v_fma_f32 v4, v6, v4, v5
	v_cndmask_b32_e64 v4, v5, v4, s0
	s_delay_alu instid0(VALU_DEP_1)
	v_mul_f32_e32 v3, v4, v3
	scratch_store_b32 off, v3, off offset:8
.LBB56_17:
	s_or_b32 exec_lo, exec_lo, s1
	s_waitcnt_vscnt null, 0x0
	s_barrier
	buffer_gl0_inv
	scratch_load_b32 v4, off, off offset:12
	v_add_nc_u32_e32 v3, -1, v0
	s_mov_b32 s0, exec_lo
	s_waitcnt vmcnt(0)
	ds_store_b32 v2, v4
	s_waitcnt lgkmcnt(0)
	s_barrier
	buffer_gl0_inv
	v_cmpx_gt_u32_e32 3, v0
	s_cbranch_execz .LBB56_21
; %bb.18:
	v_dual_mov_b32 v4, 0 :: v_dual_add_nc_u32 v5, -1, v0
	v_add_nc_u32_e32 v6, 0xf0, v135
	v_add_nc_u32_e32 v7, 0, v135
	s_mov_b32 s1, 0
.LBB56_19:                              ; =>This Inner Loop Header: Depth=1
	scratch_load_b32 v8, v7, off
	ds_load_b32 v9, v6
	v_add_nc_u32_e32 v5, 1, v5
	v_add_nc_u32_e32 v6, 4, v6
	v_add_nc_u32_e32 v7, 4, v7
	s_delay_alu instid0(VALU_DEP_3)
	v_cmp_lt_u32_e32 vcc_lo, 1, v5
	s_or_b32 s1, vcc_lo, s1
	s_waitcnt vmcnt(0) lgkmcnt(0)
	v_fmac_f32_e32 v4, v8, v9
	s_and_not1_b32 exec_lo, exec_lo, s1
	s_cbranch_execnz .LBB56_19
; %bb.20:
	s_or_b32 exec_lo, exec_lo, s1
	v_mov_b32_e32 v5, 0
	ds_load_b32 v5, v5 offset:12
	s_waitcnt lgkmcnt(0)
	v_mul_f32_e32 v4, v4, v5
	scratch_store_b32 off, v4, off offset:12
.LBB56_21:
	s_or_b32 exec_lo, exec_lo, s0
	s_waitcnt_vscnt null, 0x0
	s_barrier
	buffer_gl0_inv
	scratch_load_b32 v4, off, off offset:16
	s_mov_b32 s0, exec_lo
	s_waitcnt vmcnt(0)
	ds_store_b32 v2, v4
	s_waitcnt lgkmcnt(0)
	s_barrier
	buffer_gl0_inv
	v_cmpx_gt_u32_e32 4, v0
	s_cbranch_execz .LBB56_25
; %bb.22:
	v_dual_mov_b32 v4, 0 :: v_dual_add_nc_u32 v5, -1, v0
	v_add_nc_u32_e32 v6, 0xf0, v135
	v_add_nc_u32_e32 v7, 0, v135
	s_mov_b32 s1, 0
.LBB56_23:                              ; =>This Inner Loop Header: Depth=1
	scratch_load_b32 v8, v7, off
	ds_load_b32 v9, v6
	v_add_nc_u32_e32 v5, 1, v5
	v_add_nc_u32_e32 v6, 4, v6
	v_add_nc_u32_e32 v7, 4, v7
	s_delay_alu instid0(VALU_DEP_3)
	v_cmp_lt_u32_e32 vcc_lo, 2, v5
	s_or_b32 s1, vcc_lo, s1
	s_waitcnt vmcnt(0) lgkmcnt(0)
	v_fmac_f32_e32 v4, v8, v9
	s_and_not1_b32 exec_lo, exec_lo, s1
	s_cbranch_execnz .LBB56_23
; %bb.24:
	s_or_b32 exec_lo, exec_lo, s1
	v_mov_b32_e32 v5, 0
	ds_load_b32 v5, v5 offset:16
	s_waitcnt lgkmcnt(0)
	v_mul_f32_e32 v4, v4, v5
	scratch_store_b32 off, v4, off offset:16
.LBB56_25:
	s_or_b32 exec_lo, exec_lo, s0
	s_waitcnt_vscnt null, 0x0
	s_barrier
	buffer_gl0_inv
	scratch_load_b32 v4, off, off offset:20
	;; [unrolled: 39-line block ×21, first 2 shown]
	s_mov_b32 s0, exec_lo
	s_waitcnt vmcnt(0)
	ds_store_b32 v2, v4
	s_waitcnt lgkmcnt(0)
	s_barrier
	buffer_gl0_inv
	v_cmpx_gt_u32_e32 24, v0
	s_cbranch_execz .LBB56_105
; %bb.102:
	v_dual_mov_b32 v4, 0 :: v_dual_add_nc_u32 v5, -1, v0
	v_add_nc_u32_e32 v6, 0xf0, v135
	v_add_nc_u32_e32 v7, 0, v135
	s_mov_b32 s1, 0
.LBB56_103:                             ; =>This Inner Loop Header: Depth=1
	scratch_load_b32 v8, v7, off
	ds_load_b32 v9, v6
	v_add_nc_u32_e32 v5, 1, v5
	v_add_nc_u32_e32 v6, 4, v6
	v_add_nc_u32_e32 v7, 4, v7
	s_delay_alu instid0(VALU_DEP_3)
	v_cmp_lt_u32_e32 vcc_lo, 22, v5
	s_or_b32 s1, vcc_lo, s1
	s_waitcnt vmcnt(0) lgkmcnt(0)
	v_fmac_f32_e32 v4, v8, v9
	s_and_not1_b32 exec_lo, exec_lo, s1
	s_cbranch_execnz .LBB56_103
; %bb.104:
	s_or_b32 exec_lo, exec_lo, s1
	v_mov_b32_e32 v5, 0
	ds_load_b32 v5, v5 offset:96
	s_waitcnt lgkmcnt(0)
	v_mul_f32_e32 v4, v4, v5
	scratch_store_b32 off, v4, off offset:96
.LBB56_105:
	s_or_b32 exec_lo, exec_lo, s0
	s_waitcnt_vscnt null, 0x0
	s_barrier
	buffer_gl0_inv
	scratch_load_b32 v4, off, off offset:100
	s_mov_b32 s0, exec_lo
	s_waitcnt vmcnt(0)
	ds_store_b32 v2, v4
	s_waitcnt lgkmcnt(0)
	s_barrier
	buffer_gl0_inv
	v_cmpx_gt_u32_e32 25, v0
	s_cbranch_execz .LBB56_109
; %bb.106:
	v_dual_mov_b32 v4, 0 :: v_dual_add_nc_u32 v5, -1, v0
	v_add_nc_u32_e32 v6, 0xf0, v135
	v_add_nc_u32_e32 v7, 0, v135
	s_mov_b32 s1, 0
.LBB56_107:                             ; =>This Inner Loop Header: Depth=1
	scratch_load_b32 v8, v7, off
	ds_load_b32 v9, v6
	v_add_nc_u32_e32 v5, 1, v5
	v_add_nc_u32_e32 v6, 4, v6
	v_add_nc_u32_e32 v7, 4, v7
	s_delay_alu instid0(VALU_DEP_3)
	v_cmp_lt_u32_e32 vcc_lo, 23, v5
	s_or_b32 s1, vcc_lo, s1
	s_waitcnt vmcnt(0) lgkmcnt(0)
	v_fmac_f32_e32 v4, v8, v9
	s_and_not1_b32 exec_lo, exec_lo, s1
	s_cbranch_execnz .LBB56_107
; %bb.108:
	s_or_b32 exec_lo, exec_lo, s1
	v_mov_b32_e32 v5, 0
	ds_load_b32 v5, v5 offset:100
	s_waitcnt lgkmcnt(0)
	v_mul_f32_e32 v4, v4, v5
	scratch_store_b32 off, v4, off offset:100
.LBB56_109:
	s_or_b32 exec_lo, exec_lo, s0
	s_waitcnt_vscnt null, 0x0
	s_barrier
	buffer_gl0_inv
	scratch_load_b32 v4, off, off offset:104
	;; [unrolled: 39-line block ×32, first 2 shown]
	s_mov_b32 s0, exec_lo
	s_waitcnt vmcnt(0)
	ds_store_b32 v2, v4
	s_waitcnt lgkmcnt(0)
	s_barrier
	buffer_gl0_inv
	v_cmpx_ne_u32_e32 56, v0
	s_cbranch_execz .LBB56_233
; %bb.230:
	v_mov_b32_e32 v4, 0
	s_mov_b32 s1, 0
.LBB56_231:                             ; =>This Inner Loop Header: Depth=1
	scratch_load_b32 v5, v1, off
	ds_load_b32 v6, v2
	v_add_nc_u32_e32 v3, 1, v3
	v_add_nc_u32_e32 v2, 4, v2
	s_waitcnt vmcnt(0) lgkmcnt(0)
	v_dual_fmac_f32 v4, v5, v6 :: v_dual_add_nc_u32 v1, 4, v1
	s_delay_alu instid0(VALU_DEP_3) | instskip(SKIP_1) | instid1(SALU_CYCLE_1)
	v_cmp_lt_u32_e32 vcc_lo, 54, v3
	s_or_b32 s1, vcc_lo, s1
	s_and_not1_b32 exec_lo, exec_lo, s1
	s_cbranch_execnz .LBB56_231
; %bb.232:
	s_or_b32 exec_lo, exec_lo, s1
	v_mov_b32_e32 v1, 0
	ds_load_b32 v1, v1 offset:224
	s_waitcnt lgkmcnt(0)
	v_mul_f32_e32 v1, v4, v1
	scratch_store_b32 off, v1, off offset:224
.LBB56_233:
	s_or_b32 exec_lo, exec_lo, s0
	s_mov_b32 s1, -1
	s_waitcnt_vscnt null, 0x0
	s_barrier
	buffer_gl0_inv
.LBB56_234:
	s_and_b32 vcc_lo, exec_lo, s1
	s_cbranch_vccz .LBB56_236
; %bb.235:
	s_lshl_b64 s[0:1], s[14:15], 2
	v_mov_b32_e32 v1, 0
	s_add_u32 s0, s6, s0
	s_addc_u32 s1, s7, s1
	global_load_b32 v1, v1, s[0:1]
	s_waitcnt vmcnt(0)
	v_cmp_ne_u32_e32 vcc_lo, 0, v1
	s_cbranch_vccz .LBB56_237
.LBB56_236:
	s_endpgm
.LBB56_237:
	v_lshl_add_u32 v1, v0, 2, 0xf0
	s_mov_b32 s0, exec_lo
	v_cmpx_eq_u32_e32 56, v0
	s_cbranch_execz .LBB56_239
; %bb.238:
	scratch_load_b32 v2, off, off offset:220
	v_mov_b32_e32 v3, 0
	scratch_store_b32 off, v3, off offset:220
	s_waitcnt vmcnt(0)
	ds_store_b32 v1, v2
.LBB56_239:
	s_or_b32 exec_lo, exec_lo, s0
	s_waitcnt lgkmcnt(0)
	s_waitcnt_vscnt null, 0x0
	s_barrier
	buffer_gl0_inv
	scratch_load_b64 v[3:4], off, off offset:220
	v_mov_b32_e32 v2, 0
	s_mov_b32 s0, exec_lo
	ds_load_b32 v5, v2 offset:464
	s_waitcnt vmcnt(0) lgkmcnt(0)
	v_fma_f32 v4, v4, v5, 0
	s_delay_alu instid0(VALU_DEP_1)
	v_sub_f32_e32 v3, v3, v4
	scratch_store_b32 off, v3, off offset:220
	v_cmpx_lt_u32_e32 54, v0
	s_cbranch_execz .LBB56_241
; %bb.240:
	scratch_load_b32 v3, off, off offset:216
	scratch_store_b32 off, v2, off offset:216
	s_waitcnt vmcnt(0)
	ds_store_b32 v1, v3
.LBB56_241:
	s_or_b32 exec_lo, exec_lo, s0
	s_waitcnt lgkmcnt(0)
	s_waitcnt_vscnt null, 0x0
	s_barrier
	buffer_gl0_inv
	scratch_load_b96 v[3:5], off, off offset:216
	ds_load_2addr_b32 v[6:7], v2 offset0:115 offset1:116
	s_mov_b32 s0, exec_lo
	s_waitcnt vmcnt(0) lgkmcnt(0)
	v_fma_f32 v2, v4, v6, 0
	s_delay_alu instid0(VALU_DEP_1) | instskip(NEXT) | instid1(VALU_DEP_1)
	v_fmac_f32_e32 v2, v5, v7
	v_sub_f32_e32 v2, v3, v2
	scratch_store_b32 off, v2, off offset:216
	v_cmpx_lt_u32_e32 53, v0
	s_cbranch_execz .LBB56_243
; %bb.242:
	scratch_load_b32 v2, off, off offset:212
	v_mov_b32_e32 v3, 0
	scratch_store_b32 off, v3, off offset:212
	s_waitcnt vmcnt(0)
	ds_store_b32 v1, v2
.LBB56_243:
	s_or_b32 exec_lo, exec_lo, s0
	s_waitcnt lgkmcnt(0)
	s_waitcnt_vscnt null, 0x0
	s_barrier
	buffer_gl0_inv
	scratch_load_b128 v[3:6], off, off offset:212
	v_mov_b32_e32 v2, 0
	ds_load_b64 v[7:8], v2 offset:456
	ds_load_b32 v9, v2 offset:464
	s_mov_b32 s0, exec_lo
	s_waitcnt vmcnt(0) lgkmcnt(1)
	v_fma_f32 v4, v4, v7, 0
	s_delay_alu instid0(VALU_DEP_1) | instskip(SKIP_1) | instid1(VALU_DEP_1)
	v_fmac_f32_e32 v4, v5, v8
	s_waitcnt lgkmcnt(0)
	v_fmac_f32_e32 v4, v6, v9
	s_delay_alu instid0(VALU_DEP_1)
	v_sub_f32_e32 v3, v3, v4
	scratch_store_b32 off, v3, off offset:212
	v_cmpx_lt_u32_e32 52, v0
	s_cbranch_execz .LBB56_245
; %bb.244:
	scratch_load_b32 v3, off, off offset:208
	scratch_store_b32 off, v2, off offset:208
	s_waitcnt vmcnt(0)
	ds_store_b32 v1, v3
.LBB56_245:
	s_or_b32 exec_lo, exec_lo, s0
	s_waitcnt lgkmcnt(0)
	s_waitcnt_vscnt null, 0x0
	s_barrier
	buffer_gl0_inv
	s_clause 0x1
	scratch_load_b128 v[3:6], off, off offset:208
	scratch_load_b32 v11, off, off offset:224
	ds_load_2addr_b32 v[7:8], v2 offset0:113 offset1:114
	ds_load_2addr_b32 v[9:10], v2 offset0:115 offset1:116
	s_mov_b32 s0, exec_lo
	s_waitcnt vmcnt(1) lgkmcnt(1)
	v_fma_f32 v2, v4, v7, 0
	s_delay_alu instid0(VALU_DEP_1) | instskip(SKIP_1) | instid1(VALU_DEP_1)
	v_fmac_f32_e32 v2, v5, v8
	s_waitcnt lgkmcnt(0)
	v_fmac_f32_e32 v2, v6, v9
	s_waitcnt vmcnt(0)
	s_delay_alu instid0(VALU_DEP_1) | instskip(NEXT) | instid1(VALU_DEP_1)
	v_fmac_f32_e32 v2, v11, v10
	v_sub_f32_e32 v2, v3, v2
	scratch_store_b32 off, v2, off offset:208
	v_cmpx_lt_u32_e32 51, v0
	s_cbranch_execz .LBB56_247
; %bb.246:
	scratch_load_b32 v2, off, off offset:204
	v_mov_b32_e32 v3, 0
	scratch_store_b32 off, v3, off offset:204
	s_waitcnt vmcnt(0)
	ds_store_b32 v1, v2
.LBB56_247:
	s_or_b32 exec_lo, exec_lo, s0
	s_waitcnt lgkmcnt(0)
	s_waitcnt_vscnt null, 0x0
	s_barrier
	buffer_gl0_inv
	s_clause 0x1
	scratch_load_b128 v[3:6], off, off offset:204
	scratch_load_b64 v[11:12], off, off offset:220
	v_mov_b32_e32 v2, 0
	ds_load_b128 v[7:10], v2 offset:448
	ds_load_b32 v13, v2 offset:464
	s_mov_b32 s0, exec_lo
	s_waitcnt vmcnt(1) lgkmcnt(1)
	v_fma_f32 v4, v4, v7, 0
	s_delay_alu instid0(VALU_DEP_1) | instskip(NEXT) | instid1(VALU_DEP_1)
	v_fmac_f32_e32 v4, v5, v8
	v_fmac_f32_e32 v4, v6, v9
	s_waitcnt vmcnt(0)
	s_delay_alu instid0(VALU_DEP_1) | instskip(SKIP_1) | instid1(VALU_DEP_1)
	v_fmac_f32_e32 v4, v11, v10
	s_waitcnt lgkmcnt(0)
	v_fmac_f32_e32 v4, v12, v13
	s_delay_alu instid0(VALU_DEP_1)
	v_sub_f32_e32 v3, v3, v4
	scratch_store_b32 off, v3, off offset:204
	v_cmpx_lt_u32_e32 50, v0
	s_cbranch_execz .LBB56_249
; %bb.248:
	scratch_load_b32 v3, off, off offset:200
	scratch_store_b32 off, v2, off offset:200
	s_waitcnt vmcnt(0)
	ds_store_b32 v1, v3
.LBB56_249:
	s_or_b32 exec_lo, exec_lo, s0
	s_waitcnt lgkmcnt(0)
	s_waitcnt_vscnt null, 0x0
	s_barrier
	buffer_gl0_inv
	s_clause 0x1
	scratch_load_b128 v[3:6], off, off offset:200
	scratch_load_b96 v[7:9], off, off offset:216
	ds_load_2addr_b32 v[10:11], v2 offset0:111 offset1:112
	ds_load_2addr_b32 v[12:13], v2 offset0:113 offset1:114
	;; [unrolled: 1-line block ×3, first 2 shown]
	s_mov_b32 s0, exec_lo
	s_waitcnt vmcnt(1) lgkmcnt(2)
	v_fma_f32 v2, v4, v10, 0
	s_delay_alu instid0(VALU_DEP_1) | instskip(SKIP_1) | instid1(VALU_DEP_1)
	v_fmac_f32_e32 v2, v5, v11
	s_waitcnt lgkmcnt(1)
	v_fmac_f32_e32 v2, v6, v12
	s_waitcnt vmcnt(0)
	s_delay_alu instid0(VALU_DEP_1) | instskip(SKIP_1) | instid1(VALU_DEP_1)
	v_fmac_f32_e32 v2, v7, v13
	s_waitcnt lgkmcnt(0)
	v_fmac_f32_e32 v2, v8, v14
	s_delay_alu instid0(VALU_DEP_1) | instskip(NEXT) | instid1(VALU_DEP_1)
	v_fmac_f32_e32 v2, v9, v15
	v_sub_f32_e32 v2, v3, v2
	scratch_store_b32 off, v2, off offset:200
	v_cmpx_lt_u32_e32 49, v0
	s_cbranch_execz .LBB56_251
; %bb.250:
	scratch_load_b32 v2, off, off offset:196
	v_mov_b32_e32 v3, 0
	scratch_store_b32 off, v3, off offset:196
	s_waitcnt vmcnt(0)
	ds_store_b32 v1, v2
.LBB56_251:
	s_or_b32 exec_lo, exec_lo, s0
	s_waitcnt lgkmcnt(0)
	s_waitcnt_vscnt null, 0x0
	s_barrier
	buffer_gl0_inv
	s_clause 0x1
	scratch_load_b128 v[3:6], off, off offset:196
	scratch_load_b128 v[7:10], off, off offset:212
	v_mov_b32_e32 v2, 0
	ds_load_2addr_b64 v[11:14], v2 offset0:55 offset1:56
	ds_load_b64 v[15:16], v2 offset:456
	s_mov_b32 s0, exec_lo
	s_waitcnt vmcnt(1) lgkmcnt(1)
	v_fma_f32 v4, v4, v11, 0
	s_delay_alu instid0(VALU_DEP_1) | instskip(SKIP_3) | instid1(VALU_DEP_1)
	v_fmac_f32_e32 v4, v5, v12
	ds_load_b32 v5, v2 offset:464
	v_fmac_f32_e32 v4, v6, v13
	s_waitcnt vmcnt(0)
	v_fmac_f32_e32 v4, v7, v14
	s_waitcnt lgkmcnt(1)
	s_delay_alu instid0(VALU_DEP_1) | instskip(NEXT) | instid1(VALU_DEP_1)
	v_fmac_f32_e32 v4, v8, v15
	v_fmac_f32_e32 v4, v9, v16
	s_waitcnt lgkmcnt(0)
	s_delay_alu instid0(VALU_DEP_1) | instskip(NEXT) | instid1(VALU_DEP_1)
	v_fmac_f32_e32 v4, v10, v5
	v_sub_f32_e32 v3, v3, v4
	scratch_store_b32 off, v3, off offset:196
	v_cmpx_lt_u32_e32 48, v0
	s_cbranch_execz .LBB56_253
; %bb.252:
	scratch_load_b32 v3, off, off offset:192
	scratch_store_b32 off, v2, off offset:192
	s_waitcnt vmcnt(0)
	ds_store_b32 v1, v3
.LBB56_253:
	s_or_b32 exec_lo, exec_lo, s0
	s_waitcnt lgkmcnt(0)
	s_waitcnt_vscnt null, 0x0
	s_barrier
	buffer_gl0_inv
	s_clause 0x2
	scratch_load_b128 v[3:6], off, off offset:192
	scratch_load_b128 v[7:10], off, off offset:208
	scratch_load_b32 v19, off, off offset:224
	ds_load_2addr_b32 v[11:12], v2 offset0:109 offset1:110
	ds_load_2addr_b32 v[13:14], v2 offset0:111 offset1:112
	;; [unrolled: 1-line block ×4, first 2 shown]
	s_mov_b32 s0, exec_lo
	s_waitcnt vmcnt(2) lgkmcnt(3)
	v_fma_f32 v2, v4, v11, 0
	s_delay_alu instid0(VALU_DEP_1) | instskip(SKIP_1) | instid1(VALU_DEP_1)
	v_fmac_f32_e32 v2, v5, v12
	s_waitcnt lgkmcnt(2)
	v_fmac_f32_e32 v2, v6, v13
	s_waitcnt vmcnt(1)
	s_delay_alu instid0(VALU_DEP_1) | instskip(SKIP_1) | instid1(VALU_DEP_1)
	v_fmac_f32_e32 v2, v7, v14
	s_waitcnt lgkmcnt(1)
	v_fmac_f32_e32 v2, v8, v15
	s_delay_alu instid0(VALU_DEP_1) | instskip(SKIP_1) | instid1(VALU_DEP_1)
	v_fmac_f32_e32 v2, v9, v16
	s_waitcnt lgkmcnt(0)
	v_fmac_f32_e32 v2, v10, v17
	s_waitcnt vmcnt(0)
	s_delay_alu instid0(VALU_DEP_1) | instskip(NEXT) | instid1(VALU_DEP_1)
	v_fmac_f32_e32 v2, v19, v18
	v_sub_f32_e32 v2, v3, v2
	scratch_store_b32 off, v2, off offset:192
	v_cmpx_lt_u32_e32 47, v0
	s_cbranch_execz .LBB56_255
; %bb.254:
	scratch_load_b32 v2, off, off offset:188
	v_mov_b32_e32 v3, 0
	scratch_store_b32 off, v3, off offset:188
	s_waitcnt vmcnt(0)
	ds_store_b32 v1, v2
.LBB56_255:
	s_or_b32 exec_lo, exec_lo, s0
	s_waitcnt lgkmcnt(0)
	s_waitcnt_vscnt null, 0x0
	s_barrier
	buffer_gl0_inv
	s_clause 0x2
	scratch_load_b128 v[3:6], off, off offset:188
	scratch_load_b128 v[7:10], off, off offset:204
	scratch_load_b64 v[19:20], off, off offset:220
	v_mov_b32_e32 v2, 0
	ds_load_b128 v[11:14], v2 offset:432
	ds_load_b128 v[15:18], v2 offset:448
	s_mov_b32 s0, exec_lo
	s_waitcnt vmcnt(2) lgkmcnt(1)
	v_fma_f32 v4, v4, v11, 0
	s_delay_alu instid0(VALU_DEP_1) | instskip(SKIP_3) | instid1(VALU_DEP_1)
	v_fmac_f32_e32 v4, v5, v12
	ds_load_b32 v5, v2 offset:464
	v_fmac_f32_e32 v4, v6, v13
	s_waitcnt vmcnt(1)
	v_fmac_f32_e32 v4, v7, v14
	s_waitcnt lgkmcnt(1)
	s_delay_alu instid0(VALU_DEP_1) | instskip(NEXT) | instid1(VALU_DEP_1)
	v_fmac_f32_e32 v4, v8, v15
	v_fmac_f32_e32 v4, v9, v16
	s_delay_alu instid0(VALU_DEP_1) | instskip(SKIP_1) | instid1(VALU_DEP_1)
	v_fmac_f32_e32 v4, v10, v17
	s_waitcnt vmcnt(0)
	v_fmac_f32_e32 v4, v19, v18
	s_waitcnt lgkmcnt(0)
	s_delay_alu instid0(VALU_DEP_1) | instskip(NEXT) | instid1(VALU_DEP_1)
	v_fmac_f32_e32 v4, v20, v5
	v_sub_f32_e32 v3, v3, v4
	scratch_store_b32 off, v3, off offset:188
	v_cmpx_lt_u32_e32 46, v0
	s_cbranch_execz .LBB56_257
; %bb.256:
	scratch_load_b32 v3, off, off offset:184
	scratch_store_b32 off, v2, off offset:184
	s_waitcnt vmcnt(0)
	ds_store_b32 v1, v3
.LBB56_257:
	s_or_b32 exec_lo, exec_lo, s0
	s_waitcnt lgkmcnt(0)
	s_waitcnt_vscnt null, 0x0
	s_barrier
	buffer_gl0_inv
	s_clause 0x2
	scratch_load_b128 v[3:6], off, off offset:184
	scratch_load_b128 v[7:10], off, off offset:200
	scratch_load_b96 v[11:13], off, off offset:216
	ds_load_2addr_b32 v[14:15], v2 offset0:107 offset1:108
	ds_load_2addr_b32 v[16:17], v2 offset0:109 offset1:110
	;; [unrolled: 1-line block ×4, first 2 shown]
	s_mov_b32 s0, exec_lo
	s_waitcnt vmcnt(2) lgkmcnt(3)
	v_fma_f32 v14, v4, v14, 0
	s_delay_alu instid0(VALU_DEP_1) | instskip(SKIP_4) | instid1(VALU_DEP_1)
	v_fmac_f32_e32 v14, v5, v15
	ds_load_2addr_b32 v[4:5], v2 offset0:115 offset1:116
	s_waitcnt lgkmcnt(3)
	v_fmac_f32_e32 v14, v6, v16
	s_waitcnt vmcnt(1)
	v_fmac_f32_e32 v14, v7, v17
	s_waitcnt lgkmcnt(2)
	s_delay_alu instid0(VALU_DEP_1) | instskip(NEXT) | instid1(VALU_DEP_1)
	v_fmac_f32_e32 v14, v8, v18
	v_fmac_f32_e32 v14, v9, v19
	s_waitcnt lgkmcnt(1)
	s_delay_alu instid0(VALU_DEP_1) | instskip(SKIP_1) | instid1(VALU_DEP_1)
	v_fmac_f32_e32 v14, v10, v135
	s_waitcnt vmcnt(0)
	v_fmac_f32_e32 v14, v11, v136
	s_waitcnt lgkmcnt(0)
	s_delay_alu instid0(VALU_DEP_1) | instskip(NEXT) | instid1(VALU_DEP_1)
	v_fmac_f32_e32 v14, v12, v4
	v_fmac_f32_e32 v14, v13, v5
	s_delay_alu instid0(VALU_DEP_1)
	v_sub_f32_e32 v2, v3, v14
	scratch_store_b32 off, v2, off offset:184
	v_cmpx_lt_u32_e32 45, v0
	s_cbranch_execz .LBB56_259
; %bb.258:
	scratch_load_b32 v2, off, off offset:180
	v_mov_b32_e32 v3, 0
	scratch_store_b32 off, v3, off offset:180
	s_waitcnt vmcnt(0)
	ds_store_b32 v1, v2
.LBB56_259:
	s_or_b32 exec_lo, exec_lo, s0
	s_waitcnt lgkmcnt(0)
	s_waitcnt_vscnt null, 0x0
	s_barrier
	buffer_gl0_inv
	s_clause 0x2
	scratch_load_b128 v[3:6], off, off offset:180
	scratch_load_b128 v[7:10], off, off offset:196
	;; [unrolled: 1-line block ×3, first 2 shown]
	v_mov_b32_e32 v2, 0
	ds_load_2addr_b64 v[15:18], v2 offset0:53 offset1:54
	ds_load_2addr_b64 v[135:138], v2 offset0:55 offset1:56
	s_mov_b32 s0, exec_lo
	s_waitcnt vmcnt(2) lgkmcnt(1)
	v_fma_f32 v15, v4, v15, 0
	s_delay_alu instid0(VALU_DEP_1)
	v_fmac_f32_e32 v15, v5, v16
	ds_load_b64 v[4:5], v2 offset:456
	v_fmac_f32_e32 v15, v6, v17
	ds_load_b32 v6, v2 offset:464
	s_waitcnt vmcnt(1)
	v_fmac_f32_e32 v15, v7, v18
	s_waitcnt lgkmcnt(2)
	s_delay_alu instid0(VALU_DEP_1) | instskip(NEXT) | instid1(VALU_DEP_1)
	v_fmac_f32_e32 v15, v8, v135
	v_fmac_f32_e32 v15, v9, v136
	s_delay_alu instid0(VALU_DEP_1) | instskip(SKIP_1) | instid1(VALU_DEP_1)
	v_fmac_f32_e32 v15, v10, v137
	s_waitcnt vmcnt(0)
	v_fmac_f32_e32 v15, v11, v138
	s_waitcnt lgkmcnt(1)
	s_delay_alu instid0(VALU_DEP_1) | instskip(NEXT) | instid1(VALU_DEP_1)
	v_fmac_f32_e32 v15, v12, v4
	v_fmac_f32_e32 v15, v13, v5
	s_waitcnt lgkmcnt(0)
	s_delay_alu instid0(VALU_DEP_1) | instskip(NEXT) | instid1(VALU_DEP_1)
	v_fmac_f32_e32 v15, v14, v6
	v_sub_f32_e32 v3, v3, v15
	scratch_store_b32 off, v3, off offset:180
	v_cmpx_lt_u32_e32 44, v0
	s_cbranch_execz .LBB56_261
; %bb.260:
	scratch_load_b32 v3, off, off offset:176
	scratch_store_b32 off, v2, off offset:176
	s_waitcnt vmcnt(0)
	ds_store_b32 v1, v3
.LBB56_261:
	s_or_b32 exec_lo, exec_lo, s0
	s_waitcnt lgkmcnt(0)
	s_waitcnt_vscnt null, 0x0
	s_barrier
	buffer_gl0_inv
	s_clause 0x3
	scratch_load_b128 v[3:6], off, off offset:176
	scratch_load_b128 v[7:10], off, off offset:192
	;; [unrolled: 1-line block ×3, first 2 shown]
	scratch_load_b32 v137, off, off offset:224
	ds_load_2addr_b32 v[15:16], v2 offset0:105 offset1:106
	ds_load_2addr_b32 v[17:18], v2 offset0:107 offset1:108
	;; [unrolled: 1-line block ×4, first 2 shown]
	s_mov_b32 s0, exec_lo
	s_waitcnt vmcnt(3) lgkmcnt(3)
	v_fma_f32 v15, v4, v15, 0
	s_delay_alu instid0(VALU_DEP_1) | instskip(SKIP_4) | instid1(VALU_DEP_1)
	v_fmac_f32_e32 v15, v5, v16
	ds_load_2addr_b32 v[4:5], v2 offset0:113 offset1:114
	s_waitcnt lgkmcnt(3)
	v_fmac_f32_e32 v15, v6, v17
	s_waitcnt vmcnt(2)
	v_fmac_f32_e32 v15, v7, v18
	ds_load_2addr_b32 v[6:7], v2 offset0:115 offset1:116
	s_waitcnt lgkmcnt(3)
	v_fmac_f32_e32 v15, v8, v19
	s_delay_alu instid0(VALU_DEP_1) | instskip(SKIP_1) | instid1(VALU_DEP_1)
	v_fmac_f32_e32 v15, v9, v20
	s_waitcnt lgkmcnt(2)
	v_fmac_f32_e32 v15, v10, v135
	s_waitcnt vmcnt(1)
	s_delay_alu instid0(VALU_DEP_1) | instskip(SKIP_1) | instid1(VALU_DEP_1)
	v_fmac_f32_e32 v15, v11, v136
	s_waitcnt lgkmcnt(1)
	v_fmac_f32_e32 v15, v12, v4
	s_delay_alu instid0(VALU_DEP_1) | instskip(SKIP_1) | instid1(VALU_DEP_1)
	v_fmac_f32_e32 v15, v13, v5
	s_waitcnt lgkmcnt(0)
	v_fmac_f32_e32 v15, v14, v6
	s_waitcnt vmcnt(0)
	s_delay_alu instid0(VALU_DEP_1) | instskip(NEXT) | instid1(VALU_DEP_1)
	v_fmac_f32_e32 v15, v137, v7
	v_sub_f32_e32 v2, v3, v15
	scratch_store_b32 off, v2, off offset:176
	v_cmpx_lt_u32_e32 43, v0
	s_cbranch_execz .LBB56_263
; %bb.262:
	scratch_load_b32 v2, off, off offset:172
	v_mov_b32_e32 v3, 0
	scratch_store_b32 off, v3, off offset:172
	s_waitcnt vmcnt(0)
	ds_store_b32 v1, v2
.LBB56_263:
	s_or_b32 exec_lo, exec_lo, s0
	s_waitcnt lgkmcnt(0)
	s_waitcnt_vscnt null, 0x0
	s_barrier
	buffer_gl0_inv
	s_clause 0x3
	scratch_load_b128 v[3:6], off, off offset:172
	scratch_load_b128 v[7:10], off, off offset:188
	;; [unrolled: 1-line block ×3, first 2 shown]
	scratch_load_b64 v[19:20], off, off offset:220
	v_mov_b32_e32 v2, 0
	ds_load_b128 v[15:18], v2 offset:416
	ds_load_b128 v[135:138], v2 offset:432
	s_mov_b32 s0, exec_lo
	s_waitcnt vmcnt(3) lgkmcnt(1)
	v_fma_f32 v15, v4, v15, 0
	s_delay_alu instid0(VALU_DEP_1) | instskip(NEXT) | instid1(VALU_DEP_1)
	v_fmac_f32_e32 v15, v5, v16
	v_fmac_f32_e32 v15, v6, v17
	s_waitcnt vmcnt(2)
	s_delay_alu instid0(VALU_DEP_1)
	v_fmac_f32_e32 v15, v7, v18
	ds_load_b128 v[4:7], v2 offset:448
	s_waitcnt lgkmcnt(1)
	v_fmac_f32_e32 v15, v8, v135
	ds_load_b32 v8, v2 offset:464
	v_fmac_f32_e32 v15, v9, v136
	s_delay_alu instid0(VALU_DEP_1) | instskip(SKIP_1) | instid1(VALU_DEP_1)
	v_fmac_f32_e32 v15, v10, v137
	s_waitcnt vmcnt(1)
	v_fmac_f32_e32 v15, v11, v138
	s_waitcnt lgkmcnt(1)
	s_delay_alu instid0(VALU_DEP_1) | instskip(NEXT) | instid1(VALU_DEP_1)
	v_fmac_f32_e32 v15, v12, v4
	v_fmac_f32_e32 v15, v13, v5
	s_delay_alu instid0(VALU_DEP_1) | instskip(SKIP_1) | instid1(VALU_DEP_1)
	v_fmac_f32_e32 v15, v14, v6
	s_waitcnt vmcnt(0)
	v_fmac_f32_e32 v15, v19, v7
	s_waitcnt lgkmcnt(0)
	s_delay_alu instid0(VALU_DEP_1) | instskip(NEXT) | instid1(VALU_DEP_1)
	v_fmac_f32_e32 v15, v20, v8
	v_sub_f32_e32 v3, v3, v15
	scratch_store_b32 off, v3, off offset:172
	v_cmpx_lt_u32_e32 42, v0
	s_cbranch_execz .LBB56_265
; %bb.264:
	scratch_load_b32 v3, off, off offset:168
	scratch_store_b32 off, v2, off offset:168
	s_waitcnt vmcnt(0)
	ds_store_b32 v1, v3
.LBB56_265:
	s_or_b32 exec_lo, exec_lo, s0
	s_waitcnt lgkmcnt(0)
	s_waitcnt_vscnt null, 0x0
	s_barrier
	buffer_gl0_inv
	s_clause 0x3
	scratch_load_b128 v[3:6], off, off offset:168
	scratch_load_b128 v[7:10], off, off offset:184
	;; [unrolled: 1-line block ×3, first 2 shown]
	scratch_load_b96 v[15:17], off, off offset:216
	ds_load_2addr_b32 v[18:19], v2 offset0:103 offset1:104
	ds_load_2addr_b32 v[135:136], v2 offset0:105 offset1:106
	;; [unrolled: 1-line block ×4, first 2 shown]
	s_mov_b32 s0, exec_lo
	s_waitcnt vmcnt(3) lgkmcnt(3)
	v_fma_f32 v18, v4, v18, 0
	s_delay_alu instid0(VALU_DEP_1) | instskip(SKIP_4) | instid1(VALU_DEP_1)
	v_fmac_f32_e32 v18, v5, v19
	ds_load_2addr_b32 v[4:5], v2 offset0:111 offset1:112
	s_waitcnt lgkmcnt(3)
	v_fmac_f32_e32 v18, v6, v135
	s_waitcnt vmcnt(2)
	v_fmac_f32_e32 v18, v7, v136
	ds_load_2addr_b32 v[6:7], v2 offset0:113 offset1:114
	s_waitcnt lgkmcnt(3)
	v_fmac_f32_e32 v18, v8, v137
	s_delay_alu instid0(VALU_DEP_1) | instskip(SKIP_4) | instid1(VALU_DEP_1)
	v_fmac_f32_e32 v18, v9, v138
	ds_load_2addr_b32 v[8:9], v2 offset0:115 offset1:116
	s_waitcnt lgkmcnt(3)
	v_fmac_f32_e32 v18, v10, v139
	s_waitcnt vmcnt(1)
	v_fmac_f32_e32 v18, v11, v140
	s_waitcnt lgkmcnt(2)
	s_delay_alu instid0(VALU_DEP_1) | instskip(NEXT) | instid1(VALU_DEP_1)
	v_fmac_f32_e32 v18, v12, v4
	v_fmac_f32_e32 v18, v13, v5
	s_waitcnt lgkmcnt(1)
	s_delay_alu instid0(VALU_DEP_1) | instskip(SKIP_1) | instid1(VALU_DEP_1)
	v_fmac_f32_e32 v18, v14, v6
	s_waitcnt vmcnt(0)
	v_fmac_f32_e32 v18, v15, v7
	s_waitcnt lgkmcnt(0)
	s_delay_alu instid0(VALU_DEP_1) | instskip(NEXT) | instid1(VALU_DEP_1)
	v_fmac_f32_e32 v18, v16, v8
	v_fmac_f32_e32 v18, v17, v9
	s_delay_alu instid0(VALU_DEP_1)
	v_sub_f32_e32 v2, v3, v18
	scratch_store_b32 off, v2, off offset:168
	v_cmpx_lt_u32_e32 41, v0
	s_cbranch_execz .LBB56_267
; %bb.266:
	scratch_load_b32 v2, off, off offset:164
	v_mov_b32_e32 v3, 0
	scratch_store_b32 off, v3, off offset:164
	s_waitcnt vmcnt(0)
	ds_store_b32 v1, v2
.LBB56_267:
	s_or_b32 exec_lo, exec_lo, s0
	s_waitcnt lgkmcnt(0)
	s_waitcnt_vscnt null, 0x0
	s_barrier
	buffer_gl0_inv
	s_clause 0x3
	scratch_load_b128 v[3:6], off, off offset:164
	scratch_load_b128 v[7:10], off, off offset:180
	;; [unrolled: 1-line block ×4, first 2 shown]
	v_mov_b32_e32 v2, 0
	ds_load_2addr_b64 v[135:138], v2 offset0:51 offset1:52
	ds_load_2addr_b64 v[139:142], v2 offset0:53 offset1:54
	s_mov_b32 s0, exec_lo
	s_waitcnt vmcnt(3) lgkmcnt(1)
	v_fma_f32 v19, v4, v135, 0
	s_delay_alu instid0(VALU_DEP_1) | instskip(NEXT) | instid1(VALU_DEP_1)
	v_fmac_f32_e32 v19, v5, v136
	v_fmac_f32_e32 v19, v6, v137
	s_waitcnt vmcnt(2)
	s_delay_alu instid0(VALU_DEP_1) | instskip(SKIP_3) | instid1(VALU_DEP_1)
	v_fmac_f32_e32 v19, v7, v138
	ds_load_2addr_b64 v[4:7], v2 offset0:55 offset1:56
	s_waitcnt lgkmcnt(1)
	v_fmac_f32_e32 v19, v8, v139
	v_fmac_f32_e32 v19, v9, v140
	ds_load_b64 v[8:9], v2 offset:456
	v_fmac_f32_e32 v19, v10, v141
	s_waitcnt vmcnt(1)
	s_delay_alu instid0(VALU_DEP_1) | instskip(SKIP_1) | instid1(VALU_DEP_1)
	v_fmac_f32_e32 v19, v11, v142
	s_waitcnt lgkmcnt(1)
	v_fmac_f32_e32 v19, v12, v4
	ds_load_b32 v4, v2 offset:464
	v_fmac_f32_e32 v19, v13, v5
	s_delay_alu instid0(VALU_DEP_1) | instskip(SKIP_1) | instid1(VALU_DEP_1)
	v_fmac_f32_e32 v19, v14, v6
	s_waitcnt vmcnt(0)
	v_fmac_f32_e32 v19, v15, v7
	s_waitcnt lgkmcnt(1)
	s_delay_alu instid0(VALU_DEP_1) | instskip(NEXT) | instid1(VALU_DEP_1)
	v_fmac_f32_e32 v19, v16, v8
	v_fmac_f32_e32 v19, v17, v9
	s_waitcnt lgkmcnt(0)
	s_delay_alu instid0(VALU_DEP_1) | instskip(NEXT) | instid1(VALU_DEP_1)
	v_fmac_f32_e32 v19, v18, v4
	v_sub_f32_e32 v3, v3, v19
	scratch_store_b32 off, v3, off offset:164
	v_cmpx_lt_u32_e32 40, v0
	s_cbranch_execz .LBB56_269
; %bb.268:
	scratch_load_b32 v3, off, off offset:160
	scratch_store_b32 off, v2, off offset:160
	s_waitcnt vmcnt(0)
	ds_store_b32 v1, v3
.LBB56_269:
	s_or_b32 exec_lo, exec_lo, s0
	s_waitcnt lgkmcnt(0)
	s_waitcnt_vscnt null, 0x0
	s_barrier
	buffer_gl0_inv
	s_clause 0x4
	scratch_load_b128 v[3:6], off, off offset:160
	scratch_load_b128 v[7:10], off, off offset:176
	;; [unrolled: 1-line block ×4, first 2 shown]
	scratch_load_b32 v141, off, off offset:224
	ds_load_2addr_b32 v[19:20], v2 offset0:101 offset1:102
	ds_load_2addr_b32 v[135:136], v2 offset0:103 offset1:104
	;; [unrolled: 1-line block ×4, first 2 shown]
	s_mov_b32 s0, exec_lo
	s_waitcnt vmcnt(4) lgkmcnt(3)
	v_fma_f32 v19, v4, v19, 0
	s_delay_alu instid0(VALU_DEP_1) | instskip(SKIP_4) | instid1(VALU_DEP_1)
	v_fmac_f32_e32 v19, v5, v20
	ds_load_2addr_b32 v[4:5], v2 offset0:109 offset1:110
	s_waitcnt lgkmcnt(3)
	v_fmac_f32_e32 v19, v6, v135
	s_waitcnt vmcnt(3)
	v_fmac_f32_e32 v19, v7, v136
	ds_load_2addr_b32 v[6:7], v2 offset0:111 offset1:112
	s_waitcnt lgkmcnt(3)
	v_fmac_f32_e32 v19, v8, v137
	s_delay_alu instid0(VALU_DEP_1) | instskip(SKIP_1) | instid1(VALU_DEP_1)
	v_fmac_f32_e32 v19, v9, v138
	s_waitcnt lgkmcnt(2)
	v_fmac_f32_e32 v19, v10, v139
	s_waitcnt vmcnt(2)
	s_delay_alu instid0(VALU_DEP_1) | instskip(SKIP_4) | instid1(VALU_DEP_1)
	v_fmac_f32_e32 v19, v11, v140
	ds_load_2addr_b32 v[8:9], v2 offset0:113 offset1:114
	ds_load_2addr_b32 v[10:11], v2 offset0:115 offset1:116
	s_waitcnt lgkmcnt(3)
	v_fmac_f32_e32 v19, v12, v4
	v_fmac_f32_e32 v19, v13, v5
	s_waitcnt lgkmcnt(2)
	s_delay_alu instid0(VALU_DEP_1) | instskip(SKIP_1) | instid1(VALU_DEP_1)
	v_fmac_f32_e32 v19, v14, v6
	s_waitcnt vmcnt(1)
	v_fmac_f32_e32 v19, v15, v7
	s_waitcnt lgkmcnt(1)
	s_delay_alu instid0(VALU_DEP_1) | instskip(NEXT) | instid1(VALU_DEP_1)
	v_fmac_f32_e32 v19, v16, v8
	v_fmac_f32_e32 v19, v17, v9
	s_waitcnt lgkmcnt(0)
	s_delay_alu instid0(VALU_DEP_1) | instskip(SKIP_1) | instid1(VALU_DEP_1)
	v_fmac_f32_e32 v19, v18, v10
	s_waitcnt vmcnt(0)
	v_fmac_f32_e32 v19, v141, v11
	s_delay_alu instid0(VALU_DEP_1)
	v_sub_f32_e32 v2, v3, v19
	scratch_store_b32 off, v2, off offset:160
	v_cmpx_lt_u32_e32 39, v0
	s_cbranch_execz .LBB56_271
; %bb.270:
	scratch_load_b32 v2, off, off offset:156
	v_mov_b32_e32 v3, 0
	scratch_store_b32 off, v3, off offset:156
	s_waitcnt vmcnt(0)
	ds_store_b32 v1, v2
.LBB56_271:
	s_or_b32 exec_lo, exec_lo, s0
	s_waitcnt lgkmcnt(0)
	s_waitcnt_vscnt null, 0x0
	s_barrier
	buffer_gl0_inv
	s_clause 0x4
	scratch_load_b128 v[3:6], off, off offset:156
	scratch_load_b128 v[7:10], off, off offset:172
	;; [unrolled: 1-line block ×4, first 2 shown]
	scratch_load_b64 v[19:20], off, off offset:220
	v_mov_b32_e32 v2, 0
	ds_load_b128 v[135:138], v2 offset:400
	ds_load_b128 v[139:142], v2 offset:416
	s_mov_b32 s0, exec_lo
	s_waitcnt vmcnt(4) lgkmcnt(1)
	v_fma_f32 v135, v4, v135, 0
	s_delay_alu instid0(VALU_DEP_1) | instskip(NEXT) | instid1(VALU_DEP_1)
	v_fmac_f32_e32 v135, v5, v136
	v_fmac_f32_e32 v135, v6, v137
	s_waitcnt vmcnt(3)
	s_delay_alu instid0(VALU_DEP_1) | instskip(SKIP_3) | instid1(VALU_DEP_1)
	v_fmac_f32_e32 v135, v7, v138
	ds_load_b128 v[4:7], v2 offset:432
	s_waitcnt lgkmcnt(1)
	v_fmac_f32_e32 v135, v8, v139
	v_fmac_f32_e32 v135, v9, v140
	s_delay_alu instid0(VALU_DEP_1) | instskip(SKIP_1) | instid1(VALU_DEP_1)
	v_fmac_f32_e32 v135, v10, v141
	s_waitcnt vmcnt(2)
	v_fmac_f32_e32 v135, v11, v142
	ds_load_b128 v[8:11], v2 offset:448
	s_waitcnt lgkmcnt(1)
	v_fmac_f32_e32 v135, v12, v4
	ds_load_b32 v4, v2 offset:464
	v_fmac_f32_e32 v135, v13, v5
	s_delay_alu instid0(VALU_DEP_1) | instskip(SKIP_1) | instid1(VALU_DEP_1)
	v_fmac_f32_e32 v135, v14, v6
	s_waitcnt vmcnt(1)
	v_fmac_f32_e32 v135, v15, v7
	s_waitcnt lgkmcnt(1)
	s_delay_alu instid0(VALU_DEP_1) | instskip(NEXT) | instid1(VALU_DEP_1)
	v_fmac_f32_e32 v135, v16, v8
	v_fmac_f32_e32 v135, v17, v9
	s_delay_alu instid0(VALU_DEP_1) | instskip(SKIP_1) | instid1(VALU_DEP_1)
	v_fmac_f32_e32 v135, v18, v10
	s_waitcnt vmcnt(0)
	v_fmac_f32_e32 v135, v19, v11
	s_waitcnt lgkmcnt(0)
	s_delay_alu instid0(VALU_DEP_1) | instskip(NEXT) | instid1(VALU_DEP_1)
	v_fmac_f32_e32 v135, v20, v4
	v_sub_f32_e32 v3, v3, v135
	scratch_store_b32 off, v3, off offset:156
	v_cmpx_lt_u32_e32 38, v0
	s_cbranch_execz .LBB56_273
; %bb.272:
	scratch_load_b32 v3, off, off offset:152
	scratch_store_b32 off, v2, off offset:152
	s_waitcnt vmcnt(0)
	ds_store_b32 v1, v3
.LBB56_273:
	s_or_b32 exec_lo, exec_lo, s0
	s_waitcnt lgkmcnt(0)
	s_waitcnt_vscnt null, 0x0
	s_barrier
	buffer_gl0_inv
	s_clause 0x4
	scratch_load_b128 v[3:6], off, off offset:152
	scratch_load_b128 v[7:10], off, off offset:168
	;; [unrolled: 1-line block ×4, first 2 shown]
	scratch_load_b96 v[135:137], off, off offset:216
	ds_load_2addr_b32 v[19:20], v2 offset0:99 offset1:100
	ds_load_2addr_b32 v[138:139], v2 offset0:101 offset1:102
	ds_load_2addr_b32 v[140:141], v2 offset0:103 offset1:104
	ds_load_2addr_b32 v[142:143], v2 offset0:105 offset1:106
	s_mov_b32 s0, exec_lo
	s_waitcnt vmcnt(4) lgkmcnt(3)
	v_fma_f32 v19, v4, v19, 0
	s_delay_alu instid0(VALU_DEP_1) | instskip(SKIP_4) | instid1(VALU_DEP_1)
	v_fmac_f32_e32 v19, v5, v20
	ds_load_2addr_b32 v[4:5], v2 offset0:107 offset1:108
	s_waitcnt lgkmcnt(3)
	v_fmac_f32_e32 v19, v6, v138
	s_waitcnt vmcnt(3)
	v_fmac_f32_e32 v19, v7, v139
	ds_load_2addr_b32 v[6:7], v2 offset0:109 offset1:110
	s_waitcnt lgkmcnt(3)
	v_fmac_f32_e32 v19, v8, v140
	s_delay_alu instid0(VALU_DEP_1) | instskip(SKIP_1) | instid1(VALU_DEP_1)
	v_fmac_f32_e32 v19, v9, v141
	s_waitcnt lgkmcnt(2)
	v_fmac_f32_e32 v19, v10, v142
	s_waitcnt vmcnt(2)
	s_delay_alu instid0(VALU_DEP_1) | instskip(SKIP_4) | instid1(VALU_DEP_1)
	v_fmac_f32_e32 v19, v11, v143
	ds_load_2addr_b32 v[8:9], v2 offset0:111 offset1:112
	ds_load_2addr_b32 v[10:11], v2 offset0:113 offset1:114
	s_waitcnt lgkmcnt(3)
	v_fmac_f32_e32 v19, v12, v4
	v_fmac_f32_e32 v19, v13, v5
	ds_load_2addr_b32 v[4:5], v2 offset0:115 offset1:116
	s_waitcnt lgkmcnt(3)
	v_fmac_f32_e32 v19, v14, v6
	s_waitcnt vmcnt(1)
	s_delay_alu instid0(VALU_DEP_1) | instskip(SKIP_1) | instid1(VALU_DEP_1)
	v_fmac_f32_e32 v19, v15, v7
	s_waitcnt lgkmcnt(2)
	v_fmac_f32_e32 v19, v16, v8
	s_delay_alu instid0(VALU_DEP_1) | instskip(SKIP_1) | instid1(VALU_DEP_1)
	v_fmac_f32_e32 v19, v17, v9
	s_waitcnt lgkmcnt(1)
	v_fmac_f32_e32 v19, v18, v10
	s_waitcnt vmcnt(0)
	s_delay_alu instid0(VALU_DEP_1) | instskip(SKIP_1) | instid1(VALU_DEP_1)
	v_fmac_f32_e32 v19, v135, v11
	s_waitcnt lgkmcnt(0)
	v_fmac_f32_e32 v19, v136, v4
	s_delay_alu instid0(VALU_DEP_1) | instskip(NEXT) | instid1(VALU_DEP_1)
	v_fmac_f32_e32 v19, v137, v5
	v_sub_f32_e32 v2, v3, v19
	scratch_store_b32 off, v2, off offset:152
	v_cmpx_lt_u32_e32 37, v0
	s_cbranch_execz .LBB56_275
; %bb.274:
	scratch_load_b32 v2, off, off offset:148
	v_mov_b32_e32 v3, 0
	scratch_store_b32 off, v3, off offset:148
	s_waitcnt vmcnt(0)
	ds_store_b32 v1, v2
.LBB56_275:
	s_or_b32 exec_lo, exec_lo, s0
	s_waitcnt lgkmcnt(0)
	s_waitcnt_vscnt null, 0x0
	s_barrier
	buffer_gl0_inv
	s_clause 0x4
	scratch_load_b128 v[3:6], off, off offset:148
	scratch_load_b128 v[7:10], off, off offset:164
	;; [unrolled: 1-line block ×5, first 2 shown]
	v_mov_b32_e32 v2, 0
	ds_load_2addr_b64 v[139:142], v2 offset0:49 offset1:50
	ds_load_2addr_b64 v[143:146], v2 offset0:51 offset1:52
	s_mov_b32 s0, exec_lo
	s_waitcnt vmcnt(4) lgkmcnt(1)
	v_fma_f32 v19, v4, v139, 0
	s_delay_alu instid0(VALU_DEP_1) | instskip(NEXT) | instid1(VALU_DEP_1)
	v_fmac_f32_e32 v19, v5, v140
	v_fmac_f32_e32 v19, v6, v141
	s_waitcnt vmcnt(3)
	s_delay_alu instid0(VALU_DEP_1) | instskip(SKIP_3) | instid1(VALU_DEP_1)
	v_fmac_f32_e32 v19, v7, v142
	ds_load_2addr_b64 v[4:7], v2 offset0:53 offset1:54
	s_waitcnt lgkmcnt(1)
	v_fmac_f32_e32 v19, v8, v143
	v_fmac_f32_e32 v19, v9, v144
	s_delay_alu instid0(VALU_DEP_1) | instskip(SKIP_1) | instid1(VALU_DEP_1)
	v_fmac_f32_e32 v19, v10, v145
	s_waitcnt vmcnt(2)
	v_fmac_f32_e32 v19, v11, v146
	ds_load_2addr_b64 v[8:11], v2 offset0:55 offset1:56
	s_waitcnt lgkmcnt(1)
	v_fmac_f32_e32 v19, v12, v4
	s_delay_alu instid0(VALU_DEP_1)
	v_fmac_f32_e32 v19, v13, v5
	ds_load_b64 v[4:5], v2 offset:456
	v_fmac_f32_e32 v19, v14, v6
	ds_load_b32 v6, v2 offset:464
	s_waitcnt vmcnt(1)
	v_fmac_f32_e32 v19, v15, v7
	s_waitcnt lgkmcnt(2)
	s_delay_alu instid0(VALU_DEP_1) | instskip(NEXT) | instid1(VALU_DEP_1)
	v_fmac_f32_e32 v19, v16, v8
	v_fmac_f32_e32 v19, v17, v9
	s_delay_alu instid0(VALU_DEP_1) | instskip(SKIP_1) | instid1(VALU_DEP_1)
	v_fmac_f32_e32 v19, v18, v10
	s_waitcnt vmcnt(0)
	v_fmac_f32_e32 v19, v135, v11
	s_waitcnt lgkmcnt(1)
	s_delay_alu instid0(VALU_DEP_1) | instskip(NEXT) | instid1(VALU_DEP_1)
	v_fmac_f32_e32 v19, v136, v4
	v_fmac_f32_e32 v19, v137, v5
	s_waitcnt lgkmcnt(0)
	s_delay_alu instid0(VALU_DEP_1) | instskip(NEXT) | instid1(VALU_DEP_1)
	v_fmac_f32_e32 v19, v138, v6
	v_sub_f32_e32 v3, v3, v19
	scratch_store_b32 off, v3, off offset:148
	v_cmpx_lt_u32_e32 36, v0
	s_cbranch_execz .LBB56_277
; %bb.276:
	scratch_load_b32 v3, off, off offset:144
	scratch_store_b32 off, v2, off offset:144
	s_waitcnt vmcnt(0)
	ds_store_b32 v1, v3
.LBB56_277:
	s_or_b32 exec_lo, exec_lo, s0
	s_waitcnt lgkmcnt(0)
	s_waitcnt_vscnt null, 0x0
	s_barrier
	buffer_gl0_inv
	s_clause 0x5
	scratch_load_b128 v[3:6], off, off offset:144
	scratch_load_b128 v[7:10], off, off offset:160
	;; [unrolled: 1-line block ×5, first 2 shown]
	scratch_load_b32 v145, off, off offset:224
	ds_load_2addr_b32 v[19:20], v2 offset0:97 offset1:98
	ds_load_2addr_b32 v[139:140], v2 offset0:99 offset1:100
	;; [unrolled: 1-line block ×4, first 2 shown]
	s_mov_b32 s0, exec_lo
	s_waitcnt vmcnt(5) lgkmcnt(3)
	v_fma_f32 v19, v4, v19, 0
	s_delay_alu instid0(VALU_DEP_1) | instskip(SKIP_4) | instid1(VALU_DEP_1)
	v_fmac_f32_e32 v19, v5, v20
	ds_load_2addr_b32 v[4:5], v2 offset0:105 offset1:106
	s_waitcnt lgkmcnt(3)
	v_fmac_f32_e32 v19, v6, v139
	s_waitcnt vmcnt(4)
	v_fmac_f32_e32 v19, v7, v140
	ds_load_2addr_b32 v[6:7], v2 offset0:107 offset1:108
	s_waitcnt lgkmcnt(3)
	v_fmac_f32_e32 v19, v8, v141
	s_delay_alu instid0(VALU_DEP_1) | instskip(SKIP_1) | instid1(VALU_DEP_1)
	v_fmac_f32_e32 v19, v9, v142
	s_waitcnt lgkmcnt(2)
	v_fmac_f32_e32 v19, v10, v143
	s_waitcnt vmcnt(3)
	s_delay_alu instid0(VALU_DEP_1) | instskip(SKIP_4) | instid1(VALU_DEP_1)
	v_fmac_f32_e32 v19, v11, v144
	ds_load_2addr_b32 v[8:9], v2 offset0:109 offset1:110
	ds_load_2addr_b32 v[10:11], v2 offset0:111 offset1:112
	s_waitcnt lgkmcnt(3)
	v_fmac_f32_e32 v19, v12, v4
	v_fmac_f32_e32 v19, v13, v5
	ds_load_2addr_b32 v[4:5], v2 offset0:113 offset1:114
	s_waitcnt lgkmcnt(3)
	v_fmac_f32_e32 v19, v14, v6
	s_waitcnt vmcnt(2)
	s_delay_alu instid0(VALU_DEP_1) | instskip(SKIP_3) | instid1(VALU_DEP_1)
	v_fmac_f32_e32 v19, v15, v7
	ds_load_2addr_b32 v[6:7], v2 offset0:115 offset1:116
	s_waitcnt lgkmcnt(3)
	v_fmac_f32_e32 v19, v16, v8
	v_fmac_f32_e32 v19, v17, v9
	s_waitcnt lgkmcnt(2)
	s_delay_alu instid0(VALU_DEP_1) | instskip(SKIP_1) | instid1(VALU_DEP_1)
	v_fmac_f32_e32 v19, v18, v10
	s_waitcnt vmcnt(1)
	v_fmac_f32_e32 v19, v135, v11
	s_waitcnt lgkmcnt(1)
	s_delay_alu instid0(VALU_DEP_1) | instskip(NEXT) | instid1(VALU_DEP_1)
	v_fmac_f32_e32 v19, v136, v4
	v_fmac_f32_e32 v19, v137, v5
	s_waitcnt lgkmcnt(0)
	s_delay_alu instid0(VALU_DEP_1) | instskip(SKIP_1) | instid1(VALU_DEP_1)
	v_fmac_f32_e32 v19, v138, v6
	s_waitcnt vmcnt(0)
	v_fmac_f32_e32 v19, v145, v7
	s_delay_alu instid0(VALU_DEP_1)
	v_sub_f32_e32 v2, v3, v19
	scratch_store_b32 off, v2, off offset:144
	v_cmpx_lt_u32_e32 35, v0
	s_cbranch_execz .LBB56_279
; %bb.278:
	scratch_load_b32 v2, off, off offset:140
	v_mov_b32_e32 v3, 0
	scratch_store_b32 off, v3, off offset:140
	s_waitcnt vmcnt(0)
	ds_store_b32 v1, v2
.LBB56_279:
	s_or_b32 exec_lo, exec_lo, s0
	s_waitcnt lgkmcnt(0)
	s_waitcnt_vscnt null, 0x0
	s_barrier
	buffer_gl0_inv
	s_clause 0x5
	scratch_load_b128 v[3:6], off, off offset:140
	scratch_load_b128 v[7:10], off, off offset:156
	;; [unrolled: 1-line block ×5, first 2 shown]
	scratch_load_b64 v[19:20], off, off offset:220
	v_mov_b32_e32 v2, 0
	ds_load_b128 v[139:142], v2 offset:384
	ds_load_b128 v[143:146], v2 offset:400
	s_mov_b32 s0, exec_lo
	s_waitcnt vmcnt(5) lgkmcnt(1)
	v_fma_f32 v139, v4, v139, 0
	s_delay_alu instid0(VALU_DEP_1) | instskip(NEXT) | instid1(VALU_DEP_1)
	v_fmac_f32_e32 v139, v5, v140
	v_fmac_f32_e32 v139, v6, v141
	s_waitcnt vmcnt(4)
	s_delay_alu instid0(VALU_DEP_1) | instskip(SKIP_3) | instid1(VALU_DEP_1)
	v_fmac_f32_e32 v139, v7, v142
	ds_load_b128 v[4:7], v2 offset:416
	s_waitcnt lgkmcnt(1)
	v_fmac_f32_e32 v139, v8, v143
	v_fmac_f32_e32 v139, v9, v144
	s_delay_alu instid0(VALU_DEP_1) | instskip(SKIP_1) | instid1(VALU_DEP_1)
	v_fmac_f32_e32 v139, v10, v145
	s_waitcnt vmcnt(3)
	v_fmac_f32_e32 v139, v11, v146
	ds_load_b128 v[8:11], v2 offset:432
	s_waitcnt lgkmcnt(1)
	v_fmac_f32_e32 v139, v12, v4
	s_delay_alu instid0(VALU_DEP_1) | instskip(NEXT) | instid1(VALU_DEP_1)
	v_fmac_f32_e32 v139, v13, v5
	v_fmac_f32_e32 v139, v14, v6
	s_waitcnt vmcnt(2)
	s_delay_alu instid0(VALU_DEP_1)
	v_fmac_f32_e32 v139, v15, v7
	ds_load_b128 v[4:7], v2 offset:448
	s_waitcnt lgkmcnt(1)
	v_fmac_f32_e32 v139, v16, v8
	ds_load_b32 v8, v2 offset:464
	v_fmac_f32_e32 v139, v17, v9
	s_delay_alu instid0(VALU_DEP_1) | instskip(SKIP_1) | instid1(VALU_DEP_1)
	v_fmac_f32_e32 v139, v18, v10
	s_waitcnt vmcnt(1)
	v_fmac_f32_e32 v139, v135, v11
	s_waitcnt lgkmcnt(1)
	s_delay_alu instid0(VALU_DEP_1) | instskip(NEXT) | instid1(VALU_DEP_1)
	v_fmac_f32_e32 v139, v136, v4
	v_fmac_f32_e32 v139, v137, v5
	s_delay_alu instid0(VALU_DEP_1) | instskip(SKIP_1) | instid1(VALU_DEP_1)
	v_fmac_f32_e32 v139, v138, v6
	s_waitcnt vmcnt(0)
	v_fmac_f32_e32 v139, v19, v7
	s_waitcnt lgkmcnt(0)
	s_delay_alu instid0(VALU_DEP_1) | instskip(NEXT) | instid1(VALU_DEP_1)
	v_fmac_f32_e32 v139, v20, v8
	v_sub_f32_e32 v3, v3, v139
	scratch_store_b32 off, v3, off offset:140
	v_cmpx_lt_u32_e32 34, v0
	s_cbranch_execz .LBB56_281
; %bb.280:
	scratch_load_b32 v3, off, off offset:136
	scratch_store_b32 off, v2, off offset:136
	s_waitcnt vmcnt(0)
	ds_store_b32 v1, v3
.LBB56_281:
	s_or_b32 exec_lo, exec_lo, s0
	s_waitcnt lgkmcnt(0)
	s_waitcnt_vscnt null, 0x0
	s_barrier
	buffer_gl0_inv
	s_clause 0x5
	scratch_load_b128 v[3:6], off, off offset:136
	scratch_load_b128 v[7:10], off, off offset:152
	;; [unrolled: 1-line block ×5, first 2 shown]
	scratch_load_b96 v[139:141], off, off offset:216
	ds_load_2addr_b32 v[19:20], v2 offset0:95 offset1:96
	ds_load_2addr_b32 v[142:143], v2 offset0:97 offset1:98
	;; [unrolled: 1-line block ×4, first 2 shown]
	s_mov_b32 s0, exec_lo
	s_waitcnt vmcnt(5) lgkmcnt(3)
	v_fma_f32 v19, v4, v19, 0
	s_delay_alu instid0(VALU_DEP_1) | instskip(SKIP_4) | instid1(VALU_DEP_1)
	v_fmac_f32_e32 v19, v5, v20
	ds_load_2addr_b32 v[4:5], v2 offset0:103 offset1:104
	s_waitcnt lgkmcnt(3)
	v_fmac_f32_e32 v19, v6, v142
	s_waitcnt vmcnt(4)
	v_fmac_f32_e32 v19, v7, v143
	ds_load_2addr_b32 v[6:7], v2 offset0:105 offset1:106
	s_waitcnt lgkmcnt(3)
	v_fmac_f32_e32 v19, v8, v144
	s_delay_alu instid0(VALU_DEP_1) | instskip(SKIP_1) | instid1(VALU_DEP_1)
	v_fmac_f32_e32 v19, v9, v145
	s_waitcnt lgkmcnt(2)
	v_fmac_f32_e32 v19, v10, v146
	s_waitcnt vmcnt(3)
	s_delay_alu instid0(VALU_DEP_1) | instskip(SKIP_4) | instid1(VALU_DEP_1)
	v_fmac_f32_e32 v19, v11, v147
	ds_load_2addr_b32 v[8:9], v2 offset0:107 offset1:108
	ds_load_2addr_b32 v[10:11], v2 offset0:109 offset1:110
	s_waitcnt lgkmcnt(3)
	v_fmac_f32_e32 v19, v12, v4
	v_fmac_f32_e32 v19, v13, v5
	ds_load_2addr_b32 v[4:5], v2 offset0:111 offset1:112
	s_waitcnt lgkmcnt(3)
	v_fmac_f32_e32 v19, v14, v6
	s_waitcnt vmcnt(2)
	s_delay_alu instid0(VALU_DEP_1) | instskip(SKIP_3) | instid1(VALU_DEP_1)
	v_fmac_f32_e32 v19, v15, v7
	ds_load_2addr_b32 v[6:7], v2 offset0:113 offset1:114
	s_waitcnt lgkmcnt(3)
	v_fmac_f32_e32 v19, v16, v8
	v_fmac_f32_e32 v19, v17, v9
	ds_load_2addr_b32 v[8:9], v2 offset0:115 offset1:116
	s_waitcnt lgkmcnt(3)
	v_fmac_f32_e32 v19, v18, v10
	s_waitcnt vmcnt(1)
	s_delay_alu instid0(VALU_DEP_1) | instskip(SKIP_1) | instid1(VALU_DEP_1)
	v_fmac_f32_e32 v19, v135, v11
	s_waitcnt lgkmcnt(2)
	v_fmac_f32_e32 v19, v136, v4
	s_delay_alu instid0(VALU_DEP_1) | instskip(SKIP_1) | instid1(VALU_DEP_1)
	v_fmac_f32_e32 v19, v137, v5
	s_waitcnt lgkmcnt(1)
	v_fmac_f32_e32 v19, v138, v6
	s_waitcnt vmcnt(0)
	s_delay_alu instid0(VALU_DEP_1) | instskip(SKIP_1) | instid1(VALU_DEP_1)
	v_fmac_f32_e32 v19, v139, v7
	s_waitcnt lgkmcnt(0)
	v_fmac_f32_e32 v19, v140, v8
	s_delay_alu instid0(VALU_DEP_1) | instskip(NEXT) | instid1(VALU_DEP_1)
	v_fmac_f32_e32 v19, v141, v9
	v_sub_f32_e32 v2, v3, v19
	scratch_store_b32 off, v2, off offset:136
	v_cmpx_lt_u32_e32 33, v0
	s_cbranch_execz .LBB56_283
; %bb.282:
	scratch_load_b32 v2, off, off offset:132
	v_mov_b32_e32 v3, 0
	scratch_store_b32 off, v3, off offset:132
	s_waitcnt vmcnt(0)
	ds_store_b32 v1, v2
.LBB56_283:
	s_or_b32 exec_lo, exec_lo, s0
	s_waitcnt lgkmcnt(0)
	s_waitcnt_vscnt null, 0x0
	s_barrier
	buffer_gl0_inv
	s_clause 0x5
	scratch_load_b128 v[3:6], off, off offset:132
	scratch_load_b128 v[7:10], off, off offset:148
	;; [unrolled: 1-line block ×6, first 2 shown]
	v_mov_b32_e32 v2, 0
	ds_load_2addr_b64 v[143:146], v2 offset0:47 offset1:48
	ds_load_2addr_b64 v[147:150], v2 offset0:49 offset1:50
	s_mov_b32 s0, exec_lo
	s_waitcnt vmcnt(5) lgkmcnt(1)
	v_fma_f32 v19, v4, v143, 0
	s_delay_alu instid0(VALU_DEP_1) | instskip(NEXT) | instid1(VALU_DEP_1)
	v_fmac_f32_e32 v19, v5, v144
	v_fmac_f32_e32 v19, v6, v145
	s_waitcnt vmcnt(4)
	s_delay_alu instid0(VALU_DEP_1) | instskip(SKIP_3) | instid1(VALU_DEP_1)
	v_fmac_f32_e32 v19, v7, v146
	ds_load_2addr_b64 v[4:7], v2 offset0:51 offset1:52
	s_waitcnt lgkmcnt(1)
	v_fmac_f32_e32 v19, v8, v147
	v_fmac_f32_e32 v19, v9, v148
	s_delay_alu instid0(VALU_DEP_1) | instskip(SKIP_1) | instid1(VALU_DEP_1)
	v_fmac_f32_e32 v19, v10, v149
	s_waitcnt vmcnt(3)
	v_fmac_f32_e32 v19, v11, v150
	ds_load_2addr_b64 v[8:11], v2 offset0:53 offset1:54
	s_waitcnt lgkmcnt(1)
	v_fmac_f32_e32 v19, v12, v4
	s_delay_alu instid0(VALU_DEP_1) | instskip(NEXT) | instid1(VALU_DEP_1)
	v_fmac_f32_e32 v19, v13, v5
	v_fmac_f32_e32 v19, v14, v6
	s_waitcnt vmcnt(2)
	s_delay_alu instid0(VALU_DEP_1) | instskip(SKIP_3) | instid1(VALU_DEP_1)
	v_fmac_f32_e32 v19, v15, v7
	ds_load_2addr_b64 v[4:7], v2 offset0:55 offset1:56
	s_waitcnt lgkmcnt(1)
	v_fmac_f32_e32 v19, v16, v8
	v_fmac_f32_e32 v19, v17, v9
	ds_load_b64 v[8:9], v2 offset:456
	v_fmac_f32_e32 v19, v18, v10
	s_waitcnt vmcnt(1)
	s_delay_alu instid0(VALU_DEP_1) | instskip(SKIP_1) | instid1(VALU_DEP_1)
	v_fmac_f32_e32 v19, v135, v11
	s_waitcnt lgkmcnt(1)
	v_fmac_f32_e32 v19, v136, v4
	ds_load_b32 v4, v2 offset:464
	v_fmac_f32_e32 v19, v137, v5
	s_delay_alu instid0(VALU_DEP_1) | instskip(SKIP_1) | instid1(VALU_DEP_1)
	v_fmac_f32_e32 v19, v138, v6
	s_waitcnt vmcnt(0)
	v_fmac_f32_e32 v19, v139, v7
	s_waitcnt lgkmcnt(1)
	s_delay_alu instid0(VALU_DEP_1) | instskip(NEXT) | instid1(VALU_DEP_1)
	v_fmac_f32_e32 v19, v140, v8
	v_fmac_f32_e32 v19, v141, v9
	s_waitcnt lgkmcnt(0)
	s_delay_alu instid0(VALU_DEP_1) | instskip(NEXT) | instid1(VALU_DEP_1)
	v_fmac_f32_e32 v19, v142, v4
	v_sub_f32_e32 v3, v3, v19
	scratch_store_b32 off, v3, off offset:132
	v_cmpx_lt_u32_e32 32, v0
	s_cbranch_execz .LBB56_285
; %bb.284:
	scratch_load_b32 v3, off, off offset:128
	scratch_store_b32 off, v2, off offset:128
	s_waitcnt vmcnt(0)
	ds_store_b32 v1, v3
.LBB56_285:
	s_or_b32 exec_lo, exec_lo, s0
	s_waitcnt lgkmcnt(0)
	s_waitcnt_vscnt null, 0x0
	s_barrier
	buffer_gl0_inv
	s_clause 0x6
	scratch_load_b128 v[3:6], off, off offset:128
	scratch_load_b128 v[7:10], off, off offset:144
	;; [unrolled: 1-line block ×6, first 2 shown]
	scratch_load_b32 v149, off, off offset:224
	ds_load_2addr_b32 v[19:20], v2 offset0:93 offset1:94
	ds_load_2addr_b32 v[143:144], v2 offset0:95 offset1:96
	ds_load_2addr_b32 v[145:146], v2 offset0:97 offset1:98
	ds_load_2addr_b32 v[147:148], v2 offset0:99 offset1:100
	s_mov_b32 s0, exec_lo
	s_waitcnt vmcnt(6) lgkmcnt(3)
	v_fma_f32 v19, v4, v19, 0
	s_delay_alu instid0(VALU_DEP_1) | instskip(SKIP_4) | instid1(VALU_DEP_1)
	v_fmac_f32_e32 v19, v5, v20
	ds_load_2addr_b32 v[4:5], v2 offset0:101 offset1:102
	s_waitcnt lgkmcnt(3)
	v_fmac_f32_e32 v19, v6, v143
	s_waitcnt vmcnt(5)
	v_fmac_f32_e32 v19, v7, v144
	ds_load_2addr_b32 v[6:7], v2 offset0:103 offset1:104
	s_waitcnt lgkmcnt(3)
	v_fmac_f32_e32 v19, v8, v145
	s_delay_alu instid0(VALU_DEP_1) | instskip(SKIP_1) | instid1(VALU_DEP_1)
	v_fmac_f32_e32 v19, v9, v146
	s_waitcnt lgkmcnt(2)
	v_fmac_f32_e32 v19, v10, v147
	s_waitcnt vmcnt(4)
	s_delay_alu instid0(VALU_DEP_1) | instskip(SKIP_4) | instid1(VALU_DEP_1)
	v_fmac_f32_e32 v19, v11, v148
	ds_load_2addr_b32 v[8:9], v2 offset0:105 offset1:106
	ds_load_2addr_b32 v[10:11], v2 offset0:107 offset1:108
	s_waitcnt lgkmcnt(3)
	v_fmac_f32_e32 v19, v12, v4
	v_fmac_f32_e32 v19, v13, v5
	ds_load_2addr_b32 v[4:5], v2 offset0:109 offset1:110
	s_waitcnt lgkmcnt(3)
	v_fmac_f32_e32 v19, v14, v6
	s_waitcnt vmcnt(3)
	s_delay_alu instid0(VALU_DEP_1) | instskip(SKIP_3) | instid1(VALU_DEP_1)
	v_fmac_f32_e32 v19, v15, v7
	ds_load_2addr_b32 v[6:7], v2 offset0:111 offset1:112
	s_waitcnt lgkmcnt(3)
	v_fmac_f32_e32 v19, v16, v8
	v_fmac_f32_e32 v19, v17, v9
	s_waitcnt lgkmcnt(2)
	s_delay_alu instid0(VALU_DEP_1) | instskip(SKIP_1) | instid1(VALU_DEP_1)
	v_fmac_f32_e32 v19, v18, v10
	s_waitcnt vmcnt(2)
	v_fmac_f32_e32 v19, v135, v11
	ds_load_2addr_b32 v[8:9], v2 offset0:113 offset1:114
	ds_load_2addr_b32 v[10:11], v2 offset0:115 offset1:116
	s_waitcnt lgkmcnt(3)
	v_fmac_f32_e32 v19, v136, v4
	s_delay_alu instid0(VALU_DEP_1) | instskip(SKIP_1) | instid1(VALU_DEP_1)
	v_fmac_f32_e32 v19, v137, v5
	s_waitcnt lgkmcnt(2)
	v_fmac_f32_e32 v19, v138, v6
	s_waitcnt vmcnt(1)
	s_delay_alu instid0(VALU_DEP_1) | instskip(SKIP_1) | instid1(VALU_DEP_1)
	v_fmac_f32_e32 v19, v139, v7
	s_waitcnt lgkmcnt(1)
	v_fmac_f32_e32 v19, v140, v8
	s_delay_alu instid0(VALU_DEP_1) | instskip(SKIP_1) | instid1(VALU_DEP_1)
	v_fmac_f32_e32 v19, v141, v9
	s_waitcnt lgkmcnt(0)
	v_fmac_f32_e32 v19, v142, v10
	s_waitcnt vmcnt(0)
	s_delay_alu instid0(VALU_DEP_1) | instskip(NEXT) | instid1(VALU_DEP_1)
	v_fmac_f32_e32 v19, v149, v11
	v_sub_f32_e32 v2, v3, v19
	scratch_store_b32 off, v2, off offset:128
	v_cmpx_lt_u32_e32 31, v0
	s_cbranch_execz .LBB56_287
; %bb.286:
	scratch_load_b32 v2, off, off offset:124
	v_mov_b32_e32 v3, 0
	scratch_store_b32 off, v3, off offset:124
	s_waitcnt vmcnt(0)
	ds_store_b32 v1, v2
.LBB56_287:
	s_or_b32 exec_lo, exec_lo, s0
	s_waitcnt lgkmcnt(0)
	s_waitcnt_vscnt null, 0x0
	s_barrier
	buffer_gl0_inv
	s_clause 0x6
	scratch_load_b128 v[3:6], off, off offset:124
	scratch_load_b128 v[7:10], off, off offset:140
	;; [unrolled: 1-line block ×6, first 2 shown]
	scratch_load_b64 v[19:20], off, off offset:220
	v_mov_b32_e32 v2, 0
	ds_load_b128 v[143:146], v2 offset:368
	ds_load_b128 v[147:150], v2 offset:384
	s_mov_b32 s0, exec_lo
	s_waitcnt vmcnt(6) lgkmcnt(1)
	v_fma_f32 v143, v4, v143, 0
	s_delay_alu instid0(VALU_DEP_1) | instskip(NEXT) | instid1(VALU_DEP_1)
	v_fmac_f32_e32 v143, v5, v144
	v_fmac_f32_e32 v143, v6, v145
	s_waitcnt vmcnt(5)
	s_delay_alu instid0(VALU_DEP_1) | instskip(SKIP_3) | instid1(VALU_DEP_1)
	v_fmac_f32_e32 v143, v7, v146
	ds_load_b128 v[4:7], v2 offset:400
	s_waitcnt lgkmcnt(1)
	v_fmac_f32_e32 v143, v8, v147
	v_fmac_f32_e32 v143, v9, v148
	s_delay_alu instid0(VALU_DEP_1) | instskip(SKIP_1) | instid1(VALU_DEP_1)
	v_fmac_f32_e32 v143, v10, v149
	s_waitcnt vmcnt(4)
	v_fmac_f32_e32 v143, v11, v150
	ds_load_b128 v[8:11], v2 offset:416
	s_waitcnt lgkmcnt(1)
	v_fmac_f32_e32 v143, v12, v4
	s_delay_alu instid0(VALU_DEP_1) | instskip(NEXT) | instid1(VALU_DEP_1)
	v_fmac_f32_e32 v143, v13, v5
	v_fmac_f32_e32 v143, v14, v6
	s_waitcnt vmcnt(3)
	s_delay_alu instid0(VALU_DEP_1) | instskip(SKIP_3) | instid1(VALU_DEP_1)
	v_fmac_f32_e32 v143, v15, v7
	ds_load_b128 v[4:7], v2 offset:432
	s_waitcnt lgkmcnt(1)
	v_fmac_f32_e32 v143, v16, v8
	v_fmac_f32_e32 v143, v17, v9
	s_delay_alu instid0(VALU_DEP_1) | instskip(SKIP_1) | instid1(VALU_DEP_1)
	v_fmac_f32_e32 v143, v18, v10
	s_waitcnt vmcnt(2)
	v_fmac_f32_e32 v143, v135, v11
	ds_load_b128 v[8:11], v2 offset:448
	s_waitcnt lgkmcnt(1)
	v_fmac_f32_e32 v143, v136, v4
	ds_load_b32 v4, v2 offset:464
	v_fmac_f32_e32 v143, v137, v5
	s_delay_alu instid0(VALU_DEP_1) | instskip(SKIP_1) | instid1(VALU_DEP_1)
	v_fmac_f32_e32 v143, v138, v6
	s_waitcnt vmcnt(1)
	v_fmac_f32_e32 v143, v139, v7
	s_waitcnt lgkmcnt(1)
	s_delay_alu instid0(VALU_DEP_1) | instskip(NEXT) | instid1(VALU_DEP_1)
	v_fmac_f32_e32 v143, v140, v8
	v_fmac_f32_e32 v143, v141, v9
	s_delay_alu instid0(VALU_DEP_1) | instskip(SKIP_1) | instid1(VALU_DEP_1)
	v_fmac_f32_e32 v143, v142, v10
	s_waitcnt vmcnt(0)
	v_fmac_f32_e32 v143, v19, v11
	s_waitcnt lgkmcnt(0)
	s_delay_alu instid0(VALU_DEP_1) | instskip(NEXT) | instid1(VALU_DEP_1)
	v_fmac_f32_e32 v143, v20, v4
	v_sub_f32_e32 v3, v3, v143
	scratch_store_b32 off, v3, off offset:124
	v_cmpx_lt_u32_e32 30, v0
	s_cbranch_execz .LBB56_289
; %bb.288:
	scratch_load_b32 v3, off, off offset:120
	scratch_store_b32 off, v2, off offset:120
	s_waitcnt vmcnt(0)
	ds_store_b32 v1, v3
.LBB56_289:
	s_or_b32 exec_lo, exec_lo, s0
	s_waitcnt lgkmcnt(0)
	s_waitcnt_vscnt null, 0x0
	s_barrier
	buffer_gl0_inv
	s_clause 0x6
	scratch_load_b128 v[3:6], off, off offset:120
	scratch_load_b128 v[7:10], off, off offset:136
	scratch_load_b128 v[11:14], off, off offset:152
	scratch_load_b128 v[15:18], off, off offset:168
	scratch_load_b128 v[135:138], off, off offset:184
	scratch_load_b128 v[139:142], off, off offset:200
	scratch_load_b96 v[143:145], off, off offset:216
	ds_load_2addr_b32 v[19:20], v2 offset0:91 offset1:92
	ds_load_2addr_b32 v[146:147], v2 offset0:93 offset1:94
	;; [unrolled: 1-line block ×4, first 2 shown]
	s_mov_b32 s0, exec_lo
	s_waitcnt vmcnt(6) lgkmcnt(3)
	v_fma_f32 v19, v4, v19, 0
	s_delay_alu instid0(VALU_DEP_1) | instskip(SKIP_4) | instid1(VALU_DEP_1)
	v_fmac_f32_e32 v19, v5, v20
	ds_load_2addr_b32 v[4:5], v2 offset0:99 offset1:100
	s_waitcnt lgkmcnt(3)
	v_fmac_f32_e32 v19, v6, v146
	s_waitcnt vmcnt(5)
	v_fmac_f32_e32 v19, v7, v147
	ds_load_2addr_b32 v[6:7], v2 offset0:101 offset1:102
	s_waitcnt lgkmcnt(3)
	v_fmac_f32_e32 v19, v8, v148
	s_delay_alu instid0(VALU_DEP_1) | instskip(SKIP_1) | instid1(VALU_DEP_1)
	v_fmac_f32_e32 v19, v9, v149
	s_waitcnt lgkmcnt(2)
	v_fmac_f32_e32 v19, v10, v150
	s_waitcnt vmcnt(4)
	s_delay_alu instid0(VALU_DEP_1) | instskip(SKIP_4) | instid1(VALU_DEP_1)
	v_fmac_f32_e32 v19, v11, v151
	ds_load_2addr_b32 v[8:9], v2 offset0:103 offset1:104
	ds_load_2addr_b32 v[10:11], v2 offset0:105 offset1:106
	s_waitcnt lgkmcnt(3)
	v_fmac_f32_e32 v19, v12, v4
	v_fmac_f32_e32 v19, v13, v5
	ds_load_2addr_b32 v[4:5], v2 offset0:107 offset1:108
	s_waitcnt lgkmcnt(3)
	v_fmac_f32_e32 v19, v14, v6
	s_waitcnt vmcnt(3)
	s_delay_alu instid0(VALU_DEP_1) | instskip(SKIP_3) | instid1(VALU_DEP_1)
	v_fmac_f32_e32 v19, v15, v7
	ds_load_2addr_b32 v[6:7], v2 offset0:109 offset1:110
	s_waitcnt lgkmcnt(3)
	v_fmac_f32_e32 v19, v16, v8
	v_fmac_f32_e32 v19, v17, v9
	s_waitcnt lgkmcnt(2)
	s_delay_alu instid0(VALU_DEP_1) | instskip(SKIP_1) | instid1(VALU_DEP_1)
	v_fmac_f32_e32 v19, v18, v10
	s_waitcnt vmcnt(2)
	v_fmac_f32_e32 v19, v135, v11
	ds_load_2addr_b32 v[8:9], v2 offset0:111 offset1:112
	ds_load_2addr_b32 v[10:11], v2 offset0:113 offset1:114
	s_waitcnt lgkmcnt(3)
	v_fmac_f32_e32 v19, v136, v4
	s_delay_alu instid0(VALU_DEP_1) | instskip(SKIP_4) | instid1(VALU_DEP_1)
	v_fmac_f32_e32 v19, v137, v5
	ds_load_2addr_b32 v[4:5], v2 offset0:115 offset1:116
	s_waitcnt lgkmcnt(3)
	v_fmac_f32_e32 v19, v138, v6
	s_waitcnt vmcnt(1)
	v_fmac_f32_e32 v19, v139, v7
	s_waitcnt lgkmcnt(2)
	s_delay_alu instid0(VALU_DEP_1) | instskip(NEXT) | instid1(VALU_DEP_1)
	v_fmac_f32_e32 v19, v140, v8
	v_fmac_f32_e32 v19, v141, v9
	s_waitcnt lgkmcnt(1)
	s_delay_alu instid0(VALU_DEP_1) | instskip(SKIP_1) | instid1(VALU_DEP_1)
	v_fmac_f32_e32 v19, v142, v10
	s_waitcnt vmcnt(0)
	v_fmac_f32_e32 v19, v143, v11
	s_waitcnt lgkmcnt(0)
	s_delay_alu instid0(VALU_DEP_1) | instskip(NEXT) | instid1(VALU_DEP_1)
	v_fmac_f32_e32 v19, v144, v4
	v_fmac_f32_e32 v19, v145, v5
	s_delay_alu instid0(VALU_DEP_1)
	v_sub_f32_e32 v2, v3, v19
	scratch_store_b32 off, v2, off offset:120
	v_cmpx_lt_u32_e32 29, v0
	s_cbranch_execz .LBB56_291
; %bb.290:
	scratch_load_b32 v2, off, off offset:116
	v_mov_b32_e32 v3, 0
	scratch_store_b32 off, v3, off offset:116
	s_waitcnt vmcnt(0)
	ds_store_b32 v1, v2
.LBB56_291:
	s_or_b32 exec_lo, exec_lo, s0
	s_waitcnt lgkmcnt(0)
	s_waitcnt_vscnt null, 0x0
	s_barrier
	buffer_gl0_inv
	s_clause 0x6
	scratch_load_b128 v[3:6], off, off offset:116
	scratch_load_b128 v[7:10], off, off offset:132
	;; [unrolled: 1-line block ×7, first 2 shown]
	v_mov_b32_e32 v2, 0
	ds_load_2addr_b64 v[147:150], v2 offset0:45 offset1:46
	ds_load_2addr_b64 v[151:154], v2 offset0:47 offset1:48
	s_mov_b32 s0, exec_lo
	s_waitcnt vmcnt(6) lgkmcnt(1)
	v_fma_f32 v19, v4, v147, 0
	s_delay_alu instid0(VALU_DEP_1) | instskip(NEXT) | instid1(VALU_DEP_1)
	v_fmac_f32_e32 v19, v5, v148
	v_fmac_f32_e32 v19, v6, v149
	s_waitcnt vmcnt(5)
	s_delay_alu instid0(VALU_DEP_1) | instskip(SKIP_3) | instid1(VALU_DEP_1)
	v_fmac_f32_e32 v19, v7, v150
	ds_load_2addr_b64 v[4:7], v2 offset0:49 offset1:50
	s_waitcnt lgkmcnt(1)
	v_fmac_f32_e32 v19, v8, v151
	v_fmac_f32_e32 v19, v9, v152
	s_delay_alu instid0(VALU_DEP_1) | instskip(SKIP_1) | instid1(VALU_DEP_1)
	v_fmac_f32_e32 v19, v10, v153
	s_waitcnt vmcnt(4)
	v_fmac_f32_e32 v19, v11, v154
	ds_load_2addr_b64 v[8:11], v2 offset0:51 offset1:52
	s_waitcnt lgkmcnt(1)
	v_fmac_f32_e32 v19, v12, v4
	s_delay_alu instid0(VALU_DEP_1) | instskip(NEXT) | instid1(VALU_DEP_1)
	v_fmac_f32_e32 v19, v13, v5
	v_fmac_f32_e32 v19, v14, v6
	s_waitcnt vmcnt(3)
	s_delay_alu instid0(VALU_DEP_1) | instskip(SKIP_3) | instid1(VALU_DEP_1)
	v_fmac_f32_e32 v19, v15, v7
	ds_load_2addr_b64 v[4:7], v2 offset0:53 offset1:54
	s_waitcnt lgkmcnt(1)
	v_fmac_f32_e32 v19, v16, v8
	v_fmac_f32_e32 v19, v17, v9
	s_delay_alu instid0(VALU_DEP_1) | instskip(SKIP_1) | instid1(VALU_DEP_1)
	v_fmac_f32_e32 v19, v18, v10
	s_waitcnt vmcnt(2)
	v_fmac_f32_e32 v19, v135, v11
	ds_load_2addr_b64 v[8:11], v2 offset0:55 offset1:56
	s_waitcnt lgkmcnt(1)
	v_fmac_f32_e32 v19, v136, v4
	s_delay_alu instid0(VALU_DEP_1)
	v_fmac_f32_e32 v19, v137, v5
	ds_load_b64 v[4:5], v2 offset:456
	v_fmac_f32_e32 v19, v138, v6
	ds_load_b32 v6, v2 offset:464
	s_waitcnt vmcnt(1)
	v_fmac_f32_e32 v19, v139, v7
	s_waitcnt lgkmcnt(2)
	s_delay_alu instid0(VALU_DEP_1) | instskip(NEXT) | instid1(VALU_DEP_1)
	v_fmac_f32_e32 v19, v140, v8
	v_fmac_f32_e32 v19, v141, v9
	s_delay_alu instid0(VALU_DEP_1) | instskip(SKIP_1) | instid1(VALU_DEP_1)
	v_fmac_f32_e32 v19, v142, v10
	s_waitcnt vmcnt(0)
	v_fmac_f32_e32 v19, v143, v11
	s_waitcnt lgkmcnt(1)
	s_delay_alu instid0(VALU_DEP_1) | instskip(NEXT) | instid1(VALU_DEP_1)
	v_fmac_f32_e32 v19, v144, v4
	v_fmac_f32_e32 v19, v145, v5
	s_waitcnt lgkmcnt(0)
	s_delay_alu instid0(VALU_DEP_1) | instskip(NEXT) | instid1(VALU_DEP_1)
	v_fmac_f32_e32 v19, v146, v6
	v_sub_f32_e32 v3, v3, v19
	scratch_store_b32 off, v3, off offset:116
	v_cmpx_lt_u32_e32 28, v0
	s_cbranch_execz .LBB56_293
; %bb.292:
	scratch_load_b32 v3, off, off offset:112
	scratch_store_b32 off, v2, off offset:112
	s_waitcnt vmcnt(0)
	ds_store_b32 v1, v3
.LBB56_293:
	s_or_b32 exec_lo, exec_lo, s0
	s_waitcnt lgkmcnt(0)
	s_waitcnt_vscnt null, 0x0
	s_barrier
	buffer_gl0_inv
	s_clause 0x7
	scratch_load_b128 v[3:6], off, off offset:112
	scratch_load_b128 v[7:10], off, off offset:128
	;; [unrolled: 1-line block ×7, first 2 shown]
	scratch_load_b32 v153, off, off offset:224
	ds_load_2addr_b32 v[19:20], v2 offset0:89 offset1:90
	ds_load_2addr_b32 v[147:148], v2 offset0:91 offset1:92
	;; [unrolled: 1-line block ×4, first 2 shown]
	s_mov_b32 s0, exec_lo
	s_waitcnt vmcnt(7) lgkmcnt(3)
	v_fma_f32 v19, v4, v19, 0
	s_delay_alu instid0(VALU_DEP_1) | instskip(SKIP_4) | instid1(VALU_DEP_1)
	v_fmac_f32_e32 v19, v5, v20
	ds_load_2addr_b32 v[4:5], v2 offset0:97 offset1:98
	s_waitcnt lgkmcnt(3)
	v_fmac_f32_e32 v19, v6, v147
	s_waitcnt vmcnt(6)
	v_fmac_f32_e32 v19, v7, v148
	ds_load_2addr_b32 v[6:7], v2 offset0:99 offset1:100
	s_waitcnt lgkmcnt(3)
	v_fmac_f32_e32 v19, v8, v149
	s_delay_alu instid0(VALU_DEP_1) | instskip(SKIP_1) | instid1(VALU_DEP_1)
	v_fmac_f32_e32 v19, v9, v150
	s_waitcnt lgkmcnt(2)
	v_fmac_f32_e32 v19, v10, v151
	s_waitcnt vmcnt(5)
	s_delay_alu instid0(VALU_DEP_1) | instskip(SKIP_4) | instid1(VALU_DEP_1)
	v_fmac_f32_e32 v19, v11, v152
	ds_load_2addr_b32 v[8:9], v2 offset0:101 offset1:102
	ds_load_2addr_b32 v[10:11], v2 offset0:103 offset1:104
	s_waitcnt lgkmcnt(3)
	v_fmac_f32_e32 v19, v12, v4
	v_fmac_f32_e32 v19, v13, v5
	ds_load_2addr_b32 v[4:5], v2 offset0:105 offset1:106
	s_waitcnt lgkmcnt(3)
	v_fmac_f32_e32 v19, v14, v6
	s_waitcnt vmcnt(4)
	s_delay_alu instid0(VALU_DEP_1) | instskip(SKIP_3) | instid1(VALU_DEP_1)
	v_fmac_f32_e32 v19, v15, v7
	ds_load_2addr_b32 v[6:7], v2 offset0:107 offset1:108
	s_waitcnt lgkmcnt(3)
	v_fmac_f32_e32 v19, v16, v8
	v_fmac_f32_e32 v19, v17, v9
	s_waitcnt lgkmcnt(2)
	s_delay_alu instid0(VALU_DEP_1) | instskip(SKIP_1) | instid1(VALU_DEP_1)
	v_fmac_f32_e32 v19, v18, v10
	s_waitcnt vmcnt(3)
	v_fmac_f32_e32 v19, v135, v11
	ds_load_2addr_b32 v[8:9], v2 offset0:109 offset1:110
	ds_load_2addr_b32 v[10:11], v2 offset0:111 offset1:112
	s_waitcnt lgkmcnt(3)
	v_fmac_f32_e32 v19, v136, v4
	s_delay_alu instid0(VALU_DEP_1) | instskip(SKIP_4) | instid1(VALU_DEP_1)
	v_fmac_f32_e32 v19, v137, v5
	ds_load_2addr_b32 v[4:5], v2 offset0:113 offset1:114
	s_waitcnt lgkmcnt(3)
	v_fmac_f32_e32 v19, v138, v6
	s_waitcnt vmcnt(2)
	v_fmac_f32_e32 v19, v139, v7
	ds_load_2addr_b32 v[6:7], v2 offset0:115 offset1:116
	s_waitcnt lgkmcnt(3)
	v_fmac_f32_e32 v19, v140, v8
	s_delay_alu instid0(VALU_DEP_1) | instskip(SKIP_1) | instid1(VALU_DEP_1)
	v_fmac_f32_e32 v19, v141, v9
	s_waitcnt lgkmcnt(2)
	v_fmac_f32_e32 v19, v142, v10
	s_waitcnt vmcnt(1)
	s_delay_alu instid0(VALU_DEP_1) | instskip(SKIP_1) | instid1(VALU_DEP_1)
	v_fmac_f32_e32 v19, v143, v11
	s_waitcnt lgkmcnt(1)
	v_fmac_f32_e32 v19, v144, v4
	s_delay_alu instid0(VALU_DEP_1) | instskip(SKIP_1) | instid1(VALU_DEP_1)
	v_fmac_f32_e32 v19, v145, v5
	s_waitcnt lgkmcnt(0)
	v_fmac_f32_e32 v19, v146, v6
	s_waitcnt vmcnt(0)
	s_delay_alu instid0(VALU_DEP_1) | instskip(NEXT) | instid1(VALU_DEP_1)
	v_fmac_f32_e32 v19, v153, v7
	v_sub_f32_e32 v2, v3, v19
	scratch_store_b32 off, v2, off offset:112
	v_cmpx_lt_u32_e32 27, v0
	s_cbranch_execz .LBB56_295
; %bb.294:
	scratch_load_b32 v2, off, off offset:108
	v_mov_b32_e32 v3, 0
	scratch_store_b32 off, v3, off offset:108
	s_waitcnt vmcnt(0)
	ds_store_b32 v1, v2
.LBB56_295:
	s_or_b32 exec_lo, exec_lo, s0
	s_waitcnt lgkmcnt(0)
	s_waitcnt_vscnt null, 0x0
	s_barrier
	buffer_gl0_inv
	s_clause 0x7
	scratch_load_b128 v[3:6], off, off offset:108
	scratch_load_b128 v[7:10], off, off offset:124
	;; [unrolled: 1-line block ×7, first 2 shown]
	scratch_load_b64 v[19:20], off, off offset:220
	v_mov_b32_e32 v2, 0
	ds_load_b128 v[147:150], v2 offset:352
	ds_load_b128 v[151:154], v2 offset:368
	s_mov_b32 s0, exec_lo
	s_waitcnt vmcnt(7) lgkmcnt(1)
	v_fma_f32 v147, v4, v147, 0
	s_delay_alu instid0(VALU_DEP_1) | instskip(NEXT) | instid1(VALU_DEP_1)
	v_fmac_f32_e32 v147, v5, v148
	v_fmac_f32_e32 v147, v6, v149
	s_waitcnt vmcnt(6)
	s_delay_alu instid0(VALU_DEP_1) | instskip(SKIP_3) | instid1(VALU_DEP_1)
	v_fmac_f32_e32 v147, v7, v150
	ds_load_b128 v[4:7], v2 offset:384
	s_waitcnt lgkmcnt(1)
	v_fmac_f32_e32 v147, v8, v151
	v_fmac_f32_e32 v147, v9, v152
	s_delay_alu instid0(VALU_DEP_1) | instskip(SKIP_1) | instid1(VALU_DEP_1)
	v_fmac_f32_e32 v147, v10, v153
	s_waitcnt vmcnt(5)
	v_fmac_f32_e32 v147, v11, v154
	ds_load_b128 v[8:11], v2 offset:400
	s_waitcnt lgkmcnt(1)
	v_fmac_f32_e32 v147, v12, v4
	s_delay_alu instid0(VALU_DEP_1) | instskip(NEXT) | instid1(VALU_DEP_1)
	v_fmac_f32_e32 v147, v13, v5
	v_fmac_f32_e32 v147, v14, v6
	s_waitcnt vmcnt(4)
	s_delay_alu instid0(VALU_DEP_1) | instskip(SKIP_3) | instid1(VALU_DEP_1)
	v_fmac_f32_e32 v147, v15, v7
	ds_load_b128 v[4:7], v2 offset:416
	s_waitcnt lgkmcnt(1)
	v_fmac_f32_e32 v147, v16, v8
	v_fmac_f32_e32 v147, v17, v9
	s_delay_alu instid0(VALU_DEP_1) | instskip(SKIP_1) | instid1(VALU_DEP_1)
	v_fmac_f32_e32 v147, v18, v10
	s_waitcnt vmcnt(3)
	v_fmac_f32_e32 v147, v135, v11
	ds_load_b128 v[8:11], v2 offset:432
	s_waitcnt lgkmcnt(1)
	v_fmac_f32_e32 v147, v136, v4
	s_delay_alu instid0(VALU_DEP_1) | instskip(NEXT) | instid1(VALU_DEP_1)
	v_fmac_f32_e32 v147, v137, v5
	v_fmac_f32_e32 v147, v138, v6
	s_waitcnt vmcnt(2)
	s_delay_alu instid0(VALU_DEP_1)
	v_fmac_f32_e32 v147, v139, v7
	ds_load_b128 v[4:7], v2 offset:448
	s_waitcnt lgkmcnt(1)
	v_fmac_f32_e32 v147, v140, v8
	ds_load_b32 v8, v2 offset:464
	v_fmac_f32_e32 v147, v141, v9
	s_delay_alu instid0(VALU_DEP_1) | instskip(SKIP_1) | instid1(VALU_DEP_1)
	v_fmac_f32_e32 v147, v142, v10
	s_waitcnt vmcnt(1)
	v_fmac_f32_e32 v147, v143, v11
	s_waitcnt lgkmcnt(1)
	s_delay_alu instid0(VALU_DEP_1) | instskip(NEXT) | instid1(VALU_DEP_1)
	v_fmac_f32_e32 v147, v144, v4
	v_fmac_f32_e32 v147, v145, v5
	s_delay_alu instid0(VALU_DEP_1) | instskip(SKIP_1) | instid1(VALU_DEP_1)
	v_fmac_f32_e32 v147, v146, v6
	s_waitcnt vmcnt(0)
	v_fmac_f32_e32 v147, v19, v7
	s_waitcnt lgkmcnt(0)
	s_delay_alu instid0(VALU_DEP_1) | instskip(NEXT) | instid1(VALU_DEP_1)
	v_fmac_f32_e32 v147, v20, v8
	v_sub_f32_e32 v3, v3, v147
	scratch_store_b32 off, v3, off offset:108
	v_cmpx_lt_u32_e32 26, v0
	s_cbranch_execz .LBB56_297
; %bb.296:
	scratch_load_b32 v3, off, off offset:104
	scratch_store_b32 off, v2, off offset:104
	s_waitcnt vmcnt(0)
	ds_store_b32 v1, v3
.LBB56_297:
	s_or_b32 exec_lo, exec_lo, s0
	s_waitcnt lgkmcnt(0)
	s_waitcnt_vscnt null, 0x0
	s_barrier
	buffer_gl0_inv
	s_clause 0x7
	scratch_load_b128 v[3:6], off, off offset:104
	scratch_load_b128 v[7:10], off, off offset:120
	;; [unrolled: 1-line block ×7, first 2 shown]
	scratch_load_b96 v[147:149], off, off offset:216
	ds_load_2addr_b32 v[19:20], v2 offset0:87 offset1:88
	ds_load_2addr_b32 v[150:151], v2 offset0:89 offset1:90
	;; [unrolled: 1-line block ×4, first 2 shown]
	s_mov_b32 s0, exec_lo
	s_waitcnt vmcnt(7) lgkmcnt(3)
	v_fma_f32 v19, v4, v19, 0
	s_delay_alu instid0(VALU_DEP_1) | instskip(SKIP_4) | instid1(VALU_DEP_1)
	v_fmac_f32_e32 v19, v5, v20
	ds_load_2addr_b32 v[4:5], v2 offset0:95 offset1:96
	s_waitcnt lgkmcnt(3)
	v_fmac_f32_e32 v19, v6, v150
	s_waitcnt vmcnt(6)
	v_fmac_f32_e32 v19, v7, v151
	ds_load_2addr_b32 v[6:7], v2 offset0:97 offset1:98
	s_waitcnt lgkmcnt(3)
	v_fmac_f32_e32 v19, v8, v152
	s_delay_alu instid0(VALU_DEP_1) | instskip(SKIP_1) | instid1(VALU_DEP_1)
	v_fmac_f32_e32 v19, v9, v153
	s_waitcnt lgkmcnt(2)
	v_fmac_f32_e32 v19, v10, v154
	s_waitcnt vmcnt(5)
	s_delay_alu instid0(VALU_DEP_1) | instskip(SKIP_4) | instid1(VALU_DEP_1)
	v_fmac_f32_e32 v19, v11, v155
	ds_load_2addr_b32 v[8:9], v2 offset0:99 offset1:100
	ds_load_2addr_b32 v[10:11], v2 offset0:101 offset1:102
	s_waitcnt lgkmcnt(3)
	v_fmac_f32_e32 v19, v12, v4
	v_fmac_f32_e32 v19, v13, v5
	ds_load_2addr_b32 v[4:5], v2 offset0:103 offset1:104
	s_waitcnt lgkmcnt(3)
	v_fmac_f32_e32 v19, v14, v6
	s_waitcnt vmcnt(4)
	s_delay_alu instid0(VALU_DEP_1) | instskip(SKIP_3) | instid1(VALU_DEP_1)
	v_fmac_f32_e32 v19, v15, v7
	ds_load_2addr_b32 v[6:7], v2 offset0:105 offset1:106
	s_waitcnt lgkmcnt(3)
	v_fmac_f32_e32 v19, v16, v8
	v_fmac_f32_e32 v19, v17, v9
	s_waitcnt lgkmcnt(2)
	s_delay_alu instid0(VALU_DEP_1) | instskip(SKIP_1) | instid1(VALU_DEP_1)
	v_fmac_f32_e32 v19, v18, v10
	s_waitcnt vmcnt(3)
	v_fmac_f32_e32 v19, v135, v11
	ds_load_2addr_b32 v[8:9], v2 offset0:107 offset1:108
	ds_load_2addr_b32 v[10:11], v2 offset0:109 offset1:110
	s_waitcnt lgkmcnt(3)
	v_fmac_f32_e32 v19, v136, v4
	s_delay_alu instid0(VALU_DEP_1) | instskip(SKIP_4) | instid1(VALU_DEP_1)
	v_fmac_f32_e32 v19, v137, v5
	ds_load_2addr_b32 v[4:5], v2 offset0:111 offset1:112
	s_waitcnt lgkmcnt(3)
	v_fmac_f32_e32 v19, v138, v6
	s_waitcnt vmcnt(2)
	v_fmac_f32_e32 v19, v139, v7
	ds_load_2addr_b32 v[6:7], v2 offset0:113 offset1:114
	s_waitcnt lgkmcnt(3)
	v_fmac_f32_e32 v19, v140, v8
	s_delay_alu instid0(VALU_DEP_1) | instskip(SKIP_4) | instid1(VALU_DEP_1)
	v_fmac_f32_e32 v19, v141, v9
	ds_load_2addr_b32 v[8:9], v2 offset0:115 offset1:116
	s_waitcnt lgkmcnt(3)
	v_fmac_f32_e32 v19, v142, v10
	s_waitcnt vmcnt(1)
	v_fmac_f32_e32 v19, v143, v11
	s_waitcnt lgkmcnt(2)
	s_delay_alu instid0(VALU_DEP_1) | instskip(NEXT) | instid1(VALU_DEP_1)
	v_fmac_f32_e32 v19, v144, v4
	v_fmac_f32_e32 v19, v145, v5
	s_waitcnt lgkmcnt(1)
	s_delay_alu instid0(VALU_DEP_1) | instskip(SKIP_1) | instid1(VALU_DEP_1)
	v_fmac_f32_e32 v19, v146, v6
	s_waitcnt vmcnt(0)
	v_fmac_f32_e32 v19, v147, v7
	s_waitcnt lgkmcnt(0)
	s_delay_alu instid0(VALU_DEP_1) | instskip(NEXT) | instid1(VALU_DEP_1)
	v_fmac_f32_e32 v19, v148, v8
	v_fmac_f32_e32 v19, v149, v9
	s_delay_alu instid0(VALU_DEP_1)
	v_sub_f32_e32 v2, v3, v19
	scratch_store_b32 off, v2, off offset:104
	v_cmpx_lt_u32_e32 25, v0
	s_cbranch_execz .LBB56_299
; %bb.298:
	scratch_load_b32 v2, off, off offset:100
	v_mov_b32_e32 v3, 0
	scratch_store_b32 off, v3, off offset:100
	s_waitcnt vmcnt(0)
	ds_store_b32 v1, v2
.LBB56_299:
	s_or_b32 exec_lo, exec_lo, s0
	s_waitcnt lgkmcnt(0)
	s_waitcnt_vscnt null, 0x0
	s_barrier
	buffer_gl0_inv
	s_clause 0x7
	scratch_load_b128 v[3:6], off, off offset:100
	scratch_load_b128 v[7:10], off, off offset:116
	;; [unrolled: 1-line block ×8, first 2 shown]
	v_mov_b32_e32 v2, 0
	ds_load_2addr_b64 v[151:154], v2 offset0:43 offset1:44
	ds_load_2addr_b64 v[155:158], v2 offset0:45 offset1:46
	s_mov_b32 s0, exec_lo
	s_waitcnt vmcnt(7) lgkmcnt(1)
	v_fma_f32 v19, v4, v151, 0
	s_delay_alu instid0(VALU_DEP_1) | instskip(NEXT) | instid1(VALU_DEP_1)
	v_fmac_f32_e32 v19, v5, v152
	v_fmac_f32_e32 v19, v6, v153
	s_waitcnt vmcnt(6)
	s_delay_alu instid0(VALU_DEP_1) | instskip(SKIP_3) | instid1(VALU_DEP_1)
	v_fmac_f32_e32 v19, v7, v154
	ds_load_2addr_b64 v[4:7], v2 offset0:47 offset1:48
	s_waitcnt lgkmcnt(1)
	v_fmac_f32_e32 v19, v8, v155
	v_fmac_f32_e32 v19, v9, v156
	s_delay_alu instid0(VALU_DEP_1) | instskip(SKIP_1) | instid1(VALU_DEP_1)
	v_fmac_f32_e32 v19, v10, v157
	s_waitcnt vmcnt(5)
	v_fmac_f32_e32 v19, v11, v158
	ds_load_2addr_b64 v[8:11], v2 offset0:49 offset1:50
	s_waitcnt lgkmcnt(1)
	v_fmac_f32_e32 v19, v12, v4
	s_delay_alu instid0(VALU_DEP_1) | instskip(NEXT) | instid1(VALU_DEP_1)
	v_fmac_f32_e32 v19, v13, v5
	v_fmac_f32_e32 v19, v14, v6
	s_waitcnt vmcnt(4)
	s_delay_alu instid0(VALU_DEP_1) | instskip(SKIP_3) | instid1(VALU_DEP_1)
	v_fmac_f32_e32 v19, v15, v7
	ds_load_2addr_b64 v[4:7], v2 offset0:51 offset1:52
	s_waitcnt lgkmcnt(1)
	v_fmac_f32_e32 v19, v16, v8
	v_fmac_f32_e32 v19, v17, v9
	s_delay_alu instid0(VALU_DEP_1) | instskip(SKIP_1) | instid1(VALU_DEP_1)
	v_fmac_f32_e32 v19, v18, v10
	s_waitcnt vmcnt(3)
	v_fmac_f32_e32 v19, v135, v11
	ds_load_2addr_b64 v[8:11], v2 offset0:53 offset1:54
	s_waitcnt lgkmcnt(1)
	v_fmac_f32_e32 v19, v136, v4
	s_delay_alu instid0(VALU_DEP_1) | instskip(NEXT) | instid1(VALU_DEP_1)
	v_fmac_f32_e32 v19, v137, v5
	v_fmac_f32_e32 v19, v138, v6
	s_waitcnt vmcnt(2)
	s_delay_alu instid0(VALU_DEP_1) | instskip(SKIP_3) | instid1(VALU_DEP_1)
	v_fmac_f32_e32 v19, v139, v7
	ds_load_2addr_b64 v[4:7], v2 offset0:55 offset1:56
	s_waitcnt lgkmcnt(1)
	v_fmac_f32_e32 v19, v140, v8
	v_fmac_f32_e32 v19, v141, v9
	ds_load_b64 v[8:9], v2 offset:456
	v_fmac_f32_e32 v19, v142, v10
	s_waitcnt vmcnt(1)
	s_delay_alu instid0(VALU_DEP_1) | instskip(SKIP_1) | instid1(VALU_DEP_1)
	v_fmac_f32_e32 v19, v143, v11
	s_waitcnt lgkmcnt(1)
	v_fmac_f32_e32 v19, v144, v4
	ds_load_b32 v4, v2 offset:464
	v_fmac_f32_e32 v19, v145, v5
	s_delay_alu instid0(VALU_DEP_1) | instskip(SKIP_1) | instid1(VALU_DEP_1)
	v_fmac_f32_e32 v19, v146, v6
	s_waitcnt vmcnt(0)
	v_fmac_f32_e32 v19, v147, v7
	s_waitcnt lgkmcnt(1)
	s_delay_alu instid0(VALU_DEP_1) | instskip(NEXT) | instid1(VALU_DEP_1)
	v_fmac_f32_e32 v19, v148, v8
	v_fmac_f32_e32 v19, v149, v9
	s_waitcnt lgkmcnt(0)
	s_delay_alu instid0(VALU_DEP_1) | instskip(NEXT) | instid1(VALU_DEP_1)
	v_fmac_f32_e32 v19, v150, v4
	v_sub_f32_e32 v3, v3, v19
	scratch_store_b32 off, v3, off offset:100
	v_cmpx_lt_u32_e32 24, v0
	s_cbranch_execz .LBB56_301
; %bb.300:
	scratch_load_b32 v3, off, off offset:96
	scratch_store_b32 off, v2, off offset:96
	s_waitcnt vmcnt(0)
	ds_store_b32 v1, v3
.LBB56_301:
	s_or_b32 exec_lo, exec_lo, s0
	s_waitcnt lgkmcnt(0)
	s_waitcnt_vscnt null, 0x0
	s_barrier
	buffer_gl0_inv
	s_clause 0x8
	scratch_load_b128 v[3:6], off, off offset:96
	scratch_load_b128 v[7:10], off, off offset:112
	;; [unrolled: 1-line block ×8, first 2 shown]
	scratch_load_b32 v157, off, off offset:224
	ds_load_2addr_b32 v[19:20], v2 offset0:85 offset1:86
	ds_load_2addr_b32 v[151:152], v2 offset0:87 offset1:88
	ds_load_2addr_b32 v[153:154], v2 offset0:89 offset1:90
	ds_load_2addr_b32 v[155:156], v2 offset0:91 offset1:92
	s_mov_b32 s0, exec_lo
	s_waitcnt vmcnt(8) lgkmcnt(3)
	v_fma_f32 v19, v4, v19, 0
	s_delay_alu instid0(VALU_DEP_1) | instskip(SKIP_4) | instid1(VALU_DEP_1)
	v_fmac_f32_e32 v19, v5, v20
	ds_load_2addr_b32 v[4:5], v2 offset0:93 offset1:94
	s_waitcnt lgkmcnt(3)
	v_fmac_f32_e32 v19, v6, v151
	s_waitcnt vmcnt(7)
	v_fmac_f32_e32 v19, v7, v152
	ds_load_2addr_b32 v[6:7], v2 offset0:95 offset1:96
	s_waitcnt lgkmcnt(3)
	v_fmac_f32_e32 v19, v8, v153
	s_delay_alu instid0(VALU_DEP_1) | instskip(SKIP_1) | instid1(VALU_DEP_1)
	v_fmac_f32_e32 v19, v9, v154
	s_waitcnt lgkmcnt(2)
	v_fmac_f32_e32 v19, v10, v155
	s_waitcnt vmcnt(6)
	s_delay_alu instid0(VALU_DEP_1) | instskip(SKIP_4) | instid1(VALU_DEP_1)
	v_fmac_f32_e32 v19, v11, v156
	ds_load_2addr_b32 v[8:9], v2 offset0:97 offset1:98
	ds_load_2addr_b32 v[10:11], v2 offset0:99 offset1:100
	s_waitcnt lgkmcnt(3)
	v_fmac_f32_e32 v19, v12, v4
	v_fmac_f32_e32 v19, v13, v5
	ds_load_2addr_b32 v[4:5], v2 offset0:101 offset1:102
	s_waitcnt lgkmcnt(3)
	v_fmac_f32_e32 v19, v14, v6
	s_waitcnt vmcnt(5)
	s_delay_alu instid0(VALU_DEP_1) | instskip(SKIP_3) | instid1(VALU_DEP_1)
	v_fmac_f32_e32 v19, v15, v7
	ds_load_2addr_b32 v[6:7], v2 offset0:103 offset1:104
	s_waitcnt lgkmcnt(3)
	v_fmac_f32_e32 v19, v16, v8
	v_fmac_f32_e32 v19, v17, v9
	s_waitcnt lgkmcnt(2)
	s_delay_alu instid0(VALU_DEP_1) | instskip(SKIP_1) | instid1(VALU_DEP_1)
	v_fmac_f32_e32 v19, v18, v10
	s_waitcnt vmcnt(4)
	v_fmac_f32_e32 v19, v135, v11
	ds_load_2addr_b32 v[8:9], v2 offset0:105 offset1:106
	ds_load_2addr_b32 v[10:11], v2 offset0:107 offset1:108
	s_waitcnt lgkmcnt(3)
	v_fmac_f32_e32 v19, v136, v4
	s_delay_alu instid0(VALU_DEP_1) | instskip(SKIP_4) | instid1(VALU_DEP_1)
	v_fmac_f32_e32 v19, v137, v5
	ds_load_2addr_b32 v[4:5], v2 offset0:109 offset1:110
	s_waitcnt lgkmcnt(3)
	v_fmac_f32_e32 v19, v138, v6
	s_waitcnt vmcnt(3)
	v_fmac_f32_e32 v19, v139, v7
	ds_load_2addr_b32 v[6:7], v2 offset0:111 offset1:112
	s_waitcnt lgkmcnt(3)
	v_fmac_f32_e32 v19, v140, v8
	s_delay_alu instid0(VALU_DEP_1) | instskip(SKIP_1) | instid1(VALU_DEP_1)
	v_fmac_f32_e32 v19, v141, v9
	s_waitcnt lgkmcnt(2)
	v_fmac_f32_e32 v19, v142, v10
	s_waitcnt vmcnt(2)
	s_delay_alu instid0(VALU_DEP_1) | instskip(SKIP_4) | instid1(VALU_DEP_1)
	v_fmac_f32_e32 v19, v143, v11
	ds_load_2addr_b32 v[8:9], v2 offset0:113 offset1:114
	ds_load_2addr_b32 v[10:11], v2 offset0:115 offset1:116
	s_waitcnt lgkmcnt(3)
	v_fmac_f32_e32 v19, v144, v4
	v_fmac_f32_e32 v19, v145, v5
	s_waitcnt lgkmcnt(2)
	s_delay_alu instid0(VALU_DEP_1) | instskip(SKIP_1) | instid1(VALU_DEP_1)
	v_fmac_f32_e32 v19, v146, v6
	s_waitcnt vmcnt(1)
	v_fmac_f32_e32 v19, v147, v7
	s_waitcnt lgkmcnt(1)
	s_delay_alu instid0(VALU_DEP_1) | instskip(NEXT) | instid1(VALU_DEP_1)
	v_fmac_f32_e32 v19, v148, v8
	v_fmac_f32_e32 v19, v149, v9
	s_waitcnt lgkmcnt(0)
	s_delay_alu instid0(VALU_DEP_1) | instskip(SKIP_1) | instid1(VALU_DEP_1)
	v_fmac_f32_e32 v19, v150, v10
	s_waitcnt vmcnt(0)
	v_fmac_f32_e32 v19, v157, v11
	s_delay_alu instid0(VALU_DEP_1)
	v_sub_f32_e32 v2, v3, v19
	scratch_store_b32 off, v2, off offset:96
	v_cmpx_lt_u32_e32 23, v0
	s_cbranch_execz .LBB56_303
; %bb.302:
	scratch_load_b32 v2, off, off offset:92
	v_mov_b32_e32 v3, 0
	scratch_store_b32 off, v3, off offset:92
	s_waitcnt vmcnt(0)
	ds_store_b32 v1, v2
.LBB56_303:
	s_or_b32 exec_lo, exec_lo, s0
	s_waitcnt lgkmcnt(0)
	s_waitcnt_vscnt null, 0x0
	s_barrier
	buffer_gl0_inv
	s_clause 0x8
	scratch_load_b128 v[3:6], off, off offset:92
	scratch_load_b128 v[7:10], off, off offset:108
	;; [unrolled: 1-line block ×8, first 2 shown]
	scratch_load_b64 v[19:20], off, off offset:220
	v_mov_b32_e32 v2, 0
	ds_load_b128 v[151:154], v2 offset:336
	ds_load_b128 v[155:158], v2 offset:352
	s_mov_b32 s0, exec_lo
	s_waitcnt vmcnt(8) lgkmcnt(1)
	v_fma_f32 v151, v4, v151, 0
	s_delay_alu instid0(VALU_DEP_1) | instskip(NEXT) | instid1(VALU_DEP_1)
	v_fmac_f32_e32 v151, v5, v152
	v_fmac_f32_e32 v151, v6, v153
	s_waitcnt vmcnt(7)
	s_delay_alu instid0(VALU_DEP_1) | instskip(SKIP_3) | instid1(VALU_DEP_1)
	v_fmac_f32_e32 v151, v7, v154
	ds_load_b128 v[4:7], v2 offset:368
	s_waitcnt lgkmcnt(1)
	v_fmac_f32_e32 v151, v8, v155
	v_fmac_f32_e32 v151, v9, v156
	s_delay_alu instid0(VALU_DEP_1) | instskip(SKIP_1) | instid1(VALU_DEP_1)
	v_fmac_f32_e32 v151, v10, v157
	s_waitcnt vmcnt(6)
	v_fmac_f32_e32 v151, v11, v158
	ds_load_b128 v[8:11], v2 offset:384
	s_waitcnt lgkmcnt(1)
	v_fmac_f32_e32 v151, v12, v4
	s_delay_alu instid0(VALU_DEP_1) | instskip(NEXT) | instid1(VALU_DEP_1)
	v_fmac_f32_e32 v151, v13, v5
	v_fmac_f32_e32 v151, v14, v6
	s_waitcnt vmcnt(5)
	s_delay_alu instid0(VALU_DEP_1) | instskip(SKIP_3) | instid1(VALU_DEP_1)
	v_fmac_f32_e32 v151, v15, v7
	ds_load_b128 v[4:7], v2 offset:400
	s_waitcnt lgkmcnt(1)
	v_fmac_f32_e32 v151, v16, v8
	v_fmac_f32_e32 v151, v17, v9
	s_delay_alu instid0(VALU_DEP_1) | instskip(SKIP_1) | instid1(VALU_DEP_1)
	v_fmac_f32_e32 v151, v18, v10
	s_waitcnt vmcnt(4)
	v_fmac_f32_e32 v151, v135, v11
	ds_load_b128 v[8:11], v2 offset:416
	s_waitcnt lgkmcnt(1)
	v_fmac_f32_e32 v151, v136, v4
	;; [unrolled: 17-line block ×3, first 2 shown]
	ds_load_b32 v4, v2 offset:464
	v_fmac_f32_e32 v151, v145, v5
	s_delay_alu instid0(VALU_DEP_1) | instskip(SKIP_1) | instid1(VALU_DEP_1)
	v_fmac_f32_e32 v151, v146, v6
	s_waitcnt vmcnt(1)
	v_fmac_f32_e32 v151, v147, v7
	s_waitcnt lgkmcnt(1)
	s_delay_alu instid0(VALU_DEP_1) | instskip(NEXT) | instid1(VALU_DEP_1)
	v_fmac_f32_e32 v151, v148, v8
	v_fmac_f32_e32 v151, v149, v9
	s_delay_alu instid0(VALU_DEP_1) | instskip(SKIP_1) | instid1(VALU_DEP_1)
	v_fmac_f32_e32 v151, v150, v10
	s_waitcnt vmcnt(0)
	v_fmac_f32_e32 v151, v19, v11
	s_waitcnt lgkmcnt(0)
	s_delay_alu instid0(VALU_DEP_1) | instskip(NEXT) | instid1(VALU_DEP_1)
	v_fmac_f32_e32 v151, v20, v4
	v_sub_f32_e32 v3, v3, v151
	scratch_store_b32 off, v3, off offset:92
	v_cmpx_lt_u32_e32 22, v0
	s_cbranch_execz .LBB56_305
; %bb.304:
	scratch_load_b32 v3, off, off offset:88
	scratch_store_b32 off, v2, off offset:88
	s_waitcnt vmcnt(0)
	ds_store_b32 v1, v3
.LBB56_305:
	s_or_b32 exec_lo, exec_lo, s0
	s_waitcnt lgkmcnt(0)
	s_waitcnt_vscnt null, 0x0
	s_barrier
	buffer_gl0_inv
	s_clause 0x8
	scratch_load_b128 v[3:6], off, off offset:88
	scratch_load_b128 v[7:10], off, off offset:104
	;; [unrolled: 1-line block ×8, first 2 shown]
	scratch_load_b96 v[151:153], off, off offset:216
	ds_load_2addr_b32 v[19:20], v2 offset0:83 offset1:84
	ds_load_2addr_b32 v[154:155], v2 offset0:85 offset1:86
	ds_load_2addr_b32 v[156:157], v2 offset0:87 offset1:88
	ds_load_2addr_b32 v[158:159], v2 offset0:89 offset1:90
	s_mov_b32 s0, exec_lo
	s_waitcnt vmcnt(8) lgkmcnt(3)
	v_fma_f32 v19, v4, v19, 0
	s_delay_alu instid0(VALU_DEP_1) | instskip(SKIP_4) | instid1(VALU_DEP_1)
	v_fmac_f32_e32 v19, v5, v20
	ds_load_2addr_b32 v[4:5], v2 offset0:91 offset1:92
	s_waitcnt lgkmcnt(3)
	v_fmac_f32_e32 v19, v6, v154
	s_waitcnt vmcnt(7)
	v_fmac_f32_e32 v19, v7, v155
	ds_load_2addr_b32 v[6:7], v2 offset0:93 offset1:94
	s_waitcnt lgkmcnt(3)
	v_fmac_f32_e32 v19, v8, v156
	s_delay_alu instid0(VALU_DEP_1) | instskip(SKIP_1) | instid1(VALU_DEP_1)
	v_fmac_f32_e32 v19, v9, v157
	s_waitcnt lgkmcnt(2)
	v_fmac_f32_e32 v19, v10, v158
	s_waitcnt vmcnt(6)
	s_delay_alu instid0(VALU_DEP_1) | instskip(SKIP_4) | instid1(VALU_DEP_1)
	v_fmac_f32_e32 v19, v11, v159
	ds_load_2addr_b32 v[8:9], v2 offset0:95 offset1:96
	ds_load_2addr_b32 v[10:11], v2 offset0:97 offset1:98
	s_waitcnt lgkmcnt(3)
	v_fmac_f32_e32 v19, v12, v4
	v_fmac_f32_e32 v19, v13, v5
	ds_load_2addr_b32 v[4:5], v2 offset0:99 offset1:100
	s_waitcnt lgkmcnt(3)
	v_fmac_f32_e32 v19, v14, v6
	s_waitcnt vmcnt(5)
	s_delay_alu instid0(VALU_DEP_1) | instskip(SKIP_3) | instid1(VALU_DEP_1)
	v_fmac_f32_e32 v19, v15, v7
	ds_load_2addr_b32 v[6:7], v2 offset0:101 offset1:102
	s_waitcnt lgkmcnt(3)
	v_fmac_f32_e32 v19, v16, v8
	v_fmac_f32_e32 v19, v17, v9
	s_waitcnt lgkmcnt(2)
	s_delay_alu instid0(VALU_DEP_1) | instskip(SKIP_1) | instid1(VALU_DEP_1)
	v_fmac_f32_e32 v19, v18, v10
	s_waitcnt vmcnt(4)
	v_fmac_f32_e32 v19, v135, v11
	ds_load_2addr_b32 v[8:9], v2 offset0:103 offset1:104
	ds_load_2addr_b32 v[10:11], v2 offset0:105 offset1:106
	s_waitcnt lgkmcnt(3)
	v_fmac_f32_e32 v19, v136, v4
	s_delay_alu instid0(VALU_DEP_1) | instskip(SKIP_4) | instid1(VALU_DEP_1)
	v_fmac_f32_e32 v19, v137, v5
	ds_load_2addr_b32 v[4:5], v2 offset0:107 offset1:108
	s_waitcnt lgkmcnt(3)
	v_fmac_f32_e32 v19, v138, v6
	s_waitcnt vmcnt(3)
	v_fmac_f32_e32 v19, v139, v7
	ds_load_2addr_b32 v[6:7], v2 offset0:109 offset1:110
	s_waitcnt lgkmcnt(3)
	v_fmac_f32_e32 v19, v140, v8
	s_delay_alu instid0(VALU_DEP_1) | instskip(SKIP_1) | instid1(VALU_DEP_1)
	v_fmac_f32_e32 v19, v141, v9
	s_waitcnt lgkmcnt(2)
	v_fmac_f32_e32 v19, v142, v10
	s_waitcnt vmcnt(2)
	s_delay_alu instid0(VALU_DEP_1) | instskip(SKIP_4) | instid1(VALU_DEP_1)
	v_fmac_f32_e32 v19, v143, v11
	ds_load_2addr_b32 v[8:9], v2 offset0:111 offset1:112
	ds_load_2addr_b32 v[10:11], v2 offset0:113 offset1:114
	s_waitcnt lgkmcnt(3)
	v_fmac_f32_e32 v19, v144, v4
	v_fmac_f32_e32 v19, v145, v5
	ds_load_2addr_b32 v[4:5], v2 offset0:115 offset1:116
	s_waitcnt lgkmcnt(3)
	v_fmac_f32_e32 v19, v146, v6
	s_waitcnt vmcnt(1)
	s_delay_alu instid0(VALU_DEP_1) | instskip(SKIP_1) | instid1(VALU_DEP_1)
	v_fmac_f32_e32 v19, v147, v7
	s_waitcnt lgkmcnt(2)
	v_fmac_f32_e32 v19, v148, v8
	s_delay_alu instid0(VALU_DEP_1) | instskip(SKIP_1) | instid1(VALU_DEP_1)
	v_fmac_f32_e32 v19, v149, v9
	s_waitcnt lgkmcnt(1)
	v_fmac_f32_e32 v19, v150, v10
	s_waitcnt vmcnt(0)
	s_delay_alu instid0(VALU_DEP_1) | instskip(SKIP_1) | instid1(VALU_DEP_1)
	v_fmac_f32_e32 v19, v151, v11
	s_waitcnt lgkmcnt(0)
	v_fmac_f32_e32 v19, v152, v4
	s_delay_alu instid0(VALU_DEP_1) | instskip(NEXT) | instid1(VALU_DEP_1)
	v_fmac_f32_e32 v19, v153, v5
	v_sub_f32_e32 v2, v3, v19
	scratch_store_b32 off, v2, off offset:88
	v_cmpx_lt_u32_e32 21, v0
	s_cbranch_execz .LBB56_307
; %bb.306:
	scratch_load_b32 v2, off, off offset:84
	v_mov_b32_e32 v3, 0
	scratch_store_b32 off, v3, off offset:84
	s_waitcnt vmcnt(0)
	ds_store_b32 v1, v2
.LBB56_307:
	s_or_b32 exec_lo, exec_lo, s0
	s_waitcnt lgkmcnt(0)
	s_waitcnt_vscnt null, 0x0
	s_barrier
	buffer_gl0_inv
	s_clause 0x8
	scratch_load_b128 v[3:6], off, off offset:84
	scratch_load_b128 v[7:10], off, off offset:100
	scratch_load_b128 v[11:14], off, off offset:116
	scratch_load_b128 v[15:18], off, off offset:132
	scratch_load_b128 v[135:138], off, off offset:148
	scratch_load_b128 v[139:142], off, off offset:164
	scratch_load_b128 v[143:146], off, off offset:180
	scratch_load_b128 v[147:150], off, off offset:196
	scratch_load_b128 v[151:154], off, off offset:212
	v_mov_b32_e32 v2, 0
	ds_load_2addr_b64 v[155:158], v2 offset0:41 offset1:42
	ds_load_2addr_b64 v[159:162], v2 offset0:43 offset1:44
	s_mov_b32 s0, exec_lo
	s_waitcnt vmcnt(8) lgkmcnt(1)
	v_fma_f32 v19, v4, v155, 0
	s_delay_alu instid0(VALU_DEP_1) | instskip(NEXT) | instid1(VALU_DEP_1)
	v_fmac_f32_e32 v19, v5, v156
	v_fmac_f32_e32 v19, v6, v157
	s_waitcnt vmcnt(7)
	s_delay_alu instid0(VALU_DEP_1) | instskip(SKIP_3) | instid1(VALU_DEP_1)
	v_fmac_f32_e32 v19, v7, v158
	ds_load_2addr_b64 v[4:7], v2 offset0:45 offset1:46
	s_waitcnt lgkmcnt(1)
	v_fmac_f32_e32 v19, v8, v159
	v_fmac_f32_e32 v19, v9, v160
	s_delay_alu instid0(VALU_DEP_1) | instskip(SKIP_1) | instid1(VALU_DEP_1)
	v_fmac_f32_e32 v19, v10, v161
	s_waitcnt vmcnt(6)
	v_fmac_f32_e32 v19, v11, v162
	ds_load_2addr_b64 v[8:11], v2 offset0:47 offset1:48
	s_waitcnt lgkmcnt(1)
	v_fmac_f32_e32 v19, v12, v4
	s_delay_alu instid0(VALU_DEP_1) | instskip(NEXT) | instid1(VALU_DEP_1)
	v_fmac_f32_e32 v19, v13, v5
	v_fmac_f32_e32 v19, v14, v6
	s_waitcnt vmcnt(5)
	s_delay_alu instid0(VALU_DEP_1) | instskip(SKIP_3) | instid1(VALU_DEP_1)
	v_fmac_f32_e32 v19, v15, v7
	ds_load_2addr_b64 v[4:7], v2 offset0:49 offset1:50
	s_waitcnt lgkmcnt(1)
	v_fmac_f32_e32 v19, v16, v8
	v_fmac_f32_e32 v19, v17, v9
	s_delay_alu instid0(VALU_DEP_1) | instskip(SKIP_1) | instid1(VALU_DEP_1)
	v_fmac_f32_e32 v19, v18, v10
	s_waitcnt vmcnt(4)
	v_fmac_f32_e32 v19, v135, v11
	ds_load_2addr_b64 v[8:11], v2 offset0:51 offset1:52
	s_waitcnt lgkmcnt(1)
	v_fmac_f32_e32 v19, v136, v4
	;; [unrolled: 17-line block ×3, first 2 shown]
	s_delay_alu instid0(VALU_DEP_1)
	v_fmac_f32_e32 v19, v145, v5
	ds_load_b64 v[4:5], v2 offset:456
	v_fmac_f32_e32 v19, v146, v6
	ds_load_b32 v6, v2 offset:464
	s_waitcnt vmcnt(1)
	v_fmac_f32_e32 v19, v147, v7
	s_waitcnt lgkmcnt(2)
	s_delay_alu instid0(VALU_DEP_1) | instskip(NEXT) | instid1(VALU_DEP_1)
	v_fmac_f32_e32 v19, v148, v8
	v_fmac_f32_e32 v19, v149, v9
	s_delay_alu instid0(VALU_DEP_1) | instskip(SKIP_1) | instid1(VALU_DEP_1)
	v_fmac_f32_e32 v19, v150, v10
	s_waitcnt vmcnt(0)
	v_fmac_f32_e32 v19, v151, v11
	s_waitcnt lgkmcnt(1)
	s_delay_alu instid0(VALU_DEP_1) | instskip(NEXT) | instid1(VALU_DEP_1)
	v_fmac_f32_e32 v19, v152, v4
	v_fmac_f32_e32 v19, v153, v5
	s_waitcnt lgkmcnt(0)
	s_delay_alu instid0(VALU_DEP_1) | instskip(NEXT) | instid1(VALU_DEP_1)
	v_fmac_f32_e32 v19, v154, v6
	v_sub_f32_e32 v3, v3, v19
	scratch_store_b32 off, v3, off offset:84
	v_cmpx_lt_u32_e32 20, v0
	s_cbranch_execz .LBB56_309
; %bb.308:
	scratch_load_b32 v3, off, off offset:80
	scratch_store_b32 off, v2, off offset:80
	s_waitcnt vmcnt(0)
	ds_store_b32 v1, v3
.LBB56_309:
	s_or_b32 exec_lo, exec_lo, s0
	s_waitcnt lgkmcnt(0)
	s_waitcnt_vscnt null, 0x0
	s_barrier
	buffer_gl0_inv
	s_clause 0x9
	scratch_load_b128 v[3:6], off, off offset:80
	scratch_load_b128 v[7:10], off, off offset:96
	;; [unrolled: 1-line block ×9, first 2 shown]
	scratch_load_b32 v161, off, off offset:224
	ds_load_2addr_b32 v[19:20], v2 offset0:81 offset1:82
	ds_load_2addr_b32 v[155:156], v2 offset0:83 offset1:84
	;; [unrolled: 1-line block ×4, first 2 shown]
	s_mov_b32 s0, exec_lo
	s_waitcnt vmcnt(9) lgkmcnt(3)
	v_fma_f32 v19, v4, v19, 0
	s_delay_alu instid0(VALU_DEP_1) | instskip(SKIP_4) | instid1(VALU_DEP_1)
	v_fmac_f32_e32 v19, v5, v20
	ds_load_2addr_b32 v[4:5], v2 offset0:89 offset1:90
	s_waitcnt lgkmcnt(3)
	v_fmac_f32_e32 v19, v6, v155
	s_waitcnt vmcnt(8)
	v_fmac_f32_e32 v19, v7, v156
	ds_load_2addr_b32 v[6:7], v2 offset0:91 offset1:92
	s_waitcnt lgkmcnt(3)
	v_fmac_f32_e32 v19, v8, v157
	s_delay_alu instid0(VALU_DEP_1) | instskip(SKIP_1) | instid1(VALU_DEP_1)
	v_fmac_f32_e32 v19, v9, v158
	s_waitcnt lgkmcnt(2)
	v_fmac_f32_e32 v19, v10, v159
	s_waitcnt vmcnt(7)
	s_delay_alu instid0(VALU_DEP_1) | instskip(SKIP_4) | instid1(VALU_DEP_1)
	v_fmac_f32_e32 v19, v11, v160
	ds_load_2addr_b32 v[8:9], v2 offset0:93 offset1:94
	ds_load_2addr_b32 v[10:11], v2 offset0:95 offset1:96
	s_waitcnt lgkmcnt(3)
	v_fmac_f32_e32 v19, v12, v4
	v_fmac_f32_e32 v19, v13, v5
	ds_load_2addr_b32 v[4:5], v2 offset0:97 offset1:98
	s_waitcnt lgkmcnt(3)
	v_fmac_f32_e32 v19, v14, v6
	s_waitcnt vmcnt(6)
	s_delay_alu instid0(VALU_DEP_1) | instskip(SKIP_3) | instid1(VALU_DEP_1)
	v_fmac_f32_e32 v19, v15, v7
	ds_load_2addr_b32 v[6:7], v2 offset0:99 offset1:100
	s_waitcnt lgkmcnt(3)
	v_fmac_f32_e32 v19, v16, v8
	v_fmac_f32_e32 v19, v17, v9
	s_waitcnt lgkmcnt(2)
	s_delay_alu instid0(VALU_DEP_1) | instskip(SKIP_1) | instid1(VALU_DEP_1)
	v_fmac_f32_e32 v19, v18, v10
	s_waitcnt vmcnt(5)
	v_fmac_f32_e32 v19, v135, v11
	ds_load_2addr_b32 v[8:9], v2 offset0:101 offset1:102
	ds_load_2addr_b32 v[10:11], v2 offset0:103 offset1:104
	s_waitcnt lgkmcnt(3)
	v_fmac_f32_e32 v19, v136, v4
	s_delay_alu instid0(VALU_DEP_1) | instskip(SKIP_4) | instid1(VALU_DEP_1)
	v_fmac_f32_e32 v19, v137, v5
	ds_load_2addr_b32 v[4:5], v2 offset0:105 offset1:106
	s_waitcnt lgkmcnt(3)
	v_fmac_f32_e32 v19, v138, v6
	s_waitcnt vmcnt(4)
	v_fmac_f32_e32 v19, v139, v7
	ds_load_2addr_b32 v[6:7], v2 offset0:107 offset1:108
	s_waitcnt lgkmcnt(3)
	v_fmac_f32_e32 v19, v140, v8
	s_delay_alu instid0(VALU_DEP_1) | instskip(SKIP_1) | instid1(VALU_DEP_1)
	v_fmac_f32_e32 v19, v141, v9
	s_waitcnt lgkmcnt(2)
	v_fmac_f32_e32 v19, v142, v10
	s_waitcnt vmcnt(3)
	s_delay_alu instid0(VALU_DEP_1) | instskip(SKIP_4) | instid1(VALU_DEP_1)
	v_fmac_f32_e32 v19, v143, v11
	ds_load_2addr_b32 v[8:9], v2 offset0:109 offset1:110
	ds_load_2addr_b32 v[10:11], v2 offset0:111 offset1:112
	s_waitcnt lgkmcnt(3)
	v_fmac_f32_e32 v19, v144, v4
	v_fmac_f32_e32 v19, v145, v5
	ds_load_2addr_b32 v[4:5], v2 offset0:113 offset1:114
	s_waitcnt lgkmcnt(3)
	v_fmac_f32_e32 v19, v146, v6
	s_waitcnt vmcnt(2)
	s_delay_alu instid0(VALU_DEP_1) | instskip(SKIP_3) | instid1(VALU_DEP_1)
	v_fmac_f32_e32 v19, v147, v7
	ds_load_2addr_b32 v[6:7], v2 offset0:115 offset1:116
	s_waitcnt lgkmcnt(3)
	v_fmac_f32_e32 v19, v148, v8
	v_fmac_f32_e32 v19, v149, v9
	s_waitcnt lgkmcnt(2)
	s_delay_alu instid0(VALU_DEP_1) | instskip(SKIP_1) | instid1(VALU_DEP_1)
	v_fmac_f32_e32 v19, v150, v10
	s_waitcnt vmcnt(1)
	v_fmac_f32_e32 v19, v151, v11
	s_waitcnt lgkmcnt(1)
	s_delay_alu instid0(VALU_DEP_1) | instskip(NEXT) | instid1(VALU_DEP_1)
	v_fmac_f32_e32 v19, v152, v4
	v_fmac_f32_e32 v19, v153, v5
	s_waitcnt lgkmcnt(0)
	s_delay_alu instid0(VALU_DEP_1) | instskip(SKIP_1) | instid1(VALU_DEP_1)
	v_fmac_f32_e32 v19, v154, v6
	s_waitcnt vmcnt(0)
	v_fmac_f32_e32 v19, v161, v7
	s_delay_alu instid0(VALU_DEP_1)
	v_sub_f32_e32 v2, v3, v19
	scratch_store_b32 off, v2, off offset:80
	v_cmpx_lt_u32_e32 19, v0
	s_cbranch_execz .LBB56_311
; %bb.310:
	scratch_load_b32 v2, off, off offset:76
	v_mov_b32_e32 v3, 0
	scratch_store_b32 off, v3, off offset:76
	s_waitcnt vmcnt(0)
	ds_store_b32 v1, v2
.LBB56_311:
	s_or_b32 exec_lo, exec_lo, s0
	s_waitcnt lgkmcnt(0)
	s_waitcnt_vscnt null, 0x0
	s_barrier
	buffer_gl0_inv
	s_clause 0x9
	scratch_load_b128 v[3:6], off, off offset:76
	scratch_load_b128 v[7:10], off, off offset:92
	;; [unrolled: 1-line block ×9, first 2 shown]
	scratch_load_b64 v[19:20], off, off offset:220
	v_mov_b32_e32 v2, 0
	ds_load_b128 v[155:158], v2 offset:320
	ds_load_b128 v[159:162], v2 offset:336
	s_mov_b32 s0, exec_lo
	s_waitcnt vmcnt(9) lgkmcnt(1)
	v_fma_f32 v155, v4, v155, 0
	s_delay_alu instid0(VALU_DEP_1) | instskip(NEXT) | instid1(VALU_DEP_1)
	v_fmac_f32_e32 v155, v5, v156
	v_fmac_f32_e32 v155, v6, v157
	s_waitcnt vmcnt(8)
	s_delay_alu instid0(VALU_DEP_1) | instskip(SKIP_3) | instid1(VALU_DEP_1)
	v_fmac_f32_e32 v155, v7, v158
	ds_load_b128 v[4:7], v2 offset:352
	s_waitcnt lgkmcnt(1)
	v_fmac_f32_e32 v155, v8, v159
	v_fmac_f32_e32 v155, v9, v160
	s_delay_alu instid0(VALU_DEP_1) | instskip(SKIP_1) | instid1(VALU_DEP_1)
	v_fmac_f32_e32 v155, v10, v161
	s_waitcnt vmcnt(7)
	v_fmac_f32_e32 v155, v11, v162
	ds_load_b128 v[8:11], v2 offset:368
	s_waitcnt lgkmcnt(1)
	v_fmac_f32_e32 v155, v12, v4
	s_delay_alu instid0(VALU_DEP_1) | instskip(NEXT) | instid1(VALU_DEP_1)
	v_fmac_f32_e32 v155, v13, v5
	v_fmac_f32_e32 v155, v14, v6
	s_waitcnt vmcnt(6)
	s_delay_alu instid0(VALU_DEP_1) | instskip(SKIP_3) | instid1(VALU_DEP_1)
	v_fmac_f32_e32 v155, v15, v7
	ds_load_b128 v[4:7], v2 offset:384
	s_waitcnt lgkmcnt(1)
	v_fmac_f32_e32 v155, v16, v8
	v_fmac_f32_e32 v155, v17, v9
	s_delay_alu instid0(VALU_DEP_1) | instskip(SKIP_1) | instid1(VALU_DEP_1)
	v_fmac_f32_e32 v155, v18, v10
	s_waitcnt vmcnt(5)
	v_fmac_f32_e32 v155, v135, v11
	ds_load_b128 v[8:11], v2 offset:400
	s_waitcnt lgkmcnt(1)
	v_fmac_f32_e32 v155, v136, v4
	;; [unrolled: 17-line block ×3, first 2 shown]
	s_delay_alu instid0(VALU_DEP_1) | instskip(NEXT) | instid1(VALU_DEP_1)
	v_fmac_f32_e32 v155, v145, v5
	v_fmac_f32_e32 v155, v146, v6
	s_waitcnt vmcnt(2)
	s_delay_alu instid0(VALU_DEP_1)
	v_fmac_f32_e32 v155, v147, v7
	ds_load_b128 v[4:7], v2 offset:448
	s_waitcnt lgkmcnt(1)
	v_fmac_f32_e32 v155, v148, v8
	ds_load_b32 v8, v2 offset:464
	v_fmac_f32_e32 v155, v149, v9
	s_delay_alu instid0(VALU_DEP_1) | instskip(SKIP_1) | instid1(VALU_DEP_1)
	v_fmac_f32_e32 v155, v150, v10
	s_waitcnt vmcnt(1)
	v_fmac_f32_e32 v155, v151, v11
	s_waitcnt lgkmcnt(1)
	s_delay_alu instid0(VALU_DEP_1) | instskip(NEXT) | instid1(VALU_DEP_1)
	v_fmac_f32_e32 v155, v152, v4
	v_fmac_f32_e32 v155, v153, v5
	s_delay_alu instid0(VALU_DEP_1) | instskip(SKIP_1) | instid1(VALU_DEP_1)
	v_fmac_f32_e32 v155, v154, v6
	s_waitcnt vmcnt(0)
	v_fmac_f32_e32 v155, v19, v7
	s_waitcnt lgkmcnt(0)
	s_delay_alu instid0(VALU_DEP_1) | instskip(NEXT) | instid1(VALU_DEP_1)
	v_fmac_f32_e32 v155, v20, v8
	v_sub_f32_e32 v3, v3, v155
	scratch_store_b32 off, v3, off offset:76
	v_cmpx_lt_u32_e32 18, v0
	s_cbranch_execz .LBB56_313
; %bb.312:
	scratch_load_b32 v3, off, off offset:72
	scratch_store_b32 off, v2, off offset:72
	s_waitcnt vmcnt(0)
	ds_store_b32 v1, v3
.LBB56_313:
	s_or_b32 exec_lo, exec_lo, s0
	s_waitcnt lgkmcnt(0)
	s_waitcnt_vscnt null, 0x0
	s_barrier
	buffer_gl0_inv
	s_clause 0x9
	scratch_load_b128 v[3:6], off, off offset:72
	scratch_load_b128 v[7:10], off, off offset:88
	;; [unrolled: 1-line block ×9, first 2 shown]
	scratch_load_b96 v[155:157], off, off offset:216
	ds_load_2addr_b32 v[19:20], v2 offset0:79 offset1:80
	ds_load_2addr_b32 v[158:159], v2 offset0:81 offset1:82
	;; [unrolled: 1-line block ×4, first 2 shown]
	s_mov_b32 s0, exec_lo
	s_waitcnt vmcnt(9) lgkmcnt(3)
	v_fma_f32 v19, v4, v19, 0
	s_delay_alu instid0(VALU_DEP_1) | instskip(SKIP_4) | instid1(VALU_DEP_1)
	v_fmac_f32_e32 v19, v5, v20
	ds_load_2addr_b32 v[4:5], v2 offset0:87 offset1:88
	s_waitcnt lgkmcnt(3)
	v_fmac_f32_e32 v19, v6, v158
	s_waitcnt vmcnt(8)
	v_fmac_f32_e32 v19, v7, v159
	ds_load_2addr_b32 v[6:7], v2 offset0:89 offset1:90
	s_waitcnt lgkmcnt(3)
	v_fmac_f32_e32 v19, v8, v160
	s_delay_alu instid0(VALU_DEP_1) | instskip(SKIP_1) | instid1(VALU_DEP_1)
	v_fmac_f32_e32 v19, v9, v161
	s_waitcnt lgkmcnt(2)
	v_fmac_f32_e32 v19, v10, v162
	s_waitcnt vmcnt(7)
	s_delay_alu instid0(VALU_DEP_1) | instskip(SKIP_4) | instid1(VALU_DEP_1)
	v_fmac_f32_e32 v19, v11, v163
	ds_load_2addr_b32 v[8:9], v2 offset0:91 offset1:92
	ds_load_2addr_b32 v[10:11], v2 offset0:93 offset1:94
	s_waitcnt lgkmcnt(3)
	v_fmac_f32_e32 v19, v12, v4
	v_fmac_f32_e32 v19, v13, v5
	ds_load_2addr_b32 v[4:5], v2 offset0:95 offset1:96
	s_waitcnt lgkmcnt(3)
	v_fmac_f32_e32 v19, v14, v6
	s_waitcnt vmcnt(6)
	s_delay_alu instid0(VALU_DEP_1) | instskip(SKIP_3) | instid1(VALU_DEP_1)
	v_fmac_f32_e32 v19, v15, v7
	ds_load_2addr_b32 v[6:7], v2 offset0:97 offset1:98
	s_waitcnt lgkmcnt(3)
	v_fmac_f32_e32 v19, v16, v8
	v_fmac_f32_e32 v19, v17, v9
	s_waitcnt lgkmcnt(2)
	s_delay_alu instid0(VALU_DEP_1) | instskip(SKIP_1) | instid1(VALU_DEP_1)
	v_fmac_f32_e32 v19, v18, v10
	s_waitcnt vmcnt(5)
	v_fmac_f32_e32 v19, v135, v11
	ds_load_2addr_b32 v[8:9], v2 offset0:99 offset1:100
	ds_load_2addr_b32 v[10:11], v2 offset0:101 offset1:102
	s_waitcnt lgkmcnt(3)
	v_fmac_f32_e32 v19, v136, v4
	s_delay_alu instid0(VALU_DEP_1) | instskip(SKIP_4) | instid1(VALU_DEP_1)
	v_fmac_f32_e32 v19, v137, v5
	ds_load_2addr_b32 v[4:5], v2 offset0:103 offset1:104
	s_waitcnt lgkmcnt(3)
	v_fmac_f32_e32 v19, v138, v6
	s_waitcnt vmcnt(4)
	v_fmac_f32_e32 v19, v139, v7
	ds_load_2addr_b32 v[6:7], v2 offset0:105 offset1:106
	s_waitcnt lgkmcnt(3)
	v_fmac_f32_e32 v19, v140, v8
	s_delay_alu instid0(VALU_DEP_1) | instskip(SKIP_1) | instid1(VALU_DEP_1)
	v_fmac_f32_e32 v19, v141, v9
	s_waitcnt lgkmcnt(2)
	v_fmac_f32_e32 v19, v142, v10
	s_waitcnt vmcnt(3)
	s_delay_alu instid0(VALU_DEP_1) | instskip(SKIP_4) | instid1(VALU_DEP_1)
	v_fmac_f32_e32 v19, v143, v11
	ds_load_2addr_b32 v[8:9], v2 offset0:107 offset1:108
	ds_load_2addr_b32 v[10:11], v2 offset0:109 offset1:110
	s_waitcnt lgkmcnt(3)
	v_fmac_f32_e32 v19, v144, v4
	v_fmac_f32_e32 v19, v145, v5
	ds_load_2addr_b32 v[4:5], v2 offset0:111 offset1:112
	s_waitcnt lgkmcnt(3)
	v_fmac_f32_e32 v19, v146, v6
	s_waitcnt vmcnt(2)
	s_delay_alu instid0(VALU_DEP_1) | instskip(SKIP_3) | instid1(VALU_DEP_1)
	v_fmac_f32_e32 v19, v147, v7
	ds_load_2addr_b32 v[6:7], v2 offset0:113 offset1:114
	s_waitcnt lgkmcnt(3)
	v_fmac_f32_e32 v19, v148, v8
	v_fmac_f32_e32 v19, v149, v9
	ds_load_2addr_b32 v[8:9], v2 offset0:115 offset1:116
	s_waitcnt lgkmcnt(3)
	v_fmac_f32_e32 v19, v150, v10
	s_waitcnt vmcnt(1)
	s_delay_alu instid0(VALU_DEP_1) | instskip(SKIP_1) | instid1(VALU_DEP_1)
	v_fmac_f32_e32 v19, v151, v11
	s_waitcnt lgkmcnt(2)
	v_fmac_f32_e32 v19, v152, v4
	s_delay_alu instid0(VALU_DEP_1) | instskip(SKIP_1) | instid1(VALU_DEP_1)
	v_fmac_f32_e32 v19, v153, v5
	s_waitcnt lgkmcnt(1)
	v_fmac_f32_e32 v19, v154, v6
	s_waitcnt vmcnt(0)
	s_delay_alu instid0(VALU_DEP_1) | instskip(SKIP_1) | instid1(VALU_DEP_1)
	v_fmac_f32_e32 v19, v155, v7
	s_waitcnt lgkmcnt(0)
	v_fmac_f32_e32 v19, v156, v8
	s_delay_alu instid0(VALU_DEP_1) | instskip(NEXT) | instid1(VALU_DEP_1)
	v_fmac_f32_e32 v19, v157, v9
	v_sub_f32_e32 v2, v3, v19
	scratch_store_b32 off, v2, off offset:72
	v_cmpx_lt_u32_e32 17, v0
	s_cbranch_execz .LBB56_315
; %bb.314:
	scratch_load_b32 v2, off, off offset:68
	v_mov_b32_e32 v3, 0
	scratch_store_b32 off, v3, off offset:68
	s_waitcnt vmcnt(0)
	ds_store_b32 v1, v2
.LBB56_315:
	s_or_b32 exec_lo, exec_lo, s0
	s_waitcnt lgkmcnt(0)
	s_waitcnt_vscnt null, 0x0
	s_barrier
	buffer_gl0_inv
	s_clause 0x9
	scratch_load_b128 v[3:6], off, off offset:68
	scratch_load_b128 v[7:10], off, off offset:84
	;; [unrolled: 1-line block ×10, first 2 shown]
	v_mov_b32_e32 v2, 0
	ds_load_2addr_b64 v[159:162], v2 offset0:39 offset1:40
	ds_load_2addr_b64 v[163:166], v2 offset0:41 offset1:42
	s_mov_b32 s0, exec_lo
	s_waitcnt vmcnt(9) lgkmcnt(1)
	v_fma_f32 v19, v4, v159, 0
	s_delay_alu instid0(VALU_DEP_1) | instskip(NEXT) | instid1(VALU_DEP_1)
	v_fmac_f32_e32 v19, v5, v160
	v_fmac_f32_e32 v19, v6, v161
	s_waitcnt vmcnt(8)
	s_delay_alu instid0(VALU_DEP_1) | instskip(SKIP_3) | instid1(VALU_DEP_1)
	v_fmac_f32_e32 v19, v7, v162
	ds_load_2addr_b64 v[4:7], v2 offset0:43 offset1:44
	s_waitcnt lgkmcnt(1)
	v_fmac_f32_e32 v19, v8, v163
	v_fmac_f32_e32 v19, v9, v164
	s_delay_alu instid0(VALU_DEP_1) | instskip(SKIP_1) | instid1(VALU_DEP_1)
	v_fmac_f32_e32 v19, v10, v165
	s_waitcnt vmcnt(7)
	v_fmac_f32_e32 v19, v11, v166
	ds_load_2addr_b64 v[8:11], v2 offset0:45 offset1:46
	s_waitcnt lgkmcnt(1)
	v_fmac_f32_e32 v19, v12, v4
	s_delay_alu instid0(VALU_DEP_1) | instskip(NEXT) | instid1(VALU_DEP_1)
	v_fmac_f32_e32 v19, v13, v5
	v_fmac_f32_e32 v19, v14, v6
	s_waitcnt vmcnt(6)
	s_delay_alu instid0(VALU_DEP_1) | instskip(SKIP_3) | instid1(VALU_DEP_1)
	v_fmac_f32_e32 v19, v15, v7
	ds_load_2addr_b64 v[4:7], v2 offset0:47 offset1:48
	s_waitcnt lgkmcnt(1)
	v_fmac_f32_e32 v19, v16, v8
	v_fmac_f32_e32 v19, v17, v9
	s_delay_alu instid0(VALU_DEP_1) | instskip(SKIP_1) | instid1(VALU_DEP_1)
	v_fmac_f32_e32 v19, v18, v10
	s_waitcnt vmcnt(5)
	v_fmac_f32_e32 v19, v135, v11
	ds_load_2addr_b64 v[8:11], v2 offset0:49 offset1:50
	s_waitcnt lgkmcnt(1)
	v_fmac_f32_e32 v19, v136, v4
	s_delay_alu instid0(VALU_DEP_1) | instskip(NEXT) | instid1(VALU_DEP_1)
	v_fmac_f32_e32 v19, v137, v5
	v_fmac_f32_e32 v19, v138, v6
	s_waitcnt vmcnt(4)
	s_delay_alu instid0(VALU_DEP_1) | instskip(SKIP_3) | instid1(VALU_DEP_1)
	v_fmac_f32_e32 v19, v139, v7
	ds_load_2addr_b64 v[4:7], v2 offset0:51 offset1:52
	s_waitcnt lgkmcnt(1)
	v_fmac_f32_e32 v19, v140, v8
	v_fmac_f32_e32 v19, v141, v9
	s_delay_alu instid0(VALU_DEP_1) | instskip(SKIP_1) | instid1(VALU_DEP_1)
	v_fmac_f32_e32 v19, v142, v10
	s_waitcnt vmcnt(3)
	v_fmac_f32_e32 v19, v143, v11
	ds_load_2addr_b64 v[8:11], v2 offset0:53 offset1:54
	s_waitcnt lgkmcnt(1)
	v_fmac_f32_e32 v19, v144, v4
	s_delay_alu instid0(VALU_DEP_1) | instskip(NEXT) | instid1(VALU_DEP_1)
	v_fmac_f32_e32 v19, v145, v5
	v_fmac_f32_e32 v19, v146, v6
	s_waitcnt vmcnt(2)
	s_delay_alu instid0(VALU_DEP_1) | instskip(SKIP_3) | instid1(VALU_DEP_1)
	v_fmac_f32_e32 v19, v147, v7
	ds_load_2addr_b64 v[4:7], v2 offset0:55 offset1:56
	s_waitcnt lgkmcnt(1)
	v_fmac_f32_e32 v19, v148, v8
	v_fmac_f32_e32 v19, v149, v9
	ds_load_b64 v[8:9], v2 offset:456
	v_fmac_f32_e32 v19, v150, v10
	s_waitcnt vmcnt(1)
	s_delay_alu instid0(VALU_DEP_1) | instskip(SKIP_1) | instid1(VALU_DEP_1)
	v_fmac_f32_e32 v19, v151, v11
	s_waitcnt lgkmcnt(1)
	v_fmac_f32_e32 v19, v152, v4
	ds_load_b32 v4, v2 offset:464
	v_fmac_f32_e32 v19, v153, v5
	s_delay_alu instid0(VALU_DEP_1) | instskip(SKIP_1) | instid1(VALU_DEP_1)
	v_fmac_f32_e32 v19, v154, v6
	s_waitcnt vmcnt(0)
	v_fmac_f32_e32 v19, v155, v7
	s_waitcnt lgkmcnt(1)
	s_delay_alu instid0(VALU_DEP_1) | instskip(NEXT) | instid1(VALU_DEP_1)
	v_fmac_f32_e32 v19, v156, v8
	v_fmac_f32_e32 v19, v157, v9
	s_waitcnt lgkmcnt(0)
	s_delay_alu instid0(VALU_DEP_1) | instskip(NEXT) | instid1(VALU_DEP_1)
	v_fmac_f32_e32 v19, v158, v4
	v_sub_f32_e32 v3, v3, v19
	scratch_store_b32 off, v3, off offset:68
	v_cmpx_lt_u32_e32 16, v0
	s_cbranch_execz .LBB56_317
; %bb.316:
	scratch_load_b32 v3, off, off offset:64
	scratch_store_b32 off, v2, off offset:64
	s_waitcnt vmcnt(0)
	ds_store_b32 v1, v3
.LBB56_317:
	s_or_b32 exec_lo, exec_lo, s0
	s_waitcnt lgkmcnt(0)
	s_waitcnt_vscnt null, 0x0
	s_barrier
	buffer_gl0_inv
	s_clause 0xa
	scratch_load_b128 v[3:6], off, off offset:64
	scratch_load_b128 v[7:10], off, off offset:80
	;; [unrolled: 1-line block ×10, first 2 shown]
	scratch_load_b32 v165, off, off offset:224
	ds_load_2addr_b32 v[19:20], v2 offset0:77 offset1:78
	ds_load_2addr_b32 v[159:160], v2 offset0:79 offset1:80
	;; [unrolled: 1-line block ×4, first 2 shown]
	s_mov_b32 s0, exec_lo
	s_waitcnt vmcnt(10) lgkmcnt(3)
	v_fma_f32 v19, v4, v19, 0
	s_delay_alu instid0(VALU_DEP_1) | instskip(SKIP_4) | instid1(VALU_DEP_1)
	v_fmac_f32_e32 v19, v5, v20
	ds_load_2addr_b32 v[4:5], v2 offset0:85 offset1:86
	s_waitcnt lgkmcnt(3)
	v_fmac_f32_e32 v19, v6, v159
	s_waitcnt vmcnt(9)
	v_fmac_f32_e32 v19, v7, v160
	ds_load_2addr_b32 v[6:7], v2 offset0:87 offset1:88
	s_waitcnt lgkmcnt(3)
	v_fmac_f32_e32 v19, v8, v161
	s_delay_alu instid0(VALU_DEP_1) | instskip(SKIP_1) | instid1(VALU_DEP_1)
	v_fmac_f32_e32 v19, v9, v162
	s_waitcnt lgkmcnt(2)
	v_fmac_f32_e32 v19, v10, v163
	s_waitcnt vmcnt(8)
	s_delay_alu instid0(VALU_DEP_1) | instskip(SKIP_4) | instid1(VALU_DEP_1)
	v_fmac_f32_e32 v19, v11, v164
	ds_load_2addr_b32 v[8:9], v2 offset0:89 offset1:90
	ds_load_2addr_b32 v[10:11], v2 offset0:91 offset1:92
	s_waitcnt lgkmcnt(3)
	v_fmac_f32_e32 v19, v12, v4
	v_fmac_f32_e32 v19, v13, v5
	ds_load_2addr_b32 v[4:5], v2 offset0:93 offset1:94
	s_waitcnt lgkmcnt(3)
	v_fmac_f32_e32 v19, v14, v6
	s_waitcnt vmcnt(7)
	s_delay_alu instid0(VALU_DEP_1) | instskip(SKIP_3) | instid1(VALU_DEP_1)
	v_fmac_f32_e32 v19, v15, v7
	ds_load_2addr_b32 v[6:7], v2 offset0:95 offset1:96
	s_waitcnt lgkmcnt(3)
	v_fmac_f32_e32 v19, v16, v8
	v_fmac_f32_e32 v19, v17, v9
	s_waitcnt lgkmcnt(2)
	s_delay_alu instid0(VALU_DEP_1) | instskip(SKIP_1) | instid1(VALU_DEP_1)
	v_fmac_f32_e32 v19, v18, v10
	s_waitcnt vmcnt(6)
	v_fmac_f32_e32 v19, v135, v11
	ds_load_2addr_b32 v[8:9], v2 offset0:97 offset1:98
	ds_load_2addr_b32 v[10:11], v2 offset0:99 offset1:100
	s_waitcnt lgkmcnt(3)
	v_fmac_f32_e32 v19, v136, v4
	s_delay_alu instid0(VALU_DEP_1) | instskip(SKIP_4) | instid1(VALU_DEP_1)
	v_fmac_f32_e32 v19, v137, v5
	ds_load_2addr_b32 v[4:5], v2 offset0:101 offset1:102
	s_waitcnt lgkmcnt(3)
	v_fmac_f32_e32 v19, v138, v6
	s_waitcnt vmcnt(5)
	v_fmac_f32_e32 v19, v139, v7
	ds_load_2addr_b32 v[6:7], v2 offset0:103 offset1:104
	s_waitcnt lgkmcnt(3)
	v_fmac_f32_e32 v19, v140, v8
	s_delay_alu instid0(VALU_DEP_1) | instskip(SKIP_1) | instid1(VALU_DEP_1)
	v_fmac_f32_e32 v19, v141, v9
	s_waitcnt lgkmcnt(2)
	v_fmac_f32_e32 v19, v142, v10
	s_waitcnt vmcnt(4)
	s_delay_alu instid0(VALU_DEP_1) | instskip(SKIP_4) | instid1(VALU_DEP_1)
	v_fmac_f32_e32 v19, v143, v11
	ds_load_2addr_b32 v[8:9], v2 offset0:105 offset1:106
	ds_load_2addr_b32 v[10:11], v2 offset0:107 offset1:108
	s_waitcnt lgkmcnt(3)
	v_fmac_f32_e32 v19, v144, v4
	v_fmac_f32_e32 v19, v145, v5
	ds_load_2addr_b32 v[4:5], v2 offset0:109 offset1:110
	s_waitcnt lgkmcnt(3)
	v_fmac_f32_e32 v19, v146, v6
	s_waitcnt vmcnt(3)
	s_delay_alu instid0(VALU_DEP_1) | instskip(SKIP_3) | instid1(VALU_DEP_1)
	v_fmac_f32_e32 v19, v147, v7
	ds_load_2addr_b32 v[6:7], v2 offset0:111 offset1:112
	s_waitcnt lgkmcnt(3)
	v_fmac_f32_e32 v19, v148, v8
	v_fmac_f32_e32 v19, v149, v9
	s_waitcnt lgkmcnt(2)
	s_delay_alu instid0(VALU_DEP_1) | instskip(SKIP_1) | instid1(VALU_DEP_1)
	v_fmac_f32_e32 v19, v150, v10
	s_waitcnt vmcnt(2)
	v_fmac_f32_e32 v19, v151, v11
	ds_load_2addr_b32 v[8:9], v2 offset0:113 offset1:114
	ds_load_2addr_b32 v[10:11], v2 offset0:115 offset1:116
	s_waitcnt lgkmcnt(3)
	v_fmac_f32_e32 v19, v152, v4
	s_delay_alu instid0(VALU_DEP_1) | instskip(SKIP_1) | instid1(VALU_DEP_1)
	v_fmac_f32_e32 v19, v153, v5
	s_waitcnt lgkmcnt(2)
	v_fmac_f32_e32 v19, v154, v6
	s_waitcnt vmcnt(1)
	s_delay_alu instid0(VALU_DEP_1) | instskip(SKIP_1) | instid1(VALU_DEP_1)
	v_fmac_f32_e32 v19, v155, v7
	s_waitcnt lgkmcnt(1)
	v_fmac_f32_e32 v19, v156, v8
	s_delay_alu instid0(VALU_DEP_1) | instskip(SKIP_1) | instid1(VALU_DEP_1)
	v_fmac_f32_e32 v19, v157, v9
	s_waitcnt lgkmcnt(0)
	v_fmac_f32_e32 v19, v158, v10
	s_waitcnt vmcnt(0)
	s_delay_alu instid0(VALU_DEP_1) | instskip(NEXT) | instid1(VALU_DEP_1)
	v_fmac_f32_e32 v19, v165, v11
	v_sub_f32_e32 v2, v3, v19
	scratch_store_b32 off, v2, off offset:64
	v_cmpx_lt_u32_e32 15, v0
	s_cbranch_execz .LBB56_319
; %bb.318:
	scratch_load_b32 v2, off, off offset:60
	v_mov_b32_e32 v3, 0
	scratch_store_b32 off, v3, off offset:60
	s_waitcnt vmcnt(0)
	ds_store_b32 v1, v2
.LBB56_319:
	s_or_b32 exec_lo, exec_lo, s0
	s_waitcnt lgkmcnt(0)
	s_waitcnt_vscnt null, 0x0
	s_barrier
	buffer_gl0_inv
	s_clause 0xa
	scratch_load_b128 v[3:6], off, off offset:60
	scratch_load_b128 v[7:10], off, off offset:76
	scratch_load_b128 v[11:14], off, off offset:92
	scratch_load_b128 v[15:18], off, off offset:108
	scratch_load_b128 v[135:138], off, off offset:124
	scratch_load_b128 v[139:142], off, off offset:140
	scratch_load_b128 v[143:146], off, off offset:156
	scratch_load_b128 v[147:150], off, off offset:172
	scratch_load_b128 v[151:154], off, off offset:188
	scratch_load_b128 v[155:158], off, off offset:204
	scratch_load_b64 v[19:20], off, off offset:220
	v_mov_b32_e32 v2, 0
	ds_load_b128 v[159:162], v2 offset:304
	ds_load_b128 v[163:166], v2 offset:320
	s_mov_b32 s0, exec_lo
	s_waitcnt vmcnt(10) lgkmcnt(1)
	v_fma_f32 v159, v4, v159, 0
	s_delay_alu instid0(VALU_DEP_1) | instskip(NEXT) | instid1(VALU_DEP_1)
	v_fmac_f32_e32 v159, v5, v160
	v_fmac_f32_e32 v159, v6, v161
	s_waitcnt vmcnt(9)
	s_delay_alu instid0(VALU_DEP_1) | instskip(SKIP_3) | instid1(VALU_DEP_1)
	v_fmac_f32_e32 v159, v7, v162
	ds_load_b128 v[4:7], v2 offset:336
	s_waitcnt lgkmcnt(1)
	v_fmac_f32_e32 v159, v8, v163
	v_fmac_f32_e32 v159, v9, v164
	s_delay_alu instid0(VALU_DEP_1) | instskip(SKIP_1) | instid1(VALU_DEP_1)
	v_fmac_f32_e32 v159, v10, v165
	s_waitcnt vmcnt(8)
	v_fmac_f32_e32 v159, v11, v166
	ds_load_b128 v[8:11], v2 offset:352
	s_waitcnt lgkmcnt(1)
	v_fmac_f32_e32 v159, v12, v4
	s_delay_alu instid0(VALU_DEP_1) | instskip(NEXT) | instid1(VALU_DEP_1)
	v_fmac_f32_e32 v159, v13, v5
	v_fmac_f32_e32 v159, v14, v6
	s_waitcnt vmcnt(7)
	s_delay_alu instid0(VALU_DEP_1) | instskip(SKIP_3) | instid1(VALU_DEP_1)
	v_fmac_f32_e32 v159, v15, v7
	ds_load_b128 v[4:7], v2 offset:368
	s_waitcnt lgkmcnt(1)
	v_fmac_f32_e32 v159, v16, v8
	v_fmac_f32_e32 v159, v17, v9
	s_delay_alu instid0(VALU_DEP_1) | instskip(SKIP_1) | instid1(VALU_DEP_1)
	v_fmac_f32_e32 v159, v18, v10
	s_waitcnt vmcnt(6)
	v_fmac_f32_e32 v159, v135, v11
	ds_load_b128 v[8:11], v2 offset:384
	s_waitcnt lgkmcnt(1)
	v_fmac_f32_e32 v159, v136, v4
	;; [unrolled: 17-line block ×4, first 2 shown]
	ds_load_b32 v4, v2 offset:464
	v_fmac_f32_e32 v159, v153, v5
	s_delay_alu instid0(VALU_DEP_1) | instskip(SKIP_1) | instid1(VALU_DEP_1)
	v_fmac_f32_e32 v159, v154, v6
	s_waitcnt vmcnt(1)
	v_fmac_f32_e32 v159, v155, v7
	s_waitcnt lgkmcnt(1)
	s_delay_alu instid0(VALU_DEP_1) | instskip(NEXT) | instid1(VALU_DEP_1)
	v_fmac_f32_e32 v159, v156, v8
	v_fmac_f32_e32 v159, v157, v9
	s_delay_alu instid0(VALU_DEP_1) | instskip(SKIP_1) | instid1(VALU_DEP_1)
	v_fmac_f32_e32 v159, v158, v10
	s_waitcnt vmcnt(0)
	v_fmac_f32_e32 v159, v19, v11
	s_waitcnt lgkmcnt(0)
	s_delay_alu instid0(VALU_DEP_1) | instskip(NEXT) | instid1(VALU_DEP_1)
	v_fmac_f32_e32 v159, v20, v4
	v_sub_f32_e32 v3, v3, v159
	scratch_store_b32 off, v3, off offset:60
	v_cmpx_lt_u32_e32 14, v0
	s_cbranch_execz .LBB56_321
; %bb.320:
	scratch_load_b32 v3, off, off offset:56
	scratch_store_b32 off, v2, off offset:56
	s_waitcnt vmcnt(0)
	ds_store_b32 v1, v3
.LBB56_321:
	s_or_b32 exec_lo, exec_lo, s0
	s_waitcnt lgkmcnt(0)
	s_waitcnt_vscnt null, 0x0
	s_barrier
	buffer_gl0_inv
	s_clause 0xa
	scratch_load_b128 v[3:6], off, off offset:56
	scratch_load_b128 v[7:10], off, off offset:72
	;; [unrolled: 1-line block ×10, first 2 shown]
	scratch_load_b96 v[159:161], off, off offset:216
	ds_load_2addr_b32 v[19:20], v2 offset0:75 offset1:76
	ds_load_2addr_b32 v[162:163], v2 offset0:77 offset1:78
	;; [unrolled: 1-line block ×3, first 2 shown]
	s_mov_b32 s0, exec_lo
	s_waitcnt vmcnt(10) lgkmcnt(2)
	v_fma_f32 v19, v4, v19, 0
	s_delay_alu instid0(VALU_DEP_1) | instskip(SKIP_4) | instid1(VALU_DEP_1)
	v_fmac_f32_e32 v19, v5, v20
	ds_load_2addr_b32 v[4:5], v2 offset0:81 offset1:82
	s_waitcnt lgkmcnt(2)
	v_fmac_f32_e32 v19, v6, v162
	s_waitcnt vmcnt(9)
	v_fmac_f32_e32 v19, v7, v163
	ds_load_2addr_b32 v[6:7], v2 offset0:83 offset1:84
	s_waitcnt lgkmcnt(2)
	v_fmac_f32_e32 v19, v8, v164
	s_delay_alu instid0(VALU_DEP_1) | instskip(SKIP_4) | instid1(VALU_DEP_1)
	v_fmac_f32_e32 v19, v9, v165
	ds_load_2addr_b32 v[8:9], v2 offset0:85 offset1:86
	s_waitcnt lgkmcnt(2)
	v_fmac_f32_e32 v19, v10, v4
	s_waitcnt vmcnt(8)
	v_fmac_f32_e32 v19, v11, v5
	ds_load_2addr_b32 v[4:5], v2 offset0:87 offset1:88
	s_waitcnt lgkmcnt(2)
	v_fmac_f32_e32 v19, v12, v6
	;; [unrolled: 10-line block ×9, first 2 shown]
	s_delay_alu instid0(VALU_DEP_1) | instskip(SKIP_1) | instid1(VALU_DEP_1)
	v_fmac_f32_e32 v19, v157, v5
	s_waitcnt lgkmcnt(1)
	v_fmac_f32_e32 v19, v158, v6
	s_waitcnt vmcnt(0)
	s_delay_alu instid0(VALU_DEP_1) | instskip(SKIP_1) | instid1(VALU_DEP_1)
	v_fmac_f32_e32 v19, v159, v7
	s_waitcnt lgkmcnt(0)
	v_fmac_f32_e32 v19, v160, v8
	s_delay_alu instid0(VALU_DEP_1) | instskip(NEXT) | instid1(VALU_DEP_1)
	v_fmac_f32_e32 v19, v161, v9
	v_sub_f32_e32 v2, v3, v19
	scratch_store_b32 off, v2, off offset:56
	v_cmpx_lt_u32_e32 13, v0
	s_cbranch_execz .LBB56_323
; %bb.322:
	scratch_load_b32 v2, off, off offset:52
	v_mov_b32_e32 v3, 0
	scratch_store_b32 off, v3, off offset:52
	s_waitcnt vmcnt(0)
	ds_store_b32 v1, v2
.LBB56_323:
	s_or_b32 exec_lo, exec_lo, s0
	s_waitcnt lgkmcnt(0)
	s_waitcnt_vscnt null, 0x0
	s_barrier
	buffer_gl0_inv
	s_clause 0xa
	scratch_load_b128 v[3:6], off, off offset:52
	scratch_load_b128 v[7:10], off, off offset:68
	scratch_load_b128 v[11:14], off, off offset:84
	scratch_load_b128 v[15:18], off, off offset:100
	scratch_load_b128 v[135:138], off, off offset:116
	scratch_load_b128 v[139:142], off, off offset:132
	scratch_load_b128 v[143:146], off, off offset:148
	scratch_load_b128 v[147:150], off, off offset:164
	scratch_load_b128 v[151:154], off, off offset:180
	scratch_load_b128 v[155:158], off, off offset:196
	scratch_load_b128 v[159:162], off, off offset:212
	v_mov_b32_e32 v2, 0
	ds_load_2addr_b64 v[163:166], v2 offset0:37 offset1:38
	ds_load_2addr_b64 v[167:170], v2 offset0:39 offset1:40
	s_mov_b32 s0, exec_lo
	s_waitcnt vmcnt(10) lgkmcnt(1)
	v_fma_f32 v19, v4, v163, 0
	s_delay_alu instid0(VALU_DEP_1) | instskip(NEXT) | instid1(VALU_DEP_1)
	v_fmac_f32_e32 v19, v5, v164
	v_fmac_f32_e32 v19, v6, v165
	s_waitcnt vmcnt(9)
	s_delay_alu instid0(VALU_DEP_1) | instskip(SKIP_3) | instid1(VALU_DEP_1)
	v_fmac_f32_e32 v19, v7, v166
	ds_load_2addr_b64 v[4:7], v2 offset0:41 offset1:42
	s_waitcnt lgkmcnt(1)
	v_fmac_f32_e32 v19, v8, v167
	v_fmac_f32_e32 v19, v9, v168
	s_delay_alu instid0(VALU_DEP_1) | instskip(SKIP_1) | instid1(VALU_DEP_1)
	v_fmac_f32_e32 v19, v10, v169
	s_waitcnt vmcnt(8)
	v_fmac_f32_e32 v19, v11, v170
	ds_load_2addr_b64 v[8:11], v2 offset0:43 offset1:44
	s_waitcnt lgkmcnt(1)
	v_fmac_f32_e32 v19, v12, v4
	s_delay_alu instid0(VALU_DEP_1) | instskip(NEXT) | instid1(VALU_DEP_1)
	v_fmac_f32_e32 v19, v13, v5
	v_fmac_f32_e32 v19, v14, v6
	s_waitcnt vmcnt(7)
	s_delay_alu instid0(VALU_DEP_1) | instskip(SKIP_3) | instid1(VALU_DEP_1)
	v_fmac_f32_e32 v19, v15, v7
	ds_load_2addr_b64 v[4:7], v2 offset0:45 offset1:46
	s_waitcnt lgkmcnt(1)
	v_fmac_f32_e32 v19, v16, v8
	v_fmac_f32_e32 v19, v17, v9
	s_delay_alu instid0(VALU_DEP_1) | instskip(SKIP_1) | instid1(VALU_DEP_1)
	v_fmac_f32_e32 v19, v18, v10
	s_waitcnt vmcnt(6)
	v_fmac_f32_e32 v19, v135, v11
	ds_load_2addr_b64 v[8:11], v2 offset0:47 offset1:48
	s_waitcnt lgkmcnt(1)
	v_fmac_f32_e32 v19, v136, v4
	;; [unrolled: 17-line block ×4, first 2 shown]
	s_delay_alu instid0(VALU_DEP_1)
	v_fmac_f32_e32 v19, v153, v5
	ds_load_b64 v[4:5], v2 offset:456
	v_fmac_f32_e32 v19, v154, v6
	ds_load_b32 v6, v2 offset:464
	s_waitcnt vmcnt(1)
	v_fmac_f32_e32 v19, v155, v7
	s_waitcnt lgkmcnt(2)
	s_delay_alu instid0(VALU_DEP_1) | instskip(NEXT) | instid1(VALU_DEP_1)
	v_fmac_f32_e32 v19, v156, v8
	v_fmac_f32_e32 v19, v157, v9
	s_delay_alu instid0(VALU_DEP_1) | instskip(SKIP_1) | instid1(VALU_DEP_1)
	v_fmac_f32_e32 v19, v158, v10
	s_waitcnt vmcnt(0)
	v_fmac_f32_e32 v19, v159, v11
	s_waitcnt lgkmcnt(1)
	s_delay_alu instid0(VALU_DEP_1) | instskip(NEXT) | instid1(VALU_DEP_1)
	v_fmac_f32_e32 v19, v160, v4
	v_fmac_f32_e32 v19, v161, v5
	s_waitcnt lgkmcnt(0)
	s_delay_alu instid0(VALU_DEP_1) | instskip(NEXT) | instid1(VALU_DEP_1)
	v_fmac_f32_e32 v19, v162, v6
	v_sub_f32_e32 v3, v3, v19
	scratch_store_b32 off, v3, off offset:52
	v_cmpx_lt_u32_e32 12, v0
	s_cbranch_execz .LBB56_325
; %bb.324:
	scratch_load_b32 v3, off, off offset:48
	scratch_store_b32 off, v2, off offset:48
	s_waitcnt vmcnt(0)
	ds_store_b32 v1, v3
.LBB56_325:
	s_or_b32 exec_lo, exec_lo, s0
	s_waitcnt lgkmcnt(0)
	s_waitcnt_vscnt null, 0x0
	s_barrier
	buffer_gl0_inv
	s_clause 0xb
	scratch_load_b128 v[3:6], off, off offset:48
	scratch_load_b128 v[7:10], off, off offset:64
	;; [unrolled: 1-line block ×11, first 2 shown]
	scratch_load_b32 v169, off, off offset:224
	ds_load_2addr_b32 v[19:20], v2 offset0:73 offset1:74
	ds_load_2addr_b32 v[163:164], v2 offset0:75 offset1:76
	;; [unrolled: 1-line block ×4, first 2 shown]
	s_mov_b32 s0, exec_lo
	s_waitcnt vmcnt(11) lgkmcnt(3)
	v_fma_f32 v19, v4, v19, 0
	s_delay_alu instid0(VALU_DEP_1) | instskip(SKIP_4) | instid1(VALU_DEP_1)
	v_fmac_f32_e32 v19, v5, v20
	ds_load_2addr_b32 v[4:5], v2 offset0:81 offset1:82
	s_waitcnt lgkmcnt(3)
	v_fmac_f32_e32 v19, v6, v163
	s_waitcnt vmcnt(10)
	v_fmac_f32_e32 v19, v7, v164
	ds_load_2addr_b32 v[6:7], v2 offset0:83 offset1:84
	s_waitcnt lgkmcnt(3)
	v_fmac_f32_e32 v19, v8, v165
	s_delay_alu instid0(VALU_DEP_1) | instskip(SKIP_1) | instid1(VALU_DEP_1)
	v_fmac_f32_e32 v19, v9, v166
	s_waitcnt lgkmcnt(2)
	v_fmac_f32_e32 v19, v10, v167
	s_waitcnt vmcnt(9)
	s_delay_alu instid0(VALU_DEP_1) | instskip(SKIP_4) | instid1(VALU_DEP_1)
	v_fmac_f32_e32 v19, v11, v168
	ds_load_2addr_b32 v[8:9], v2 offset0:85 offset1:86
	ds_load_2addr_b32 v[10:11], v2 offset0:87 offset1:88
	s_waitcnt lgkmcnt(3)
	v_fmac_f32_e32 v19, v12, v4
	v_fmac_f32_e32 v19, v13, v5
	ds_load_2addr_b32 v[4:5], v2 offset0:89 offset1:90
	s_waitcnt lgkmcnt(3)
	v_fmac_f32_e32 v19, v14, v6
	s_waitcnt vmcnt(8)
	s_delay_alu instid0(VALU_DEP_1) | instskip(SKIP_3) | instid1(VALU_DEP_1)
	v_fmac_f32_e32 v19, v15, v7
	ds_load_2addr_b32 v[6:7], v2 offset0:91 offset1:92
	s_waitcnt lgkmcnt(3)
	v_fmac_f32_e32 v19, v16, v8
	v_fmac_f32_e32 v19, v17, v9
	s_waitcnt lgkmcnt(2)
	s_delay_alu instid0(VALU_DEP_1) | instskip(SKIP_1) | instid1(VALU_DEP_1)
	v_fmac_f32_e32 v19, v18, v10
	s_waitcnt vmcnt(7)
	v_fmac_f32_e32 v19, v135, v11
	ds_load_2addr_b32 v[8:9], v2 offset0:93 offset1:94
	ds_load_2addr_b32 v[10:11], v2 offset0:95 offset1:96
	s_waitcnt lgkmcnt(3)
	v_fmac_f32_e32 v19, v136, v4
	s_delay_alu instid0(VALU_DEP_1) | instskip(SKIP_4) | instid1(VALU_DEP_1)
	v_fmac_f32_e32 v19, v137, v5
	ds_load_2addr_b32 v[4:5], v2 offset0:97 offset1:98
	s_waitcnt lgkmcnt(3)
	v_fmac_f32_e32 v19, v138, v6
	s_waitcnt vmcnt(6)
	v_fmac_f32_e32 v19, v139, v7
	ds_load_2addr_b32 v[6:7], v2 offset0:99 offset1:100
	s_waitcnt lgkmcnt(3)
	v_fmac_f32_e32 v19, v140, v8
	s_delay_alu instid0(VALU_DEP_1) | instskip(SKIP_1) | instid1(VALU_DEP_1)
	v_fmac_f32_e32 v19, v141, v9
	s_waitcnt lgkmcnt(2)
	v_fmac_f32_e32 v19, v142, v10
	s_waitcnt vmcnt(5)
	s_delay_alu instid0(VALU_DEP_1) | instskip(SKIP_4) | instid1(VALU_DEP_1)
	v_fmac_f32_e32 v19, v143, v11
	ds_load_2addr_b32 v[8:9], v2 offset0:101 offset1:102
	ds_load_2addr_b32 v[10:11], v2 offset0:103 offset1:104
	s_waitcnt lgkmcnt(3)
	v_fmac_f32_e32 v19, v144, v4
	v_fmac_f32_e32 v19, v145, v5
	ds_load_2addr_b32 v[4:5], v2 offset0:105 offset1:106
	s_waitcnt lgkmcnt(3)
	v_fmac_f32_e32 v19, v146, v6
	s_waitcnt vmcnt(4)
	s_delay_alu instid0(VALU_DEP_1) | instskip(SKIP_3) | instid1(VALU_DEP_1)
	v_fmac_f32_e32 v19, v147, v7
	ds_load_2addr_b32 v[6:7], v2 offset0:107 offset1:108
	s_waitcnt lgkmcnt(3)
	v_fmac_f32_e32 v19, v148, v8
	v_fmac_f32_e32 v19, v149, v9
	s_waitcnt lgkmcnt(2)
	s_delay_alu instid0(VALU_DEP_1) | instskip(SKIP_1) | instid1(VALU_DEP_1)
	v_fmac_f32_e32 v19, v150, v10
	s_waitcnt vmcnt(3)
	v_fmac_f32_e32 v19, v151, v11
	ds_load_2addr_b32 v[8:9], v2 offset0:109 offset1:110
	ds_load_2addr_b32 v[10:11], v2 offset0:111 offset1:112
	s_waitcnt lgkmcnt(3)
	v_fmac_f32_e32 v19, v152, v4
	s_delay_alu instid0(VALU_DEP_1) | instskip(SKIP_4) | instid1(VALU_DEP_1)
	v_fmac_f32_e32 v19, v153, v5
	ds_load_2addr_b32 v[4:5], v2 offset0:113 offset1:114
	s_waitcnt lgkmcnt(3)
	v_fmac_f32_e32 v19, v154, v6
	s_waitcnt vmcnt(2)
	v_fmac_f32_e32 v19, v155, v7
	ds_load_2addr_b32 v[6:7], v2 offset0:115 offset1:116
	s_waitcnt lgkmcnt(3)
	v_fmac_f32_e32 v19, v156, v8
	s_delay_alu instid0(VALU_DEP_1) | instskip(SKIP_1) | instid1(VALU_DEP_1)
	v_fmac_f32_e32 v19, v157, v9
	s_waitcnt lgkmcnt(2)
	v_fmac_f32_e32 v19, v158, v10
	s_waitcnt vmcnt(1)
	s_delay_alu instid0(VALU_DEP_1) | instskip(SKIP_1) | instid1(VALU_DEP_1)
	v_fmac_f32_e32 v19, v159, v11
	s_waitcnt lgkmcnt(1)
	v_fmac_f32_e32 v19, v160, v4
	s_delay_alu instid0(VALU_DEP_1) | instskip(SKIP_1) | instid1(VALU_DEP_1)
	v_fmac_f32_e32 v19, v161, v5
	s_waitcnt lgkmcnt(0)
	v_fmac_f32_e32 v19, v162, v6
	s_waitcnt vmcnt(0)
	s_delay_alu instid0(VALU_DEP_1) | instskip(NEXT) | instid1(VALU_DEP_1)
	v_fmac_f32_e32 v19, v169, v7
	v_sub_f32_e32 v2, v3, v19
	scratch_store_b32 off, v2, off offset:48
	v_cmpx_lt_u32_e32 11, v0
	s_cbranch_execz .LBB56_327
; %bb.326:
	scratch_load_b32 v2, off, off offset:44
	v_mov_b32_e32 v3, 0
	scratch_store_b32 off, v3, off offset:44
	s_waitcnt vmcnt(0)
	ds_store_b32 v1, v2
.LBB56_327:
	s_or_b32 exec_lo, exec_lo, s0
	s_waitcnt lgkmcnt(0)
	s_waitcnt_vscnt null, 0x0
	s_barrier
	buffer_gl0_inv
	s_clause 0xb
	scratch_load_b128 v[3:6], off, off offset:44
	scratch_load_b128 v[7:10], off, off offset:60
	;; [unrolled: 1-line block ×11, first 2 shown]
	scratch_load_b64 v[19:20], off, off offset:220
	v_mov_b32_e32 v2, 0
	ds_load_b128 v[163:166], v2 offset:288
	ds_load_b128 v[167:170], v2 offset:304
	s_mov_b32 s0, exec_lo
	s_waitcnt vmcnt(11) lgkmcnt(1)
	v_fma_f32 v163, v4, v163, 0
	s_delay_alu instid0(VALU_DEP_1) | instskip(NEXT) | instid1(VALU_DEP_1)
	v_fmac_f32_e32 v163, v5, v164
	v_fmac_f32_e32 v163, v6, v165
	s_waitcnt vmcnt(10)
	s_delay_alu instid0(VALU_DEP_1) | instskip(SKIP_3) | instid1(VALU_DEP_1)
	v_fmac_f32_e32 v163, v7, v166
	ds_load_b128 v[4:7], v2 offset:320
	s_waitcnt lgkmcnt(1)
	v_fmac_f32_e32 v163, v8, v167
	v_fmac_f32_e32 v163, v9, v168
	s_delay_alu instid0(VALU_DEP_1) | instskip(SKIP_1) | instid1(VALU_DEP_1)
	v_fmac_f32_e32 v163, v10, v169
	s_waitcnt vmcnt(9)
	v_fmac_f32_e32 v163, v11, v170
	ds_load_b128 v[8:11], v2 offset:336
	s_waitcnt lgkmcnt(1)
	v_fmac_f32_e32 v163, v12, v4
	s_delay_alu instid0(VALU_DEP_1) | instskip(NEXT) | instid1(VALU_DEP_1)
	v_fmac_f32_e32 v163, v13, v5
	v_fmac_f32_e32 v163, v14, v6
	s_waitcnt vmcnt(8)
	s_delay_alu instid0(VALU_DEP_1) | instskip(SKIP_3) | instid1(VALU_DEP_1)
	v_fmac_f32_e32 v163, v15, v7
	ds_load_b128 v[4:7], v2 offset:352
	s_waitcnt lgkmcnt(1)
	v_fmac_f32_e32 v163, v16, v8
	v_fmac_f32_e32 v163, v17, v9
	s_delay_alu instid0(VALU_DEP_1) | instskip(SKIP_1) | instid1(VALU_DEP_1)
	v_fmac_f32_e32 v163, v18, v10
	s_waitcnt vmcnt(7)
	v_fmac_f32_e32 v163, v135, v11
	ds_load_b128 v[8:11], v2 offset:368
	s_waitcnt lgkmcnt(1)
	v_fmac_f32_e32 v163, v136, v4
	;; [unrolled: 17-line block ×4, first 2 shown]
	s_delay_alu instid0(VALU_DEP_1) | instskip(NEXT) | instid1(VALU_DEP_1)
	v_fmac_f32_e32 v163, v153, v5
	v_fmac_f32_e32 v163, v154, v6
	s_waitcnt vmcnt(2)
	s_delay_alu instid0(VALU_DEP_1)
	v_fmac_f32_e32 v163, v155, v7
	ds_load_b128 v[4:7], v2 offset:448
	s_waitcnt lgkmcnt(1)
	v_fmac_f32_e32 v163, v156, v8
	ds_load_b32 v8, v2 offset:464
	v_fmac_f32_e32 v163, v157, v9
	s_delay_alu instid0(VALU_DEP_1) | instskip(SKIP_1) | instid1(VALU_DEP_1)
	v_fmac_f32_e32 v163, v158, v10
	s_waitcnt vmcnt(1)
	v_fmac_f32_e32 v163, v159, v11
	s_waitcnt lgkmcnt(1)
	s_delay_alu instid0(VALU_DEP_1) | instskip(NEXT) | instid1(VALU_DEP_1)
	v_fmac_f32_e32 v163, v160, v4
	v_fmac_f32_e32 v163, v161, v5
	s_delay_alu instid0(VALU_DEP_1) | instskip(SKIP_1) | instid1(VALU_DEP_1)
	v_fmac_f32_e32 v163, v162, v6
	s_waitcnt vmcnt(0)
	v_fmac_f32_e32 v163, v19, v7
	s_waitcnt lgkmcnt(0)
	s_delay_alu instid0(VALU_DEP_1) | instskip(NEXT) | instid1(VALU_DEP_1)
	v_fmac_f32_e32 v163, v20, v8
	v_sub_f32_e32 v3, v3, v163
	scratch_store_b32 off, v3, off offset:44
	v_cmpx_lt_u32_e32 10, v0
	s_cbranch_execz .LBB56_329
; %bb.328:
	scratch_load_b32 v3, off, off offset:40
	scratch_store_b32 off, v2, off offset:40
	s_waitcnt vmcnt(0)
	ds_store_b32 v1, v3
.LBB56_329:
	s_or_b32 exec_lo, exec_lo, s0
	s_waitcnt lgkmcnt(0)
	s_waitcnt_vscnt null, 0x0
	s_barrier
	buffer_gl0_inv
	s_clause 0xb
	scratch_load_b128 v[3:6], off, off offset:40
	scratch_load_b128 v[7:10], off, off offset:56
	;; [unrolled: 1-line block ×11, first 2 shown]
	scratch_load_b96 v[163:165], off, off offset:216
	ds_load_2addr_b32 v[19:20], v2 offset0:71 offset1:72
	ds_load_2addr_b32 v[166:167], v2 offset0:73 offset1:74
	;; [unrolled: 1-line block ×4, first 2 shown]
	s_mov_b32 s0, exec_lo
	s_waitcnt vmcnt(11) lgkmcnt(3)
	v_fma_f32 v19, v4, v19, 0
	s_delay_alu instid0(VALU_DEP_1) | instskip(SKIP_4) | instid1(VALU_DEP_1)
	v_fmac_f32_e32 v19, v5, v20
	ds_load_2addr_b32 v[4:5], v2 offset0:79 offset1:80
	s_waitcnt lgkmcnt(3)
	v_fmac_f32_e32 v19, v6, v166
	s_waitcnt vmcnt(10)
	v_fmac_f32_e32 v19, v7, v167
	ds_load_2addr_b32 v[6:7], v2 offset0:81 offset1:82
	s_waitcnt lgkmcnt(3)
	v_fmac_f32_e32 v19, v8, v168
	s_delay_alu instid0(VALU_DEP_1) | instskip(SKIP_1) | instid1(VALU_DEP_1)
	v_fmac_f32_e32 v19, v9, v169
	s_waitcnt lgkmcnt(2)
	v_fmac_f32_e32 v19, v10, v170
	s_waitcnt vmcnt(9)
	s_delay_alu instid0(VALU_DEP_1) | instskip(SKIP_4) | instid1(VALU_DEP_1)
	v_fmac_f32_e32 v19, v11, v171
	ds_load_2addr_b32 v[8:9], v2 offset0:83 offset1:84
	ds_load_2addr_b32 v[10:11], v2 offset0:85 offset1:86
	s_waitcnt lgkmcnt(3)
	v_fmac_f32_e32 v19, v12, v4
	v_fmac_f32_e32 v19, v13, v5
	ds_load_2addr_b32 v[4:5], v2 offset0:87 offset1:88
	s_waitcnt lgkmcnt(3)
	v_fmac_f32_e32 v19, v14, v6
	s_waitcnt vmcnt(8)
	s_delay_alu instid0(VALU_DEP_1) | instskip(SKIP_3) | instid1(VALU_DEP_1)
	v_fmac_f32_e32 v19, v15, v7
	ds_load_2addr_b32 v[6:7], v2 offset0:89 offset1:90
	s_waitcnt lgkmcnt(3)
	v_fmac_f32_e32 v19, v16, v8
	v_fmac_f32_e32 v19, v17, v9
	s_waitcnt lgkmcnt(2)
	s_delay_alu instid0(VALU_DEP_1) | instskip(SKIP_1) | instid1(VALU_DEP_1)
	v_fmac_f32_e32 v19, v18, v10
	s_waitcnt vmcnt(7)
	v_fmac_f32_e32 v19, v135, v11
	ds_load_2addr_b32 v[8:9], v2 offset0:91 offset1:92
	ds_load_2addr_b32 v[10:11], v2 offset0:93 offset1:94
	s_waitcnt lgkmcnt(3)
	v_fmac_f32_e32 v19, v136, v4
	s_delay_alu instid0(VALU_DEP_1) | instskip(SKIP_4) | instid1(VALU_DEP_1)
	v_fmac_f32_e32 v19, v137, v5
	ds_load_2addr_b32 v[4:5], v2 offset0:95 offset1:96
	s_waitcnt lgkmcnt(3)
	v_fmac_f32_e32 v19, v138, v6
	s_waitcnt vmcnt(6)
	v_fmac_f32_e32 v19, v139, v7
	ds_load_2addr_b32 v[6:7], v2 offset0:97 offset1:98
	s_waitcnt lgkmcnt(3)
	v_fmac_f32_e32 v19, v140, v8
	s_delay_alu instid0(VALU_DEP_1) | instskip(SKIP_1) | instid1(VALU_DEP_1)
	v_fmac_f32_e32 v19, v141, v9
	s_waitcnt lgkmcnt(2)
	v_fmac_f32_e32 v19, v142, v10
	s_waitcnt vmcnt(5)
	s_delay_alu instid0(VALU_DEP_1) | instskip(SKIP_4) | instid1(VALU_DEP_1)
	v_fmac_f32_e32 v19, v143, v11
	ds_load_2addr_b32 v[8:9], v2 offset0:99 offset1:100
	ds_load_2addr_b32 v[10:11], v2 offset0:101 offset1:102
	s_waitcnt lgkmcnt(3)
	v_fmac_f32_e32 v19, v144, v4
	v_fmac_f32_e32 v19, v145, v5
	ds_load_2addr_b32 v[4:5], v2 offset0:103 offset1:104
	s_waitcnt lgkmcnt(3)
	v_fmac_f32_e32 v19, v146, v6
	s_waitcnt vmcnt(4)
	s_delay_alu instid0(VALU_DEP_1) | instskip(SKIP_3) | instid1(VALU_DEP_1)
	v_fmac_f32_e32 v19, v147, v7
	ds_load_2addr_b32 v[6:7], v2 offset0:105 offset1:106
	s_waitcnt lgkmcnt(3)
	v_fmac_f32_e32 v19, v148, v8
	v_fmac_f32_e32 v19, v149, v9
	s_waitcnt lgkmcnt(2)
	s_delay_alu instid0(VALU_DEP_1) | instskip(SKIP_1) | instid1(VALU_DEP_1)
	v_fmac_f32_e32 v19, v150, v10
	s_waitcnt vmcnt(3)
	v_fmac_f32_e32 v19, v151, v11
	ds_load_2addr_b32 v[8:9], v2 offset0:107 offset1:108
	ds_load_2addr_b32 v[10:11], v2 offset0:109 offset1:110
	s_waitcnt lgkmcnt(3)
	v_fmac_f32_e32 v19, v152, v4
	s_delay_alu instid0(VALU_DEP_1) | instskip(SKIP_4) | instid1(VALU_DEP_1)
	v_fmac_f32_e32 v19, v153, v5
	ds_load_2addr_b32 v[4:5], v2 offset0:111 offset1:112
	s_waitcnt lgkmcnt(3)
	v_fmac_f32_e32 v19, v154, v6
	s_waitcnt vmcnt(2)
	v_fmac_f32_e32 v19, v155, v7
	ds_load_2addr_b32 v[6:7], v2 offset0:113 offset1:114
	s_waitcnt lgkmcnt(3)
	v_fmac_f32_e32 v19, v156, v8
	s_delay_alu instid0(VALU_DEP_1) | instskip(SKIP_4) | instid1(VALU_DEP_1)
	v_fmac_f32_e32 v19, v157, v9
	ds_load_2addr_b32 v[8:9], v2 offset0:115 offset1:116
	s_waitcnt lgkmcnt(3)
	v_fmac_f32_e32 v19, v158, v10
	s_waitcnt vmcnt(1)
	v_fmac_f32_e32 v19, v159, v11
	s_waitcnt lgkmcnt(2)
	s_delay_alu instid0(VALU_DEP_1) | instskip(NEXT) | instid1(VALU_DEP_1)
	v_fmac_f32_e32 v19, v160, v4
	v_fmac_f32_e32 v19, v161, v5
	s_waitcnt lgkmcnt(1)
	s_delay_alu instid0(VALU_DEP_1) | instskip(SKIP_1) | instid1(VALU_DEP_1)
	v_fmac_f32_e32 v19, v162, v6
	s_waitcnt vmcnt(0)
	v_fmac_f32_e32 v19, v163, v7
	s_waitcnt lgkmcnt(0)
	s_delay_alu instid0(VALU_DEP_1) | instskip(NEXT) | instid1(VALU_DEP_1)
	v_fmac_f32_e32 v19, v164, v8
	v_fmac_f32_e32 v19, v165, v9
	s_delay_alu instid0(VALU_DEP_1)
	v_sub_f32_e32 v2, v3, v19
	scratch_store_b32 off, v2, off offset:40
	v_cmpx_lt_u32_e32 9, v0
	s_cbranch_execz .LBB56_331
; %bb.330:
	scratch_load_b32 v2, off, off offset:36
	v_mov_b32_e32 v3, 0
	scratch_store_b32 off, v3, off offset:36
	s_waitcnt vmcnt(0)
	ds_store_b32 v1, v2
.LBB56_331:
	s_or_b32 exec_lo, exec_lo, s0
	s_waitcnt lgkmcnt(0)
	s_waitcnt_vscnt null, 0x0
	s_barrier
	buffer_gl0_inv
	s_clause 0xb
	scratch_load_b128 v[3:6], off, off offset:36
	scratch_load_b128 v[7:10], off, off offset:52
	;; [unrolled: 1-line block ×12, first 2 shown]
	v_mov_b32_e32 v2, 0
	ds_load_2addr_b64 v[167:170], v2 offset0:35 offset1:36
	ds_load_2addr_b64 v[171:174], v2 offset0:37 offset1:38
	s_mov_b32 s0, exec_lo
	s_waitcnt vmcnt(11) lgkmcnt(1)
	v_fma_f32 v19, v4, v167, 0
	s_delay_alu instid0(VALU_DEP_1) | instskip(NEXT) | instid1(VALU_DEP_1)
	v_fmac_f32_e32 v19, v5, v168
	v_fmac_f32_e32 v19, v6, v169
	s_waitcnt vmcnt(10)
	s_delay_alu instid0(VALU_DEP_1) | instskip(SKIP_3) | instid1(VALU_DEP_1)
	v_fmac_f32_e32 v19, v7, v170
	ds_load_2addr_b64 v[4:7], v2 offset0:39 offset1:40
	s_waitcnt lgkmcnt(1)
	v_fmac_f32_e32 v19, v8, v171
	v_fmac_f32_e32 v19, v9, v172
	s_delay_alu instid0(VALU_DEP_1) | instskip(SKIP_1) | instid1(VALU_DEP_1)
	v_fmac_f32_e32 v19, v10, v173
	s_waitcnt vmcnt(9)
	v_fmac_f32_e32 v19, v11, v174
	ds_load_2addr_b64 v[8:11], v2 offset0:41 offset1:42
	s_waitcnt lgkmcnt(1)
	v_fmac_f32_e32 v19, v12, v4
	s_delay_alu instid0(VALU_DEP_1) | instskip(NEXT) | instid1(VALU_DEP_1)
	v_fmac_f32_e32 v19, v13, v5
	v_fmac_f32_e32 v19, v14, v6
	s_waitcnt vmcnt(8)
	s_delay_alu instid0(VALU_DEP_1) | instskip(SKIP_3) | instid1(VALU_DEP_1)
	v_fmac_f32_e32 v19, v15, v7
	ds_load_2addr_b64 v[4:7], v2 offset0:43 offset1:44
	s_waitcnt lgkmcnt(1)
	v_fmac_f32_e32 v19, v16, v8
	v_fmac_f32_e32 v19, v17, v9
	s_delay_alu instid0(VALU_DEP_1) | instskip(SKIP_1) | instid1(VALU_DEP_1)
	v_fmac_f32_e32 v19, v18, v10
	s_waitcnt vmcnt(7)
	v_fmac_f32_e32 v19, v135, v11
	ds_load_2addr_b64 v[8:11], v2 offset0:45 offset1:46
	s_waitcnt lgkmcnt(1)
	v_fmac_f32_e32 v19, v136, v4
	;; [unrolled: 17-line block ×4, first 2 shown]
	s_delay_alu instid0(VALU_DEP_1) | instskip(NEXT) | instid1(VALU_DEP_1)
	v_fmac_f32_e32 v19, v153, v5
	v_fmac_f32_e32 v19, v154, v6
	s_waitcnt vmcnt(2)
	s_delay_alu instid0(VALU_DEP_1) | instskip(SKIP_3) | instid1(VALU_DEP_1)
	v_fmac_f32_e32 v19, v155, v7
	ds_load_2addr_b64 v[4:7], v2 offset0:55 offset1:56
	s_waitcnt lgkmcnt(1)
	v_fmac_f32_e32 v19, v156, v8
	v_fmac_f32_e32 v19, v157, v9
	ds_load_b64 v[8:9], v2 offset:456
	v_fmac_f32_e32 v19, v158, v10
	s_waitcnt vmcnt(1)
	s_delay_alu instid0(VALU_DEP_1) | instskip(SKIP_1) | instid1(VALU_DEP_1)
	v_fmac_f32_e32 v19, v159, v11
	s_waitcnt lgkmcnt(1)
	v_fmac_f32_e32 v19, v160, v4
	ds_load_b32 v4, v2 offset:464
	v_fmac_f32_e32 v19, v161, v5
	s_delay_alu instid0(VALU_DEP_1) | instskip(SKIP_1) | instid1(VALU_DEP_1)
	v_fmac_f32_e32 v19, v162, v6
	s_waitcnt vmcnt(0)
	v_fmac_f32_e32 v19, v163, v7
	s_waitcnt lgkmcnt(1)
	s_delay_alu instid0(VALU_DEP_1) | instskip(NEXT) | instid1(VALU_DEP_1)
	v_fmac_f32_e32 v19, v164, v8
	v_fmac_f32_e32 v19, v165, v9
	s_waitcnt lgkmcnt(0)
	s_delay_alu instid0(VALU_DEP_1) | instskip(NEXT) | instid1(VALU_DEP_1)
	v_fmac_f32_e32 v19, v166, v4
	v_sub_f32_e32 v3, v3, v19
	scratch_store_b32 off, v3, off offset:36
	v_cmpx_lt_u32_e32 8, v0
	s_cbranch_execz .LBB56_333
; %bb.332:
	scratch_load_b32 v3, off, off offset:32
	scratch_store_b32 off, v2, off offset:32
	s_waitcnt vmcnt(0)
	ds_store_b32 v1, v3
.LBB56_333:
	s_or_b32 exec_lo, exec_lo, s0
	s_waitcnt lgkmcnt(0)
	s_waitcnt_vscnt null, 0x0
	s_barrier
	buffer_gl0_inv
	s_clause 0xc
	scratch_load_b128 v[3:6], off, off offset:32
	scratch_load_b128 v[7:10], off, off offset:48
	;; [unrolled: 1-line block ×12, first 2 shown]
	scratch_load_b32 v173, off, off offset:224
	ds_load_2addr_b32 v[19:20], v2 offset0:69 offset1:70
	ds_load_2addr_b32 v[167:168], v2 offset0:71 offset1:72
	;; [unrolled: 1-line block ×4, first 2 shown]
	s_mov_b32 s0, exec_lo
	s_waitcnt vmcnt(12) lgkmcnt(3)
	v_fma_f32 v19, v4, v19, 0
	s_delay_alu instid0(VALU_DEP_1) | instskip(SKIP_4) | instid1(VALU_DEP_1)
	v_fmac_f32_e32 v19, v5, v20
	ds_load_2addr_b32 v[4:5], v2 offset0:77 offset1:78
	s_waitcnt lgkmcnt(3)
	v_fmac_f32_e32 v19, v6, v167
	s_waitcnt vmcnt(11)
	v_fmac_f32_e32 v19, v7, v168
	ds_load_2addr_b32 v[6:7], v2 offset0:79 offset1:80
	s_waitcnt lgkmcnt(3)
	v_fmac_f32_e32 v19, v8, v169
	s_delay_alu instid0(VALU_DEP_1) | instskip(SKIP_1) | instid1(VALU_DEP_1)
	v_fmac_f32_e32 v19, v9, v170
	s_waitcnt lgkmcnt(2)
	v_fmac_f32_e32 v19, v10, v171
	s_waitcnt vmcnt(10)
	s_delay_alu instid0(VALU_DEP_1) | instskip(SKIP_4) | instid1(VALU_DEP_1)
	v_fmac_f32_e32 v19, v11, v172
	ds_load_2addr_b32 v[8:9], v2 offset0:81 offset1:82
	ds_load_2addr_b32 v[10:11], v2 offset0:83 offset1:84
	s_waitcnt lgkmcnt(3)
	v_fmac_f32_e32 v19, v12, v4
	v_fmac_f32_e32 v19, v13, v5
	ds_load_2addr_b32 v[4:5], v2 offset0:85 offset1:86
	s_waitcnt lgkmcnt(3)
	v_fmac_f32_e32 v19, v14, v6
	s_waitcnt vmcnt(9)
	s_delay_alu instid0(VALU_DEP_1) | instskip(SKIP_3) | instid1(VALU_DEP_1)
	v_fmac_f32_e32 v19, v15, v7
	ds_load_2addr_b32 v[6:7], v2 offset0:87 offset1:88
	s_waitcnt lgkmcnt(3)
	v_fmac_f32_e32 v19, v16, v8
	v_fmac_f32_e32 v19, v17, v9
	s_waitcnt lgkmcnt(2)
	s_delay_alu instid0(VALU_DEP_1) | instskip(SKIP_1) | instid1(VALU_DEP_1)
	v_fmac_f32_e32 v19, v18, v10
	s_waitcnt vmcnt(8)
	v_fmac_f32_e32 v19, v135, v11
	ds_load_2addr_b32 v[8:9], v2 offset0:89 offset1:90
	ds_load_2addr_b32 v[10:11], v2 offset0:91 offset1:92
	s_waitcnt lgkmcnt(3)
	v_fmac_f32_e32 v19, v136, v4
	s_delay_alu instid0(VALU_DEP_1) | instskip(SKIP_4) | instid1(VALU_DEP_1)
	v_fmac_f32_e32 v19, v137, v5
	ds_load_2addr_b32 v[4:5], v2 offset0:93 offset1:94
	s_waitcnt lgkmcnt(3)
	v_fmac_f32_e32 v19, v138, v6
	s_waitcnt vmcnt(7)
	v_fmac_f32_e32 v19, v139, v7
	ds_load_2addr_b32 v[6:7], v2 offset0:95 offset1:96
	s_waitcnt lgkmcnt(3)
	v_fmac_f32_e32 v19, v140, v8
	s_delay_alu instid0(VALU_DEP_1) | instskip(SKIP_1) | instid1(VALU_DEP_1)
	v_fmac_f32_e32 v19, v141, v9
	s_waitcnt lgkmcnt(2)
	v_fmac_f32_e32 v19, v142, v10
	s_waitcnt vmcnt(6)
	s_delay_alu instid0(VALU_DEP_1) | instskip(SKIP_4) | instid1(VALU_DEP_1)
	v_fmac_f32_e32 v19, v143, v11
	ds_load_2addr_b32 v[8:9], v2 offset0:97 offset1:98
	ds_load_2addr_b32 v[10:11], v2 offset0:99 offset1:100
	s_waitcnt lgkmcnt(3)
	v_fmac_f32_e32 v19, v144, v4
	v_fmac_f32_e32 v19, v145, v5
	ds_load_2addr_b32 v[4:5], v2 offset0:101 offset1:102
	s_waitcnt lgkmcnt(3)
	v_fmac_f32_e32 v19, v146, v6
	s_waitcnt vmcnt(5)
	s_delay_alu instid0(VALU_DEP_1) | instskip(SKIP_3) | instid1(VALU_DEP_1)
	v_fmac_f32_e32 v19, v147, v7
	ds_load_2addr_b32 v[6:7], v2 offset0:103 offset1:104
	s_waitcnt lgkmcnt(3)
	v_fmac_f32_e32 v19, v148, v8
	v_fmac_f32_e32 v19, v149, v9
	s_waitcnt lgkmcnt(2)
	s_delay_alu instid0(VALU_DEP_1) | instskip(SKIP_1) | instid1(VALU_DEP_1)
	v_fmac_f32_e32 v19, v150, v10
	s_waitcnt vmcnt(4)
	v_fmac_f32_e32 v19, v151, v11
	ds_load_2addr_b32 v[8:9], v2 offset0:105 offset1:106
	ds_load_2addr_b32 v[10:11], v2 offset0:107 offset1:108
	s_waitcnt lgkmcnt(3)
	v_fmac_f32_e32 v19, v152, v4
	s_delay_alu instid0(VALU_DEP_1) | instskip(SKIP_4) | instid1(VALU_DEP_1)
	v_fmac_f32_e32 v19, v153, v5
	ds_load_2addr_b32 v[4:5], v2 offset0:109 offset1:110
	s_waitcnt lgkmcnt(3)
	v_fmac_f32_e32 v19, v154, v6
	s_waitcnt vmcnt(3)
	v_fmac_f32_e32 v19, v155, v7
	ds_load_2addr_b32 v[6:7], v2 offset0:111 offset1:112
	s_waitcnt lgkmcnt(3)
	v_fmac_f32_e32 v19, v156, v8
	s_delay_alu instid0(VALU_DEP_1) | instskip(SKIP_1) | instid1(VALU_DEP_1)
	v_fmac_f32_e32 v19, v157, v9
	s_waitcnt lgkmcnt(2)
	v_fmac_f32_e32 v19, v158, v10
	s_waitcnt vmcnt(2)
	s_delay_alu instid0(VALU_DEP_1) | instskip(SKIP_4) | instid1(VALU_DEP_1)
	v_fmac_f32_e32 v19, v159, v11
	ds_load_2addr_b32 v[8:9], v2 offset0:113 offset1:114
	ds_load_2addr_b32 v[10:11], v2 offset0:115 offset1:116
	s_waitcnt lgkmcnt(3)
	v_fmac_f32_e32 v19, v160, v4
	v_fmac_f32_e32 v19, v161, v5
	s_waitcnt lgkmcnt(2)
	s_delay_alu instid0(VALU_DEP_1) | instskip(SKIP_1) | instid1(VALU_DEP_1)
	v_fmac_f32_e32 v19, v162, v6
	s_waitcnt vmcnt(1)
	v_fmac_f32_e32 v19, v163, v7
	s_waitcnt lgkmcnt(1)
	s_delay_alu instid0(VALU_DEP_1) | instskip(NEXT) | instid1(VALU_DEP_1)
	v_fmac_f32_e32 v19, v164, v8
	v_fmac_f32_e32 v19, v165, v9
	s_waitcnt lgkmcnt(0)
	s_delay_alu instid0(VALU_DEP_1) | instskip(SKIP_1) | instid1(VALU_DEP_1)
	v_fmac_f32_e32 v19, v166, v10
	s_waitcnt vmcnt(0)
	v_fmac_f32_e32 v19, v173, v11
	s_delay_alu instid0(VALU_DEP_1)
	v_sub_f32_e32 v2, v3, v19
	scratch_store_b32 off, v2, off offset:32
	v_cmpx_lt_u32_e32 7, v0
	s_cbranch_execz .LBB56_335
; %bb.334:
	scratch_load_b32 v2, off, off offset:28
	v_mov_b32_e32 v3, 0
	scratch_store_b32 off, v3, off offset:28
	s_waitcnt vmcnt(0)
	ds_store_b32 v1, v2
.LBB56_335:
	s_or_b32 exec_lo, exec_lo, s0
	s_waitcnt lgkmcnt(0)
	s_waitcnt_vscnt null, 0x0
	s_barrier
	buffer_gl0_inv
	s_clause 0xc
	scratch_load_b128 v[3:6], off, off offset:28
	scratch_load_b128 v[7:10], off, off offset:44
	;; [unrolled: 1-line block ×12, first 2 shown]
	scratch_load_b64 v[19:20], off, off offset:220
	v_mov_b32_e32 v2, 0
	ds_load_b128 v[167:170], v2 offset:272
	ds_load_b128 v[171:174], v2 offset:288
	s_mov_b32 s0, exec_lo
	s_waitcnt vmcnt(12) lgkmcnt(1)
	v_fma_f32 v167, v4, v167, 0
	s_delay_alu instid0(VALU_DEP_1) | instskip(NEXT) | instid1(VALU_DEP_1)
	v_fmac_f32_e32 v167, v5, v168
	v_fmac_f32_e32 v167, v6, v169
	s_waitcnt vmcnt(11)
	s_delay_alu instid0(VALU_DEP_1) | instskip(SKIP_3) | instid1(VALU_DEP_1)
	v_fmac_f32_e32 v167, v7, v170
	ds_load_b128 v[4:7], v2 offset:304
	s_waitcnt lgkmcnt(1)
	v_fmac_f32_e32 v167, v8, v171
	v_fmac_f32_e32 v167, v9, v172
	s_delay_alu instid0(VALU_DEP_1) | instskip(SKIP_1) | instid1(VALU_DEP_1)
	v_fmac_f32_e32 v167, v10, v173
	s_waitcnt vmcnt(10)
	v_fmac_f32_e32 v167, v11, v174
	ds_load_b128 v[8:11], v2 offset:320
	s_waitcnt lgkmcnt(1)
	v_fmac_f32_e32 v167, v12, v4
	s_delay_alu instid0(VALU_DEP_1) | instskip(NEXT) | instid1(VALU_DEP_1)
	v_fmac_f32_e32 v167, v13, v5
	v_fmac_f32_e32 v167, v14, v6
	s_waitcnt vmcnt(9)
	s_delay_alu instid0(VALU_DEP_1) | instskip(SKIP_3) | instid1(VALU_DEP_1)
	v_fmac_f32_e32 v167, v15, v7
	ds_load_b128 v[4:7], v2 offset:336
	s_waitcnt lgkmcnt(1)
	v_fmac_f32_e32 v167, v16, v8
	v_fmac_f32_e32 v167, v17, v9
	s_delay_alu instid0(VALU_DEP_1) | instskip(SKIP_1) | instid1(VALU_DEP_1)
	v_fmac_f32_e32 v167, v18, v10
	s_waitcnt vmcnt(8)
	v_fmac_f32_e32 v167, v135, v11
	ds_load_b128 v[8:11], v2 offset:352
	s_waitcnt lgkmcnt(1)
	v_fmac_f32_e32 v167, v136, v4
	;; [unrolled: 17-line block ×5, first 2 shown]
	ds_load_b32 v4, v2 offset:464
	v_fmac_f32_e32 v167, v161, v5
	s_delay_alu instid0(VALU_DEP_1) | instskip(SKIP_1) | instid1(VALU_DEP_1)
	v_fmac_f32_e32 v167, v162, v6
	s_waitcnt vmcnt(1)
	v_fmac_f32_e32 v167, v163, v7
	s_waitcnt lgkmcnt(1)
	s_delay_alu instid0(VALU_DEP_1) | instskip(NEXT) | instid1(VALU_DEP_1)
	v_fmac_f32_e32 v167, v164, v8
	v_fmac_f32_e32 v167, v165, v9
	s_delay_alu instid0(VALU_DEP_1) | instskip(SKIP_1) | instid1(VALU_DEP_1)
	v_fmac_f32_e32 v167, v166, v10
	s_waitcnt vmcnt(0)
	v_fmac_f32_e32 v167, v19, v11
	s_waitcnt lgkmcnt(0)
	s_delay_alu instid0(VALU_DEP_1) | instskip(NEXT) | instid1(VALU_DEP_1)
	v_fmac_f32_e32 v167, v20, v4
	v_sub_f32_e32 v3, v3, v167
	scratch_store_b32 off, v3, off offset:28
	v_cmpx_lt_u32_e32 6, v0
	s_cbranch_execz .LBB56_337
; %bb.336:
	scratch_load_b32 v3, off, off offset:24
	scratch_store_b32 off, v2, off offset:24
	s_waitcnt vmcnt(0)
	ds_store_b32 v1, v3
.LBB56_337:
	s_or_b32 exec_lo, exec_lo, s0
	s_waitcnt lgkmcnt(0)
	s_waitcnt_vscnt null, 0x0
	s_barrier
	buffer_gl0_inv
	s_clause 0xc
	scratch_load_b128 v[3:6], off, off offset:24
	scratch_load_b128 v[7:10], off, off offset:40
	;; [unrolled: 1-line block ×12, first 2 shown]
	scratch_load_b96 v[167:169], off, off offset:216
	ds_load_2addr_b32 v[19:20], v2 offset0:67 offset1:68
	ds_load_2addr_b32 v[170:171], v2 offset0:69 offset1:70
	;; [unrolled: 1-line block ×4, first 2 shown]
	s_mov_b32 s0, exec_lo
	s_waitcnt vmcnt(12) lgkmcnt(3)
	v_fma_f32 v19, v4, v19, 0
	s_delay_alu instid0(VALU_DEP_1) | instskip(SKIP_4) | instid1(VALU_DEP_1)
	v_fmac_f32_e32 v19, v5, v20
	ds_load_2addr_b32 v[4:5], v2 offset0:75 offset1:76
	s_waitcnt lgkmcnt(3)
	v_fmac_f32_e32 v19, v6, v170
	s_waitcnt vmcnt(11)
	v_fmac_f32_e32 v19, v7, v171
	ds_load_2addr_b32 v[6:7], v2 offset0:77 offset1:78
	s_waitcnt lgkmcnt(3)
	v_fmac_f32_e32 v19, v8, v172
	s_delay_alu instid0(VALU_DEP_1) | instskip(SKIP_1) | instid1(VALU_DEP_1)
	v_fmac_f32_e32 v19, v9, v173
	s_waitcnt lgkmcnt(2)
	v_fmac_f32_e32 v19, v10, v174
	s_waitcnt vmcnt(10)
	s_delay_alu instid0(VALU_DEP_1) | instskip(SKIP_4) | instid1(VALU_DEP_1)
	v_fmac_f32_e32 v19, v11, v175
	ds_load_2addr_b32 v[8:9], v2 offset0:79 offset1:80
	ds_load_2addr_b32 v[10:11], v2 offset0:81 offset1:82
	s_waitcnt lgkmcnt(3)
	v_fmac_f32_e32 v19, v12, v4
	v_fmac_f32_e32 v19, v13, v5
	ds_load_2addr_b32 v[4:5], v2 offset0:83 offset1:84
	s_waitcnt lgkmcnt(3)
	v_fmac_f32_e32 v19, v14, v6
	s_waitcnt vmcnt(9)
	s_delay_alu instid0(VALU_DEP_1) | instskip(SKIP_3) | instid1(VALU_DEP_1)
	v_fmac_f32_e32 v19, v15, v7
	ds_load_2addr_b32 v[6:7], v2 offset0:85 offset1:86
	s_waitcnt lgkmcnt(3)
	v_fmac_f32_e32 v19, v16, v8
	v_fmac_f32_e32 v19, v17, v9
	s_waitcnt lgkmcnt(2)
	s_delay_alu instid0(VALU_DEP_1) | instskip(SKIP_1) | instid1(VALU_DEP_1)
	v_fmac_f32_e32 v19, v18, v10
	s_waitcnt vmcnt(8)
	v_fmac_f32_e32 v19, v135, v11
	ds_load_2addr_b32 v[8:9], v2 offset0:87 offset1:88
	ds_load_2addr_b32 v[10:11], v2 offset0:89 offset1:90
	s_waitcnt lgkmcnt(3)
	v_fmac_f32_e32 v19, v136, v4
	s_delay_alu instid0(VALU_DEP_1) | instskip(SKIP_4) | instid1(VALU_DEP_1)
	v_fmac_f32_e32 v19, v137, v5
	ds_load_2addr_b32 v[4:5], v2 offset0:91 offset1:92
	s_waitcnt lgkmcnt(3)
	v_fmac_f32_e32 v19, v138, v6
	s_waitcnt vmcnt(7)
	v_fmac_f32_e32 v19, v139, v7
	ds_load_2addr_b32 v[6:7], v2 offset0:93 offset1:94
	s_waitcnt lgkmcnt(3)
	v_fmac_f32_e32 v19, v140, v8
	s_delay_alu instid0(VALU_DEP_1) | instskip(SKIP_1) | instid1(VALU_DEP_1)
	v_fmac_f32_e32 v19, v141, v9
	s_waitcnt lgkmcnt(2)
	v_fmac_f32_e32 v19, v142, v10
	s_waitcnt vmcnt(6)
	s_delay_alu instid0(VALU_DEP_1) | instskip(SKIP_4) | instid1(VALU_DEP_1)
	v_fmac_f32_e32 v19, v143, v11
	ds_load_2addr_b32 v[8:9], v2 offset0:95 offset1:96
	ds_load_2addr_b32 v[10:11], v2 offset0:97 offset1:98
	s_waitcnt lgkmcnt(3)
	v_fmac_f32_e32 v19, v144, v4
	v_fmac_f32_e32 v19, v145, v5
	ds_load_2addr_b32 v[4:5], v2 offset0:99 offset1:100
	s_waitcnt lgkmcnt(3)
	v_fmac_f32_e32 v19, v146, v6
	s_waitcnt vmcnt(5)
	s_delay_alu instid0(VALU_DEP_1) | instskip(SKIP_3) | instid1(VALU_DEP_1)
	v_fmac_f32_e32 v19, v147, v7
	ds_load_2addr_b32 v[6:7], v2 offset0:101 offset1:102
	s_waitcnt lgkmcnt(3)
	v_fmac_f32_e32 v19, v148, v8
	v_fmac_f32_e32 v19, v149, v9
	s_waitcnt lgkmcnt(2)
	s_delay_alu instid0(VALU_DEP_1) | instskip(SKIP_1) | instid1(VALU_DEP_1)
	v_fmac_f32_e32 v19, v150, v10
	s_waitcnt vmcnt(4)
	v_fmac_f32_e32 v19, v151, v11
	ds_load_2addr_b32 v[8:9], v2 offset0:103 offset1:104
	ds_load_2addr_b32 v[10:11], v2 offset0:105 offset1:106
	s_waitcnt lgkmcnt(3)
	v_fmac_f32_e32 v19, v152, v4
	s_delay_alu instid0(VALU_DEP_1) | instskip(SKIP_4) | instid1(VALU_DEP_1)
	v_fmac_f32_e32 v19, v153, v5
	ds_load_2addr_b32 v[4:5], v2 offset0:107 offset1:108
	s_waitcnt lgkmcnt(3)
	v_fmac_f32_e32 v19, v154, v6
	s_waitcnt vmcnt(3)
	v_fmac_f32_e32 v19, v155, v7
	ds_load_2addr_b32 v[6:7], v2 offset0:109 offset1:110
	s_waitcnt lgkmcnt(3)
	v_fmac_f32_e32 v19, v156, v8
	s_delay_alu instid0(VALU_DEP_1) | instskip(SKIP_1) | instid1(VALU_DEP_1)
	v_fmac_f32_e32 v19, v157, v9
	s_waitcnt lgkmcnt(2)
	v_fmac_f32_e32 v19, v158, v10
	s_waitcnt vmcnt(2)
	s_delay_alu instid0(VALU_DEP_1) | instskip(SKIP_4) | instid1(VALU_DEP_1)
	v_fmac_f32_e32 v19, v159, v11
	ds_load_2addr_b32 v[8:9], v2 offset0:111 offset1:112
	ds_load_2addr_b32 v[10:11], v2 offset0:113 offset1:114
	s_waitcnt lgkmcnt(3)
	v_fmac_f32_e32 v19, v160, v4
	v_fmac_f32_e32 v19, v161, v5
	ds_load_2addr_b32 v[4:5], v2 offset0:115 offset1:116
	s_waitcnt lgkmcnt(3)
	v_fmac_f32_e32 v19, v162, v6
	s_waitcnt vmcnt(1)
	s_delay_alu instid0(VALU_DEP_1) | instskip(SKIP_1) | instid1(VALU_DEP_1)
	v_fmac_f32_e32 v19, v163, v7
	s_waitcnt lgkmcnt(2)
	v_fmac_f32_e32 v19, v164, v8
	s_delay_alu instid0(VALU_DEP_1) | instskip(SKIP_1) | instid1(VALU_DEP_1)
	v_fmac_f32_e32 v19, v165, v9
	s_waitcnt lgkmcnt(1)
	v_fmac_f32_e32 v19, v166, v10
	s_waitcnt vmcnt(0)
	s_delay_alu instid0(VALU_DEP_1) | instskip(SKIP_1) | instid1(VALU_DEP_1)
	v_fmac_f32_e32 v19, v167, v11
	s_waitcnt lgkmcnt(0)
	v_fmac_f32_e32 v19, v168, v4
	s_delay_alu instid0(VALU_DEP_1) | instskip(NEXT) | instid1(VALU_DEP_1)
	v_fmac_f32_e32 v19, v169, v5
	v_sub_f32_e32 v2, v3, v19
	scratch_store_b32 off, v2, off offset:24
	v_cmpx_lt_u32_e32 5, v0
	s_cbranch_execz .LBB56_339
; %bb.338:
	scratch_load_b32 v2, off, off offset:20
	v_mov_b32_e32 v3, 0
	scratch_store_b32 off, v3, off offset:20
	s_waitcnt vmcnt(0)
	ds_store_b32 v1, v2
.LBB56_339:
	s_or_b32 exec_lo, exec_lo, s0
	s_waitcnt lgkmcnt(0)
	s_waitcnt_vscnt null, 0x0
	s_barrier
	buffer_gl0_inv
	s_clause 0xc
	scratch_load_b128 v[3:6], off, off offset:20
	scratch_load_b128 v[7:10], off, off offset:36
	;; [unrolled: 1-line block ×13, first 2 shown]
	v_mov_b32_e32 v2, 0
	ds_load_2addr_b64 v[171:174], v2 offset0:33 offset1:34
	ds_load_2addr_b64 v[175:178], v2 offset0:35 offset1:36
	s_mov_b32 s0, exec_lo
	s_waitcnt vmcnt(12) lgkmcnt(1)
	v_fma_f32 v19, v4, v171, 0
	s_delay_alu instid0(VALU_DEP_1) | instskip(NEXT) | instid1(VALU_DEP_1)
	v_fmac_f32_e32 v19, v5, v172
	v_fmac_f32_e32 v19, v6, v173
	s_waitcnt vmcnt(11)
	s_delay_alu instid0(VALU_DEP_1) | instskip(SKIP_3) | instid1(VALU_DEP_1)
	v_fmac_f32_e32 v19, v7, v174
	ds_load_2addr_b64 v[4:7], v2 offset0:37 offset1:38
	s_waitcnt lgkmcnt(1)
	v_fmac_f32_e32 v19, v8, v175
	v_fmac_f32_e32 v19, v9, v176
	s_delay_alu instid0(VALU_DEP_1) | instskip(SKIP_1) | instid1(VALU_DEP_1)
	v_fmac_f32_e32 v19, v10, v177
	s_waitcnt vmcnt(10)
	v_fmac_f32_e32 v19, v11, v178
	ds_load_2addr_b64 v[8:11], v2 offset0:39 offset1:40
	s_waitcnt lgkmcnt(1)
	v_fmac_f32_e32 v19, v12, v4
	s_delay_alu instid0(VALU_DEP_1) | instskip(NEXT) | instid1(VALU_DEP_1)
	v_fmac_f32_e32 v19, v13, v5
	v_fmac_f32_e32 v19, v14, v6
	s_waitcnt vmcnt(9)
	s_delay_alu instid0(VALU_DEP_1) | instskip(SKIP_3) | instid1(VALU_DEP_1)
	v_fmac_f32_e32 v19, v15, v7
	ds_load_2addr_b64 v[4:7], v2 offset0:41 offset1:42
	s_waitcnt lgkmcnt(1)
	v_fmac_f32_e32 v19, v16, v8
	v_fmac_f32_e32 v19, v17, v9
	s_delay_alu instid0(VALU_DEP_1) | instskip(SKIP_1) | instid1(VALU_DEP_1)
	v_fmac_f32_e32 v19, v18, v10
	s_waitcnt vmcnt(8)
	v_fmac_f32_e32 v19, v135, v11
	ds_load_2addr_b64 v[8:11], v2 offset0:43 offset1:44
	s_waitcnt lgkmcnt(1)
	v_fmac_f32_e32 v19, v136, v4
	;; [unrolled: 17-line block ×5, first 2 shown]
	s_delay_alu instid0(VALU_DEP_1)
	v_fmac_f32_e32 v19, v161, v5
	ds_load_b64 v[4:5], v2 offset:456
	v_fmac_f32_e32 v19, v162, v6
	ds_load_b32 v6, v2 offset:464
	s_waitcnt vmcnt(1)
	v_fmac_f32_e32 v19, v163, v7
	s_waitcnt lgkmcnt(2)
	s_delay_alu instid0(VALU_DEP_1) | instskip(NEXT) | instid1(VALU_DEP_1)
	v_fmac_f32_e32 v19, v164, v8
	v_fmac_f32_e32 v19, v165, v9
	s_delay_alu instid0(VALU_DEP_1) | instskip(SKIP_1) | instid1(VALU_DEP_1)
	v_fmac_f32_e32 v19, v166, v10
	s_waitcnt vmcnt(0)
	v_fmac_f32_e32 v19, v167, v11
	s_waitcnt lgkmcnt(1)
	s_delay_alu instid0(VALU_DEP_1) | instskip(NEXT) | instid1(VALU_DEP_1)
	v_fmac_f32_e32 v19, v168, v4
	v_fmac_f32_e32 v19, v169, v5
	s_waitcnt lgkmcnt(0)
	s_delay_alu instid0(VALU_DEP_1) | instskip(NEXT) | instid1(VALU_DEP_1)
	v_fmac_f32_e32 v19, v170, v6
	v_sub_f32_e32 v3, v3, v19
	scratch_store_b32 off, v3, off offset:20
	v_cmpx_lt_u32_e32 4, v0
	s_cbranch_execz .LBB56_341
; %bb.340:
	scratch_load_b32 v3, off, off offset:16
	scratch_store_b32 off, v2, off offset:16
	s_waitcnt vmcnt(0)
	ds_store_b32 v1, v3
.LBB56_341:
	s_or_b32 exec_lo, exec_lo, s0
	s_waitcnt lgkmcnt(0)
	s_waitcnt_vscnt null, 0x0
	s_barrier
	buffer_gl0_inv
	s_clause 0xd
	scratch_load_b128 v[3:6], off, off offset:16
	scratch_load_b128 v[7:10], off, off offset:32
	;; [unrolled: 1-line block ×13, first 2 shown]
	scratch_load_b32 v177, off, off offset:224
	ds_load_2addr_b32 v[19:20], v2 offset0:65 offset1:66
	ds_load_2addr_b32 v[171:172], v2 offset0:67 offset1:68
	;; [unrolled: 1-line block ×4, first 2 shown]
	s_mov_b32 s0, exec_lo
	s_waitcnt vmcnt(13) lgkmcnt(3)
	v_fma_f32 v19, v4, v19, 0
	s_delay_alu instid0(VALU_DEP_1) | instskip(SKIP_4) | instid1(VALU_DEP_1)
	v_fmac_f32_e32 v19, v5, v20
	ds_load_2addr_b32 v[4:5], v2 offset0:73 offset1:74
	s_waitcnt lgkmcnt(3)
	v_fmac_f32_e32 v19, v6, v171
	s_waitcnt vmcnt(12)
	v_fmac_f32_e32 v19, v7, v172
	ds_load_2addr_b32 v[6:7], v2 offset0:75 offset1:76
	s_waitcnt lgkmcnt(3)
	v_fmac_f32_e32 v19, v8, v173
	s_delay_alu instid0(VALU_DEP_1) | instskip(SKIP_1) | instid1(VALU_DEP_1)
	v_fmac_f32_e32 v19, v9, v174
	s_waitcnt lgkmcnt(2)
	v_fmac_f32_e32 v19, v10, v175
	s_waitcnt vmcnt(11)
	s_delay_alu instid0(VALU_DEP_1) | instskip(SKIP_4) | instid1(VALU_DEP_1)
	v_fmac_f32_e32 v19, v11, v176
	ds_load_2addr_b32 v[8:9], v2 offset0:77 offset1:78
	ds_load_2addr_b32 v[10:11], v2 offset0:79 offset1:80
	s_waitcnt lgkmcnt(3)
	v_fmac_f32_e32 v19, v12, v4
	v_fmac_f32_e32 v19, v13, v5
	ds_load_2addr_b32 v[4:5], v2 offset0:81 offset1:82
	s_waitcnt lgkmcnt(3)
	v_fmac_f32_e32 v19, v14, v6
	s_waitcnt vmcnt(10)
	s_delay_alu instid0(VALU_DEP_1) | instskip(SKIP_3) | instid1(VALU_DEP_1)
	v_fmac_f32_e32 v19, v15, v7
	ds_load_2addr_b32 v[6:7], v2 offset0:83 offset1:84
	s_waitcnt lgkmcnt(3)
	v_fmac_f32_e32 v19, v16, v8
	v_fmac_f32_e32 v19, v17, v9
	s_waitcnt lgkmcnt(2)
	s_delay_alu instid0(VALU_DEP_1) | instskip(SKIP_1) | instid1(VALU_DEP_1)
	v_fmac_f32_e32 v19, v18, v10
	s_waitcnt vmcnt(9)
	v_fmac_f32_e32 v19, v135, v11
	ds_load_2addr_b32 v[8:9], v2 offset0:85 offset1:86
	ds_load_2addr_b32 v[10:11], v2 offset0:87 offset1:88
	s_waitcnt lgkmcnt(3)
	v_fmac_f32_e32 v19, v136, v4
	s_delay_alu instid0(VALU_DEP_1) | instskip(SKIP_4) | instid1(VALU_DEP_1)
	v_fmac_f32_e32 v19, v137, v5
	ds_load_2addr_b32 v[4:5], v2 offset0:89 offset1:90
	s_waitcnt lgkmcnt(3)
	v_fmac_f32_e32 v19, v138, v6
	s_waitcnt vmcnt(8)
	v_fmac_f32_e32 v19, v139, v7
	ds_load_2addr_b32 v[6:7], v2 offset0:91 offset1:92
	s_waitcnt lgkmcnt(3)
	v_fmac_f32_e32 v19, v140, v8
	s_delay_alu instid0(VALU_DEP_1) | instskip(SKIP_1) | instid1(VALU_DEP_1)
	v_fmac_f32_e32 v19, v141, v9
	s_waitcnt lgkmcnt(2)
	v_fmac_f32_e32 v19, v142, v10
	s_waitcnt vmcnt(7)
	s_delay_alu instid0(VALU_DEP_1) | instskip(SKIP_4) | instid1(VALU_DEP_1)
	v_fmac_f32_e32 v19, v143, v11
	ds_load_2addr_b32 v[8:9], v2 offset0:93 offset1:94
	ds_load_2addr_b32 v[10:11], v2 offset0:95 offset1:96
	s_waitcnt lgkmcnt(3)
	v_fmac_f32_e32 v19, v144, v4
	v_fmac_f32_e32 v19, v145, v5
	ds_load_2addr_b32 v[4:5], v2 offset0:97 offset1:98
	s_waitcnt lgkmcnt(3)
	v_fmac_f32_e32 v19, v146, v6
	s_waitcnt vmcnt(6)
	s_delay_alu instid0(VALU_DEP_1) | instskip(SKIP_3) | instid1(VALU_DEP_1)
	v_fmac_f32_e32 v19, v147, v7
	ds_load_2addr_b32 v[6:7], v2 offset0:99 offset1:100
	s_waitcnt lgkmcnt(3)
	v_fmac_f32_e32 v19, v148, v8
	v_fmac_f32_e32 v19, v149, v9
	s_waitcnt lgkmcnt(2)
	s_delay_alu instid0(VALU_DEP_1) | instskip(SKIP_1) | instid1(VALU_DEP_1)
	v_fmac_f32_e32 v19, v150, v10
	s_waitcnt vmcnt(5)
	v_fmac_f32_e32 v19, v151, v11
	ds_load_2addr_b32 v[8:9], v2 offset0:101 offset1:102
	ds_load_2addr_b32 v[10:11], v2 offset0:103 offset1:104
	s_waitcnt lgkmcnt(3)
	v_fmac_f32_e32 v19, v152, v4
	s_delay_alu instid0(VALU_DEP_1) | instskip(SKIP_4) | instid1(VALU_DEP_1)
	v_fmac_f32_e32 v19, v153, v5
	ds_load_2addr_b32 v[4:5], v2 offset0:105 offset1:106
	s_waitcnt lgkmcnt(3)
	v_fmac_f32_e32 v19, v154, v6
	s_waitcnt vmcnt(4)
	v_fmac_f32_e32 v19, v155, v7
	ds_load_2addr_b32 v[6:7], v2 offset0:107 offset1:108
	s_waitcnt lgkmcnt(3)
	v_fmac_f32_e32 v19, v156, v8
	s_delay_alu instid0(VALU_DEP_1) | instskip(SKIP_1) | instid1(VALU_DEP_1)
	v_fmac_f32_e32 v19, v157, v9
	s_waitcnt lgkmcnt(2)
	v_fmac_f32_e32 v19, v158, v10
	s_waitcnt vmcnt(3)
	s_delay_alu instid0(VALU_DEP_1) | instskip(SKIP_4) | instid1(VALU_DEP_1)
	v_fmac_f32_e32 v19, v159, v11
	ds_load_2addr_b32 v[8:9], v2 offset0:109 offset1:110
	ds_load_2addr_b32 v[10:11], v2 offset0:111 offset1:112
	s_waitcnt lgkmcnt(3)
	v_fmac_f32_e32 v19, v160, v4
	v_fmac_f32_e32 v19, v161, v5
	ds_load_2addr_b32 v[4:5], v2 offset0:113 offset1:114
	s_waitcnt lgkmcnt(3)
	v_fmac_f32_e32 v19, v162, v6
	s_waitcnt vmcnt(2)
	s_delay_alu instid0(VALU_DEP_1) | instskip(SKIP_3) | instid1(VALU_DEP_1)
	v_fmac_f32_e32 v19, v163, v7
	ds_load_2addr_b32 v[6:7], v2 offset0:115 offset1:116
	s_waitcnt lgkmcnt(3)
	v_fmac_f32_e32 v19, v164, v8
	v_fmac_f32_e32 v19, v165, v9
	s_waitcnt lgkmcnt(2)
	s_delay_alu instid0(VALU_DEP_1) | instskip(SKIP_1) | instid1(VALU_DEP_1)
	v_fmac_f32_e32 v19, v166, v10
	s_waitcnt vmcnt(1)
	v_fmac_f32_e32 v19, v167, v11
	s_waitcnt lgkmcnt(1)
	s_delay_alu instid0(VALU_DEP_1) | instskip(NEXT) | instid1(VALU_DEP_1)
	v_fmac_f32_e32 v19, v168, v4
	v_fmac_f32_e32 v19, v169, v5
	s_waitcnt lgkmcnt(0)
	s_delay_alu instid0(VALU_DEP_1) | instskip(SKIP_1) | instid1(VALU_DEP_1)
	v_fmac_f32_e32 v19, v170, v6
	s_waitcnt vmcnt(0)
	v_fmac_f32_e32 v19, v177, v7
	s_delay_alu instid0(VALU_DEP_1)
	v_sub_f32_e32 v2, v3, v19
	scratch_store_b32 off, v2, off offset:16
	v_cmpx_lt_u32_e32 3, v0
	s_cbranch_execz .LBB56_343
; %bb.342:
	scratch_load_b32 v2, off, off offset:12
	v_mov_b32_e32 v3, 0
	scratch_store_b32 off, v3, off offset:12
	s_waitcnt vmcnt(0)
	ds_store_b32 v1, v2
.LBB56_343:
	s_or_b32 exec_lo, exec_lo, s0
	s_waitcnt lgkmcnt(0)
	s_waitcnt_vscnt null, 0x0
	s_barrier
	buffer_gl0_inv
	s_clause 0xd
	scratch_load_b128 v[3:6], off, off offset:12
	scratch_load_b128 v[7:10], off, off offset:28
	;; [unrolled: 1-line block ×13, first 2 shown]
	scratch_load_b64 v[19:20], off, off offset:220
	v_mov_b32_e32 v2, 0
	ds_load_b128 v[171:174], v2 offset:256
	ds_load_b128 v[175:178], v2 offset:272
	s_mov_b32 s0, exec_lo
	s_waitcnt vmcnt(13) lgkmcnt(1)
	v_fma_f32 v171, v4, v171, 0
	s_delay_alu instid0(VALU_DEP_1) | instskip(NEXT) | instid1(VALU_DEP_1)
	v_fmac_f32_e32 v171, v5, v172
	v_fmac_f32_e32 v171, v6, v173
	s_waitcnt vmcnt(12)
	s_delay_alu instid0(VALU_DEP_1) | instskip(SKIP_3) | instid1(VALU_DEP_1)
	v_fmac_f32_e32 v171, v7, v174
	ds_load_b128 v[4:7], v2 offset:288
	s_waitcnt lgkmcnt(1)
	v_fmac_f32_e32 v171, v8, v175
	v_fmac_f32_e32 v171, v9, v176
	s_delay_alu instid0(VALU_DEP_1) | instskip(SKIP_1) | instid1(VALU_DEP_1)
	v_fmac_f32_e32 v171, v10, v177
	s_waitcnt vmcnt(11)
	v_fmac_f32_e32 v171, v11, v178
	ds_load_b128 v[8:11], v2 offset:304
	s_waitcnt lgkmcnt(1)
	v_fmac_f32_e32 v171, v12, v4
	s_delay_alu instid0(VALU_DEP_1) | instskip(NEXT) | instid1(VALU_DEP_1)
	v_fmac_f32_e32 v171, v13, v5
	v_fmac_f32_e32 v171, v14, v6
	s_waitcnt vmcnt(10)
	s_delay_alu instid0(VALU_DEP_1) | instskip(SKIP_3) | instid1(VALU_DEP_1)
	v_fmac_f32_e32 v171, v15, v7
	ds_load_b128 v[4:7], v2 offset:320
	s_waitcnt lgkmcnt(1)
	v_fmac_f32_e32 v171, v16, v8
	v_fmac_f32_e32 v171, v17, v9
	s_delay_alu instid0(VALU_DEP_1) | instskip(SKIP_1) | instid1(VALU_DEP_1)
	v_fmac_f32_e32 v171, v18, v10
	s_waitcnt vmcnt(9)
	v_fmac_f32_e32 v171, v135, v11
	ds_load_b128 v[8:11], v2 offset:336
	s_waitcnt lgkmcnt(1)
	v_fmac_f32_e32 v171, v136, v4
	;; [unrolled: 17-line block ×5, first 2 shown]
	s_delay_alu instid0(VALU_DEP_1) | instskip(NEXT) | instid1(VALU_DEP_1)
	v_fmac_f32_e32 v171, v161, v5
	v_fmac_f32_e32 v171, v162, v6
	s_waitcnt vmcnt(2)
	s_delay_alu instid0(VALU_DEP_1)
	v_fmac_f32_e32 v171, v163, v7
	ds_load_b128 v[4:7], v2 offset:448
	s_waitcnt lgkmcnt(1)
	v_fmac_f32_e32 v171, v164, v8
	ds_load_b32 v8, v2 offset:464
	v_fmac_f32_e32 v171, v165, v9
	s_delay_alu instid0(VALU_DEP_1) | instskip(SKIP_1) | instid1(VALU_DEP_1)
	v_fmac_f32_e32 v171, v166, v10
	s_waitcnt vmcnt(1)
	v_fmac_f32_e32 v171, v167, v11
	s_waitcnt lgkmcnt(1)
	s_delay_alu instid0(VALU_DEP_1) | instskip(NEXT) | instid1(VALU_DEP_1)
	v_fmac_f32_e32 v171, v168, v4
	v_fmac_f32_e32 v171, v169, v5
	s_delay_alu instid0(VALU_DEP_1) | instskip(SKIP_1) | instid1(VALU_DEP_1)
	v_fmac_f32_e32 v171, v170, v6
	s_waitcnt vmcnt(0)
	v_fmac_f32_e32 v171, v19, v7
	s_waitcnt lgkmcnt(0)
	s_delay_alu instid0(VALU_DEP_1) | instskip(NEXT) | instid1(VALU_DEP_1)
	v_fmac_f32_e32 v171, v20, v8
	v_sub_f32_e32 v3, v3, v171
	scratch_store_b32 off, v3, off offset:12
	v_cmpx_lt_u32_e32 2, v0
	s_cbranch_execz .LBB56_345
; %bb.344:
	scratch_load_b32 v3, off, off offset:8
	scratch_store_b32 off, v2, off offset:8
	s_waitcnt vmcnt(0)
	ds_store_b32 v1, v3
.LBB56_345:
	s_or_b32 exec_lo, exec_lo, s0
	s_waitcnt lgkmcnt(0)
	s_waitcnt_vscnt null, 0x0
	s_barrier
	buffer_gl0_inv
	s_clause 0xd
	scratch_load_b128 v[3:6], off, off offset:8
	scratch_load_b128 v[7:10], off, off offset:24
	;; [unrolled: 1-line block ×13, first 2 shown]
	scratch_load_b96 v[171:173], off, off offset:216
	ds_load_2addr_b32 v[19:20], v2 offset0:63 offset1:64
	ds_load_2addr_b32 v[174:175], v2 offset0:65 offset1:66
	ds_load_2addr_b32 v[176:177], v2 offset0:67 offset1:68
	ds_load_2addr_b32 v[178:179], v2 offset0:69 offset1:70
	s_mov_b32 s0, exec_lo
	s_waitcnt vmcnt(13) lgkmcnt(3)
	v_fma_f32 v19, v4, v19, 0
	s_delay_alu instid0(VALU_DEP_1) | instskip(SKIP_4) | instid1(VALU_DEP_1)
	v_fmac_f32_e32 v19, v5, v20
	ds_load_2addr_b32 v[4:5], v2 offset0:71 offset1:72
	s_waitcnt lgkmcnt(3)
	v_fmac_f32_e32 v19, v6, v174
	s_waitcnt vmcnt(12)
	v_fmac_f32_e32 v19, v7, v175
	ds_load_2addr_b32 v[6:7], v2 offset0:73 offset1:74
	s_waitcnt lgkmcnt(3)
	v_fmac_f32_e32 v19, v8, v176
	s_delay_alu instid0(VALU_DEP_1) | instskip(SKIP_1) | instid1(VALU_DEP_1)
	v_fmac_f32_e32 v19, v9, v177
	s_waitcnt lgkmcnt(2)
	v_fmac_f32_e32 v19, v10, v178
	s_waitcnt vmcnt(11)
	s_delay_alu instid0(VALU_DEP_1) | instskip(SKIP_4) | instid1(VALU_DEP_1)
	v_fmac_f32_e32 v19, v11, v179
	ds_load_2addr_b32 v[8:9], v2 offset0:75 offset1:76
	ds_load_2addr_b32 v[10:11], v2 offset0:77 offset1:78
	s_waitcnt lgkmcnt(3)
	v_fmac_f32_e32 v19, v12, v4
	v_fmac_f32_e32 v19, v13, v5
	ds_load_2addr_b32 v[4:5], v2 offset0:79 offset1:80
	s_waitcnt lgkmcnt(3)
	v_fmac_f32_e32 v19, v14, v6
	s_waitcnt vmcnt(10)
	s_delay_alu instid0(VALU_DEP_1) | instskip(SKIP_3) | instid1(VALU_DEP_1)
	v_fmac_f32_e32 v19, v15, v7
	ds_load_2addr_b32 v[6:7], v2 offset0:81 offset1:82
	s_waitcnt lgkmcnt(3)
	v_fmac_f32_e32 v19, v16, v8
	v_fmac_f32_e32 v19, v17, v9
	s_waitcnt lgkmcnt(2)
	s_delay_alu instid0(VALU_DEP_1) | instskip(SKIP_1) | instid1(VALU_DEP_1)
	v_fmac_f32_e32 v19, v18, v10
	s_waitcnt vmcnt(9)
	v_fmac_f32_e32 v19, v135, v11
	ds_load_2addr_b32 v[8:9], v2 offset0:83 offset1:84
	ds_load_2addr_b32 v[10:11], v2 offset0:85 offset1:86
	s_waitcnt lgkmcnt(3)
	v_fmac_f32_e32 v19, v136, v4
	s_delay_alu instid0(VALU_DEP_1) | instskip(SKIP_4) | instid1(VALU_DEP_1)
	v_fmac_f32_e32 v19, v137, v5
	ds_load_2addr_b32 v[4:5], v2 offset0:87 offset1:88
	s_waitcnt lgkmcnt(3)
	v_fmac_f32_e32 v19, v138, v6
	s_waitcnt vmcnt(8)
	v_fmac_f32_e32 v19, v139, v7
	ds_load_2addr_b32 v[6:7], v2 offset0:89 offset1:90
	s_waitcnt lgkmcnt(3)
	v_fmac_f32_e32 v19, v140, v8
	s_delay_alu instid0(VALU_DEP_1) | instskip(SKIP_1) | instid1(VALU_DEP_1)
	v_fmac_f32_e32 v19, v141, v9
	s_waitcnt lgkmcnt(2)
	v_fmac_f32_e32 v19, v142, v10
	s_waitcnt vmcnt(7)
	s_delay_alu instid0(VALU_DEP_1) | instskip(SKIP_4) | instid1(VALU_DEP_1)
	v_fmac_f32_e32 v19, v143, v11
	ds_load_2addr_b32 v[8:9], v2 offset0:91 offset1:92
	ds_load_2addr_b32 v[10:11], v2 offset0:93 offset1:94
	s_waitcnt lgkmcnt(3)
	v_fmac_f32_e32 v19, v144, v4
	v_fmac_f32_e32 v19, v145, v5
	ds_load_2addr_b32 v[4:5], v2 offset0:95 offset1:96
	s_waitcnt lgkmcnt(3)
	v_fmac_f32_e32 v19, v146, v6
	s_waitcnt vmcnt(6)
	s_delay_alu instid0(VALU_DEP_1) | instskip(SKIP_3) | instid1(VALU_DEP_1)
	v_fmac_f32_e32 v19, v147, v7
	ds_load_2addr_b32 v[6:7], v2 offset0:97 offset1:98
	s_waitcnt lgkmcnt(3)
	v_fmac_f32_e32 v19, v148, v8
	v_fmac_f32_e32 v19, v149, v9
	s_waitcnt lgkmcnt(2)
	s_delay_alu instid0(VALU_DEP_1) | instskip(SKIP_1) | instid1(VALU_DEP_1)
	v_fmac_f32_e32 v19, v150, v10
	s_waitcnt vmcnt(5)
	v_fmac_f32_e32 v19, v151, v11
	ds_load_2addr_b32 v[8:9], v2 offset0:99 offset1:100
	ds_load_2addr_b32 v[10:11], v2 offset0:101 offset1:102
	s_waitcnt lgkmcnt(3)
	v_fmac_f32_e32 v19, v152, v4
	s_delay_alu instid0(VALU_DEP_1) | instskip(SKIP_4) | instid1(VALU_DEP_1)
	v_fmac_f32_e32 v19, v153, v5
	ds_load_2addr_b32 v[4:5], v2 offset0:103 offset1:104
	s_waitcnt lgkmcnt(3)
	v_fmac_f32_e32 v19, v154, v6
	s_waitcnt vmcnt(4)
	v_fmac_f32_e32 v19, v155, v7
	ds_load_2addr_b32 v[6:7], v2 offset0:105 offset1:106
	s_waitcnt lgkmcnt(3)
	v_fmac_f32_e32 v19, v156, v8
	s_delay_alu instid0(VALU_DEP_1) | instskip(SKIP_1) | instid1(VALU_DEP_1)
	v_fmac_f32_e32 v19, v157, v9
	s_waitcnt lgkmcnt(2)
	v_fmac_f32_e32 v19, v158, v10
	s_waitcnt vmcnt(3)
	s_delay_alu instid0(VALU_DEP_1) | instskip(SKIP_4) | instid1(VALU_DEP_1)
	v_fmac_f32_e32 v19, v159, v11
	ds_load_2addr_b32 v[8:9], v2 offset0:107 offset1:108
	ds_load_2addr_b32 v[10:11], v2 offset0:109 offset1:110
	s_waitcnt lgkmcnt(3)
	v_fmac_f32_e32 v19, v160, v4
	v_fmac_f32_e32 v19, v161, v5
	ds_load_2addr_b32 v[4:5], v2 offset0:111 offset1:112
	s_waitcnt lgkmcnt(3)
	v_fmac_f32_e32 v19, v162, v6
	s_waitcnt vmcnt(2)
	s_delay_alu instid0(VALU_DEP_1) | instskip(SKIP_3) | instid1(VALU_DEP_1)
	v_fmac_f32_e32 v19, v163, v7
	ds_load_2addr_b32 v[6:7], v2 offset0:113 offset1:114
	s_waitcnt lgkmcnt(3)
	v_fmac_f32_e32 v19, v164, v8
	v_fmac_f32_e32 v19, v165, v9
	ds_load_2addr_b32 v[8:9], v2 offset0:115 offset1:116
	s_waitcnt lgkmcnt(3)
	v_fmac_f32_e32 v19, v166, v10
	s_waitcnt vmcnt(1)
	s_delay_alu instid0(VALU_DEP_1) | instskip(SKIP_1) | instid1(VALU_DEP_1)
	v_fmac_f32_e32 v19, v167, v11
	s_waitcnt lgkmcnt(2)
	v_fmac_f32_e32 v19, v168, v4
	s_delay_alu instid0(VALU_DEP_1) | instskip(SKIP_1) | instid1(VALU_DEP_1)
	v_fmac_f32_e32 v19, v169, v5
	s_waitcnt lgkmcnt(1)
	v_fmac_f32_e32 v19, v170, v6
	s_waitcnt vmcnt(0)
	s_delay_alu instid0(VALU_DEP_1) | instskip(SKIP_1) | instid1(VALU_DEP_1)
	v_fmac_f32_e32 v19, v171, v7
	s_waitcnt lgkmcnt(0)
	v_fmac_f32_e32 v19, v172, v8
	s_delay_alu instid0(VALU_DEP_1) | instskip(NEXT) | instid1(VALU_DEP_1)
	v_fmac_f32_e32 v19, v173, v9
	v_sub_f32_e32 v2, v3, v19
	scratch_store_b32 off, v2, off offset:8
	v_cmpx_lt_u32_e32 1, v0
	s_cbranch_execz .LBB56_347
; %bb.346:
	scratch_load_b32 v2, off, off offset:4
	v_mov_b32_e32 v3, 0
	scratch_store_b32 off, v3, off offset:4
	s_waitcnt vmcnt(0)
	ds_store_b32 v1, v2
.LBB56_347:
	s_or_b32 exec_lo, exec_lo, s0
	s_waitcnt lgkmcnt(0)
	s_waitcnt_vscnt null, 0x0
	s_barrier
	buffer_gl0_inv
	s_clause 0xd
	scratch_load_b128 v[5:8], off, off offset:4
	scratch_load_b128 v[9:12], off, off offset:20
	;; [unrolled: 1-line block ×14, first 2 shown]
	v_mov_b32_e32 v4, 0
	ds_load_2addr_b64 v[175:178], v4 offset0:31 offset1:32
	ds_load_2addr_b64 v[179:182], v4 offset0:33 offset1:34
	s_mov_b32 s0, exec_lo
	s_waitcnt vmcnt(13) lgkmcnt(1)
	v_fma_f32 v175, v6, v175, 0
	s_delay_alu instid0(VALU_DEP_1) | instskip(SKIP_3) | instid1(VALU_DEP_1)
	v_fmac_f32_e32 v175, v7, v176
	ds_load_b64 v[2:3], v4 offset:456
	v_fmac_f32_e32 v175, v8, v177
	s_waitcnt vmcnt(12)
	v_fmac_f32_e32 v175, v9, v178
	ds_load_2addr_b64 v[6:9], v4 offset0:35 offset1:36
	s_waitcnt lgkmcnt(2)
	v_fmac_f32_e32 v175, v10, v179
	s_delay_alu instid0(VALU_DEP_1) | instskip(NEXT) | instid1(VALU_DEP_1)
	v_fmac_f32_e32 v175, v11, v180
	v_fmac_f32_e32 v175, v12, v181
	s_waitcnt vmcnt(11)
	s_delay_alu instid0(VALU_DEP_1) | instskip(SKIP_3) | instid1(VALU_DEP_1)
	v_fmac_f32_e32 v175, v13, v182
	ds_load_2addr_b64 v[10:13], v4 offset0:37 offset1:38
	s_waitcnt lgkmcnt(1)
	v_fmac_f32_e32 v175, v14, v6
	v_fmac_f32_e32 v175, v15, v7
	s_delay_alu instid0(VALU_DEP_1) | instskip(SKIP_1) | instid1(VALU_DEP_1)
	v_fmac_f32_e32 v175, v16, v8
	s_waitcnt vmcnt(10)
	v_fmac_f32_e32 v175, v17, v9
	ds_load_2addr_b64 v[6:9], v4 offset0:39 offset1:40
	s_waitcnt lgkmcnt(1)
	v_fmac_f32_e32 v175, v18, v10
	s_delay_alu instid0(VALU_DEP_1) | instskip(NEXT) | instid1(VALU_DEP_1)
	v_fmac_f32_e32 v175, v19, v11
	v_fmac_f32_e32 v175, v20, v12
	s_waitcnt vmcnt(9)
	s_delay_alu instid0(VALU_DEP_1) | instskip(SKIP_3) | instid1(VALU_DEP_1)
	v_fmac_f32_e32 v175, v135, v13
	ds_load_2addr_b64 v[10:13], v4 offset0:41 offset1:42
	s_waitcnt lgkmcnt(1)
	v_fmac_f32_e32 v175, v136, v6
	v_fmac_f32_e32 v175, v137, v7
	s_delay_alu instid0(VALU_DEP_1) | instskip(SKIP_1) | instid1(VALU_DEP_1)
	;; [unrolled: 17-line block ×5, first 2 shown]
	v_fmac_f32_e32 v175, v162, v8
	s_waitcnt vmcnt(2)
	v_fmac_f32_e32 v175, v163, v9
	ds_load_2addr_b64 v[6:9], v4 offset0:55 offset1:56
	s_waitcnt lgkmcnt(1)
	v_fmac_f32_e32 v175, v164, v10
	s_delay_alu instid0(VALU_DEP_1) | instskip(NEXT) | instid1(VALU_DEP_1)
	v_fmac_f32_e32 v175, v165, v11
	v_fmac_f32_e32 v175, v166, v12
	s_waitcnt vmcnt(1)
	s_delay_alu instid0(VALU_DEP_1) | instskip(SKIP_1) | instid1(VALU_DEP_1)
	v_fmac_f32_e32 v175, v167, v13
	s_waitcnt lgkmcnt(0)
	v_fmac_f32_e32 v175, v168, v6
	ds_load_b32 v6, v4 offset:464
	v_fmac_f32_e32 v175, v169, v7
	s_delay_alu instid0(VALU_DEP_1) | instskip(SKIP_1) | instid1(VALU_DEP_1)
	v_fmac_f32_e32 v175, v170, v8
	s_waitcnt vmcnt(0)
	v_fmac_f32_e32 v175, v171, v9
	s_delay_alu instid0(VALU_DEP_1) | instskip(NEXT) | instid1(VALU_DEP_1)
	v_fmac_f32_e32 v175, v172, v2
	v_fmac_f32_e32 v175, v173, v3
	s_waitcnt lgkmcnt(0)
	s_delay_alu instid0(VALU_DEP_1) | instskip(NEXT) | instid1(VALU_DEP_1)
	v_fmac_f32_e32 v175, v174, v6
	v_sub_f32_e32 v2, v5, v175
	scratch_store_b32 off, v2, off offset:4
	v_cmpx_ne_u32_e32 0, v0
	s_cbranch_execz .LBB56_349
; %bb.348:
	scratch_load_b32 v0, off, off
	scratch_store_b32 off, v4, off
	s_waitcnt vmcnt(0)
	ds_store_b32 v1, v0
.LBB56_349:
	s_or_b32 exec_lo, exec_lo, s0
	s_waitcnt lgkmcnt(0)
	s_waitcnt_vscnt null, 0x0
	s_barrier
	buffer_gl0_inv
	s_clause 0xe
	scratch_load_b128 v[5:8], off, off
	scratch_load_b128 v[9:12], off, off offset:16
	scratch_load_b128 v[13:16], off, off offset:32
	;; [unrolled: 1-line block ×13, first 2 shown]
	scratch_load_b32 v179, off, off offset:224
	ds_load_2addr_b32 v[171:172], v4 offset0:61 offset1:62
	ds_load_2addr_b32 v[173:174], v4 offset0:63 offset1:64
	ds_load_2addr_b32 v[175:176], v4 offset0:65 offset1:66
	ds_load_2addr_b32 v[177:178], v4 offset0:67 offset1:68
	s_and_b32 vcc_lo, exec_lo, s16
	s_waitcnt vmcnt(14) lgkmcnt(3)
	v_fma_f32 v171, v6, v171, 0
	s_delay_alu instid0(VALU_DEP_1) | instskip(SKIP_4) | instid1(VALU_DEP_1)
	v_fmac_f32_e32 v171, v7, v172
	ds_load_2addr_b32 v[6:7], v4 offset0:69 offset1:70
	s_waitcnt lgkmcnt(3)
	v_fmac_f32_e32 v171, v8, v173
	s_waitcnt vmcnt(13)
	v_fmac_f32_e32 v171, v9, v174
	ds_load_2addr_b32 v[8:9], v4 offset0:71 offset1:72
	s_waitcnt lgkmcnt(3)
	v_fmac_f32_e32 v171, v10, v175
	s_delay_alu instid0(VALU_DEP_1) | instskip(SKIP_1) | instid1(VALU_DEP_1)
	v_fmac_f32_e32 v171, v11, v176
	s_waitcnt lgkmcnt(2)
	v_fmac_f32_e32 v171, v12, v177
	s_waitcnt vmcnt(12)
	s_delay_alu instid0(VALU_DEP_1) | instskip(SKIP_4) | instid1(VALU_DEP_1)
	v_fmac_f32_e32 v171, v13, v178
	ds_load_2addr_b32 v[10:11], v4 offset0:73 offset1:74
	ds_load_2addr_b32 v[12:13], v4 offset0:75 offset1:76
	s_waitcnt lgkmcnt(3)
	v_fmac_f32_e32 v171, v14, v6
	v_fmac_f32_e32 v171, v15, v7
	ds_load_2addr_b32 v[6:7], v4 offset0:77 offset1:78
	s_waitcnt lgkmcnt(3)
	v_fmac_f32_e32 v171, v16, v8
	s_waitcnt vmcnt(11)
	s_delay_alu instid0(VALU_DEP_1) | instskip(SKIP_3) | instid1(VALU_DEP_1)
	v_fmac_f32_e32 v171, v17, v9
	ds_load_2addr_b32 v[8:9], v4 offset0:79 offset1:80
	s_waitcnt lgkmcnt(3)
	v_fmac_f32_e32 v171, v18, v10
	v_fmac_f32_e32 v171, v19, v11
	s_waitcnt lgkmcnt(2)
	s_delay_alu instid0(VALU_DEP_1) | instskip(SKIP_1) | instid1(VALU_DEP_1)
	v_fmac_f32_e32 v171, v20, v12
	s_waitcnt vmcnt(10)
	v_fmac_f32_e32 v171, v135, v13
	ds_load_2addr_b32 v[10:11], v4 offset0:81 offset1:82
	ds_load_2addr_b32 v[12:13], v4 offset0:83 offset1:84
	s_waitcnt lgkmcnt(3)
	v_fmac_f32_e32 v171, v136, v6
	s_delay_alu instid0(VALU_DEP_1) | instskip(SKIP_4) | instid1(VALU_DEP_1)
	v_fmac_f32_e32 v171, v137, v7
	ds_load_2addr_b32 v[6:7], v4 offset0:85 offset1:86
	s_waitcnt lgkmcnt(3)
	v_fmac_f32_e32 v171, v138, v8
	s_waitcnt vmcnt(9)
	v_fmac_f32_e32 v171, v139, v9
	ds_load_2addr_b32 v[8:9], v4 offset0:87 offset1:88
	s_waitcnt lgkmcnt(3)
	v_fmac_f32_e32 v171, v140, v10
	s_delay_alu instid0(VALU_DEP_1) | instskip(SKIP_1) | instid1(VALU_DEP_1)
	v_fmac_f32_e32 v171, v141, v11
	s_waitcnt lgkmcnt(2)
	v_fmac_f32_e32 v171, v142, v12
	s_waitcnt vmcnt(8)
	s_delay_alu instid0(VALU_DEP_1) | instskip(SKIP_4) | instid1(VALU_DEP_1)
	v_fmac_f32_e32 v171, v143, v13
	ds_load_2addr_b32 v[10:11], v4 offset0:89 offset1:90
	ds_load_2addr_b32 v[12:13], v4 offset0:91 offset1:92
	s_waitcnt lgkmcnt(3)
	v_fmac_f32_e32 v171, v144, v6
	v_fmac_f32_e32 v171, v145, v7
	ds_load_2addr_b32 v[6:7], v4 offset0:93 offset1:94
	s_waitcnt lgkmcnt(3)
	v_fmac_f32_e32 v171, v146, v8
	s_waitcnt vmcnt(7)
	s_delay_alu instid0(VALU_DEP_1) | instskip(SKIP_3) | instid1(VALU_DEP_1)
	v_fmac_f32_e32 v171, v147, v9
	ds_load_2addr_b32 v[8:9], v4 offset0:95 offset1:96
	s_waitcnt lgkmcnt(3)
	v_fmac_f32_e32 v171, v148, v10
	v_fmac_f32_e32 v171, v149, v11
	s_waitcnt lgkmcnt(2)
	s_delay_alu instid0(VALU_DEP_1) | instskip(SKIP_1) | instid1(VALU_DEP_1)
	v_fmac_f32_e32 v171, v150, v12
	s_waitcnt vmcnt(6)
	v_fmac_f32_e32 v171, v151, v13
	ds_load_2addr_b32 v[10:11], v4 offset0:97 offset1:98
	ds_load_2addr_b32 v[12:13], v4 offset0:99 offset1:100
	s_waitcnt lgkmcnt(3)
	v_fmac_f32_e32 v171, v152, v6
	;; [unrolled: 41-line block ×3, first 2 shown]
	s_delay_alu instid0(VALU_DEP_1) | instskip(SKIP_1) | instid1(VALU_DEP_1)
	v_fmac_f32_e32 v171, v169, v7
	s_waitcnt lgkmcnt(2)
	v_fmac_f32_e32 v171, v170, v8
	s_waitcnt vmcnt(1)
	s_delay_alu instid0(VALU_DEP_1) | instskip(SKIP_1) | instid1(VALU_DEP_1)
	v_fmac_f32_e32 v171, v0, v9
	s_waitcnt lgkmcnt(1)
	v_fmac_f32_e32 v171, v1, v10
	s_delay_alu instid0(VALU_DEP_1) | instskip(SKIP_1) | instid1(VALU_DEP_1)
	v_fmac_f32_e32 v171, v2, v11
	s_waitcnt lgkmcnt(0)
	v_fmac_f32_e32 v171, v3, v12
	s_waitcnt vmcnt(0)
	s_delay_alu instid0(VALU_DEP_1) | instskip(NEXT) | instid1(VALU_DEP_1)
	v_fmac_f32_e32 v171, v179, v13
	v_sub_f32_e32 v0, v5, v171
	scratch_store_b32 off, v0, off
	s_cbranch_vccz .LBB56_463
; %bb.350:
	v_dual_mov_b32 v0, s12 :: v_dual_mov_b32 v1, s13
	s_mov_b32 s0, exec_lo
	flat_load_b32 v0, v[0:1] offset:220
	s_waitcnt vmcnt(0) lgkmcnt(0)
	v_cmpx_ne_u32_e32 56, v0
	s_cbranch_execz .LBB56_352
; %bb.351:
	v_lshl_add_u32 v0, v0, 2, 0
	scratch_load_b32 v1, v0, off offset:-4
	s_waitcnt vmcnt(0)
	scratch_store_b32 off, v1, off offset:220
	scratch_store_b32 v0, v3, off offset:-4
.LBB56_352:
	s_or_b32 exec_lo, exec_lo, s0
	v_dual_mov_b32 v0, s12 :: v_dual_mov_b32 v1, s13
	s_mov_b32 s0, exec_lo
	flat_load_b32 v0, v[0:1] offset:216
	s_waitcnt vmcnt(0) lgkmcnt(0)
	v_cmpx_ne_u32_e32 55, v0
	s_cbranch_execz .LBB56_354
; %bb.353:
	v_lshl_add_u32 v0, v0, 2, 0
	scratch_load_b32 v1, v0, off offset:-4
	scratch_load_b32 v2, off, off offset:216
	s_waitcnt vmcnt(1)
	scratch_store_b32 off, v1, off offset:216
	s_waitcnt vmcnt(0)
	scratch_store_b32 v0, v2, off offset:-4
.LBB56_354:
	s_or_b32 exec_lo, exec_lo, s0
	v_dual_mov_b32 v0, s12 :: v_dual_mov_b32 v1, s13
	s_mov_b32 s0, exec_lo
	flat_load_b32 v0, v[0:1] offset:212
	s_waitcnt vmcnt(0) lgkmcnt(0)
	v_cmpx_ne_u32_e32 54, v0
	s_cbranch_execz .LBB56_356
; %bb.355:
	v_lshl_add_u32 v0, v0, 2, 0
	scratch_load_b32 v1, v0, off offset:-4
	scratch_load_b32 v2, off, off offset:212
	s_waitcnt vmcnt(1)
	scratch_store_b32 off, v1, off offset:212
	s_waitcnt vmcnt(0)
	scratch_store_b32 v0, v2, off offset:-4
.LBB56_356:
	;; [unrolled: 16-line block ×54, first 2 shown]
	s_or_b32 exec_lo, exec_lo, s0
	v_dual_mov_b32 v0, s12 :: v_dual_mov_b32 v1, s13
	s_mov_b32 s0, exec_lo
	flat_load_b32 v1, v[0:1]
	scratch_load_b32 v0, off, off
	s_waitcnt vmcnt(1) lgkmcnt(0)
	v_cmpx_ne_u32_e32 1, v1
	s_cbranch_execz .LBB56_462
; %bb.461:
	v_lshl_add_u32 v1, v1, 2, 0
	scratch_load_b32 v2, v1, off offset:-4
	s_waitcnt vmcnt(0)
	scratch_store_b32 off, v2, off
	scratch_store_b32 v1, v0, off offset:-4
	scratch_load_b32 v0, off, off
.LBB56_462:
	s_or_b32 exec_lo, exec_lo, s0
.LBB56_463:
	s_clause 0xd
	scratch_load_b128 v[1:4], off, off offset:4
	scratch_load_b128 v[5:8], off, off offset:20
	;; [unrolled: 1-line block ×14, first 2 shown]
	s_waitcnt vmcnt(14)
	global_store_b32 v[21:22], v0, off
	s_waitcnt vmcnt(13)
	s_clause 0x3
	global_store_b32 v[23:24], v1, off
	global_store_b32 v[25:26], v2, off
	global_store_b32 v[27:28], v3, off
	global_store_b32 v[29:30], v4, off
	s_waitcnt vmcnt(12)
	s_clause 0x3
	global_store_b32 v[31:32], v5, off
	global_store_b32 v[33:34], v6, off
	global_store_b32 v[35:36], v7, off
	;; [unrolled: 6-line block ×14, first 2 shown]
	global_store_b32 v[133:134], v170, off
	s_endpgm
	.section	.rodata,"a",@progbits
	.p2align	6, 0x0
	.amdhsa_kernel _ZN9rocsolver6v33100L18getri_kernel_smallILi57EfPfEEvT1_iilPiilS4_bb
		.amdhsa_group_segment_fixed_size 468
		.amdhsa_private_segment_fixed_size 240
		.amdhsa_kernarg_size 60
		.amdhsa_user_sgpr_count 15
		.amdhsa_user_sgpr_dispatch_ptr 0
		.amdhsa_user_sgpr_queue_ptr 0
		.amdhsa_user_sgpr_kernarg_segment_ptr 1
		.amdhsa_user_sgpr_dispatch_id 0
		.amdhsa_user_sgpr_private_segment_size 0
		.amdhsa_wavefront_size32 1
		.amdhsa_uses_dynamic_stack 0
		.amdhsa_enable_private_segment 1
		.amdhsa_system_sgpr_workgroup_id_x 1
		.amdhsa_system_sgpr_workgroup_id_y 0
		.amdhsa_system_sgpr_workgroup_id_z 0
		.amdhsa_system_sgpr_workgroup_info 0
		.amdhsa_system_vgpr_workitem_id 0
		.amdhsa_next_free_vgpr 183
		.amdhsa_next_free_sgpr 18
		.amdhsa_reserve_vcc 1
		.amdhsa_float_round_mode_32 0
		.amdhsa_float_round_mode_16_64 0
		.amdhsa_float_denorm_mode_32 3
		.amdhsa_float_denorm_mode_16_64 3
		.amdhsa_dx10_clamp 1
		.amdhsa_ieee_mode 1
		.amdhsa_fp16_overflow 0
		.amdhsa_workgroup_processor_mode 1
		.amdhsa_memory_ordered 1
		.amdhsa_forward_progress 0
		.amdhsa_shared_vgpr_count 0
		.amdhsa_exception_fp_ieee_invalid_op 0
		.amdhsa_exception_fp_denorm_src 0
		.amdhsa_exception_fp_ieee_div_zero 0
		.amdhsa_exception_fp_ieee_overflow 0
		.amdhsa_exception_fp_ieee_underflow 0
		.amdhsa_exception_fp_ieee_inexact 0
		.amdhsa_exception_int_div_zero 0
	.end_amdhsa_kernel
	.section	.text._ZN9rocsolver6v33100L18getri_kernel_smallILi57EfPfEEvT1_iilPiilS4_bb,"axG",@progbits,_ZN9rocsolver6v33100L18getri_kernel_smallILi57EfPfEEvT1_iilPiilS4_bb,comdat
.Lfunc_end56:
	.size	_ZN9rocsolver6v33100L18getri_kernel_smallILi57EfPfEEvT1_iilPiilS4_bb, .Lfunc_end56-_ZN9rocsolver6v33100L18getri_kernel_smallILi57EfPfEEvT1_iilPiilS4_bb
                                        ; -- End function
	.section	.AMDGPU.csdata,"",@progbits
; Kernel info:
; codeLenInByte = 44700
; NumSgprs: 20
; NumVgprs: 183
; ScratchSize: 240
; MemoryBound: 0
; FloatMode: 240
; IeeeMode: 1
; LDSByteSize: 468 bytes/workgroup (compile time only)
; SGPRBlocks: 2
; VGPRBlocks: 22
; NumSGPRsForWavesPerEU: 20
; NumVGPRsForWavesPerEU: 183
; Occupancy: 8
; WaveLimiterHint : 1
; COMPUTE_PGM_RSRC2:SCRATCH_EN: 1
; COMPUTE_PGM_RSRC2:USER_SGPR: 15
; COMPUTE_PGM_RSRC2:TRAP_HANDLER: 0
; COMPUTE_PGM_RSRC2:TGID_X_EN: 1
; COMPUTE_PGM_RSRC2:TGID_Y_EN: 0
; COMPUTE_PGM_RSRC2:TGID_Z_EN: 0
; COMPUTE_PGM_RSRC2:TIDIG_COMP_CNT: 0
	.section	.text._ZN9rocsolver6v33100L18getri_kernel_smallILi58EfPfEEvT1_iilPiilS4_bb,"axG",@progbits,_ZN9rocsolver6v33100L18getri_kernel_smallILi58EfPfEEvT1_iilPiilS4_bb,comdat
	.globl	_ZN9rocsolver6v33100L18getri_kernel_smallILi58EfPfEEvT1_iilPiilS4_bb ; -- Begin function _ZN9rocsolver6v33100L18getri_kernel_smallILi58EfPfEEvT1_iilPiilS4_bb
	.p2align	8
	.type	_ZN9rocsolver6v33100L18getri_kernel_smallILi58EfPfEEvT1_iilPiilS4_bb,@function
_ZN9rocsolver6v33100L18getri_kernel_smallILi58EfPfEEvT1_iilPiilS4_bb: ; @_ZN9rocsolver6v33100L18getri_kernel_smallILi58EfPfEEvT1_iilPiilS4_bb
; %bb.0:
	s_mov_b32 s2, exec_lo
	v_cmpx_gt_u32_e32 58, v0
	s_cbranch_execz .LBB57_240
; %bb.1:
	s_clause 0x2
	s_load_b32 s17, s[0:1], 0x38
	s_load_b128 s[8:11], s[0:1], 0x10
	s_load_b128 s[4:7], s[0:1], 0x28
	s_mov_b32 s14, s15
                                        ; implicit-def: $sgpr12_sgpr13
	s_waitcnt lgkmcnt(0)
	s_bitcmp1_b32 s17, 8
	s_cselect_b32 s16, -1, 0
	s_bfe_u32 s2, s17, 0x10008
	s_ashr_i32 s15, s15, 31
	s_cmp_eq_u32 s2, 0
	s_cbranch_scc1 .LBB57_3
; %bb.2:
	s_load_b32 s2, s[0:1], 0x20
	s_mul_i32 s3, s14, s5
	s_mul_hi_u32 s5, s14, s4
	s_mul_i32 s12, s15, s4
	s_add_i32 s3, s5, s3
	s_mul_i32 s4, s14, s4
	s_add_i32 s5, s3, s12
	s_delay_alu instid0(SALU_CYCLE_1)
	s_lshl_b64 s[4:5], s[4:5], 2
	s_waitcnt lgkmcnt(0)
	s_ashr_i32 s3, s2, 31
	s_add_u32 s4, s10, s4
	s_addc_u32 s5, s11, s5
	s_lshl_b64 s[2:3], s[2:3], 2
	s_delay_alu instid0(SALU_CYCLE_1)
	s_add_u32 s12, s4, s2
	s_addc_u32 s13, s5, s3
.LBB57_3:
	s_load_b128 s[0:3], s[0:1], 0x0
	s_mul_i32 s4, s14, s9
	s_mul_hi_u32 s5, s14, s8
	s_mul_i32 s9, s15, s8
	s_add_i32 s5, s5, s4
	s_mul_i32 s4, s14, s8
	s_add_i32 s5, s5, s9
	v_lshlrev_b32_e32 v117, 2, v0
	s_lshl_b64 s[4:5], s[4:5], 2
	s_waitcnt lgkmcnt(0)
	v_add3_u32 v3, s3, s3, v0
	s_ashr_i32 s9, s2, 31
	s_mov_b32 s8, s2
	s_add_u32 s2, s0, s4
	s_addc_u32 s4, s1, s5
	v_add_nc_u32_e32 v5, s3, v3
	s_lshl_b64 s[0:1], s[8:9], 2
	v_ashrrev_i32_e32 v4, 31, v3
	s_add_u32 s0, s2, s0
	s_addc_u32 s1, s4, s1
	v_add_nc_u32_e32 v7, s3, v5
	v_add_co_u32 v1, s2, s0, v117
	v_ashrrev_i32_e32 v6, 31, v5
	s_mov_b32 s10, s3
	s_delay_alu instid0(VALU_DEP_3) | instskip(SKIP_3) | instid1(VALU_DEP_3)
	v_add_nc_u32_e32 v9, s3, v7
	s_ashr_i32 s11, s3, 31
	v_add_co_ci_u32_e64 v2, null, s1, 0, s2
	v_lshlrev_b64 v[46:47], 2, v[3:4]
	v_add_nc_u32_e32 v11, s3, v9
	s_lshl_b64 s[4:5], s[10:11], 2
	v_lshlrev_b64 v[49:50], 2, v[5:6]
	v_add_co_u32 v3, vcc_lo, v1, s4
	s_delay_alu instid0(VALU_DEP_3) | instskip(SKIP_3) | instid1(VALU_DEP_4)
	v_add_nc_u32_e32 v13, s3, v11
	v_ashrrev_i32_e32 v8, 31, v7
	v_add_co_ci_u32_e32 v4, vcc_lo, s5, v2, vcc_lo
	v_add_co_u32 v5, vcc_lo, s0, v46
	v_add_nc_u32_e32 v15, s3, v13
	v_ashrrev_i32_e32 v10, 31, v9
	v_add_co_ci_u32_e32 v6, vcc_lo, s1, v47, vcc_lo
	v_lshlrev_b64 v[46:47], 2, v[7:8]
	s_delay_alu instid0(VALU_DEP_4) | instskip(SKIP_2) | instid1(VALU_DEP_3)
	v_add_nc_u32_e32 v17, s3, v15
	v_add_co_u32 v7, vcc_lo, s0, v49
	v_add_co_ci_u32_e32 v8, vcc_lo, s1, v50, vcc_lo
	v_add_nc_u32_e32 v19, s3, v17
	v_lshlrev_b64 v[49:50], 2, v[9:10]
	v_ashrrev_i32_e32 v12, 31, v11
	v_add_co_u32 v9, vcc_lo, s0, v46
	s_delay_alu instid0(VALU_DEP_4) | instskip(SKIP_3) | instid1(VALU_DEP_4)
	v_add_nc_u32_e32 v21, s3, v19
	v_ashrrev_i32_e32 v14, 31, v13
	v_add_co_ci_u32_e32 v10, vcc_lo, s1, v47, vcc_lo
	v_lshlrev_b64 v[46:47], 2, v[11:12]
	v_add_nc_u32_e32 v23, s3, v21
	v_add_co_u32 v11, vcc_lo, s0, v49
	v_add_co_ci_u32_e32 v12, vcc_lo, s1, v50, vcc_lo
	s_delay_alu instid0(VALU_DEP_3) | instskip(SKIP_3) | instid1(VALU_DEP_4)
	v_add_nc_u32_e32 v25, s3, v23
	v_lshlrev_b64 v[49:50], 2, v[13:14]
	v_ashrrev_i32_e32 v16, 31, v15
	v_add_co_u32 v13, vcc_lo, s0, v46
	v_add_nc_u32_e32 v27, s3, v25
	v_ashrrev_i32_e32 v18, 31, v17
	v_add_co_ci_u32_e32 v14, vcc_lo, s1, v47, vcc_lo
	v_lshlrev_b64 v[46:47], 2, v[15:16]
	s_delay_alu instid0(VALU_DEP_4) | instskip(SKIP_2) | instid1(VALU_DEP_3)
	v_add_nc_u32_e32 v29, s3, v27
	v_add_co_u32 v15, vcc_lo, s0, v49
	v_add_co_ci_u32_e32 v16, vcc_lo, s1, v50, vcc_lo
	v_add_nc_u32_e32 v31, s3, v29
	v_lshlrev_b64 v[49:50], 2, v[17:18]
	v_ashrrev_i32_e32 v20, 31, v19
	v_add_co_u32 v17, vcc_lo, s0, v46
	s_delay_alu instid0(VALU_DEP_4) | instskip(SKIP_3) | instid1(VALU_DEP_4)
	v_add_nc_u32_e32 v33, s3, v31
	v_ashrrev_i32_e32 v22, 31, v21
	v_add_co_ci_u32_e32 v18, vcc_lo, s1, v47, vcc_lo
	v_lshlrev_b64 v[46:47], 2, v[19:20]
	v_add_nc_u32_e32 v35, s3, v33
	v_add_co_u32 v19, vcc_lo, s0, v49
	v_add_co_ci_u32_e32 v20, vcc_lo, s1, v50, vcc_lo
	s_delay_alu instid0(VALU_DEP_3) | instskip(SKIP_3) | instid1(VALU_DEP_4)
	v_add_nc_u32_e32 v37, s3, v35
	v_lshlrev_b64 v[49:50], 2, v[21:22]
	v_ashrrev_i32_e32 v24, 31, v23
	;; [unrolled: 25-line block ×4, first 2 shown]
	v_add_co_u32 v37, vcc_lo, s0, v46
	v_add_nc_u32_e32 v65, s3, v63
	v_ashrrev_i32_e32 v42, 31, v41
	v_add_co_ci_u32_e32 v38, vcc_lo, s1, v47, vcc_lo
	v_lshlrev_b64 v[46:47], 2, v[39:40]
	s_delay_alu instid0(VALU_DEP_4) | instskip(SKIP_2) | instid1(VALU_DEP_3)
	v_add_nc_u32_e32 v67, s3, v65
	v_add_co_u32 v39, vcc_lo, s0, v49
	v_add_co_ci_u32_e32 v40, vcc_lo, s1, v50, vcc_lo
	v_add_nc_u32_e32 v69, s3, v67
	v_lshlrev_b64 v[49:50], 2, v[41:42]
	v_ashrrev_i32_e32 v44, 31, v43
	v_add_co_u32 v41, vcc_lo, s0, v46
	s_delay_alu instid0(VALU_DEP_4) | instskip(SKIP_3) | instid1(VALU_DEP_4)
	v_add_nc_u32_e32 v71, s3, v69
	v_ashrrev_i32_e32 v46, 31, v45
	v_add_co_ci_u32_e32 v42, vcc_lo, s1, v47, vcc_lo
	v_lshlrev_b64 v[82:83], 2, v[43:44]
	v_add_nc_u32_e32 v73, s3, v71
	v_add_co_u32 v43, vcc_lo, s0, v49
	v_ashrrev_i32_e32 v49, 31, v48
	v_lshlrev_b64 v[96:97], 2, v[45:46]
	s_delay_alu instid0(VALU_DEP_4) | instskip(SKIP_3) | instid1(VALU_DEP_4)
	v_add_nc_u32_e32 v75, s3, v73
	v_ashrrev_i32_e32 v52, 31, v51
	v_add_co_ci_u32_e32 v44, vcc_lo, s1, v50, vcc_lo
	v_add_co_u32 v45, vcc_lo, s0, v82
	v_add_nc_u32_e32 v77, s3, v75
	v_lshlrev_b64 v[49:50], 2, v[48:49]
	v_ashrrev_i32_e32 v54, 31, v53
	v_add_co_ci_u32_e32 v46, vcc_lo, s1, v83, vcc_lo
	s_delay_alu instid0(VALU_DEP_4) | instskip(SKIP_3) | instid1(VALU_DEP_4)
	v_add_nc_u32_e32 v79, s3, v77
	v_add_co_u32 v47, vcc_lo, s0, v96
	v_lshlrev_b64 v[51:52], 2, v[51:52]
	v_ashrrev_i32_e32 v56, 31, v55
	v_add_nc_u32_e32 v81, s3, v79
	v_add_co_ci_u32_e32 v48, vcc_lo, s1, v97, vcc_lo
	v_add_co_u32 v49, vcc_lo, s0, v49
	s_delay_alu instid0(VALU_DEP_3) | instskip(SKIP_3) | instid1(VALU_DEP_4)
	v_add_nc_u32_e32 v85, s3, v81
	v_lshlrev_b64 v[53:54], 2, v[53:54]
	v_ashrrev_i32_e32 v58, 31, v57
	v_add_co_ci_u32_e32 v50, vcc_lo, s1, v50, vcc_lo
	v_add_nc_u32_e32 v87, s3, v85
	v_add_co_u32 v51, vcc_lo, s0, v51
	v_lshlrev_b64 v[55:56], 2, v[55:56]
	v_ashrrev_i32_e32 v60, 31, v59
	s_delay_alu instid0(VALU_DEP_4) | instskip(SKIP_2) | instid1(VALU_DEP_3)
	v_add_nc_u32_e32 v89, s3, v87
	v_add_co_ci_u32_e32 v52, vcc_lo, s1, v52, vcc_lo
	v_add_co_u32 v53, vcc_lo, s0, v53
	v_add_nc_u32_e32 v91, s3, v89
	v_lshlrev_b64 v[57:58], 2, v[57:58]
	v_ashrrev_i32_e32 v62, 31, v61
	v_add_co_ci_u32_e32 v54, vcc_lo, s1, v54, vcc_lo
	s_delay_alu instid0(VALU_DEP_4) | instskip(SKIP_3) | instid1(VALU_DEP_4)
	v_add_nc_u32_e32 v93, s3, v91
	v_add_co_u32 v55, vcc_lo, s0, v55
	v_lshlrev_b64 v[59:60], 2, v[59:60]
	v_ashrrev_i32_e32 v64, 31, v63
	v_add_nc_u32_e32 v95, s3, v93
	v_add_co_ci_u32_e32 v56, vcc_lo, s1, v56, vcc_lo
	v_add_co_u32 v57, vcc_lo, s0, v57
	s_delay_alu instid0(VALU_DEP_3) | instskip(SKIP_3) | instid1(VALU_DEP_4)
	v_add_nc_u32_e32 v98, s3, v95
	v_lshlrev_b64 v[61:62], 2, v[61:62]
	v_add_co_ci_u32_e32 v58, vcc_lo, s1, v58, vcc_lo
	v_add_co_u32 v59, vcc_lo, s0, v59
	v_add_nc_u32_e32 v100, s3, v98
	v_lshlrev_b64 v[63:64], 2, v[63:64]
	v_ashrrev_i32_e32 v66, 31, v65
	v_add_co_ci_u32_e32 v60, vcc_lo, s1, v60, vcc_lo
	s_delay_alu instid0(VALU_DEP_4) | instskip(SKIP_2) | instid1(VALU_DEP_3)
	v_add_nc_u32_e32 v102, s3, v100
	v_add_co_u32 v61, vcc_lo, s0, v61
	v_add_co_ci_u32_e32 v62, vcc_lo, s1, v62, vcc_lo
	v_add_nc_u32_e32 v104, s3, v102
	v_lshlrev_b64 v[82:83], 2, v[65:66]
	v_ashrrev_i32_e32 v68, 31, v67
	v_add_co_u32 v65, vcc_lo, s0, v63
	s_delay_alu instid0(VALU_DEP_4) | instskip(SKIP_3) | instid1(VALU_DEP_4)
	v_add_nc_u32_e32 v106, s3, v104
	v_add_co_ci_u32_e32 v66, vcc_lo, s1, v64, vcc_lo
	v_ashrrev_i32_e32 v70, 31, v69
	v_lshlrev_b64 v[115:116], 2, v[67:68]
	v_add_nc_u32_e32 v108, s3, v106
	v_add_co_u32 v67, vcc_lo, s0, v82
	v_add_co_ci_u32_e32 v68, vcc_lo, s1, v83, vcc_lo
	s_delay_alu instid0(VALU_DEP_3)
	v_add_nc_u32_e32 v110, s3, v108
	v_lshlrev_b64 v[82:83], 2, v[69:70]
	v_ashrrev_i32_e32 v72, 31, v71
	v_ashrrev_i32_e32 v74, 31, v73
	;; [unrolled: 1-line block ×3, first 2 shown]
	v_add_nc_u32_e32 v112, s3, v110
	v_ashrrev_i32_e32 v78, 31, v77
	v_ashrrev_i32_e32 v80, 31, v79
	;; [unrolled: 1-line block ×4, first 2 shown]
	v_add_nc_u32_e32 v114, s3, v112
	v_ashrrev_i32_e32 v90, 31, v89
	v_ashrrev_i32_e32 v92, 31, v91
	v_lshlrev_b64 v[85:86], 2, v[85:86]
	v_lshlrev_b64 v[87:88], 2, v[87:88]
	v_add_nc_u32_e32 v167, s3, v114
	v_lshlrev_b64 v[89:90], 2, v[89:90]
	v_ashrrev_i32_e32 v94, 31, v93
	v_lshlrev_b64 v[91:92], 2, v[91:92]
	v_ashrrev_i32_e32 v99, 31, v98
	v_add_nc_u32_e32 v96, s3, v167
	v_ashrrev_i32_e32 v101, 31, v100
	v_lshlrev_b64 v[93:94], 2, v[93:94]
	v_ashrrev_i32_e32 v103, 31, v102
	v_ashrrev_i32_e32 v105, 31, v104
	;; [unrolled: 1-line block ×7, first 2 shown]
	v_lshlrev_b64 v[63:64], 2, v[96:97]
	v_lshlrev_b64 v[96:97], 2, v[71:72]
	v_ashrrev_i32_e32 v168, 31, v167
	s_clause 0x10
	global_load_b32 v118, v117, s[0:1]
	global_load_b32 v119, v[3:4], off
	global_load_b32 v120, v[5:6], off
	;; [unrolled: 1-line block ×16, first 2 shown]
	v_add_co_u32 v63, vcc_lo, s0, v63
	v_add_co_ci_u32_e32 v64, vcc_lo, s1, v64, vcc_lo
	v_add_co_u32 v69, vcc_lo, s0, v115
	v_add_co_ci_u32_e32 v70, vcc_lo, s1, v116, vcc_lo
	;; [unrolled: 2-line block ×3, first 2 shown]
	v_lshlrev_b64 v[82:83], 2, v[73:74]
	v_add_co_u32 v73, vcc_lo, s0, v96
	v_add_co_ci_u32_e32 v74, vcc_lo, s1, v97, vcc_lo
	v_lshlrev_b64 v[96:97], 2, v[75:76]
	s_delay_alu instid0(VALU_DEP_4) | instskip(SKIP_2) | instid1(VALU_DEP_4)
	v_add_co_u32 v75, vcc_lo, s0, v82
	v_add_co_ci_u32_e32 v76, vcc_lo, s1, v83, vcc_lo
	v_lshlrev_b64 v[83:84], 2, v[77:78]
	v_add_co_u32 v77, vcc_lo, s0, v96
	v_ashrrev_i32_e32 v82, 31, v81
	v_add_co_ci_u32_e32 v78, vcc_lo, s1, v97, vcc_lo
	v_lshlrev_b64 v[96:97], 2, v[79:80]
	v_add_co_u32 v79, vcc_lo, s0, v83
	v_add_co_ci_u32_e32 v80, vcc_lo, s1, v84, vcc_lo
	v_lshlrev_b64 v[83:84], 2, v[81:82]
	s_delay_alu instid0(VALU_DEP_4) | instskip(SKIP_2) | instid1(VALU_DEP_4)
	v_add_co_u32 v81, vcc_lo, s0, v96
	v_add_co_ci_u32_e32 v82, vcc_lo, s1, v97, vcc_lo
	v_ashrrev_i32_e32 v96, 31, v95
	v_add_co_u32 v83, vcc_lo, s0, v83
	v_add_co_ci_u32_e32 v84, vcc_lo, s1, v84, vcc_lo
	v_add_co_u32 v85, vcc_lo, s0, v85
	v_add_co_ci_u32_e32 v86, vcc_lo, s1, v86, vcc_lo
	;; [unrolled: 2-line block ×4, first 2 shown]
	v_add_co_u32 v91, vcc_lo, s0, v91
	v_lshlrev_b64 v[95:96], 2, v[95:96]
	v_add_co_ci_u32_e32 v92, vcc_lo, s1, v92, vcc_lo
	v_add_co_u32 v93, vcc_lo, s0, v93
	v_lshlrev_b64 v[97:98], 2, v[98:99]
	v_add_co_ci_u32_e32 v94, vcc_lo, s1, v94, vcc_lo
	;; [unrolled: 3-line block ×7, first 2 shown]
	v_add_co_u32 v105, vcc_lo, s0, v105
	v_lshlrev_b64 v[109:110], 2, v[110:111]
	v_ashrrev_i32_e32 v115, 31, v114
	v_add_co_ci_u32_e32 v106, vcc_lo, s1, v106, vcc_lo
	v_add_co_u32 v107, vcc_lo, s0, v107
	v_lshlrev_b64 v[111:112], 2, v[112:113]
	v_add_co_ci_u32_e32 v108, vcc_lo, s1, v108, vcc_lo
	v_add_co_u32 v109, vcc_lo, s0, v109
	v_lshlrev_b64 v[113:114], 2, v[114:115]
	;; [unrolled: 3-line block ×3, first 2 shown]
	v_add_co_ci_u32_e32 v112, vcc_lo, s1, v112, vcc_lo
	v_add_co_u32 v113, vcc_lo, s0, v113
	v_add_co_ci_u32_e32 v114, vcc_lo, s1, v114, vcc_lo
	s_delay_alu instid0(VALU_DEP_4)
	v_add_co_u32 v115, vcc_lo, s0, v115
	s_clause 0x1f
	global_load_b32 v135, v[35:36], off
	global_load_b32 v136, v[37:38], off
	;; [unrolled: 1-line block ×32, first 2 shown]
	v_add_co_ci_u32_e32 v116, vcc_lo, s1, v116, vcc_lo
	s_clause 0x8
	global_load_b32 v167, v[101:102], off
	global_load_b32 v168, v[103:104], off
	;; [unrolled: 1-line block ×9, first 2 shown]
	s_bitcmp0_b32 s17, 0
	s_mov_b32 s1, -1
	s_waitcnt vmcnt(54)
	scratch_store_b128 off, v[118:121], off
	s_waitcnt vmcnt(50)
	scratch_store_b128 off, v[122:125], off offset:16
	s_waitcnt vmcnt(46)
	scratch_store_b128 off, v[126:129], off offset:32
	;; [unrolled: 2-line block ×13, first 2 shown]
	s_waitcnt vmcnt(0)
	scratch_store_b64 off, v[174:175], off offset:224
	s_cbranch_scc1 .LBB57_238
; %bb.4:
	v_cmp_eq_u32_e64 s0, 0, v0
	s_delay_alu instid0(VALU_DEP_1)
	s_and_saveexec_b32 s1, s0
	s_cbranch_execz .LBB57_6
; %bb.5:
	v_mov_b32_e32 v118, 0
	ds_store_b32 v118, v118 offset:232
.LBB57_6:
	s_or_b32 exec_lo, exec_lo, s1
	s_waitcnt lgkmcnt(0)
	s_waitcnt_vscnt null, 0x0
	s_barrier
	buffer_gl0_inv
	scratch_load_b32 v118, v117, off
	s_mov_b32 s2, exec_lo
	s_waitcnt vmcnt(0)
	v_cmpx_eq_f32_e32 0, v118
	s_cbranch_execz .LBB57_10
; %bb.7:
	v_mov_b32_e32 v118, 0
	s_mov_b32 s3, 0
	ds_load_b32 v119, v118 offset:232
	s_waitcnt lgkmcnt(0)
	v_readfirstlane_b32 s1, v119
	v_add_nc_u32_e32 v119, 1, v0
	s_delay_alu instid0(VALU_DEP_2) | instskip(NEXT) | instid1(VALU_DEP_1)
	s_cmp_eq_u32 s1, 0
	v_cmp_gt_i32_e32 vcc_lo, s1, v119
	s_cselect_b32 s4, -1, 0
	s_delay_alu instid0(SALU_CYCLE_1) | instskip(NEXT) | instid1(SALU_CYCLE_1)
	s_or_b32 s4, s4, vcc_lo
	s_and_b32 exec_lo, exec_lo, s4
	s_cbranch_execz .LBB57_10
; %bb.8:
	v_mov_b32_e32 v120, s1
.LBB57_9:                               ; =>This Inner Loop Header: Depth=1
	ds_cmpstore_rtn_b32 v120, v118, v119, v120 offset:232
	s_waitcnt lgkmcnt(0)
	v_cmp_ne_u32_e32 vcc_lo, 0, v120
	v_cmp_le_i32_e64 s1, v120, v119
	s_delay_alu instid0(VALU_DEP_1) | instskip(NEXT) | instid1(SALU_CYCLE_1)
	s_and_b32 s1, vcc_lo, s1
	s_and_b32 s1, exec_lo, s1
	s_delay_alu instid0(SALU_CYCLE_1) | instskip(NEXT) | instid1(SALU_CYCLE_1)
	s_or_b32 s3, s1, s3
	s_and_not1_b32 exec_lo, exec_lo, s3
	s_cbranch_execnz .LBB57_9
.LBB57_10:
	s_or_b32 exec_lo, exec_lo, s2
	v_mov_b32_e32 v118, 0
	s_barrier
	buffer_gl0_inv
	ds_load_b32 v119, v118 offset:232
	s_and_saveexec_b32 s1, s0
	s_cbranch_execz .LBB57_12
; %bb.11:
	s_lshl_b64 s[2:3], s[14:15], 2
	s_delay_alu instid0(SALU_CYCLE_1)
	s_add_u32 s2, s6, s2
	s_addc_u32 s3, s7, s3
	s_waitcnt lgkmcnt(0)
	global_store_b32 v118, v119, s[2:3]
.LBB57_12:
	s_or_b32 exec_lo, exec_lo, s1
	s_waitcnt lgkmcnt(0)
	v_cmp_ne_u32_e32 vcc_lo, 0, v119
	s_mov_b32 s1, 0
	s_cbranch_vccnz .LBB57_238
; %bb.13:
	v_add_nc_u32_e32 v118, 0, v117
	scratch_load_b32 v119, v118, off
	s_waitcnt vmcnt(0)
	v_div_scale_f32 v120, null, v119, v119, 1.0
	v_div_scale_f32 v123, vcc_lo, 1.0, v119, 1.0
	s_delay_alu instid0(VALU_DEP_2) | instskip(SKIP_2) | instid1(VALU_DEP_1)
	v_rcp_f32_e32 v121, v120
	s_waitcnt_depctr 0xfff
	v_fma_f32 v122, -v120, v121, 1.0
	v_fmac_f32_e32 v121, v122, v121
	s_delay_alu instid0(VALU_DEP_1) | instskip(NEXT) | instid1(VALU_DEP_1)
	v_mul_f32_e32 v122, v123, v121
	v_fma_f32 v124, -v120, v122, v123
	s_delay_alu instid0(VALU_DEP_1) | instskip(NEXT) | instid1(VALU_DEP_1)
	v_fmac_f32_e32 v122, v124, v121
	v_fma_f32 v120, -v120, v122, v123
	s_delay_alu instid0(VALU_DEP_1) | instskip(NEXT) | instid1(VALU_DEP_1)
	v_div_fmas_f32 v120, v120, v121, v122
	v_div_fixup_f32 v119, v120, v119, 1.0
	scratch_store_b32 v118, v119, off
	scratch_load_b32 v120, off, off offset:4
	v_xor_b32_e32 v121, 0x80000000, v119
	v_add_nc_u32_e32 v119, 0xf0, v117
	s_waitcnt vmcnt(0)
	ds_store_2addr_b32 v117, v121, v120 offset1:60
	s_waitcnt lgkmcnt(0)
	s_waitcnt_vscnt null, 0x0
	s_barrier
	buffer_gl0_inv
	s_and_saveexec_b32 s1, s0
	s_cbranch_execz .LBB57_15
; %bb.14:
	scratch_load_b32 v120, v118, off
	ds_load_b32 v121, v119
	v_mov_b32_e32 v122, 0
	ds_load_b32 v122, v122 offset:4
	s_waitcnt vmcnt(0) lgkmcnt(1)
	v_fma_f32 v120, v120, v121, 0
	s_waitcnt lgkmcnt(0)
	s_delay_alu instid0(VALU_DEP_1)
	v_mul_f32_e32 v120, v120, v122
	scratch_store_b32 off, v120, off offset:4
.LBB57_15:
	s_or_b32 exec_lo, exec_lo, s1
	s_waitcnt_vscnt null, 0x0
	s_barrier
	buffer_gl0_inv
	scratch_load_b32 v120, off, off offset:8
	s_mov_b32 s1, exec_lo
	s_waitcnt vmcnt(0)
	ds_store_b32 v119, v120
	s_waitcnt lgkmcnt(0)
	s_barrier
	buffer_gl0_inv
	v_cmpx_gt_u32_e32 2, v0
	s_cbranch_execz .LBB57_17
; %bb.16:
	scratch_load_b32 v122, v118, off
	scratch_load_b32 v123, off, off offset:4
	ds_load_b32 v124, v119
	v_mov_b32_e32 v120, 0
	ds_load_2addr_b32 v[120:121], v120 offset0:2 offset1:61
	s_waitcnt vmcnt(1) lgkmcnt(1)
	v_fma_f32 v122, v122, v124, 0
	s_waitcnt vmcnt(0) lgkmcnt(0)
	s_delay_alu instid0(VALU_DEP_1) | instskip(NEXT) | instid1(VALU_DEP_1)
	v_fma_f32 v121, v123, v121, v122
	v_cndmask_b32_e64 v121, v122, v121, s0
	s_delay_alu instid0(VALU_DEP_1)
	v_mul_f32_e32 v120, v121, v120
	scratch_store_b32 off, v120, off offset:8
.LBB57_17:
	s_or_b32 exec_lo, exec_lo, s1
	s_waitcnt_vscnt null, 0x0
	s_barrier
	buffer_gl0_inv
	scratch_load_b32 v121, off, off offset:12
	v_add_nc_u32_e32 v120, -1, v0
	s_mov_b32 s0, exec_lo
	s_waitcnt vmcnt(0)
	ds_store_b32 v119, v121
	s_waitcnt lgkmcnt(0)
	s_barrier
	buffer_gl0_inv
	v_cmpx_gt_u32_e32 3, v0
	s_cbranch_execz .LBB57_21
; %bb.18:
	v_dual_mov_b32 v121, 0 :: v_dual_add_nc_u32 v122, -1, v0
	v_add_nc_u32_e32 v123, 0xf0, v117
	v_add_nc_u32_e32 v124, 0, v117
	s_mov_b32 s1, 0
.LBB57_19:                              ; =>This Inner Loop Header: Depth=1
	scratch_load_b32 v125, v124, off
	ds_load_b32 v126, v123
	v_add_nc_u32_e32 v122, 1, v122
	v_add_nc_u32_e32 v123, 4, v123
	v_add_nc_u32_e32 v124, 4, v124
	s_delay_alu instid0(VALU_DEP_3)
	v_cmp_lt_u32_e32 vcc_lo, 1, v122
	s_or_b32 s1, vcc_lo, s1
	s_waitcnt vmcnt(0) lgkmcnt(0)
	v_fmac_f32_e32 v121, v125, v126
	s_and_not1_b32 exec_lo, exec_lo, s1
	s_cbranch_execnz .LBB57_19
; %bb.20:
	s_or_b32 exec_lo, exec_lo, s1
	v_mov_b32_e32 v122, 0
	ds_load_b32 v122, v122 offset:12
	s_waitcnt lgkmcnt(0)
	v_mul_f32_e32 v121, v121, v122
	scratch_store_b32 off, v121, off offset:12
.LBB57_21:
	s_or_b32 exec_lo, exec_lo, s0
	s_waitcnt_vscnt null, 0x0
	s_barrier
	buffer_gl0_inv
	scratch_load_b32 v121, off, off offset:16
	s_mov_b32 s0, exec_lo
	s_waitcnt vmcnt(0)
	ds_store_b32 v119, v121
	s_waitcnt lgkmcnt(0)
	s_barrier
	buffer_gl0_inv
	v_cmpx_gt_u32_e32 4, v0
	s_cbranch_execz .LBB57_25
; %bb.22:
	v_dual_mov_b32 v121, 0 :: v_dual_add_nc_u32 v122, -1, v0
	v_add_nc_u32_e32 v123, 0xf0, v117
	v_add_nc_u32_e32 v124, 0, v117
	s_mov_b32 s1, 0
.LBB57_23:                              ; =>This Inner Loop Header: Depth=1
	scratch_load_b32 v125, v124, off
	ds_load_b32 v126, v123
	v_add_nc_u32_e32 v122, 1, v122
	v_add_nc_u32_e32 v123, 4, v123
	v_add_nc_u32_e32 v124, 4, v124
	s_delay_alu instid0(VALU_DEP_3)
	v_cmp_lt_u32_e32 vcc_lo, 2, v122
	s_or_b32 s1, vcc_lo, s1
	s_waitcnt vmcnt(0) lgkmcnt(0)
	v_fmac_f32_e32 v121, v125, v126
	s_and_not1_b32 exec_lo, exec_lo, s1
	s_cbranch_execnz .LBB57_23
; %bb.24:
	s_or_b32 exec_lo, exec_lo, s1
	v_mov_b32_e32 v122, 0
	ds_load_b32 v122, v122 offset:16
	s_waitcnt lgkmcnt(0)
	v_mul_f32_e32 v121, v121, v122
	scratch_store_b32 off, v121, off offset:16
.LBB57_25:
	s_or_b32 exec_lo, exec_lo, s0
	s_waitcnt_vscnt null, 0x0
	s_barrier
	buffer_gl0_inv
	scratch_load_b32 v121, off, off offset:20
	;; [unrolled: 39-line block ×21, first 2 shown]
	s_mov_b32 s0, exec_lo
	s_waitcnt vmcnt(0)
	ds_store_b32 v119, v121
	s_waitcnt lgkmcnt(0)
	s_barrier
	buffer_gl0_inv
	v_cmpx_gt_u32_e32 24, v0
	s_cbranch_execz .LBB57_105
; %bb.102:
	v_dual_mov_b32 v121, 0 :: v_dual_add_nc_u32 v122, -1, v0
	v_add_nc_u32_e32 v123, 0xf0, v117
	v_add_nc_u32_e32 v124, 0, v117
	s_mov_b32 s1, 0
.LBB57_103:                             ; =>This Inner Loop Header: Depth=1
	scratch_load_b32 v125, v124, off
	ds_load_b32 v126, v123
	v_add_nc_u32_e32 v122, 1, v122
	v_add_nc_u32_e32 v123, 4, v123
	v_add_nc_u32_e32 v124, 4, v124
	s_delay_alu instid0(VALU_DEP_3)
	v_cmp_lt_u32_e32 vcc_lo, 22, v122
	s_or_b32 s1, vcc_lo, s1
	s_waitcnt vmcnt(0) lgkmcnt(0)
	v_fmac_f32_e32 v121, v125, v126
	s_and_not1_b32 exec_lo, exec_lo, s1
	s_cbranch_execnz .LBB57_103
; %bb.104:
	s_or_b32 exec_lo, exec_lo, s1
	v_mov_b32_e32 v122, 0
	ds_load_b32 v122, v122 offset:96
	s_waitcnt lgkmcnt(0)
	v_mul_f32_e32 v121, v121, v122
	scratch_store_b32 off, v121, off offset:96
.LBB57_105:
	s_or_b32 exec_lo, exec_lo, s0
	s_waitcnt_vscnt null, 0x0
	s_barrier
	buffer_gl0_inv
	scratch_load_b32 v121, off, off offset:100
	s_mov_b32 s0, exec_lo
	s_waitcnt vmcnt(0)
	ds_store_b32 v119, v121
	s_waitcnt lgkmcnt(0)
	s_barrier
	buffer_gl0_inv
	v_cmpx_gt_u32_e32 25, v0
	s_cbranch_execz .LBB57_109
; %bb.106:
	v_dual_mov_b32 v121, 0 :: v_dual_add_nc_u32 v122, -1, v0
	v_add_nc_u32_e32 v123, 0xf0, v117
	v_add_nc_u32_e32 v124, 0, v117
	s_mov_b32 s1, 0
.LBB57_107:                             ; =>This Inner Loop Header: Depth=1
	scratch_load_b32 v125, v124, off
	ds_load_b32 v126, v123
	v_add_nc_u32_e32 v122, 1, v122
	v_add_nc_u32_e32 v123, 4, v123
	v_add_nc_u32_e32 v124, 4, v124
	s_delay_alu instid0(VALU_DEP_3)
	v_cmp_lt_u32_e32 vcc_lo, 23, v122
	s_or_b32 s1, vcc_lo, s1
	s_waitcnt vmcnt(0) lgkmcnt(0)
	v_fmac_f32_e32 v121, v125, v126
	s_and_not1_b32 exec_lo, exec_lo, s1
	s_cbranch_execnz .LBB57_107
; %bb.108:
	s_or_b32 exec_lo, exec_lo, s1
	v_mov_b32_e32 v122, 0
	ds_load_b32 v122, v122 offset:100
	s_waitcnt lgkmcnt(0)
	v_mul_f32_e32 v121, v121, v122
	scratch_store_b32 off, v121, off offset:100
.LBB57_109:
	s_or_b32 exec_lo, exec_lo, s0
	s_waitcnt_vscnt null, 0x0
	s_barrier
	buffer_gl0_inv
	scratch_load_b32 v121, off, off offset:104
	;; [unrolled: 39-line block ×32, first 2 shown]
	s_mov_b32 s0, exec_lo
	s_waitcnt vmcnt(0)
	ds_store_b32 v119, v121
	s_waitcnt lgkmcnt(0)
	s_barrier
	buffer_gl0_inv
	v_cmpx_gt_u32_e32 56, v0
	s_cbranch_execz .LBB57_233
; %bb.230:
	v_add_nc_u32_e32 v121, -1, v0
	v_add_nc_u32_e32 v122, 0xf0, v117
	v_add_nc_u32_e32 v123, 0, v117
	v_mov_b32_e32 v117, 0
	s_mov_b32 s1, 0
.LBB57_231:                             ; =>This Inner Loop Header: Depth=1
	scratch_load_b32 v124, v123, off
	ds_load_b32 v125, v122
	v_add_nc_u32_e32 v121, 1, v121
	v_add_nc_u32_e32 v122, 4, v122
	v_add_nc_u32_e32 v123, 4, v123
	s_delay_alu instid0(VALU_DEP_3)
	v_cmp_lt_u32_e32 vcc_lo, 54, v121
	s_or_b32 s1, vcc_lo, s1
	s_waitcnt vmcnt(0) lgkmcnt(0)
	v_fmac_f32_e32 v117, v124, v125
	s_and_not1_b32 exec_lo, exec_lo, s1
	s_cbranch_execnz .LBB57_231
; %bb.232:
	s_or_b32 exec_lo, exec_lo, s1
	v_mov_b32_e32 v121, 0
	ds_load_b32 v121, v121 offset:224
	s_waitcnt lgkmcnt(0)
	v_mul_f32_e32 v117, v117, v121
	scratch_store_b32 off, v117, off offset:224
.LBB57_233:
	s_or_b32 exec_lo, exec_lo, s0
	s_waitcnt_vscnt null, 0x0
	s_barrier
	buffer_gl0_inv
	scratch_load_b32 v117, off, off offset:228
	s_mov_b32 s0, exec_lo
	s_waitcnt vmcnt(0)
	ds_store_b32 v119, v117
	s_waitcnt lgkmcnt(0)
	s_barrier
	buffer_gl0_inv
	v_cmpx_ne_u32_e32 57, v0
	s_cbranch_execz .LBB57_237
; %bb.234:
	v_mov_b32_e32 v117, 0
	s_mov_b32 s1, 0
.LBB57_235:                             ; =>This Inner Loop Header: Depth=1
	scratch_load_b32 v121, v118, off
	ds_load_b32 v122, v119
	v_add_nc_u32_e32 v120, 1, v120
	v_add_nc_u32_e32 v119, 4, v119
	;; [unrolled: 1-line block ×3, first 2 shown]
	s_waitcnt vmcnt(0) lgkmcnt(0)
	v_fmac_f32_e32 v117, v121, v122
	v_cmp_lt_u32_e32 vcc_lo, 55, v120
	s_or_b32 s1, vcc_lo, s1
	s_delay_alu instid0(SALU_CYCLE_1)
	s_and_not1_b32 exec_lo, exec_lo, s1
	s_cbranch_execnz .LBB57_235
; %bb.236:
	s_or_b32 exec_lo, exec_lo, s1
	v_mov_b32_e32 v118, 0
	ds_load_b32 v118, v118 offset:228
	s_waitcnt lgkmcnt(0)
	v_mul_f32_e32 v117, v117, v118
	scratch_store_b32 off, v117, off offset:228
.LBB57_237:
	s_or_b32 exec_lo, exec_lo, s0
	s_mov_b32 s1, -1
	s_waitcnt_vscnt null, 0x0
	s_barrier
	buffer_gl0_inv
.LBB57_238:
	s_and_b32 vcc_lo, exec_lo, s1
	s_cbranch_vccz .LBB57_240
; %bb.239:
	s_lshl_b64 s[0:1], s[14:15], 2
	v_mov_b32_e32 v117, 0
	s_add_u32 s0, s6, s0
	s_addc_u32 s1, s7, s1
	global_load_b32 v117, v117, s[0:1]
	s_waitcnt vmcnt(0)
	v_cmp_ne_u32_e32 vcc_lo, 0, v117
	s_cbranch_vccz .LBB57_241
.LBB57_240:
	s_endpgm
.LBB57_241:
	v_lshl_add_u32 v117, v0, 2, 0xf0
	s_mov_b32 s0, exec_lo
	v_cmpx_eq_u32_e32 57, v0
	s_cbranch_execz .LBB57_243
; %bb.242:
	scratch_load_b32 v118, off, off offset:224
	v_mov_b32_e32 v119, 0
	scratch_store_b32 off, v119, off offset:224
	s_waitcnt vmcnt(0)
	ds_store_b32 v117, v118
.LBB57_243:
	s_or_b32 exec_lo, exec_lo, s0
	s_waitcnt lgkmcnt(0)
	s_waitcnt_vscnt null, 0x0
	s_barrier
	buffer_gl0_inv
	scratch_load_b64 v[119:120], off, off offset:224
	v_mov_b32_e32 v118, 0
	s_mov_b32 s0, exec_lo
	ds_load_b32 v121, v118 offset:468
	s_waitcnt vmcnt(0) lgkmcnt(0)
	v_fma_f32 v120, v120, v121, 0
	s_delay_alu instid0(VALU_DEP_1)
	v_sub_f32_e32 v119, v119, v120
	scratch_store_b32 off, v119, off offset:224
	v_cmpx_lt_u32_e32 55, v0
	s_cbranch_execz .LBB57_245
; %bb.244:
	scratch_load_b32 v119, off, off offset:220
	scratch_store_b32 off, v118, off offset:220
	s_waitcnt vmcnt(0)
	ds_store_b32 v117, v119
.LBB57_245:
	s_or_b32 exec_lo, exec_lo, s0
	s_waitcnt lgkmcnt(0)
	s_waitcnt_vscnt null, 0x0
	s_barrier
	buffer_gl0_inv
	scratch_load_b96 v[119:121], off, off offset:220
	ds_load_b64 v[122:123], v118 offset:464
	s_mov_b32 s0, exec_lo
	s_waitcnt vmcnt(0) lgkmcnt(0)
	v_fma_f32 v118, v120, v122, 0
	s_delay_alu instid0(VALU_DEP_1) | instskip(NEXT) | instid1(VALU_DEP_1)
	v_fmac_f32_e32 v118, v121, v123
	v_sub_f32_e32 v118, v119, v118
	scratch_store_b32 off, v118, off offset:220
	v_cmpx_lt_u32_e32 54, v0
	s_cbranch_execz .LBB57_247
; %bb.246:
	scratch_load_b32 v118, off, off offset:216
	v_mov_b32_e32 v119, 0
	scratch_store_b32 off, v119, off offset:216
	s_waitcnt vmcnt(0)
	ds_store_b32 v117, v118
.LBB57_247:
	s_or_b32 exec_lo, exec_lo, s0
	s_waitcnt lgkmcnt(0)
	s_waitcnt_vscnt null, 0x0
	s_barrier
	buffer_gl0_inv
	scratch_load_b128 v[119:122], off, off offset:216
	v_mov_b32_e32 v118, 0
	ds_load_2addr_b32 v[123:124], v118 offset0:115 offset1:116
	ds_load_b32 v125, v118 offset:468
	s_mov_b32 s0, exec_lo
	s_waitcnt vmcnt(0) lgkmcnt(1)
	v_fma_f32 v120, v120, v123, 0
	s_delay_alu instid0(VALU_DEP_1) | instskip(SKIP_1) | instid1(VALU_DEP_1)
	v_fmac_f32_e32 v120, v121, v124
	s_waitcnt lgkmcnt(0)
	v_fmac_f32_e32 v120, v122, v125
	s_delay_alu instid0(VALU_DEP_1)
	v_sub_f32_e32 v119, v119, v120
	scratch_store_b32 off, v119, off offset:216
	v_cmpx_lt_u32_e32 53, v0
	s_cbranch_execz .LBB57_249
; %bb.248:
	scratch_load_b32 v119, off, off offset:212
	scratch_store_b32 off, v118, off offset:212
	s_waitcnt vmcnt(0)
	ds_store_b32 v117, v119
.LBB57_249:
	s_or_b32 exec_lo, exec_lo, s0
	s_waitcnt lgkmcnt(0)
	s_waitcnt_vscnt null, 0x0
	s_barrier
	buffer_gl0_inv
	s_clause 0x1
	scratch_load_b128 v[119:122], off, off offset:212
	scratch_load_b32 v127, off, off offset:228
	ds_load_2addr_b64 v[123:126], v118 offset0:57 offset1:58
	s_mov_b32 s0, exec_lo
	s_waitcnt vmcnt(1) lgkmcnt(0)
	v_fma_f32 v118, v120, v123, 0
	s_delay_alu instid0(VALU_DEP_1) | instskip(NEXT) | instid1(VALU_DEP_1)
	v_fmac_f32_e32 v118, v121, v124
	v_fmac_f32_e32 v118, v122, v125
	s_waitcnt vmcnt(0)
	s_delay_alu instid0(VALU_DEP_1) | instskip(NEXT) | instid1(VALU_DEP_1)
	v_fmac_f32_e32 v118, v127, v126
	v_sub_f32_e32 v118, v119, v118
	scratch_store_b32 off, v118, off offset:212
	v_cmpx_lt_u32_e32 52, v0
	s_cbranch_execz .LBB57_251
; %bb.250:
	scratch_load_b32 v118, off, off offset:208
	v_mov_b32_e32 v119, 0
	scratch_store_b32 off, v119, off offset:208
	s_waitcnt vmcnt(0)
	ds_store_b32 v117, v118
.LBB57_251:
	s_or_b32 exec_lo, exec_lo, s0
	s_waitcnt lgkmcnt(0)
	s_waitcnt_vscnt null, 0x0
	s_barrier
	buffer_gl0_inv
	s_clause 0x1
	scratch_load_b128 v[119:122], off, off offset:208
	scratch_load_b64 v[123:124], off, off offset:224
	v_mov_b32_e32 v118, 0
	ds_load_2addr_b32 v[125:126], v118 offset0:113 offset1:114
	ds_load_2addr_b32 v[127:128], v118 offset0:115 offset1:116
	ds_load_b32 v129, v118 offset:468
	s_mov_b32 s0, exec_lo
	s_waitcnt vmcnt(1) lgkmcnt(2)
	v_fma_f32 v120, v120, v125, 0
	s_delay_alu instid0(VALU_DEP_1) | instskip(SKIP_1) | instid1(VALU_DEP_1)
	v_fmac_f32_e32 v120, v121, v126
	s_waitcnt lgkmcnt(1)
	v_fmac_f32_e32 v120, v122, v127
	s_waitcnt vmcnt(0)
	s_delay_alu instid0(VALU_DEP_1) | instskip(SKIP_1) | instid1(VALU_DEP_1)
	v_fmac_f32_e32 v120, v123, v128
	s_waitcnt lgkmcnt(0)
	v_fmac_f32_e32 v120, v124, v129
	s_delay_alu instid0(VALU_DEP_1)
	v_sub_f32_e32 v119, v119, v120
	scratch_store_b32 off, v119, off offset:208
	v_cmpx_lt_u32_e32 51, v0
	s_cbranch_execz .LBB57_253
; %bb.252:
	scratch_load_b32 v119, off, off offset:204
	scratch_store_b32 off, v118, off offset:204
	s_waitcnt vmcnt(0)
	ds_store_b32 v117, v119
.LBB57_253:
	s_or_b32 exec_lo, exec_lo, s0
	s_waitcnt lgkmcnt(0)
	s_waitcnt_vscnt null, 0x0
	s_barrier
	buffer_gl0_inv
	s_clause 0x1
	scratch_load_b128 v[119:122], off, off offset:204
	scratch_load_b96 v[127:129], off, off offset:220
	ds_load_b128 v[123:126], v118 offset:448
	ds_load_b64 v[130:131], v118 offset:464
	s_mov_b32 s0, exec_lo
	s_waitcnt vmcnt(1) lgkmcnt(1)
	v_fma_f32 v118, v120, v123, 0
	s_delay_alu instid0(VALU_DEP_1) | instskip(NEXT) | instid1(VALU_DEP_1)
	v_fmac_f32_e32 v118, v121, v124
	v_fmac_f32_e32 v118, v122, v125
	s_waitcnt vmcnt(0)
	s_delay_alu instid0(VALU_DEP_1) | instskip(SKIP_1) | instid1(VALU_DEP_1)
	v_fmac_f32_e32 v118, v127, v126
	s_waitcnt lgkmcnt(0)
	v_fmac_f32_e32 v118, v128, v130
	s_delay_alu instid0(VALU_DEP_1) | instskip(NEXT) | instid1(VALU_DEP_1)
	v_fmac_f32_e32 v118, v129, v131
	v_sub_f32_e32 v118, v119, v118
	scratch_store_b32 off, v118, off offset:204
	v_cmpx_lt_u32_e32 50, v0
	s_cbranch_execz .LBB57_255
; %bb.254:
	scratch_load_b32 v118, off, off offset:200
	v_mov_b32_e32 v119, 0
	scratch_store_b32 off, v119, off offset:200
	s_waitcnt vmcnt(0)
	ds_store_b32 v117, v118
.LBB57_255:
	s_or_b32 exec_lo, exec_lo, s0
	s_waitcnt lgkmcnt(0)
	s_waitcnt_vscnt null, 0x0
	s_barrier
	buffer_gl0_inv
	s_clause 0x1
	scratch_load_b128 v[119:122], off, off offset:200
	scratch_load_b128 v[123:126], off, off offset:216
	v_mov_b32_e32 v118, 0
	ds_load_2addr_b32 v[127:128], v118 offset0:111 offset1:112
	ds_load_2addr_b32 v[129:130], v118 offset0:113 offset1:114
	;; [unrolled: 1-line block ×3, first 2 shown]
	ds_load_b32 v133, v118 offset:468
	s_mov_b32 s0, exec_lo
	s_waitcnt vmcnt(1) lgkmcnt(3)
	v_fma_f32 v120, v120, v127, 0
	s_delay_alu instid0(VALU_DEP_1) | instskip(SKIP_1) | instid1(VALU_DEP_1)
	v_fmac_f32_e32 v120, v121, v128
	s_waitcnt lgkmcnt(2)
	v_fmac_f32_e32 v120, v122, v129
	s_waitcnt vmcnt(0)
	s_delay_alu instid0(VALU_DEP_1) | instskip(SKIP_1) | instid1(VALU_DEP_1)
	v_fmac_f32_e32 v120, v123, v130
	s_waitcnt lgkmcnt(1)
	v_fmac_f32_e32 v120, v124, v131
	s_delay_alu instid0(VALU_DEP_1) | instskip(SKIP_1) | instid1(VALU_DEP_1)
	v_fmac_f32_e32 v120, v125, v132
	s_waitcnt lgkmcnt(0)
	v_fmac_f32_e32 v120, v126, v133
	s_delay_alu instid0(VALU_DEP_1)
	v_sub_f32_e32 v119, v119, v120
	scratch_store_b32 off, v119, off offset:200
	v_cmpx_lt_u32_e32 49, v0
	s_cbranch_execz .LBB57_257
; %bb.256:
	scratch_load_b32 v119, off, off offset:196
	scratch_store_b32 off, v118, off offset:196
	s_waitcnt vmcnt(0)
	ds_store_b32 v117, v119
.LBB57_257:
	s_or_b32 exec_lo, exec_lo, s0
	s_waitcnt lgkmcnt(0)
	s_waitcnt_vscnt null, 0x0
	s_barrier
	buffer_gl0_inv
	s_clause 0x2
	scratch_load_b128 v[119:122], off, off offset:196
	scratch_load_b128 v[123:126], off, off offset:212
	scratch_load_b32 v135, off, off offset:228
	ds_load_2addr_b64 v[127:130], v118 offset0:55 offset1:56
	ds_load_2addr_b64 v[131:134], v118 offset0:57 offset1:58
	s_mov_b32 s0, exec_lo
	s_waitcnt vmcnt(2) lgkmcnt(1)
	v_fma_f32 v118, v120, v127, 0
	s_delay_alu instid0(VALU_DEP_1) | instskip(NEXT) | instid1(VALU_DEP_1)
	v_fmac_f32_e32 v118, v121, v128
	v_fmac_f32_e32 v118, v122, v129
	s_waitcnt vmcnt(1)
	s_delay_alu instid0(VALU_DEP_1) | instskip(SKIP_1) | instid1(VALU_DEP_1)
	v_fmac_f32_e32 v118, v123, v130
	s_waitcnt lgkmcnt(0)
	v_fmac_f32_e32 v118, v124, v131
	s_delay_alu instid0(VALU_DEP_1) | instskip(NEXT) | instid1(VALU_DEP_1)
	v_fmac_f32_e32 v118, v125, v132
	v_fmac_f32_e32 v118, v126, v133
	s_waitcnt vmcnt(0)
	s_delay_alu instid0(VALU_DEP_1) | instskip(NEXT) | instid1(VALU_DEP_1)
	v_fmac_f32_e32 v118, v135, v134
	v_sub_f32_e32 v118, v119, v118
	scratch_store_b32 off, v118, off offset:196
	v_cmpx_lt_u32_e32 48, v0
	s_cbranch_execz .LBB57_259
; %bb.258:
	scratch_load_b32 v118, off, off offset:192
	v_mov_b32_e32 v119, 0
	scratch_store_b32 off, v119, off offset:192
	s_waitcnt vmcnt(0)
	ds_store_b32 v117, v118
.LBB57_259:
	s_or_b32 exec_lo, exec_lo, s0
	s_waitcnt lgkmcnt(0)
	s_waitcnt_vscnt null, 0x0
	s_barrier
	buffer_gl0_inv
	s_clause 0x2
	scratch_load_b128 v[119:122], off, off offset:192
	scratch_load_b128 v[123:126], off, off offset:208
	scratch_load_b64 v[127:128], off, off offset:224
	v_mov_b32_e32 v118, 0
	ds_load_2addr_b32 v[129:130], v118 offset0:109 offset1:110
	ds_load_2addr_b32 v[131:132], v118 offset0:111 offset1:112
	;; [unrolled: 1-line block ×4, first 2 shown]
	s_mov_b32 s0, exec_lo
	s_waitcnt vmcnt(2) lgkmcnt(3)
	v_fma_f32 v120, v120, v129, 0
	s_delay_alu instid0(VALU_DEP_1) | instskip(SKIP_4) | instid1(VALU_DEP_1)
	v_fmac_f32_e32 v120, v121, v130
	ds_load_b32 v121, v118 offset:468
	s_waitcnt lgkmcnt(3)
	v_fmac_f32_e32 v120, v122, v131
	s_waitcnt vmcnt(1)
	v_fmac_f32_e32 v120, v123, v132
	s_waitcnt lgkmcnt(2)
	s_delay_alu instid0(VALU_DEP_1) | instskip(NEXT) | instid1(VALU_DEP_1)
	v_fmac_f32_e32 v120, v124, v133
	v_fmac_f32_e32 v120, v125, v134
	s_waitcnt lgkmcnt(1)
	s_delay_alu instid0(VALU_DEP_1) | instskip(SKIP_1) | instid1(VALU_DEP_1)
	v_fmac_f32_e32 v120, v126, v135
	s_waitcnt vmcnt(0)
	v_fmac_f32_e32 v120, v127, v136
	s_waitcnt lgkmcnt(0)
	s_delay_alu instid0(VALU_DEP_1) | instskip(NEXT) | instid1(VALU_DEP_1)
	v_fmac_f32_e32 v120, v128, v121
	v_sub_f32_e32 v119, v119, v120
	scratch_store_b32 off, v119, off offset:192
	v_cmpx_lt_u32_e32 47, v0
	s_cbranch_execz .LBB57_261
; %bb.260:
	scratch_load_b32 v119, off, off offset:188
	scratch_store_b32 off, v118, off offset:188
	s_waitcnt vmcnt(0)
	ds_store_b32 v117, v119
.LBB57_261:
	s_or_b32 exec_lo, exec_lo, s0
	s_waitcnt lgkmcnt(0)
	s_waitcnt_vscnt null, 0x0
	s_barrier
	buffer_gl0_inv
	s_clause 0x2
	scratch_load_b128 v[119:122], off, off offset:188
	scratch_load_b128 v[123:126], off, off offset:204
	scratch_load_b96 v[135:137], off, off offset:220
	ds_load_b128 v[127:130], v118 offset:432
	ds_load_b128 v[131:134], v118 offset:448
	s_mov_b32 s0, exec_lo
	s_waitcnt vmcnt(2) lgkmcnt(1)
	v_fma_f32 v127, v120, v127, 0
	s_delay_alu instid0(VALU_DEP_1) | instskip(SKIP_3) | instid1(VALU_DEP_1)
	v_fmac_f32_e32 v127, v121, v128
	ds_load_b64 v[120:121], v118 offset:464
	v_fmac_f32_e32 v127, v122, v129
	s_waitcnt vmcnt(1)
	v_fmac_f32_e32 v127, v123, v130
	s_waitcnt lgkmcnt(1)
	s_delay_alu instid0(VALU_DEP_1) | instskip(NEXT) | instid1(VALU_DEP_1)
	v_fmac_f32_e32 v127, v124, v131
	v_fmac_f32_e32 v127, v125, v132
	s_delay_alu instid0(VALU_DEP_1) | instskip(SKIP_1) | instid1(VALU_DEP_1)
	v_fmac_f32_e32 v127, v126, v133
	s_waitcnt vmcnt(0)
	v_fmac_f32_e32 v127, v135, v134
	s_waitcnt lgkmcnt(0)
	s_delay_alu instid0(VALU_DEP_1) | instskip(NEXT) | instid1(VALU_DEP_1)
	v_fmac_f32_e32 v127, v136, v120
	v_fmac_f32_e32 v127, v137, v121
	s_delay_alu instid0(VALU_DEP_1)
	v_sub_f32_e32 v118, v119, v127
	scratch_store_b32 off, v118, off offset:188
	v_cmpx_lt_u32_e32 46, v0
	s_cbranch_execz .LBB57_263
; %bb.262:
	scratch_load_b32 v118, off, off offset:184
	v_mov_b32_e32 v119, 0
	scratch_store_b32 off, v119, off offset:184
	s_waitcnt vmcnt(0)
	ds_store_b32 v117, v118
.LBB57_263:
	s_or_b32 exec_lo, exec_lo, s0
	s_waitcnt lgkmcnt(0)
	s_waitcnt_vscnt null, 0x0
	s_barrier
	buffer_gl0_inv
	s_clause 0x2
	scratch_load_b128 v[119:122], off, off offset:184
	scratch_load_b128 v[123:126], off, off offset:200
	;; [unrolled: 1-line block ×3, first 2 shown]
	v_mov_b32_e32 v118, 0
	ds_load_2addr_b32 v[131:132], v118 offset0:107 offset1:108
	ds_load_2addr_b32 v[133:134], v118 offset0:109 offset1:110
	;; [unrolled: 1-line block ×4, first 2 shown]
	s_mov_b32 s0, exec_lo
	s_waitcnt vmcnt(2) lgkmcnt(3)
	v_fma_f32 v131, v120, v131, 0
	s_delay_alu instid0(VALU_DEP_1)
	v_fmac_f32_e32 v131, v121, v132
	ds_load_2addr_b32 v[120:121], v118 offset0:115 offset1:116
	s_waitcnt lgkmcnt(3)
	v_fmac_f32_e32 v131, v122, v133
	ds_load_b32 v122, v118 offset:468
	s_waitcnt vmcnt(1)
	v_fmac_f32_e32 v131, v123, v134
	s_waitcnt lgkmcnt(3)
	s_delay_alu instid0(VALU_DEP_1) | instskip(NEXT) | instid1(VALU_DEP_1)
	v_fmac_f32_e32 v131, v124, v135
	v_fmac_f32_e32 v131, v125, v136
	s_waitcnt lgkmcnt(2)
	s_delay_alu instid0(VALU_DEP_1) | instskip(SKIP_1) | instid1(VALU_DEP_1)
	v_fmac_f32_e32 v131, v126, v137
	s_waitcnt vmcnt(0)
	v_fmac_f32_e32 v131, v127, v138
	s_waitcnt lgkmcnt(1)
	s_delay_alu instid0(VALU_DEP_1) | instskip(NEXT) | instid1(VALU_DEP_1)
	v_fmac_f32_e32 v131, v128, v120
	v_fmac_f32_e32 v131, v129, v121
	s_waitcnt lgkmcnt(0)
	s_delay_alu instid0(VALU_DEP_1) | instskip(NEXT) | instid1(VALU_DEP_1)
	v_fmac_f32_e32 v131, v130, v122
	v_sub_f32_e32 v119, v119, v131
	scratch_store_b32 off, v119, off offset:184
	v_cmpx_lt_u32_e32 45, v0
	s_cbranch_execz .LBB57_265
; %bb.264:
	scratch_load_b32 v119, off, off offset:180
	scratch_store_b32 off, v118, off offset:180
	s_waitcnt vmcnt(0)
	ds_store_b32 v117, v119
.LBB57_265:
	s_or_b32 exec_lo, exec_lo, s0
	s_waitcnt lgkmcnt(0)
	s_waitcnt_vscnt null, 0x0
	s_barrier
	buffer_gl0_inv
	s_clause 0x3
	scratch_load_b128 v[119:122], off, off offset:180
	scratch_load_b128 v[123:126], off, off offset:196
	;; [unrolled: 1-line block ×3, first 2 shown]
	scratch_load_b32 v139, off, off offset:228
	ds_load_2addr_b64 v[131:134], v118 offset0:53 offset1:54
	ds_load_2addr_b64 v[135:138], v118 offset0:55 offset1:56
	s_mov_b32 s0, exec_lo
	s_waitcnt vmcnt(3) lgkmcnt(1)
	v_fma_f32 v131, v120, v131, 0
	s_delay_alu instid0(VALU_DEP_1) | instskip(NEXT) | instid1(VALU_DEP_1)
	v_fmac_f32_e32 v131, v121, v132
	v_fmac_f32_e32 v131, v122, v133
	s_waitcnt vmcnt(2)
	s_delay_alu instid0(VALU_DEP_1) | instskip(SKIP_3) | instid1(VALU_DEP_1)
	v_fmac_f32_e32 v131, v123, v134
	ds_load_2addr_b64 v[120:123], v118 offset0:57 offset1:58
	s_waitcnt lgkmcnt(1)
	v_fmac_f32_e32 v131, v124, v135
	v_fmac_f32_e32 v131, v125, v136
	s_delay_alu instid0(VALU_DEP_1) | instskip(SKIP_1) | instid1(VALU_DEP_1)
	v_fmac_f32_e32 v131, v126, v137
	s_waitcnt vmcnt(1)
	v_fmac_f32_e32 v131, v127, v138
	s_waitcnt lgkmcnt(0)
	s_delay_alu instid0(VALU_DEP_1) | instskip(NEXT) | instid1(VALU_DEP_1)
	v_fmac_f32_e32 v131, v128, v120
	v_fmac_f32_e32 v131, v129, v121
	s_delay_alu instid0(VALU_DEP_1) | instskip(SKIP_1) | instid1(VALU_DEP_1)
	v_fmac_f32_e32 v131, v130, v122
	s_waitcnt vmcnt(0)
	v_fmac_f32_e32 v131, v139, v123
	s_delay_alu instid0(VALU_DEP_1)
	v_sub_f32_e32 v118, v119, v131
	scratch_store_b32 off, v118, off offset:180
	v_cmpx_lt_u32_e32 44, v0
	s_cbranch_execz .LBB57_267
; %bb.266:
	scratch_load_b32 v118, off, off offset:176
	v_mov_b32_e32 v119, 0
	scratch_store_b32 off, v119, off offset:176
	s_waitcnt vmcnt(0)
	ds_store_b32 v117, v118
.LBB57_267:
	s_or_b32 exec_lo, exec_lo, s0
	s_waitcnt lgkmcnt(0)
	s_waitcnt_vscnt null, 0x0
	s_barrier
	buffer_gl0_inv
	s_clause 0x3
	scratch_load_b128 v[119:122], off, off offset:176
	scratch_load_b128 v[123:126], off, off offset:192
	;; [unrolled: 1-line block ×3, first 2 shown]
	scratch_load_b64 v[131:132], off, off offset:224
	v_mov_b32_e32 v118, 0
	ds_load_2addr_b32 v[133:134], v118 offset0:105 offset1:106
	ds_load_2addr_b32 v[135:136], v118 offset0:107 offset1:108
	;; [unrolled: 1-line block ×4, first 2 shown]
	s_mov_b32 s0, exec_lo
	s_waitcnt vmcnt(3) lgkmcnt(3)
	v_fma_f32 v133, v120, v133, 0
	s_delay_alu instid0(VALU_DEP_1) | instskip(SKIP_4) | instid1(VALU_DEP_1)
	v_fmac_f32_e32 v133, v121, v134
	ds_load_2addr_b32 v[120:121], v118 offset0:113 offset1:114
	s_waitcnt lgkmcnt(3)
	v_fmac_f32_e32 v133, v122, v135
	s_waitcnt vmcnt(2)
	v_fmac_f32_e32 v133, v123, v136
	ds_load_2addr_b32 v[122:123], v118 offset0:115 offset1:116
	s_waitcnt lgkmcnt(3)
	v_fmac_f32_e32 v133, v124, v137
	ds_load_b32 v124, v118 offset:468
	v_fmac_f32_e32 v133, v125, v138
	s_waitcnt lgkmcnt(3)
	s_delay_alu instid0(VALU_DEP_1) | instskip(SKIP_1) | instid1(VALU_DEP_1)
	v_fmac_f32_e32 v133, v126, v139
	s_waitcnt vmcnt(1)
	v_fmac_f32_e32 v133, v127, v140
	s_waitcnt lgkmcnt(2)
	s_delay_alu instid0(VALU_DEP_1) | instskip(NEXT) | instid1(VALU_DEP_1)
	v_fmac_f32_e32 v133, v128, v120
	v_fmac_f32_e32 v133, v129, v121
	s_waitcnt lgkmcnt(1)
	s_delay_alu instid0(VALU_DEP_1) | instskip(SKIP_1) | instid1(VALU_DEP_1)
	v_fmac_f32_e32 v133, v130, v122
	s_waitcnt vmcnt(0)
	v_fmac_f32_e32 v133, v131, v123
	s_waitcnt lgkmcnt(0)
	s_delay_alu instid0(VALU_DEP_1) | instskip(NEXT) | instid1(VALU_DEP_1)
	v_fmac_f32_e32 v133, v132, v124
	v_sub_f32_e32 v119, v119, v133
	scratch_store_b32 off, v119, off offset:176
	v_cmpx_lt_u32_e32 43, v0
	s_cbranch_execz .LBB57_269
; %bb.268:
	scratch_load_b32 v119, off, off offset:172
	scratch_store_b32 off, v118, off offset:172
	s_waitcnt vmcnt(0)
	ds_store_b32 v117, v119
.LBB57_269:
	s_or_b32 exec_lo, exec_lo, s0
	s_waitcnt lgkmcnt(0)
	s_waitcnt_vscnt null, 0x0
	s_barrier
	buffer_gl0_inv
	s_clause 0x3
	scratch_load_b128 v[119:122], off, off offset:172
	scratch_load_b128 v[123:126], off, off offset:188
	;; [unrolled: 1-line block ×3, first 2 shown]
	scratch_load_b96 v[139:141], off, off offset:220
	ds_load_b128 v[131:134], v118 offset:416
	ds_load_b128 v[135:138], v118 offset:432
	s_mov_b32 s0, exec_lo
	s_waitcnt vmcnt(3) lgkmcnt(1)
	v_fma_f32 v131, v120, v131, 0
	s_delay_alu instid0(VALU_DEP_1) | instskip(NEXT) | instid1(VALU_DEP_1)
	v_fmac_f32_e32 v131, v121, v132
	v_fmac_f32_e32 v131, v122, v133
	s_waitcnt vmcnt(2)
	s_delay_alu instid0(VALU_DEP_1) | instskip(SKIP_3) | instid1(VALU_DEP_1)
	v_fmac_f32_e32 v131, v123, v134
	ds_load_b128 v[120:123], v118 offset:448
	s_waitcnt lgkmcnt(1)
	v_fmac_f32_e32 v131, v124, v135
	v_fmac_f32_e32 v131, v125, v136
	ds_load_b64 v[124:125], v118 offset:464
	v_fmac_f32_e32 v131, v126, v137
	s_waitcnt vmcnt(1)
	s_delay_alu instid0(VALU_DEP_1) | instskip(SKIP_1) | instid1(VALU_DEP_1)
	v_fmac_f32_e32 v131, v127, v138
	s_waitcnt lgkmcnt(1)
	v_fmac_f32_e32 v131, v128, v120
	s_delay_alu instid0(VALU_DEP_1) | instskip(NEXT) | instid1(VALU_DEP_1)
	v_fmac_f32_e32 v131, v129, v121
	v_fmac_f32_e32 v131, v130, v122
	s_waitcnt vmcnt(0)
	s_delay_alu instid0(VALU_DEP_1) | instskip(SKIP_1) | instid1(VALU_DEP_1)
	v_fmac_f32_e32 v131, v139, v123
	s_waitcnt lgkmcnt(0)
	v_fmac_f32_e32 v131, v140, v124
	s_delay_alu instid0(VALU_DEP_1) | instskip(NEXT) | instid1(VALU_DEP_1)
	v_fmac_f32_e32 v131, v141, v125
	v_sub_f32_e32 v118, v119, v131
	scratch_store_b32 off, v118, off offset:172
	v_cmpx_lt_u32_e32 42, v0
	s_cbranch_execz .LBB57_271
; %bb.270:
	scratch_load_b32 v118, off, off offset:168
	v_mov_b32_e32 v119, 0
	scratch_store_b32 off, v119, off offset:168
	s_waitcnt vmcnt(0)
	ds_store_b32 v117, v118
.LBB57_271:
	s_or_b32 exec_lo, exec_lo, s0
	s_waitcnt lgkmcnt(0)
	s_waitcnt_vscnt null, 0x0
	s_barrier
	buffer_gl0_inv
	s_clause 0x3
	scratch_load_b128 v[119:122], off, off offset:168
	scratch_load_b128 v[123:126], off, off offset:184
	scratch_load_b128 v[127:130], off, off offset:200
	scratch_load_b128 v[131:134], off, off offset:216
	v_mov_b32_e32 v118, 0
	ds_load_2addr_b32 v[135:136], v118 offset0:103 offset1:104
	ds_load_2addr_b32 v[137:138], v118 offset0:105 offset1:106
	;; [unrolled: 1-line block ×4, first 2 shown]
	s_mov_b32 s0, exec_lo
	s_waitcnt vmcnt(3) lgkmcnt(3)
	v_fma_f32 v135, v120, v135, 0
	s_delay_alu instid0(VALU_DEP_1) | instskip(SKIP_4) | instid1(VALU_DEP_1)
	v_fmac_f32_e32 v135, v121, v136
	ds_load_2addr_b32 v[120:121], v118 offset0:111 offset1:112
	s_waitcnt lgkmcnt(3)
	v_fmac_f32_e32 v135, v122, v137
	s_waitcnt vmcnt(2)
	v_fmac_f32_e32 v135, v123, v138
	ds_load_2addr_b32 v[122:123], v118 offset0:113 offset1:114
	s_waitcnt lgkmcnt(3)
	v_fmac_f32_e32 v135, v124, v139
	s_delay_alu instid0(VALU_DEP_1) | instskip(SKIP_1) | instid1(VALU_DEP_1)
	v_fmac_f32_e32 v135, v125, v140
	s_waitcnt lgkmcnt(2)
	v_fmac_f32_e32 v135, v126, v141
	ds_load_2addr_b32 v[124:125], v118 offset0:115 offset1:116
	ds_load_b32 v126, v118 offset:468
	s_waitcnt vmcnt(1)
	v_fmac_f32_e32 v135, v127, v142
	s_waitcnt lgkmcnt(3)
	s_delay_alu instid0(VALU_DEP_1) | instskip(NEXT) | instid1(VALU_DEP_1)
	v_fmac_f32_e32 v135, v128, v120
	v_fmac_f32_e32 v135, v129, v121
	s_waitcnt lgkmcnt(2)
	s_delay_alu instid0(VALU_DEP_1) | instskip(SKIP_1) | instid1(VALU_DEP_1)
	v_fmac_f32_e32 v135, v130, v122
	s_waitcnt vmcnt(0)
	v_fmac_f32_e32 v135, v131, v123
	s_waitcnt lgkmcnt(1)
	s_delay_alu instid0(VALU_DEP_1) | instskip(NEXT) | instid1(VALU_DEP_1)
	v_fmac_f32_e32 v135, v132, v124
	v_fmac_f32_e32 v135, v133, v125
	s_waitcnt lgkmcnt(0)
	s_delay_alu instid0(VALU_DEP_1) | instskip(NEXT) | instid1(VALU_DEP_1)
	v_fmac_f32_e32 v135, v134, v126
	v_sub_f32_e32 v119, v119, v135
	scratch_store_b32 off, v119, off offset:168
	v_cmpx_lt_u32_e32 41, v0
	s_cbranch_execz .LBB57_273
; %bb.272:
	scratch_load_b32 v119, off, off offset:164
	scratch_store_b32 off, v118, off offset:164
	s_waitcnt vmcnt(0)
	ds_store_b32 v117, v119
.LBB57_273:
	s_or_b32 exec_lo, exec_lo, s0
	s_waitcnt lgkmcnt(0)
	s_waitcnt_vscnt null, 0x0
	s_barrier
	buffer_gl0_inv
	s_clause 0x4
	scratch_load_b128 v[119:122], off, off offset:164
	scratch_load_b128 v[123:126], off, off offset:180
	;; [unrolled: 1-line block ×4, first 2 shown]
	scratch_load_b32 v143, off, off offset:228
	ds_load_2addr_b64 v[135:138], v118 offset0:51 offset1:52
	ds_load_2addr_b64 v[139:142], v118 offset0:53 offset1:54
	s_mov_b32 s0, exec_lo
	s_waitcnt vmcnt(4) lgkmcnt(1)
	v_fma_f32 v135, v120, v135, 0
	s_delay_alu instid0(VALU_DEP_1) | instskip(NEXT) | instid1(VALU_DEP_1)
	v_fmac_f32_e32 v135, v121, v136
	v_fmac_f32_e32 v135, v122, v137
	s_waitcnt vmcnt(3)
	s_delay_alu instid0(VALU_DEP_1) | instskip(SKIP_3) | instid1(VALU_DEP_1)
	v_fmac_f32_e32 v135, v123, v138
	ds_load_2addr_b64 v[120:123], v118 offset0:55 offset1:56
	s_waitcnt lgkmcnt(1)
	v_fmac_f32_e32 v135, v124, v139
	v_fmac_f32_e32 v135, v125, v140
	s_delay_alu instid0(VALU_DEP_1) | instskip(SKIP_1) | instid1(VALU_DEP_1)
	v_fmac_f32_e32 v135, v126, v141
	s_waitcnt vmcnt(2)
	v_fmac_f32_e32 v135, v127, v142
	ds_load_2addr_b64 v[124:127], v118 offset0:57 offset1:58
	s_waitcnt lgkmcnt(1)
	v_fmac_f32_e32 v135, v128, v120
	s_delay_alu instid0(VALU_DEP_1) | instskip(NEXT) | instid1(VALU_DEP_1)
	v_fmac_f32_e32 v135, v129, v121
	v_fmac_f32_e32 v135, v130, v122
	s_waitcnt vmcnt(1)
	s_delay_alu instid0(VALU_DEP_1) | instskip(SKIP_1) | instid1(VALU_DEP_1)
	v_fmac_f32_e32 v135, v131, v123
	s_waitcnt lgkmcnt(0)
	v_fmac_f32_e32 v135, v132, v124
	s_delay_alu instid0(VALU_DEP_1) | instskip(NEXT) | instid1(VALU_DEP_1)
	v_fmac_f32_e32 v135, v133, v125
	v_fmac_f32_e32 v135, v134, v126
	s_waitcnt vmcnt(0)
	s_delay_alu instid0(VALU_DEP_1) | instskip(NEXT) | instid1(VALU_DEP_1)
	v_fmac_f32_e32 v135, v143, v127
	v_sub_f32_e32 v118, v119, v135
	scratch_store_b32 off, v118, off offset:164
	v_cmpx_lt_u32_e32 40, v0
	s_cbranch_execz .LBB57_275
; %bb.274:
	scratch_load_b32 v118, off, off offset:160
	v_mov_b32_e32 v119, 0
	scratch_store_b32 off, v119, off offset:160
	s_waitcnt vmcnt(0)
	ds_store_b32 v117, v118
.LBB57_275:
	s_or_b32 exec_lo, exec_lo, s0
	s_waitcnt lgkmcnt(0)
	s_waitcnt_vscnt null, 0x0
	s_barrier
	buffer_gl0_inv
	s_clause 0x4
	scratch_load_b128 v[119:122], off, off offset:160
	scratch_load_b128 v[123:126], off, off offset:176
	;; [unrolled: 1-line block ×4, first 2 shown]
	scratch_load_b64 v[135:136], off, off offset:224
	v_mov_b32_e32 v118, 0
	ds_load_2addr_b32 v[137:138], v118 offset0:101 offset1:102
	ds_load_2addr_b32 v[139:140], v118 offset0:103 offset1:104
	;; [unrolled: 1-line block ×4, first 2 shown]
	s_mov_b32 s0, exec_lo
	s_waitcnt vmcnt(4) lgkmcnt(3)
	v_fma_f32 v137, v120, v137, 0
	s_delay_alu instid0(VALU_DEP_1) | instskip(SKIP_4) | instid1(VALU_DEP_1)
	v_fmac_f32_e32 v137, v121, v138
	ds_load_2addr_b32 v[120:121], v118 offset0:109 offset1:110
	s_waitcnt lgkmcnt(3)
	v_fmac_f32_e32 v137, v122, v139
	s_waitcnt vmcnt(3)
	v_fmac_f32_e32 v137, v123, v140
	ds_load_2addr_b32 v[122:123], v118 offset0:111 offset1:112
	s_waitcnt lgkmcnt(3)
	v_fmac_f32_e32 v137, v124, v141
	s_delay_alu instid0(VALU_DEP_1) | instskip(SKIP_1) | instid1(VALU_DEP_1)
	v_fmac_f32_e32 v137, v125, v142
	s_waitcnt lgkmcnt(2)
	v_fmac_f32_e32 v137, v126, v143
	s_waitcnt vmcnt(2)
	s_delay_alu instid0(VALU_DEP_1)
	v_fmac_f32_e32 v137, v127, v144
	ds_load_2addr_b32 v[124:125], v118 offset0:113 offset1:114
	ds_load_2addr_b32 v[126:127], v118 offset0:115 offset1:116
	s_waitcnt lgkmcnt(3)
	v_fmac_f32_e32 v137, v128, v120
	ds_load_b32 v120, v118 offset:468
	v_fmac_f32_e32 v137, v129, v121
	s_waitcnt lgkmcnt(3)
	s_delay_alu instid0(VALU_DEP_1) | instskip(SKIP_1) | instid1(VALU_DEP_1)
	v_fmac_f32_e32 v137, v130, v122
	s_waitcnt vmcnt(1)
	v_fmac_f32_e32 v137, v131, v123
	s_waitcnt lgkmcnt(2)
	s_delay_alu instid0(VALU_DEP_1) | instskip(NEXT) | instid1(VALU_DEP_1)
	v_fmac_f32_e32 v137, v132, v124
	v_fmac_f32_e32 v137, v133, v125
	s_waitcnt lgkmcnt(1)
	s_delay_alu instid0(VALU_DEP_1) | instskip(SKIP_1) | instid1(VALU_DEP_1)
	v_fmac_f32_e32 v137, v134, v126
	s_waitcnt vmcnt(0)
	v_fmac_f32_e32 v137, v135, v127
	s_waitcnt lgkmcnt(0)
	s_delay_alu instid0(VALU_DEP_1) | instskip(NEXT) | instid1(VALU_DEP_1)
	v_fmac_f32_e32 v137, v136, v120
	v_sub_f32_e32 v119, v119, v137
	scratch_store_b32 off, v119, off offset:160
	v_cmpx_lt_u32_e32 39, v0
	s_cbranch_execz .LBB57_277
; %bb.276:
	scratch_load_b32 v119, off, off offset:156
	scratch_store_b32 off, v118, off offset:156
	s_waitcnt vmcnt(0)
	ds_store_b32 v117, v119
.LBB57_277:
	s_or_b32 exec_lo, exec_lo, s0
	s_waitcnt lgkmcnt(0)
	s_waitcnt_vscnt null, 0x0
	s_barrier
	buffer_gl0_inv
	s_clause 0x4
	scratch_load_b128 v[119:122], off, off offset:156
	scratch_load_b128 v[123:126], off, off offset:172
	;; [unrolled: 1-line block ×4, first 2 shown]
	scratch_load_b96 v[143:145], off, off offset:220
	ds_load_b128 v[135:138], v118 offset:400
	ds_load_b128 v[139:142], v118 offset:416
	s_mov_b32 s0, exec_lo
	s_waitcnt vmcnt(4) lgkmcnt(1)
	v_fma_f32 v135, v120, v135, 0
	s_delay_alu instid0(VALU_DEP_1) | instskip(NEXT) | instid1(VALU_DEP_1)
	v_fmac_f32_e32 v135, v121, v136
	v_fmac_f32_e32 v135, v122, v137
	s_waitcnt vmcnt(3)
	s_delay_alu instid0(VALU_DEP_1) | instskip(SKIP_3) | instid1(VALU_DEP_1)
	v_fmac_f32_e32 v135, v123, v138
	ds_load_b128 v[120:123], v118 offset:432
	s_waitcnt lgkmcnt(1)
	v_fmac_f32_e32 v135, v124, v139
	v_fmac_f32_e32 v135, v125, v140
	s_delay_alu instid0(VALU_DEP_1) | instskip(SKIP_1) | instid1(VALU_DEP_1)
	v_fmac_f32_e32 v135, v126, v141
	s_waitcnt vmcnt(2)
	v_fmac_f32_e32 v135, v127, v142
	ds_load_b128 v[124:127], v118 offset:448
	s_waitcnt lgkmcnt(1)
	v_fmac_f32_e32 v135, v128, v120
	s_delay_alu instid0(VALU_DEP_1) | instskip(SKIP_3) | instid1(VALU_DEP_1)
	v_fmac_f32_e32 v135, v129, v121
	ds_load_b64 v[120:121], v118 offset:464
	v_fmac_f32_e32 v135, v130, v122
	s_waitcnt vmcnt(1)
	v_fmac_f32_e32 v135, v131, v123
	s_waitcnt lgkmcnt(1)
	s_delay_alu instid0(VALU_DEP_1) | instskip(NEXT) | instid1(VALU_DEP_1)
	v_fmac_f32_e32 v135, v132, v124
	v_fmac_f32_e32 v135, v133, v125
	s_delay_alu instid0(VALU_DEP_1) | instskip(SKIP_1) | instid1(VALU_DEP_1)
	v_fmac_f32_e32 v135, v134, v126
	s_waitcnt vmcnt(0)
	v_fmac_f32_e32 v135, v143, v127
	s_waitcnt lgkmcnt(0)
	s_delay_alu instid0(VALU_DEP_1) | instskip(NEXT) | instid1(VALU_DEP_1)
	v_fmac_f32_e32 v135, v144, v120
	v_fmac_f32_e32 v135, v145, v121
	s_delay_alu instid0(VALU_DEP_1)
	v_sub_f32_e32 v118, v119, v135
	scratch_store_b32 off, v118, off offset:156
	v_cmpx_lt_u32_e32 38, v0
	s_cbranch_execz .LBB57_279
; %bb.278:
	scratch_load_b32 v118, off, off offset:152
	v_mov_b32_e32 v119, 0
	scratch_store_b32 off, v119, off offset:152
	s_waitcnt vmcnt(0)
	ds_store_b32 v117, v118
.LBB57_279:
	s_or_b32 exec_lo, exec_lo, s0
	s_waitcnt lgkmcnt(0)
	s_waitcnt_vscnt null, 0x0
	s_barrier
	buffer_gl0_inv
	s_clause 0x4
	scratch_load_b128 v[119:122], off, off offset:152
	scratch_load_b128 v[123:126], off, off offset:168
	;; [unrolled: 1-line block ×5, first 2 shown]
	v_mov_b32_e32 v118, 0
	ds_load_2addr_b32 v[139:140], v118 offset0:99 offset1:100
	ds_load_2addr_b32 v[141:142], v118 offset0:101 offset1:102
	;; [unrolled: 1-line block ×4, first 2 shown]
	s_mov_b32 s0, exec_lo
	s_waitcnt vmcnt(4) lgkmcnt(3)
	v_fma_f32 v139, v120, v139, 0
	s_delay_alu instid0(VALU_DEP_1) | instskip(SKIP_4) | instid1(VALU_DEP_1)
	v_fmac_f32_e32 v139, v121, v140
	ds_load_2addr_b32 v[120:121], v118 offset0:107 offset1:108
	s_waitcnt lgkmcnt(3)
	v_fmac_f32_e32 v139, v122, v141
	s_waitcnt vmcnt(3)
	v_fmac_f32_e32 v139, v123, v142
	ds_load_2addr_b32 v[122:123], v118 offset0:109 offset1:110
	s_waitcnt lgkmcnt(3)
	v_fmac_f32_e32 v139, v124, v143
	s_delay_alu instid0(VALU_DEP_1) | instskip(SKIP_1) | instid1(VALU_DEP_1)
	v_fmac_f32_e32 v139, v125, v144
	s_waitcnt lgkmcnt(2)
	v_fmac_f32_e32 v139, v126, v145
	s_waitcnt vmcnt(2)
	s_delay_alu instid0(VALU_DEP_1) | instskip(SKIP_4) | instid1(VALU_DEP_1)
	v_fmac_f32_e32 v139, v127, v146
	ds_load_2addr_b32 v[124:125], v118 offset0:111 offset1:112
	ds_load_2addr_b32 v[126:127], v118 offset0:113 offset1:114
	s_waitcnt lgkmcnt(3)
	v_fmac_f32_e32 v139, v128, v120
	v_fmac_f32_e32 v139, v129, v121
	ds_load_2addr_b32 v[120:121], v118 offset0:115 offset1:116
	s_waitcnt lgkmcnt(3)
	v_fmac_f32_e32 v139, v130, v122
	ds_load_b32 v122, v118 offset:468
	s_waitcnt vmcnt(1)
	v_fmac_f32_e32 v139, v131, v123
	s_waitcnt lgkmcnt(3)
	s_delay_alu instid0(VALU_DEP_1) | instskip(NEXT) | instid1(VALU_DEP_1)
	v_fmac_f32_e32 v139, v132, v124
	v_fmac_f32_e32 v139, v133, v125
	s_waitcnt lgkmcnt(2)
	s_delay_alu instid0(VALU_DEP_1) | instskip(SKIP_1) | instid1(VALU_DEP_1)
	v_fmac_f32_e32 v139, v134, v126
	s_waitcnt vmcnt(0)
	v_fmac_f32_e32 v139, v135, v127
	s_waitcnt lgkmcnt(1)
	s_delay_alu instid0(VALU_DEP_1) | instskip(NEXT) | instid1(VALU_DEP_1)
	v_fmac_f32_e32 v139, v136, v120
	v_fmac_f32_e32 v139, v137, v121
	s_waitcnt lgkmcnt(0)
	s_delay_alu instid0(VALU_DEP_1) | instskip(NEXT) | instid1(VALU_DEP_1)
	v_fmac_f32_e32 v139, v138, v122
	v_sub_f32_e32 v119, v119, v139
	scratch_store_b32 off, v119, off offset:152
	v_cmpx_lt_u32_e32 37, v0
	s_cbranch_execz .LBB57_281
; %bb.280:
	scratch_load_b32 v119, off, off offset:148
	scratch_store_b32 off, v118, off offset:148
	s_waitcnt vmcnt(0)
	ds_store_b32 v117, v119
.LBB57_281:
	s_or_b32 exec_lo, exec_lo, s0
	s_waitcnt lgkmcnt(0)
	s_waitcnt_vscnt null, 0x0
	s_barrier
	buffer_gl0_inv
	s_clause 0x5
	scratch_load_b128 v[119:122], off, off offset:148
	scratch_load_b128 v[123:126], off, off offset:164
	;; [unrolled: 1-line block ×5, first 2 shown]
	scratch_load_b32 v147, off, off offset:228
	ds_load_2addr_b64 v[139:142], v118 offset0:49 offset1:50
	ds_load_2addr_b64 v[143:146], v118 offset0:51 offset1:52
	s_mov_b32 s0, exec_lo
	s_waitcnt vmcnt(5) lgkmcnt(1)
	v_fma_f32 v139, v120, v139, 0
	s_delay_alu instid0(VALU_DEP_1) | instskip(NEXT) | instid1(VALU_DEP_1)
	v_fmac_f32_e32 v139, v121, v140
	v_fmac_f32_e32 v139, v122, v141
	s_waitcnt vmcnt(4)
	s_delay_alu instid0(VALU_DEP_1) | instskip(SKIP_3) | instid1(VALU_DEP_1)
	v_fmac_f32_e32 v139, v123, v142
	ds_load_2addr_b64 v[120:123], v118 offset0:53 offset1:54
	s_waitcnt lgkmcnt(1)
	v_fmac_f32_e32 v139, v124, v143
	v_fmac_f32_e32 v139, v125, v144
	s_delay_alu instid0(VALU_DEP_1) | instskip(SKIP_1) | instid1(VALU_DEP_1)
	v_fmac_f32_e32 v139, v126, v145
	s_waitcnt vmcnt(3)
	v_fmac_f32_e32 v139, v127, v146
	ds_load_2addr_b64 v[124:127], v118 offset0:55 offset1:56
	s_waitcnt lgkmcnt(1)
	v_fmac_f32_e32 v139, v128, v120
	s_delay_alu instid0(VALU_DEP_1) | instskip(NEXT) | instid1(VALU_DEP_1)
	v_fmac_f32_e32 v139, v129, v121
	v_fmac_f32_e32 v139, v130, v122
	s_waitcnt vmcnt(2)
	s_delay_alu instid0(VALU_DEP_1) | instskip(SKIP_3) | instid1(VALU_DEP_1)
	v_fmac_f32_e32 v139, v131, v123
	ds_load_2addr_b64 v[120:123], v118 offset0:57 offset1:58
	s_waitcnt lgkmcnt(1)
	v_fmac_f32_e32 v139, v132, v124
	v_fmac_f32_e32 v139, v133, v125
	s_delay_alu instid0(VALU_DEP_1) | instskip(SKIP_1) | instid1(VALU_DEP_1)
	v_fmac_f32_e32 v139, v134, v126
	s_waitcnt vmcnt(1)
	v_fmac_f32_e32 v139, v135, v127
	s_waitcnt lgkmcnt(0)
	s_delay_alu instid0(VALU_DEP_1) | instskip(NEXT) | instid1(VALU_DEP_1)
	v_fmac_f32_e32 v139, v136, v120
	v_fmac_f32_e32 v139, v137, v121
	s_delay_alu instid0(VALU_DEP_1) | instskip(SKIP_1) | instid1(VALU_DEP_1)
	v_fmac_f32_e32 v139, v138, v122
	s_waitcnt vmcnt(0)
	v_fmac_f32_e32 v139, v147, v123
	s_delay_alu instid0(VALU_DEP_1)
	v_sub_f32_e32 v118, v119, v139
	scratch_store_b32 off, v118, off offset:148
	v_cmpx_lt_u32_e32 36, v0
	s_cbranch_execz .LBB57_283
; %bb.282:
	scratch_load_b32 v118, off, off offset:144
	v_mov_b32_e32 v119, 0
	scratch_store_b32 off, v119, off offset:144
	s_waitcnt vmcnt(0)
	ds_store_b32 v117, v118
.LBB57_283:
	s_or_b32 exec_lo, exec_lo, s0
	s_waitcnt lgkmcnt(0)
	s_waitcnt_vscnt null, 0x0
	s_barrier
	buffer_gl0_inv
	s_clause 0x5
	scratch_load_b128 v[119:122], off, off offset:144
	scratch_load_b128 v[123:126], off, off offset:160
	;; [unrolled: 1-line block ×5, first 2 shown]
	scratch_load_b64 v[139:140], off, off offset:224
	v_mov_b32_e32 v118, 0
	ds_load_2addr_b32 v[141:142], v118 offset0:97 offset1:98
	ds_load_2addr_b32 v[143:144], v118 offset0:99 offset1:100
	;; [unrolled: 1-line block ×4, first 2 shown]
	s_mov_b32 s0, exec_lo
	s_waitcnt vmcnt(5) lgkmcnt(3)
	v_fma_f32 v141, v120, v141, 0
	s_delay_alu instid0(VALU_DEP_1) | instskip(SKIP_4) | instid1(VALU_DEP_1)
	v_fmac_f32_e32 v141, v121, v142
	ds_load_2addr_b32 v[120:121], v118 offset0:105 offset1:106
	s_waitcnt lgkmcnt(3)
	v_fmac_f32_e32 v141, v122, v143
	s_waitcnt vmcnt(4)
	v_fmac_f32_e32 v141, v123, v144
	ds_load_2addr_b32 v[122:123], v118 offset0:107 offset1:108
	s_waitcnt lgkmcnt(3)
	v_fmac_f32_e32 v141, v124, v145
	s_delay_alu instid0(VALU_DEP_1) | instskip(SKIP_1) | instid1(VALU_DEP_1)
	v_fmac_f32_e32 v141, v125, v146
	s_waitcnt lgkmcnt(2)
	v_fmac_f32_e32 v141, v126, v147
	s_waitcnt vmcnt(3)
	s_delay_alu instid0(VALU_DEP_1) | instskip(SKIP_4) | instid1(VALU_DEP_1)
	v_fmac_f32_e32 v141, v127, v148
	ds_load_2addr_b32 v[124:125], v118 offset0:109 offset1:110
	ds_load_2addr_b32 v[126:127], v118 offset0:111 offset1:112
	s_waitcnt lgkmcnt(3)
	v_fmac_f32_e32 v141, v128, v120
	v_fmac_f32_e32 v141, v129, v121
	ds_load_2addr_b32 v[120:121], v118 offset0:113 offset1:114
	s_waitcnt lgkmcnt(3)
	v_fmac_f32_e32 v141, v130, v122
	s_waitcnt vmcnt(2)
	s_delay_alu instid0(VALU_DEP_1)
	v_fmac_f32_e32 v141, v131, v123
	ds_load_2addr_b32 v[122:123], v118 offset0:115 offset1:116
	s_waitcnt lgkmcnt(3)
	v_fmac_f32_e32 v141, v132, v124
	ds_load_b32 v124, v118 offset:468
	v_fmac_f32_e32 v141, v133, v125
	s_waitcnt lgkmcnt(3)
	s_delay_alu instid0(VALU_DEP_1) | instskip(SKIP_1) | instid1(VALU_DEP_1)
	v_fmac_f32_e32 v141, v134, v126
	s_waitcnt vmcnt(1)
	v_fmac_f32_e32 v141, v135, v127
	s_waitcnt lgkmcnt(2)
	s_delay_alu instid0(VALU_DEP_1) | instskip(NEXT) | instid1(VALU_DEP_1)
	v_fmac_f32_e32 v141, v136, v120
	v_fmac_f32_e32 v141, v137, v121
	s_waitcnt lgkmcnt(1)
	s_delay_alu instid0(VALU_DEP_1) | instskip(SKIP_1) | instid1(VALU_DEP_1)
	v_fmac_f32_e32 v141, v138, v122
	s_waitcnt vmcnt(0)
	v_fmac_f32_e32 v141, v139, v123
	s_waitcnt lgkmcnt(0)
	s_delay_alu instid0(VALU_DEP_1) | instskip(NEXT) | instid1(VALU_DEP_1)
	v_fmac_f32_e32 v141, v140, v124
	v_sub_f32_e32 v119, v119, v141
	scratch_store_b32 off, v119, off offset:144
	v_cmpx_lt_u32_e32 35, v0
	s_cbranch_execz .LBB57_285
; %bb.284:
	scratch_load_b32 v119, off, off offset:140
	scratch_store_b32 off, v118, off offset:140
	s_waitcnt vmcnt(0)
	ds_store_b32 v117, v119
.LBB57_285:
	s_or_b32 exec_lo, exec_lo, s0
	s_waitcnt lgkmcnt(0)
	s_waitcnt_vscnt null, 0x0
	s_barrier
	buffer_gl0_inv
	s_clause 0x5
	scratch_load_b128 v[119:122], off, off offset:140
	scratch_load_b128 v[123:126], off, off offset:156
	scratch_load_b128 v[127:130], off, off offset:172
	scratch_load_b128 v[131:134], off, off offset:188
	scratch_load_b128 v[135:138], off, off offset:204
	scratch_load_b96 v[147:149], off, off offset:220
	ds_load_b128 v[139:142], v118 offset:384
	ds_load_b128 v[143:146], v118 offset:400
	s_mov_b32 s0, exec_lo
	s_waitcnt vmcnt(5) lgkmcnt(1)
	v_fma_f32 v139, v120, v139, 0
	s_delay_alu instid0(VALU_DEP_1) | instskip(NEXT) | instid1(VALU_DEP_1)
	v_fmac_f32_e32 v139, v121, v140
	v_fmac_f32_e32 v139, v122, v141
	s_waitcnt vmcnt(4)
	s_delay_alu instid0(VALU_DEP_1) | instskip(SKIP_3) | instid1(VALU_DEP_1)
	v_fmac_f32_e32 v139, v123, v142
	ds_load_b128 v[120:123], v118 offset:416
	s_waitcnt lgkmcnt(1)
	v_fmac_f32_e32 v139, v124, v143
	v_fmac_f32_e32 v139, v125, v144
	s_delay_alu instid0(VALU_DEP_1) | instskip(SKIP_1) | instid1(VALU_DEP_1)
	v_fmac_f32_e32 v139, v126, v145
	s_waitcnt vmcnt(3)
	v_fmac_f32_e32 v139, v127, v146
	ds_load_b128 v[124:127], v118 offset:432
	s_waitcnt lgkmcnt(1)
	v_fmac_f32_e32 v139, v128, v120
	s_delay_alu instid0(VALU_DEP_1) | instskip(NEXT) | instid1(VALU_DEP_1)
	v_fmac_f32_e32 v139, v129, v121
	v_fmac_f32_e32 v139, v130, v122
	s_waitcnt vmcnt(2)
	s_delay_alu instid0(VALU_DEP_1) | instskip(SKIP_3) | instid1(VALU_DEP_1)
	v_fmac_f32_e32 v139, v131, v123
	ds_load_b128 v[120:123], v118 offset:448
	s_waitcnt lgkmcnt(1)
	v_fmac_f32_e32 v139, v132, v124
	v_fmac_f32_e32 v139, v133, v125
	ds_load_b64 v[124:125], v118 offset:464
	v_fmac_f32_e32 v139, v134, v126
	s_waitcnt vmcnt(1)
	s_delay_alu instid0(VALU_DEP_1) | instskip(SKIP_1) | instid1(VALU_DEP_1)
	v_fmac_f32_e32 v139, v135, v127
	s_waitcnt lgkmcnt(1)
	v_fmac_f32_e32 v139, v136, v120
	s_delay_alu instid0(VALU_DEP_1) | instskip(NEXT) | instid1(VALU_DEP_1)
	v_fmac_f32_e32 v139, v137, v121
	v_fmac_f32_e32 v139, v138, v122
	s_waitcnt vmcnt(0)
	s_delay_alu instid0(VALU_DEP_1) | instskip(SKIP_1) | instid1(VALU_DEP_1)
	v_fmac_f32_e32 v139, v147, v123
	s_waitcnt lgkmcnt(0)
	v_fmac_f32_e32 v139, v148, v124
	s_delay_alu instid0(VALU_DEP_1) | instskip(NEXT) | instid1(VALU_DEP_1)
	v_fmac_f32_e32 v139, v149, v125
	v_sub_f32_e32 v118, v119, v139
	scratch_store_b32 off, v118, off offset:140
	v_cmpx_lt_u32_e32 34, v0
	s_cbranch_execz .LBB57_287
; %bb.286:
	scratch_load_b32 v118, off, off offset:136
	v_mov_b32_e32 v119, 0
	scratch_store_b32 off, v119, off offset:136
	s_waitcnt vmcnt(0)
	ds_store_b32 v117, v118
.LBB57_287:
	s_or_b32 exec_lo, exec_lo, s0
	s_waitcnt lgkmcnt(0)
	s_waitcnt_vscnt null, 0x0
	s_barrier
	buffer_gl0_inv
	s_clause 0x5
	scratch_load_b128 v[119:122], off, off offset:136
	scratch_load_b128 v[123:126], off, off offset:152
	;; [unrolled: 1-line block ×6, first 2 shown]
	v_mov_b32_e32 v118, 0
	ds_load_2addr_b32 v[143:144], v118 offset0:95 offset1:96
	ds_load_2addr_b32 v[145:146], v118 offset0:97 offset1:98
	;; [unrolled: 1-line block ×4, first 2 shown]
	s_mov_b32 s0, exec_lo
	s_waitcnt vmcnt(5) lgkmcnt(3)
	v_fma_f32 v143, v120, v143, 0
	s_delay_alu instid0(VALU_DEP_1) | instskip(SKIP_4) | instid1(VALU_DEP_1)
	v_fmac_f32_e32 v143, v121, v144
	ds_load_2addr_b32 v[120:121], v118 offset0:103 offset1:104
	s_waitcnt lgkmcnt(3)
	v_fmac_f32_e32 v143, v122, v145
	s_waitcnt vmcnt(4)
	v_fmac_f32_e32 v143, v123, v146
	ds_load_2addr_b32 v[122:123], v118 offset0:105 offset1:106
	s_waitcnt lgkmcnt(3)
	v_fmac_f32_e32 v143, v124, v147
	s_delay_alu instid0(VALU_DEP_1) | instskip(SKIP_1) | instid1(VALU_DEP_1)
	v_fmac_f32_e32 v143, v125, v148
	s_waitcnt lgkmcnt(2)
	v_fmac_f32_e32 v143, v126, v149
	s_waitcnt vmcnt(3)
	s_delay_alu instid0(VALU_DEP_1) | instskip(SKIP_4) | instid1(VALU_DEP_1)
	v_fmac_f32_e32 v143, v127, v150
	ds_load_2addr_b32 v[124:125], v118 offset0:107 offset1:108
	ds_load_2addr_b32 v[126:127], v118 offset0:109 offset1:110
	s_waitcnt lgkmcnt(3)
	v_fmac_f32_e32 v143, v128, v120
	v_fmac_f32_e32 v143, v129, v121
	ds_load_2addr_b32 v[120:121], v118 offset0:111 offset1:112
	s_waitcnt lgkmcnt(3)
	v_fmac_f32_e32 v143, v130, v122
	s_waitcnt vmcnt(2)
	s_delay_alu instid0(VALU_DEP_1) | instskip(SKIP_3) | instid1(VALU_DEP_1)
	v_fmac_f32_e32 v143, v131, v123
	ds_load_2addr_b32 v[122:123], v118 offset0:113 offset1:114
	s_waitcnt lgkmcnt(3)
	v_fmac_f32_e32 v143, v132, v124
	v_fmac_f32_e32 v143, v133, v125
	s_waitcnt lgkmcnt(2)
	s_delay_alu instid0(VALU_DEP_1)
	v_fmac_f32_e32 v143, v134, v126
	ds_load_2addr_b32 v[124:125], v118 offset0:115 offset1:116
	ds_load_b32 v126, v118 offset:468
	s_waitcnt vmcnt(1)
	v_fmac_f32_e32 v143, v135, v127
	s_waitcnt lgkmcnt(3)
	s_delay_alu instid0(VALU_DEP_1) | instskip(NEXT) | instid1(VALU_DEP_1)
	v_fmac_f32_e32 v143, v136, v120
	v_fmac_f32_e32 v143, v137, v121
	s_waitcnt lgkmcnt(2)
	s_delay_alu instid0(VALU_DEP_1) | instskip(SKIP_1) | instid1(VALU_DEP_1)
	v_fmac_f32_e32 v143, v138, v122
	s_waitcnt vmcnt(0)
	v_fmac_f32_e32 v143, v139, v123
	s_waitcnt lgkmcnt(1)
	s_delay_alu instid0(VALU_DEP_1) | instskip(NEXT) | instid1(VALU_DEP_1)
	v_fmac_f32_e32 v143, v140, v124
	v_fmac_f32_e32 v143, v141, v125
	s_waitcnt lgkmcnt(0)
	s_delay_alu instid0(VALU_DEP_1) | instskip(NEXT) | instid1(VALU_DEP_1)
	v_fmac_f32_e32 v143, v142, v126
	v_sub_f32_e32 v119, v119, v143
	scratch_store_b32 off, v119, off offset:136
	v_cmpx_lt_u32_e32 33, v0
	s_cbranch_execz .LBB57_289
; %bb.288:
	scratch_load_b32 v119, off, off offset:132
	scratch_store_b32 off, v118, off offset:132
	s_waitcnt vmcnt(0)
	ds_store_b32 v117, v119
.LBB57_289:
	s_or_b32 exec_lo, exec_lo, s0
	s_waitcnt lgkmcnt(0)
	s_waitcnt_vscnt null, 0x0
	s_barrier
	buffer_gl0_inv
	s_clause 0x6
	scratch_load_b128 v[119:122], off, off offset:132
	scratch_load_b128 v[123:126], off, off offset:148
	;; [unrolled: 1-line block ×6, first 2 shown]
	scratch_load_b32 v151, off, off offset:228
	ds_load_2addr_b64 v[143:146], v118 offset0:47 offset1:48
	ds_load_2addr_b64 v[147:150], v118 offset0:49 offset1:50
	s_mov_b32 s0, exec_lo
	s_waitcnt vmcnt(6) lgkmcnt(1)
	v_fma_f32 v143, v120, v143, 0
	s_delay_alu instid0(VALU_DEP_1) | instskip(NEXT) | instid1(VALU_DEP_1)
	v_fmac_f32_e32 v143, v121, v144
	v_fmac_f32_e32 v143, v122, v145
	s_waitcnt vmcnt(5)
	s_delay_alu instid0(VALU_DEP_1) | instskip(SKIP_3) | instid1(VALU_DEP_1)
	v_fmac_f32_e32 v143, v123, v146
	ds_load_2addr_b64 v[120:123], v118 offset0:51 offset1:52
	s_waitcnt lgkmcnt(1)
	v_fmac_f32_e32 v143, v124, v147
	v_fmac_f32_e32 v143, v125, v148
	s_delay_alu instid0(VALU_DEP_1) | instskip(SKIP_1) | instid1(VALU_DEP_1)
	v_fmac_f32_e32 v143, v126, v149
	s_waitcnt vmcnt(4)
	v_fmac_f32_e32 v143, v127, v150
	ds_load_2addr_b64 v[124:127], v118 offset0:53 offset1:54
	s_waitcnt lgkmcnt(1)
	v_fmac_f32_e32 v143, v128, v120
	s_delay_alu instid0(VALU_DEP_1) | instskip(NEXT) | instid1(VALU_DEP_1)
	v_fmac_f32_e32 v143, v129, v121
	v_fmac_f32_e32 v143, v130, v122
	s_waitcnt vmcnt(3)
	s_delay_alu instid0(VALU_DEP_1) | instskip(SKIP_3) | instid1(VALU_DEP_1)
	v_fmac_f32_e32 v143, v131, v123
	ds_load_2addr_b64 v[120:123], v118 offset0:55 offset1:56
	s_waitcnt lgkmcnt(1)
	v_fmac_f32_e32 v143, v132, v124
	v_fmac_f32_e32 v143, v133, v125
	s_delay_alu instid0(VALU_DEP_1) | instskip(SKIP_1) | instid1(VALU_DEP_1)
	v_fmac_f32_e32 v143, v134, v126
	s_waitcnt vmcnt(2)
	v_fmac_f32_e32 v143, v135, v127
	ds_load_2addr_b64 v[124:127], v118 offset0:57 offset1:58
	s_waitcnt lgkmcnt(1)
	v_fmac_f32_e32 v143, v136, v120
	s_delay_alu instid0(VALU_DEP_1) | instskip(NEXT) | instid1(VALU_DEP_1)
	v_fmac_f32_e32 v143, v137, v121
	v_fmac_f32_e32 v143, v138, v122
	s_waitcnt vmcnt(1)
	s_delay_alu instid0(VALU_DEP_1) | instskip(SKIP_1) | instid1(VALU_DEP_1)
	v_fmac_f32_e32 v143, v139, v123
	s_waitcnt lgkmcnt(0)
	v_fmac_f32_e32 v143, v140, v124
	s_delay_alu instid0(VALU_DEP_1) | instskip(NEXT) | instid1(VALU_DEP_1)
	v_fmac_f32_e32 v143, v141, v125
	v_fmac_f32_e32 v143, v142, v126
	s_waitcnt vmcnt(0)
	s_delay_alu instid0(VALU_DEP_1) | instskip(NEXT) | instid1(VALU_DEP_1)
	v_fmac_f32_e32 v143, v151, v127
	v_sub_f32_e32 v118, v119, v143
	scratch_store_b32 off, v118, off offset:132
	v_cmpx_lt_u32_e32 32, v0
	s_cbranch_execz .LBB57_291
; %bb.290:
	scratch_load_b32 v118, off, off offset:128
	v_mov_b32_e32 v119, 0
	scratch_store_b32 off, v119, off offset:128
	s_waitcnt vmcnt(0)
	ds_store_b32 v117, v118
.LBB57_291:
	s_or_b32 exec_lo, exec_lo, s0
	s_waitcnt lgkmcnt(0)
	s_waitcnt_vscnt null, 0x0
	s_barrier
	buffer_gl0_inv
	s_clause 0x6
	scratch_load_b128 v[119:122], off, off offset:128
	scratch_load_b128 v[123:126], off, off offset:144
	scratch_load_b128 v[127:130], off, off offset:160
	scratch_load_b128 v[131:134], off, off offset:176
	scratch_load_b128 v[135:138], off, off offset:192
	scratch_load_b128 v[139:142], off, off offset:208
	scratch_load_b64 v[143:144], off, off offset:224
	v_mov_b32_e32 v118, 0
	ds_load_2addr_b32 v[145:146], v118 offset0:93 offset1:94
	ds_load_2addr_b32 v[147:148], v118 offset0:95 offset1:96
	;; [unrolled: 1-line block ×4, first 2 shown]
	s_mov_b32 s0, exec_lo
	s_waitcnt vmcnt(6) lgkmcnt(3)
	v_fma_f32 v145, v120, v145, 0
	s_delay_alu instid0(VALU_DEP_1) | instskip(SKIP_4) | instid1(VALU_DEP_1)
	v_fmac_f32_e32 v145, v121, v146
	ds_load_2addr_b32 v[120:121], v118 offset0:101 offset1:102
	s_waitcnt lgkmcnt(3)
	v_fmac_f32_e32 v145, v122, v147
	s_waitcnt vmcnt(5)
	v_fmac_f32_e32 v145, v123, v148
	ds_load_2addr_b32 v[122:123], v118 offset0:103 offset1:104
	s_waitcnt lgkmcnt(3)
	v_fmac_f32_e32 v145, v124, v149
	s_delay_alu instid0(VALU_DEP_1) | instskip(SKIP_1) | instid1(VALU_DEP_1)
	v_fmac_f32_e32 v145, v125, v150
	s_waitcnt lgkmcnt(2)
	v_fmac_f32_e32 v145, v126, v151
	s_waitcnt vmcnt(4)
	s_delay_alu instid0(VALU_DEP_1) | instskip(SKIP_4) | instid1(VALU_DEP_1)
	v_fmac_f32_e32 v145, v127, v152
	ds_load_2addr_b32 v[124:125], v118 offset0:105 offset1:106
	ds_load_2addr_b32 v[126:127], v118 offset0:107 offset1:108
	s_waitcnt lgkmcnt(3)
	v_fmac_f32_e32 v145, v128, v120
	v_fmac_f32_e32 v145, v129, v121
	ds_load_2addr_b32 v[120:121], v118 offset0:109 offset1:110
	s_waitcnt lgkmcnt(3)
	v_fmac_f32_e32 v145, v130, v122
	s_waitcnt vmcnt(3)
	s_delay_alu instid0(VALU_DEP_1) | instskip(SKIP_3) | instid1(VALU_DEP_1)
	v_fmac_f32_e32 v145, v131, v123
	ds_load_2addr_b32 v[122:123], v118 offset0:111 offset1:112
	s_waitcnt lgkmcnt(3)
	v_fmac_f32_e32 v145, v132, v124
	v_fmac_f32_e32 v145, v133, v125
	s_waitcnt lgkmcnt(2)
	s_delay_alu instid0(VALU_DEP_1) | instskip(SKIP_1) | instid1(VALU_DEP_1)
	v_fmac_f32_e32 v145, v134, v126
	s_waitcnt vmcnt(2)
	v_fmac_f32_e32 v145, v135, v127
	ds_load_2addr_b32 v[124:125], v118 offset0:113 offset1:114
	ds_load_2addr_b32 v[126:127], v118 offset0:115 offset1:116
	s_waitcnt lgkmcnt(3)
	v_fmac_f32_e32 v145, v136, v120
	ds_load_b32 v120, v118 offset:468
	v_fmac_f32_e32 v145, v137, v121
	s_waitcnt lgkmcnt(3)
	s_delay_alu instid0(VALU_DEP_1) | instskip(SKIP_1) | instid1(VALU_DEP_1)
	v_fmac_f32_e32 v145, v138, v122
	s_waitcnt vmcnt(1)
	v_fmac_f32_e32 v145, v139, v123
	s_waitcnt lgkmcnt(2)
	s_delay_alu instid0(VALU_DEP_1) | instskip(NEXT) | instid1(VALU_DEP_1)
	v_fmac_f32_e32 v145, v140, v124
	v_fmac_f32_e32 v145, v141, v125
	s_waitcnt lgkmcnt(1)
	s_delay_alu instid0(VALU_DEP_1) | instskip(SKIP_1) | instid1(VALU_DEP_1)
	v_fmac_f32_e32 v145, v142, v126
	s_waitcnt vmcnt(0)
	v_fmac_f32_e32 v145, v143, v127
	s_waitcnt lgkmcnt(0)
	s_delay_alu instid0(VALU_DEP_1) | instskip(NEXT) | instid1(VALU_DEP_1)
	v_fmac_f32_e32 v145, v144, v120
	v_sub_f32_e32 v119, v119, v145
	scratch_store_b32 off, v119, off offset:128
	v_cmpx_lt_u32_e32 31, v0
	s_cbranch_execz .LBB57_293
; %bb.292:
	scratch_load_b32 v119, off, off offset:124
	scratch_store_b32 off, v118, off offset:124
	s_waitcnt vmcnt(0)
	ds_store_b32 v117, v119
.LBB57_293:
	s_or_b32 exec_lo, exec_lo, s0
	s_waitcnt lgkmcnt(0)
	s_waitcnt_vscnt null, 0x0
	s_barrier
	buffer_gl0_inv
	s_clause 0x6
	scratch_load_b128 v[119:122], off, off offset:124
	scratch_load_b128 v[123:126], off, off offset:140
	;; [unrolled: 1-line block ×6, first 2 shown]
	scratch_load_b96 v[151:153], off, off offset:220
	ds_load_b128 v[143:146], v118 offset:368
	ds_load_b128 v[147:150], v118 offset:384
	s_mov_b32 s0, exec_lo
	s_waitcnt vmcnt(6) lgkmcnt(1)
	v_fma_f32 v143, v120, v143, 0
	s_delay_alu instid0(VALU_DEP_1) | instskip(NEXT) | instid1(VALU_DEP_1)
	v_fmac_f32_e32 v143, v121, v144
	v_fmac_f32_e32 v143, v122, v145
	s_waitcnt vmcnt(5)
	s_delay_alu instid0(VALU_DEP_1) | instskip(SKIP_3) | instid1(VALU_DEP_1)
	v_fmac_f32_e32 v143, v123, v146
	ds_load_b128 v[120:123], v118 offset:400
	s_waitcnt lgkmcnt(1)
	v_fmac_f32_e32 v143, v124, v147
	v_fmac_f32_e32 v143, v125, v148
	s_delay_alu instid0(VALU_DEP_1) | instskip(SKIP_1) | instid1(VALU_DEP_1)
	v_fmac_f32_e32 v143, v126, v149
	s_waitcnt vmcnt(4)
	v_fmac_f32_e32 v143, v127, v150
	ds_load_b128 v[124:127], v118 offset:416
	s_waitcnt lgkmcnt(1)
	v_fmac_f32_e32 v143, v128, v120
	s_delay_alu instid0(VALU_DEP_1) | instskip(NEXT) | instid1(VALU_DEP_1)
	v_fmac_f32_e32 v143, v129, v121
	v_fmac_f32_e32 v143, v130, v122
	s_waitcnt vmcnt(3)
	s_delay_alu instid0(VALU_DEP_1) | instskip(SKIP_3) | instid1(VALU_DEP_1)
	v_fmac_f32_e32 v143, v131, v123
	ds_load_b128 v[120:123], v118 offset:432
	s_waitcnt lgkmcnt(1)
	v_fmac_f32_e32 v143, v132, v124
	v_fmac_f32_e32 v143, v133, v125
	s_delay_alu instid0(VALU_DEP_1) | instskip(SKIP_1) | instid1(VALU_DEP_1)
	v_fmac_f32_e32 v143, v134, v126
	s_waitcnt vmcnt(2)
	v_fmac_f32_e32 v143, v135, v127
	ds_load_b128 v[124:127], v118 offset:448
	s_waitcnt lgkmcnt(1)
	v_fmac_f32_e32 v143, v136, v120
	s_delay_alu instid0(VALU_DEP_1) | instskip(SKIP_3) | instid1(VALU_DEP_1)
	v_fmac_f32_e32 v143, v137, v121
	ds_load_b64 v[120:121], v118 offset:464
	v_fmac_f32_e32 v143, v138, v122
	s_waitcnt vmcnt(1)
	v_fmac_f32_e32 v143, v139, v123
	s_waitcnt lgkmcnt(1)
	s_delay_alu instid0(VALU_DEP_1) | instskip(NEXT) | instid1(VALU_DEP_1)
	v_fmac_f32_e32 v143, v140, v124
	v_fmac_f32_e32 v143, v141, v125
	s_delay_alu instid0(VALU_DEP_1) | instskip(SKIP_1) | instid1(VALU_DEP_1)
	v_fmac_f32_e32 v143, v142, v126
	s_waitcnt vmcnt(0)
	v_fmac_f32_e32 v143, v151, v127
	s_waitcnt lgkmcnt(0)
	s_delay_alu instid0(VALU_DEP_1) | instskip(NEXT) | instid1(VALU_DEP_1)
	v_fmac_f32_e32 v143, v152, v120
	v_fmac_f32_e32 v143, v153, v121
	s_delay_alu instid0(VALU_DEP_1)
	v_sub_f32_e32 v118, v119, v143
	scratch_store_b32 off, v118, off offset:124
	v_cmpx_lt_u32_e32 30, v0
	s_cbranch_execz .LBB57_295
; %bb.294:
	scratch_load_b32 v118, off, off offset:120
	v_mov_b32_e32 v119, 0
	scratch_store_b32 off, v119, off offset:120
	s_waitcnt vmcnt(0)
	ds_store_b32 v117, v118
.LBB57_295:
	s_or_b32 exec_lo, exec_lo, s0
	s_waitcnt lgkmcnt(0)
	s_waitcnt_vscnt null, 0x0
	s_barrier
	buffer_gl0_inv
	s_clause 0x6
	scratch_load_b128 v[119:122], off, off offset:120
	scratch_load_b128 v[123:126], off, off offset:136
	scratch_load_b128 v[127:130], off, off offset:152
	scratch_load_b128 v[131:134], off, off offset:168
	scratch_load_b128 v[135:138], off, off offset:184
	scratch_load_b128 v[139:142], off, off offset:200
	scratch_load_b128 v[143:146], off, off offset:216
	v_mov_b32_e32 v118, 0
	ds_load_2addr_b32 v[147:148], v118 offset0:91 offset1:92
	ds_load_2addr_b32 v[149:150], v118 offset0:93 offset1:94
	;; [unrolled: 1-line block ×4, first 2 shown]
	s_mov_b32 s0, exec_lo
	s_waitcnt vmcnt(6) lgkmcnt(3)
	v_fma_f32 v147, v120, v147, 0
	s_delay_alu instid0(VALU_DEP_1) | instskip(SKIP_4) | instid1(VALU_DEP_1)
	v_fmac_f32_e32 v147, v121, v148
	ds_load_2addr_b32 v[120:121], v118 offset0:99 offset1:100
	s_waitcnt lgkmcnt(3)
	v_fmac_f32_e32 v147, v122, v149
	s_waitcnt vmcnt(5)
	v_fmac_f32_e32 v147, v123, v150
	ds_load_2addr_b32 v[122:123], v118 offset0:101 offset1:102
	s_waitcnt lgkmcnt(3)
	v_fmac_f32_e32 v147, v124, v151
	s_delay_alu instid0(VALU_DEP_1) | instskip(SKIP_1) | instid1(VALU_DEP_1)
	v_fmac_f32_e32 v147, v125, v152
	s_waitcnt lgkmcnt(2)
	v_fmac_f32_e32 v147, v126, v153
	s_waitcnt vmcnt(4)
	s_delay_alu instid0(VALU_DEP_1) | instskip(SKIP_4) | instid1(VALU_DEP_1)
	v_fmac_f32_e32 v147, v127, v154
	ds_load_2addr_b32 v[124:125], v118 offset0:103 offset1:104
	ds_load_2addr_b32 v[126:127], v118 offset0:105 offset1:106
	s_waitcnt lgkmcnt(3)
	v_fmac_f32_e32 v147, v128, v120
	v_fmac_f32_e32 v147, v129, v121
	ds_load_2addr_b32 v[120:121], v118 offset0:107 offset1:108
	s_waitcnt lgkmcnt(3)
	v_fmac_f32_e32 v147, v130, v122
	s_waitcnt vmcnt(3)
	s_delay_alu instid0(VALU_DEP_1) | instskip(SKIP_3) | instid1(VALU_DEP_1)
	v_fmac_f32_e32 v147, v131, v123
	ds_load_2addr_b32 v[122:123], v118 offset0:109 offset1:110
	s_waitcnt lgkmcnt(3)
	v_fmac_f32_e32 v147, v132, v124
	v_fmac_f32_e32 v147, v133, v125
	s_waitcnt lgkmcnt(2)
	s_delay_alu instid0(VALU_DEP_1) | instskip(SKIP_1) | instid1(VALU_DEP_1)
	v_fmac_f32_e32 v147, v134, v126
	s_waitcnt vmcnt(2)
	v_fmac_f32_e32 v147, v135, v127
	ds_load_2addr_b32 v[124:125], v118 offset0:111 offset1:112
	ds_load_2addr_b32 v[126:127], v118 offset0:113 offset1:114
	s_waitcnt lgkmcnt(3)
	v_fmac_f32_e32 v147, v136, v120
	s_delay_alu instid0(VALU_DEP_1)
	v_fmac_f32_e32 v147, v137, v121
	ds_load_2addr_b32 v[120:121], v118 offset0:115 offset1:116
	s_waitcnt lgkmcnt(3)
	v_fmac_f32_e32 v147, v138, v122
	ds_load_b32 v122, v118 offset:468
	s_waitcnt vmcnt(1)
	v_fmac_f32_e32 v147, v139, v123
	s_waitcnt lgkmcnt(3)
	s_delay_alu instid0(VALU_DEP_1) | instskip(NEXT) | instid1(VALU_DEP_1)
	v_fmac_f32_e32 v147, v140, v124
	v_fmac_f32_e32 v147, v141, v125
	s_waitcnt lgkmcnt(2)
	s_delay_alu instid0(VALU_DEP_1) | instskip(SKIP_1) | instid1(VALU_DEP_1)
	v_fmac_f32_e32 v147, v142, v126
	s_waitcnt vmcnt(0)
	v_fmac_f32_e32 v147, v143, v127
	s_waitcnt lgkmcnt(1)
	s_delay_alu instid0(VALU_DEP_1) | instskip(NEXT) | instid1(VALU_DEP_1)
	v_fmac_f32_e32 v147, v144, v120
	v_fmac_f32_e32 v147, v145, v121
	s_waitcnt lgkmcnt(0)
	s_delay_alu instid0(VALU_DEP_1) | instskip(NEXT) | instid1(VALU_DEP_1)
	v_fmac_f32_e32 v147, v146, v122
	v_sub_f32_e32 v119, v119, v147
	scratch_store_b32 off, v119, off offset:120
	v_cmpx_lt_u32_e32 29, v0
	s_cbranch_execz .LBB57_297
; %bb.296:
	scratch_load_b32 v119, off, off offset:116
	scratch_store_b32 off, v118, off offset:116
	s_waitcnt vmcnt(0)
	ds_store_b32 v117, v119
.LBB57_297:
	s_or_b32 exec_lo, exec_lo, s0
	s_waitcnt lgkmcnt(0)
	s_waitcnt_vscnt null, 0x0
	s_barrier
	buffer_gl0_inv
	s_clause 0x7
	scratch_load_b128 v[119:122], off, off offset:116
	scratch_load_b128 v[123:126], off, off offset:132
	;; [unrolled: 1-line block ×7, first 2 shown]
	scratch_load_b32 v155, off, off offset:228
	ds_load_2addr_b64 v[147:150], v118 offset0:45 offset1:46
	ds_load_2addr_b64 v[151:154], v118 offset0:47 offset1:48
	s_mov_b32 s0, exec_lo
	s_waitcnt vmcnt(7) lgkmcnt(1)
	v_fma_f32 v147, v120, v147, 0
	s_delay_alu instid0(VALU_DEP_1) | instskip(NEXT) | instid1(VALU_DEP_1)
	v_fmac_f32_e32 v147, v121, v148
	v_fmac_f32_e32 v147, v122, v149
	s_waitcnt vmcnt(6)
	s_delay_alu instid0(VALU_DEP_1) | instskip(SKIP_3) | instid1(VALU_DEP_1)
	v_fmac_f32_e32 v147, v123, v150
	ds_load_2addr_b64 v[120:123], v118 offset0:49 offset1:50
	s_waitcnt lgkmcnt(1)
	v_fmac_f32_e32 v147, v124, v151
	v_fmac_f32_e32 v147, v125, v152
	s_delay_alu instid0(VALU_DEP_1) | instskip(SKIP_1) | instid1(VALU_DEP_1)
	v_fmac_f32_e32 v147, v126, v153
	s_waitcnt vmcnt(5)
	v_fmac_f32_e32 v147, v127, v154
	ds_load_2addr_b64 v[124:127], v118 offset0:51 offset1:52
	s_waitcnt lgkmcnt(1)
	v_fmac_f32_e32 v147, v128, v120
	s_delay_alu instid0(VALU_DEP_1) | instskip(NEXT) | instid1(VALU_DEP_1)
	v_fmac_f32_e32 v147, v129, v121
	v_fmac_f32_e32 v147, v130, v122
	s_waitcnt vmcnt(4)
	s_delay_alu instid0(VALU_DEP_1) | instskip(SKIP_3) | instid1(VALU_DEP_1)
	v_fmac_f32_e32 v147, v131, v123
	ds_load_2addr_b64 v[120:123], v118 offset0:53 offset1:54
	s_waitcnt lgkmcnt(1)
	v_fmac_f32_e32 v147, v132, v124
	v_fmac_f32_e32 v147, v133, v125
	s_delay_alu instid0(VALU_DEP_1) | instskip(SKIP_1) | instid1(VALU_DEP_1)
	v_fmac_f32_e32 v147, v134, v126
	s_waitcnt vmcnt(3)
	v_fmac_f32_e32 v147, v135, v127
	ds_load_2addr_b64 v[124:127], v118 offset0:55 offset1:56
	s_waitcnt lgkmcnt(1)
	v_fmac_f32_e32 v147, v136, v120
	s_delay_alu instid0(VALU_DEP_1) | instskip(NEXT) | instid1(VALU_DEP_1)
	v_fmac_f32_e32 v147, v137, v121
	v_fmac_f32_e32 v147, v138, v122
	s_waitcnt vmcnt(2)
	s_delay_alu instid0(VALU_DEP_1) | instskip(SKIP_3) | instid1(VALU_DEP_1)
	v_fmac_f32_e32 v147, v139, v123
	ds_load_2addr_b64 v[120:123], v118 offset0:57 offset1:58
	s_waitcnt lgkmcnt(1)
	v_fmac_f32_e32 v147, v140, v124
	v_fmac_f32_e32 v147, v141, v125
	s_delay_alu instid0(VALU_DEP_1) | instskip(SKIP_1) | instid1(VALU_DEP_1)
	v_fmac_f32_e32 v147, v142, v126
	s_waitcnt vmcnt(1)
	v_fmac_f32_e32 v147, v143, v127
	s_waitcnt lgkmcnt(0)
	s_delay_alu instid0(VALU_DEP_1) | instskip(NEXT) | instid1(VALU_DEP_1)
	v_fmac_f32_e32 v147, v144, v120
	v_fmac_f32_e32 v147, v145, v121
	s_delay_alu instid0(VALU_DEP_1) | instskip(SKIP_1) | instid1(VALU_DEP_1)
	v_fmac_f32_e32 v147, v146, v122
	s_waitcnt vmcnt(0)
	v_fmac_f32_e32 v147, v155, v123
	s_delay_alu instid0(VALU_DEP_1)
	v_sub_f32_e32 v118, v119, v147
	scratch_store_b32 off, v118, off offset:116
	v_cmpx_lt_u32_e32 28, v0
	s_cbranch_execz .LBB57_299
; %bb.298:
	scratch_load_b32 v118, off, off offset:112
	v_mov_b32_e32 v119, 0
	scratch_store_b32 off, v119, off offset:112
	s_waitcnt vmcnt(0)
	ds_store_b32 v117, v118
.LBB57_299:
	s_or_b32 exec_lo, exec_lo, s0
	s_waitcnt lgkmcnt(0)
	s_waitcnt_vscnt null, 0x0
	s_barrier
	buffer_gl0_inv
	s_clause 0x7
	scratch_load_b128 v[119:122], off, off offset:112
	scratch_load_b128 v[123:126], off, off offset:128
	;; [unrolled: 1-line block ×7, first 2 shown]
	scratch_load_b64 v[147:148], off, off offset:224
	v_mov_b32_e32 v118, 0
	ds_load_2addr_b32 v[149:150], v118 offset0:89 offset1:90
	ds_load_2addr_b32 v[151:152], v118 offset0:91 offset1:92
	;; [unrolled: 1-line block ×4, first 2 shown]
	s_mov_b32 s0, exec_lo
	s_waitcnt vmcnt(7) lgkmcnt(3)
	v_fma_f32 v149, v120, v149, 0
	s_delay_alu instid0(VALU_DEP_1) | instskip(SKIP_4) | instid1(VALU_DEP_1)
	v_fmac_f32_e32 v149, v121, v150
	ds_load_2addr_b32 v[120:121], v118 offset0:97 offset1:98
	s_waitcnt lgkmcnt(3)
	v_fmac_f32_e32 v149, v122, v151
	s_waitcnt vmcnt(6)
	v_fmac_f32_e32 v149, v123, v152
	ds_load_2addr_b32 v[122:123], v118 offset0:99 offset1:100
	s_waitcnt lgkmcnt(3)
	v_fmac_f32_e32 v149, v124, v153
	s_delay_alu instid0(VALU_DEP_1) | instskip(SKIP_1) | instid1(VALU_DEP_1)
	v_fmac_f32_e32 v149, v125, v154
	s_waitcnt lgkmcnt(2)
	v_fmac_f32_e32 v149, v126, v155
	s_waitcnt vmcnt(5)
	s_delay_alu instid0(VALU_DEP_1) | instskip(SKIP_4) | instid1(VALU_DEP_1)
	v_fmac_f32_e32 v149, v127, v156
	ds_load_2addr_b32 v[124:125], v118 offset0:101 offset1:102
	ds_load_2addr_b32 v[126:127], v118 offset0:103 offset1:104
	s_waitcnt lgkmcnt(3)
	v_fmac_f32_e32 v149, v128, v120
	v_fmac_f32_e32 v149, v129, v121
	ds_load_2addr_b32 v[120:121], v118 offset0:105 offset1:106
	s_waitcnt lgkmcnt(3)
	v_fmac_f32_e32 v149, v130, v122
	s_waitcnt vmcnt(4)
	s_delay_alu instid0(VALU_DEP_1) | instskip(SKIP_3) | instid1(VALU_DEP_1)
	v_fmac_f32_e32 v149, v131, v123
	ds_load_2addr_b32 v[122:123], v118 offset0:107 offset1:108
	s_waitcnt lgkmcnt(3)
	v_fmac_f32_e32 v149, v132, v124
	v_fmac_f32_e32 v149, v133, v125
	s_waitcnt lgkmcnt(2)
	s_delay_alu instid0(VALU_DEP_1) | instskip(SKIP_1) | instid1(VALU_DEP_1)
	v_fmac_f32_e32 v149, v134, v126
	s_waitcnt vmcnt(3)
	v_fmac_f32_e32 v149, v135, v127
	ds_load_2addr_b32 v[124:125], v118 offset0:109 offset1:110
	ds_load_2addr_b32 v[126:127], v118 offset0:111 offset1:112
	s_waitcnt lgkmcnt(3)
	v_fmac_f32_e32 v149, v136, v120
	s_delay_alu instid0(VALU_DEP_1) | instskip(SKIP_4) | instid1(VALU_DEP_1)
	v_fmac_f32_e32 v149, v137, v121
	ds_load_2addr_b32 v[120:121], v118 offset0:113 offset1:114
	s_waitcnt lgkmcnt(3)
	v_fmac_f32_e32 v149, v138, v122
	s_waitcnt vmcnt(2)
	v_fmac_f32_e32 v149, v139, v123
	ds_load_2addr_b32 v[122:123], v118 offset0:115 offset1:116
	s_waitcnt lgkmcnt(3)
	v_fmac_f32_e32 v149, v140, v124
	ds_load_b32 v124, v118 offset:468
	v_fmac_f32_e32 v149, v141, v125
	s_waitcnt lgkmcnt(3)
	s_delay_alu instid0(VALU_DEP_1) | instskip(SKIP_1) | instid1(VALU_DEP_1)
	v_fmac_f32_e32 v149, v142, v126
	s_waitcnt vmcnt(1)
	v_fmac_f32_e32 v149, v143, v127
	s_waitcnt lgkmcnt(2)
	s_delay_alu instid0(VALU_DEP_1) | instskip(NEXT) | instid1(VALU_DEP_1)
	v_fmac_f32_e32 v149, v144, v120
	v_fmac_f32_e32 v149, v145, v121
	s_waitcnt lgkmcnt(1)
	s_delay_alu instid0(VALU_DEP_1) | instskip(SKIP_1) | instid1(VALU_DEP_1)
	v_fmac_f32_e32 v149, v146, v122
	s_waitcnt vmcnt(0)
	v_fmac_f32_e32 v149, v147, v123
	s_waitcnt lgkmcnt(0)
	s_delay_alu instid0(VALU_DEP_1) | instskip(NEXT) | instid1(VALU_DEP_1)
	v_fmac_f32_e32 v149, v148, v124
	v_sub_f32_e32 v119, v119, v149
	scratch_store_b32 off, v119, off offset:112
	v_cmpx_lt_u32_e32 27, v0
	s_cbranch_execz .LBB57_301
; %bb.300:
	scratch_load_b32 v119, off, off offset:108
	scratch_store_b32 off, v118, off offset:108
	s_waitcnt vmcnt(0)
	ds_store_b32 v117, v119
.LBB57_301:
	s_or_b32 exec_lo, exec_lo, s0
	s_waitcnt lgkmcnt(0)
	s_waitcnt_vscnt null, 0x0
	s_barrier
	buffer_gl0_inv
	s_clause 0x7
	scratch_load_b128 v[119:122], off, off offset:108
	scratch_load_b128 v[123:126], off, off offset:124
	;; [unrolled: 1-line block ×7, first 2 shown]
	scratch_load_b96 v[155:157], off, off offset:220
	ds_load_b128 v[147:150], v118 offset:352
	ds_load_b128 v[151:154], v118 offset:368
	s_mov_b32 s0, exec_lo
	s_waitcnt vmcnt(7) lgkmcnt(1)
	v_fma_f32 v147, v120, v147, 0
	s_delay_alu instid0(VALU_DEP_1) | instskip(NEXT) | instid1(VALU_DEP_1)
	v_fmac_f32_e32 v147, v121, v148
	v_fmac_f32_e32 v147, v122, v149
	s_waitcnt vmcnt(6)
	s_delay_alu instid0(VALU_DEP_1) | instskip(SKIP_3) | instid1(VALU_DEP_1)
	v_fmac_f32_e32 v147, v123, v150
	ds_load_b128 v[120:123], v118 offset:384
	s_waitcnt lgkmcnt(1)
	v_fmac_f32_e32 v147, v124, v151
	v_fmac_f32_e32 v147, v125, v152
	s_delay_alu instid0(VALU_DEP_1) | instskip(SKIP_1) | instid1(VALU_DEP_1)
	v_fmac_f32_e32 v147, v126, v153
	s_waitcnt vmcnt(5)
	v_fmac_f32_e32 v147, v127, v154
	ds_load_b128 v[124:127], v118 offset:400
	s_waitcnt lgkmcnt(1)
	v_fmac_f32_e32 v147, v128, v120
	s_delay_alu instid0(VALU_DEP_1) | instskip(NEXT) | instid1(VALU_DEP_1)
	v_fmac_f32_e32 v147, v129, v121
	v_fmac_f32_e32 v147, v130, v122
	s_waitcnt vmcnt(4)
	s_delay_alu instid0(VALU_DEP_1) | instskip(SKIP_3) | instid1(VALU_DEP_1)
	v_fmac_f32_e32 v147, v131, v123
	ds_load_b128 v[120:123], v118 offset:416
	s_waitcnt lgkmcnt(1)
	v_fmac_f32_e32 v147, v132, v124
	v_fmac_f32_e32 v147, v133, v125
	s_delay_alu instid0(VALU_DEP_1) | instskip(SKIP_1) | instid1(VALU_DEP_1)
	v_fmac_f32_e32 v147, v134, v126
	s_waitcnt vmcnt(3)
	v_fmac_f32_e32 v147, v135, v127
	ds_load_b128 v[124:127], v118 offset:432
	s_waitcnt lgkmcnt(1)
	v_fmac_f32_e32 v147, v136, v120
	s_delay_alu instid0(VALU_DEP_1) | instskip(NEXT) | instid1(VALU_DEP_1)
	v_fmac_f32_e32 v147, v137, v121
	v_fmac_f32_e32 v147, v138, v122
	s_waitcnt vmcnt(2)
	s_delay_alu instid0(VALU_DEP_1) | instskip(SKIP_3) | instid1(VALU_DEP_1)
	v_fmac_f32_e32 v147, v139, v123
	ds_load_b128 v[120:123], v118 offset:448
	s_waitcnt lgkmcnt(1)
	v_fmac_f32_e32 v147, v140, v124
	v_fmac_f32_e32 v147, v141, v125
	ds_load_b64 v[124:125], v118 offset:464
	v_fmac_f32_e32 v147, v142, v126
	s_waitcnt vmcnt(1)
	s_delay_alu instid0(VALU_DEP_1) | instskip(SKIP_1) | instid1(VALU_DEP_1)
	v_fmac_f32_e32 v147, v143, v127
	s_waitcnt lgkmcnt(1)
	v_fmac_f32_e32 v147, v144, v120
	s_delay_alu instid0(VALU_DEP_1) | instskip(NEXT) | instid1(VALU_DEP_1)
	v_fmac_f32_e32 v147, v145, v121
	v_fmac_f32_e32 v147, v146, v122
	s_waitcnt vmcnt(0)
	s_delay_alu instid0(VALU_DEP_1) | instskip(SKIP_1) | instid1(VALU_DEP_1)
	v_fmac_f32_e32 v147, v155, v123
	s_waitcnt lgkmcnt(0)
	v_fmac_f32_e32 v147, v156, v124
	s_delay_alu instid0(VALU_DEP_1) | instskip(NEXT) | instid1(VALU_DEP_1)
	v_fmac_f32_e32 v147, v157, v125
	v_sub_f32_e32 v118, v119, v147
	scratch_store_b32 off, v118, off offset:108
	v_cmpx_lt_u32_e32 26, v0
	s_cbranch_execz .LBB57_303
; %bb.302:
	scratch_load_b32 v118, off, off offset:104
	v_mov_b32_e32 v119, 0
	scratch_store_b32 off, v119, off offset:104
	s_waitcnt vmcnt(0)
	ds_store_b32 v117, v118
.LBB57_303:
	s_or_b32 exec_lo, exec_lo, s0
	s_waitcnt lgkmcnt(0)
	s_waitcnt_vscnt null, 0x0
	s_barrier
	buffer_gl0_inv
	s_clause 0x7
	scratch_load_b128 v[119:122], off, off offset:104
	scratch_load_b128 v[123:126], off, off offset:120
	;; [unrolled: 1-line block ×8, first 2 shown]
	v_mov_b32_e32 v118, 0
	ds_load_2addr_b32 v[151:152], v118 offset0:87 offset1:88
	ds_load_2addr_b32 v[153:154], v118 offset0:89 offset1:90
	;; [unrolled: 1-line block ×4, first 2 shown]
	s_mov_b32 s0, exec_lo
	s_waitcnt vmcnt(7) lgkmcnt(3)
	v_fma_f32 v151, v120, v151, 0
	s_delay_alu instid0(VALU_DEP_1) | instskip(SKIP_4) | instid1(VALU_DEP_1)
	v_fmac_f32_e32 v151, v121, v152
	ds_load_2addr_b32 v[120:121], v118 offset0:95 offset1:96
	s_waitcnt lgkmcnt(3)
	v_fmac_f32_e32 v151, v122, v153
	s_waitcnt vmcnt(6)
	v_fmac_f32_e32 v151, v123, v154
	ds_load_2addr_b32 v[122:123], v118 offset0:97 offset1:98
	s_waitcnt lgkmcnt(3)
	v_fmac_f32_e32 v151, v124, v155
	s_delay_alu instid0(VALU_DEP_1) | instskip(SKIP_1) | instid1(VALU_DEP_1)
	v_fmac_f32_e32 v151, v125, v156
	s_waitcnt lgkmcnt(2)
	v_fmac_f32_e32 v151, v126, v157
	s_waitcnt vmcnt(5)
	s_delay_alu instid0(VALU_DEP_1) | instskip(SKIP_4) | instid1(VALU_DEP_1)
	v_fmac_f32_e32 v151, v127, v158
	ds_load_2addr_b32 v[124:125], v118 offset0:99 offset1:100
	ds_load_2addr_b32 v[126:127], v118 offset0:101 offset1:102
	s_waitcnt lgkmcnt(3)
	v_fmac_f32_e32 v151, v128, v120
	v_fmac_f32_e32 v151, v129, v121
	ds_load_2addr_b32 v[120:121], v118 offset0:103 offset1:104
	s_waitcnt lgkmcnt(3)
	v_fmac_f32_e32 v151, v130, v122
	s_waitcnt vmcnt(4)
	s_delay_alu instid0(VALU_DEP_1) | instskip(SKIP_3) | instid1(VALU_DEP_1)
	v_fmac_f32_e32 v151, v131, v123
	ds_load_2addr_b32 v[122:123], v118 offset0:105 offset1:106
	s_waitcnt lgkmcnt(3)
	v_fmac_f32_e32 v151, v132, v124
	v_fmac_f32_e32 v151, v133, v125
	s_waitcnt lgkmcnt(2)
	s_delay_alu instid0(VALU_DEP_1) | instskip(SKIP_1) | instid1(VALU_DEP_1)
	v_fmac_f32_e32 v151, v134, v126
	s_waitcnt vmcnt(3)
	v_fmac_f32_e32 v151, v135, v127
	ds_load_2addr_b32 v[124:125], v118 offset0:107 offset1:108
	ds_load_2addr_b32 v[126:127], v118 offset0:109 offset1:110
	s_waitcnt lgkmcnt(3)
	v_fmac_f32_e32 v151, v136, v120
	s_delay_alu instid0(VALU_DEP_1) | instskip(SKIP_4) | instid1(VALU_DEP_1)
	v_fmac_f32_e32 v151, v137, v121
	ds_load_2addr_b32 v[120:121], v118 offset0:111 offset1:112
	s_waitcnt lgkmcnt(3)
	v_fmac_f32_e32 v151, v138, v122
	s_waitcnt vmcnt(2)
	v_fmac_f32_e32 v151, v139, v123
	ds_load_2addr_b32 v[122:123], v118 offset0:113 offset1:114
	s_waitcnt lgkmcnt(3)
	v_fmac_f32_e32 v151, v140, v124
	s_delay_alu instid0(VALU_DEP_1) | instskip(SKIP_1) | instid1(VALU_DEP_1)
	v_fmac_f32_e32 v151, v141, v125
	s_waitcnt lgkmcnt(2)
	v_fmac_f32_e32 v151, v142, v126
	ds_load_2addr_b32 v[124:125], v118 offset0:115 offset1:116
	ds_load_b32 v126, v118 offset:468
	s_waitcnt vmcnt(1)
	v_fmac_f32_e32 v151, v143, v127
	s_waitcnt lgkmcnt(3)
	s_delay_alu instid0(VALU_DEP_1) | instskip(NEXT) | instid1(VALU_DEP_1)
	v_fmac_f32_e32 v151, v144, v120
	v_fmac_f32_e32 v151, v145, v121
	s_waitcnt lgkmcnt(2)
	s_delay_alu instid0(VALU_DEP_1) | instskip(SKIP_1) | instid1(VALU_DEP_1)
	v_fmac_f32_e32 v151, v146, v122
	s_waitcnt vmcnt(0)
	v_fmac_f32_e32 v151, v147, v123
	s_waitcnt lgkmcnt(1)
	s_delay_alu instid0(VALU_DEP_1) | instskip(NEXT) | instid1(VALU_DEP_1)
	v_fmac_f32_e32 v151, v148, v124
	v_fmac_f32_e32 v151, v149, v125
	s_waitcnt lgkmcnt(0)
	s_delay_alu instid0(VALU_DEP_1) | instskip(NEXT) | instid1(VALU_DEP_1)
	v_fmac_f32_e32 v151, v150, v126
	v_sub_f32_e32 v119, v119, v151
	scratch_store_b32 off, v119, off offset:104
	v_cmpx_lt_u32_e32 25, v0
	s_cbranch_execz .LBB57_305
; %bb.304:
	scratch_load_b32 v119, off, off offset:100
	scratch_store_b32 off, v118, off offset:100
	s_waitcnt vmcnt(0)
	ds_store_b32 v117, v119
.LBB57_305:
	s_or_b32 exec_lo, exec_lo, s0
	s_waitcnt lgkmcnt(0)
	s_waitcnt_vscnt null, 0x0
	s_barrier
	buffer_gl0_inv
	s_clause 0x8
	scratch_load_b128 v[119:122], off, off offset:100
	scratch_load_b128 v[123:126], off, off offset:116
	;; [unrolled: 1-line block ×8, first 2 shown]
	scratch_load_b32 v159, off, off offset:228
	ds_load_2addr_b64 v[151:154], v118 offset0:43 offset1:44
	ds_load_2addr_b64 v[155:158], v118 offset0:45 offset1:46
	s_mov_b32 s0, exec_lo
	s_waitcnt vmcnt(8) lgkmcnt(1)
	v_fma_f32 v151, v120, v151, 0
	s_delay_alu instid0(VALU_DEP_1) | instskip(NEXT) | instid1(VALU_DEP_1)
	v_fmac_f32_e32 v151, v121, v152
	v_fmac_f32_e32 v151, v122, v153
	s_waitcnt vmcnt(7)
	s_delay_alu instid0(VALU_DEP_1) | instskip(SKIP_3) | instid1(VALU_DEP_1)
	v_fmac_f32_e32 v151, v123, v154
	ds_load_2addr_b64 v[120:123], v118 offset0:47 offset1:48
	s_waitcnt lgkmcnt(1)
	v_fmac_f32_e32 v151, v124, v155
	v_fmac_f32_e32 v151, v125, v156
	s_delay_alu instid0(VALU_DEP_1) | instskip(SKIP_1) | instid1(VALU_DEP_1)
	v_fmac_f32_e32 v151, v126, v157
	s_waitcnt vmcnt(6)
	v_fmac_f32_e32 v151, v127, v158
	ds_load_2addr_b64 v[124:127], v118 offset0:49 offset1:50
	s_waitcnt lgkmcnt(1)
	v_fmac_f32_e32 v151, v128, v120
	s_delay_alu instid0(VALU_DEP_1) | instskip(NEXT) | instid1(VALU_DEP_1)
	v_fmac_f32_e32 v151, v129, v121
	v_fmac_f32_e32 v151, v130, v122
	s_waitcnt vmcnt(5)
	s_delay_alu instid0(VALU_DEP_1) | instskip(SKIP_3) | instid1(VALU_DEP_1)
	v_fmac_f32_e32 v151, v131, v123
	ds_load_2addr_b64 v[120:123], v118 offset0:51 offset1:52
	s_waitcnt lgkmcnt(1)
	v_fmac_f32_e32 v151, v132, v124
	v_fmac_f32_e32 v151, v133, v125
	s_delay_alu instid0(VALU_DEP_1) | instskip(SKIP_1) | instid1(VALU_DEP_1)
	v_fmac_f32_e32 v151, v134, v126
	s_waitcnt vmcnt(4)
	v_fmac_f32_e32 v151, v135, v127
	ds_load_2addr_b64 v[124:127], v118 offset0:53 offset1:54
	s_waitcnt lgkmcnt(1)
	v_fmac_f32_e32 v151, v136, v120
	;; [unrolled: 17-line block ×3, first 2 shown]
	s_delay_alu instid0(VALU_DEP_1) | instskip(NEXT) | instid1(VALU_DEP_1)
	v_fmac_f32_e32 v151, v145, v121
	v_fmac_f32_e32 v151, v146, v122
	s_waitcnt vmcnt(1)
	s_delay_alu instid0(VALU_DEP_1) | instskip(SKIP_1) | instid1(VALU_DEP_1)
	v_fmac_f32_e32 v151, v147, v123
	s_waitcnt lgkmcnt(0)
	v_fmac_f32_e32 v151, v148, v124
	s_delay_alu instid0(VALU_DEP_1) | instskip(NEXT) | instid1(VALU_DEP_1)
	v_fmac_f32_e32 v151, v149, v125
	v_fmac_f32_e32 v151, v150, v126
	s_waitcnt vmcnt(0)
	s_delay_alu instid0(VALU_DEP_1) | instskip(NEXT) | instid1(VALU_DEP_1)
	v_fmac_f32_e32 v151, v159, v127
	v_sub_f32_e32 v118, v119, v151
	scratch_store_b32 off, v118, off offset:100
	v_cmpx_lt_u32_e32 24, v0
	s_cbranch_execz .LBB57_307
; %bb.306:
	scratch_load_b32 v118, off, off offset:96
	v_mov_b32_e32 v119, 0
	scratch_store_b32 off, v119, off offset:96
	s_waitcnt vmcnt(0)
	ds_store_b32 v117, v118
.LBB57_307:
	s_or_b32 exec_lo, exec_lo, s0
	s_waitcnt lgkmcnt(0)
	s_waitcnt_vscnt null, 0x0
	s_barrier
	buffer_gl0_inv
	s_clause 0x8
	scratch_load_b128 v[119:122], off, off offset:96
	scratch_load_b128 v[123:126], off, off offset:112
	scratch_load_b128 v[127:130], off, off offset:128
	scratch_load_b128 v[131:134], off, off offset:144
	scratch_load_b128 v[135:138], off, off offset:160
	scratch_load_b128 v[139:142], off, off offset:176
	scratch_load_b128 v[143:146], off, off offset:192
	scratch_load_b128 v[147:150], off, off offset:208
	scratch_load_b64 v[151:152], off, off offset:224
	v_mov_b32_e32 v118, 0
	ds_load_2addr_b32 v[153:154], v118 offset0:85 offset1:86
	ds_load_2addr_b32 v[155:156], v118 offset0:87 offset1:88
	;; [unrolled: 1-line block ×4, first 2 shown]
	s_mov_b32 s0, exec_lo
	s_waitcnt vmcnt(8) lgkmcnt(3)
	v_fma_f32 v153, v120, v153, 0
	s_delay_alu instid0(VALU_DEP_1) | instskip(SKIP_4) | instid1(VALU_DEP_1)
	v_fmac_f32_e32 v153, v121, v154
	ds_load_2addr_b32 v[120:121], v118 offset0:93 offset1:94
	s_waitcnt lgkmcnt(3)
	v_fmac_f32_e32 v153, v122, v155
	s_waitcnt vmcnt(7)
	v_fmac_f32_e32 v153, v123, v156
	ds_load_2addr_b32 v[122:123], v118 offset0:95 offset1:96
	s_waitcnt lgkmcnt(3)
	v_fmac_f32_e32 v153, v124, v157
	s_delay_alu instid0(VALU_DEP_1) | instskip(SKIP_1) | instid1(VALU_DEP_1)
	v_fmac_f32_e32 v153, v125, v158
	s_waitcnt lgkmcnt(2)
	v_fmac_f32_e32 v153, v126, v159
	s_waitcnt vmcnt(6)
	s_delay_alu instid0(VALU_DEP_1) | instskip(SKIP_4) | instid1(VALU_DEP_1)
	v_fmac_f32_e32 v153, v127, v160
	ds_load_2addr_b32 v[124:125], v118 offset0:97 offset1:98
	ds_load_2addr_b32 v[126:127], v118 offset0:99 offset1:100
	s_waitcnt lgkmcnt(3)
	v_fmac_f32_e32 v153, v128, v120
	v_fmac_f32_e32 v153, v129, v121
	ds_load_2addr_b32 v[120:121], v118 offset0:101 offset1:102
	s_waitcnt lgkmcnt(3)
	v_fmac_f32_e32 v153, v130, v122
	s_waitcnt vmcnt(5)
	s_delay_alu instid0(VALU_DEP_1) | instskip(SKIP_3) | instid1(VALU_DEP_1)
	v_fmac_f32_e32 v153, v131, v123
	ds_load_2addr_b32 v[122:123], v118 offset0:103 offset1:104
	s_waitcnt lgkmcnt(3)
	v_fmac_f32_e32 v153, v132, v124
	v_fmac_f32_e32 v153, v133, v125
	s_waitcnt lgkmcnt(2)
	s_delay_alu instid0(VALU_DEP_1) | instskip(SKIP_1) | instid1(VALU_DEP_1)
	v_fmac_f32_e32 v153, v134, v126
	s_waitcnt vmcnt(4)
	v_fmac_f32_e32 v153, v135, v127
	ds_load_2addr_b32 v[124:125], v118 offset0:105 offset1:106
	ds_load_2addr_b32 v[126:127], v118 offset0:107 offset1:108
	s_waitcnt lgkmcnt(3)
	v_fmac_f32_e32 v153, v136, v120
	s_delay_alu instid0(VALU_DEP_1) | instskip(SKIP_4) | instid1(VALU_DEP_1)
	v_fmac_f32_e32 v153, v137, v121
	ds_load_2addr_b32 v[120:121], v118 offset0:109 offset1:110
	s_waitcnt lgkmcnt(3)
	v_fmac_f32_e32 v153, v138, v122
	s_waitcnt vmcnt(3)
	v_fmac_f32_e32 v153, v139, v123
	ds_load_2addr_b32 v[122:123], v118 offset0:111 offset1:112
	s_waitcnt lgkmcnt(3)
	v_fmac_f32_e32 v153, v140, v124
	s_delay_alu instid0(VALU_DEP_1) | instskip(SKIP_1) | instid1(VALU_DEP_1)
	v_fmac_f32_e32 v153, v141, v125
	s_waitcnt lgkmcnt(2)
	v_fmac_f32_e32 v153, v142, v126
	s_waitcnt vmcnt(2)
	s_delay_alu instid0(VALU_DEP_1)
	v_fmac_f32_e32 v153, v143, v127
	ds_load_2addr_b32 v[124:125], v118 offset0:113 offset1:114
	ds_load_2addr_b32 v[126:127], v118 offset0:115 offset1:116
	s_waitcnt lgkmcnt(3)
	v_fmac_f32_e32 v153, v144, v120
	ds_load_b32 v120, v118 offset:468
	v_fmac_f32_e32 v153, v145, v121
	s_waitcnt lgkmcnt(3)
	s_delay_alu instid0(VALU_DEP_1) | instskip(SKIP_1) | instid1(VALU_DEP_1)
	v_fmac_f32_e32 v153, v146, v122
	s_waitcnt vmcnt(1)
	v_fmac_f32_e32 v153, v147, v123
	s_waitcnt lgkmcnt(2)
	s_delay_alu instid0(VALU_DEP_1) | instskip(NEXT) | instid1(VALU_DEP_1)
	v_fmac_f32_e32 v153, v148, v124
	v_fmac_f32_e32 v153, v149, v125
	s_waitcnt lgkmcnt(1)
	s_delay_alu instid0(VALU_DEP_1) | instskip(SKIP_1) | instid1(VALU_DEP_1)
	v_fmac_f32_e32 v153, v150, v126
	s_waitcnt vmcnt(0)
	v_fmac_f32_e32 v153, v151, v127
	s_waitcnt lgkmcnt(0)
	s_delay_alu instid0(VALU_DEP_1) | instskip(NEXT) | instid1(VALU_DEP_1)
	v_fmac_f32_e32 v153, v152, v120
	v_sub_f32_e32 v119, v119, v153
	scratch_store_b32 off, v119, off offset:96
	v_cmpx_lt_u32_e32 23, v0
	s_cbranch_execz .LBB57_309
; %bb.308:
	scratch_load_b32 v119, off, off offset:92
	scratch_store_b32 off, v118, off offset:92
	s_waitcnt vmcnt(0)
	ds_store_b32 v117, v119
.LBB57_309:
	s_or_b32 exec_lo, exec_lo, s0
	s_waitcnt lgkmcnt(0)
	s_waitcnt_vscnt null, 0x0
	s_barrier
	buffer_gl0_inv
	s_clause 0x8
	scratch_load_b128 v[119:122], off, off offset:92
	scratch_load_b128 v[123:126], off, off offset:108
	;; [unrolled: 1-line block ×8, first 2 shown]
	scratch_load_b96 v[159:161], off, off offset:220
	ds_load_b128 v[151:154], v118 offset:336
	ds_load_b128 v[155:158], v118 offset:352
	s_mov_b32 s0, exec_lo
	s_waitcnt vmcnt(8) lgkmcnt(1)
	v_fma_f32 v151, v120, v151, 0
	s_delay_alu instid0(VALU_DEP_1) | instskip(NEXT) | instid1(VALU_DEP_1)
	v_fmac_f32_e32 v151, v121, v152
	v_fmac_f32_e32 v151, v122, v153
	s_waitcnt vmcnt(7)
	s_delay_alu instid0(VALU_DEP_1) | instskip(SKIP_3) | instid1(VALU_DEP_1)
	v_fmac_f32_e32 v151, v123, v154
	ds_load_b128 v[120:123], v118 offset:368
	s_waitcnt lgkmcnt(1)
	v_fmac_f32_e32 v151, v124, v155
	v_fmac_f32_e32 v151, v125, v156
	s_delay_alu instid0(VALU_DEP_1) | instskip(SKIP_1) | instid1(VALU_DEP_1)
	v_fmac_f32_e32 v151, v126, v157
	s_waitcnt vmcnt(6)
	v_fmac_f32_e32 v151, v127, v158
	ds_load_b128 v[124:127], v118 offset:384
	s_waitcnt lgkmcnt(1)
	v_fmac_f32_e32 v151, v128, v120
	s_delay_alu instid0(VALU_DEP_1) | instskip(NEXT) | instid1(VALU_DEP_1)
	v_fmac_f32_e32 v151, v129, v121
	v_fmac_f32_e32 v151, v130, v122
	s_waitcnt vmcnt(5)
	s_delay_alu instid0(VALU_DEP_1) | instskip(SKIP_3) | instid1(VALU_DEP_1)
	v_fmac_f32_e32 v151, v131, v123
	ds_load_b128 v[120:123], v118 offset:400
	s_waitcnt lgkmcnt(1)
	v_fmac_f32_e32 v151, v132, v124
	v_fmac_f32_e32 v151, v133, v125
	s_delay_alu instid0(VALU_DEP_1) | instskip(SKIP_1) | instid1(VALU_DEP_1)
	v_fmac_f32_e32 v151, v134, v126
	s_waitcnt vmcnt(4)
	v_fmac_f32_e32 v151, v135, v127
	ds_load_b128 v[124:127], v118 offset:416
	s_waitcnt lgkmcnt(1)
	v_fmac_f32_e32 v151, v136, v120
	;; [unrolled: 17-line block ×3, first 2 shown]
	s_delay_alu instid0(VALU_DEP_1) | instskip(SKIP_3) | instid1(VALU_DEP_1)
	v_fmac_f32_e32 v151, v145, v121
	ds_load_b64 v[120:121], v118 offset:464
	v_fmac_f32_e32 v151, v146, v122
	s_waitcnt vmcnt(1)
	v_fmac_f32_e32 v151, v147, v123
	s_waitcnt lgkmcnt(1)
	s_delay_alu instid0(VALU_DEP_1) | instskip(NEXT) | instid1(VALU_DEP_1)
	v_fmac_f32_e32 v151, v148, v124
	v_fmac_f32_e32 v151, v149, v125
	s_delay_alu instid0(VALU_DEP_1) | instskip(SKIP_1) | instid1(VALU_DEP_1)
	v_fmac_f32_e32 v151, v150, v126
	s_waitcnt vmcnt(0)
	v_fmac_f32_e32 v151, v159, v127
	s_waitcnt lgkmcnt(0)
	s_delay_alu instid0(VALU_DEP_1) | instskip(NEXT) | instid1(VALU_DEP_1)
	v_fmac_f32_e32 v151, v160, v120
	v_fmac_f32_e32 v151, v161, v121
	s_delay_alu instid0(VALU_DEP_1)
	v_sub_f32_e32 v118, v119, v151
	scratch_store_b32 off, v118, off offset:92
	v_cmpx_lt_u32_e32 22, v0
	s_cbranch_execz .LBB57_311
; %bb.310:
	scratch_load_b32 v118, off, off offset:88
	v_mov_b32_e32 v119, 0
	scratch_store_b32 off, v119, off offset:88
	s_waitcnt vmcnt(0)
	ds_store_b32 v117, v118
.LBB57_311:
	s_or_b32 exec_lo, exec_lo, s0
	s_waitcnt lgkmcnt(0)
	s_waitcnt_vscnt null, 0x0
	s_barrier
	buffer_gl0_inv
	s_clause 0x8
	scratch_load_b128 v[119:122], off, off offset:88
	scratch_load_b128 v[123:126], off, off offset:104
	;; [unrolled: 1-line block ×9, first 2 shown]
	v_mov_b32_e32 v118, 0
	ds_load_2addr_b32 v[155:156], v118 offset0:83 offset1:84
	ds_load_2addr_b32 v[157:158], v118 offset0:85 offset1:86
	;; [unrolled: 1-line block ×4, first 2 shown]
	s_mov_b32 s0, exec_lo
	s_waitcnt vmcnt(8) lgkmcnt(3)
	v_fma_f32 v155, v120, v155, 0
	s_delay_alu instid0(VALU_DEP_1) | instskip(SKIP_4) | instid1(VALU_DEP_1)
	v_fmac_f32_e32 v155, v121, v156
	ds_load_2addr_b32 v[120:121], v118 offset0:91 offset1:92
	s_waitcnt lgkmcnt(3)
	v_fmac_f32_e32 v155, v122, v157
	s_waitcnt vmcnt(7)
	v_fmac_f32_e32 v155, v123, v158
	ds_load_2addr_b32 v[122:123], v118 offset0:93 offset1:94
	s_waitcnt lgkmcnt(3)
	v_fmac_f32_e32 v155, v124, v159
	s_delay_alu instid0(VALU_DEP_1) | instskip(SKIP_1) | instid1(VALU_DEP_1)
	v_fmac_f32_e32 v155, v125, v160
	s_waitcnt lgkmcnt(2)
	v_fmac_f32_e32 v155, v126, v161
	s_waitcnt vmcnt(6)
	s_delay_alu instid0(VALU_DEP_1) | instskip(SKIP_4) | instid1(VALU_DEP_1)
	v_fmac_f32_e32 v155, v127, v162
	ds_load_2addr_b32 v[124:125], v118 offset0:95 offset1:96
	ds_load_2addr_b32 v[126:127], v118 offset0:97 offset1:98
	s_waitcnt lgkmcnt(3)
	v_fmac_f32_e32 v155, v128, v120
	v_fmac_f32_e32 v155, v129, v121
	ds_load_2addr_b32 v[120:121], v118 offset0:99 offset1:100
	s_waitcnt lgkmcnt(3)
	v_fmac_f32_e32 v155, v130, v122
	s_waitcnt vmcnt(5)
	s_delay_alu instid0(VALU_DEP_1) | instskip(SKIP_3) | instid1(VALU_DEP_1)
	v_fmac_f32_e32 v155, v131, v123
	ds_load_2addr_b32 v[122:123], v118 offset0:101 offset1:102
	s_waitcnt lgkmcnt(3)
	v_fmac_f32_e32 v155, v132, v124
	v_fmac_f32_e32 v155, v133, v125
	s_waitcnt lgkmcnt(2)
	s_delay_alu instid0(VALU_DEP_1) | instskip(SKIP_1) | instid1(VALU_DEP_1)
	v_fmac_f32_e32 v155, v134, v126
	s_waitcnt vmcnt(4)
	v_fmac_f32_e32 v155, v135, v127
	ds_load_2addr_b32 v[124:125], v118 offset0:103 offset1:104
	ds_load_2addr_b32 v[126:127], v118 offset0:105 offset1:106
	s_waitcnt lgkmcnt(3)
	v_fmac_f32_e32 v155, v136, v120
	s_delay_alu instid0(VALU_DEP_1) | instskip(SKIP_4) | instid1(VALU_DEP_1)
	v_fmac_f32_e32 v155, v137, v121
	ds_load_2addr_b32 v[120:121], v118 offset0:107 offset1:108
	s_waitcnt lgkmcnt(3)
	v_fmac_f32_e32 v155, v138, v122
	s_waitcnt vmcnt(3)
	v_fmac_f32_e32 v155, v139, v123
	ds_load_2addr_b32 v[122:123], v118 offset0:109 offset1:110
	s_waitcnt lgkmcnt(3)
	v_fmac_f32_e32 v155, v140, v124
	s_delay_alu instid0(VALU_DEP_1) | instskip(SKIP_1) | instid1(VALU_DEP_1)
	v_fmac_f32_e32 v155, v141, v125
	s_waitcnt lgkmcnt(2)
	v_fmac_f32_e32 v155, v142, v126
	s_waitcnt vmcnt(2)
	s_delay_alu instid0(VALU_DEP_1) | instskip(SKIP_4) | instid1(VALU_DEP_1)
	v_fmac_f32_e32 v155, v143, v127
	ds_load_2addr_b32 v[124:125], v118 offset0:111 offset1:112
	ds_load_2addr_b32 v[126:127], v118 offset0:113 offset1:114
	s_waitcnt lgkmcnt(3)
	v_fmac_f32_e32 v155, v144, v120
	v_fmac_f32_e32 v155, v145, v121
	ds_load_2addr_b32 v[120:121], v118 offset0:115 offset1:116
	s_waitcnt lgkmcnt(3)
	v_fmac_f32_e32 v155, v146, v122
	ds_load_b32 v122, v118 offset:468
	s_waitcnt vmcnt(1)
	v_fmac_f32_e32 v155, v147, v123
	s_waitcnt lgkmcnt(3)
	s_delay_alu instid0(VALU_DEP_1) | instskip(NEXT) | instid1(VALU_DEP_1)
	v_fmac_f32_e32 v155, v148, v124
	v_fmac_f32_e32 v155, v149, v125
	s_waitcnt lgkmcnt(2)
	s_delay_alu instid0(VALU_DEP_1) | instskip(SKIP_1) | instid1(VALU_DEP_1)
	v_fmac_f32_e32 v155, v150, v126
	s_waitcnt vmcnt(0)
	v_fmac_f32_e32 v155, v151, v127
	s_waitcnt lgkmcnt(1)
	s_delay_alu instid0(VALU_DEP_1) | instskip(NEXT) | instid1(VALU_DEP_1)
	v_fmac_f32_e32 v155, v152, v120
	v_fmac_f32_e32 v155, v153, v121
	s_waitcnt lgkmcnt(0)
	s_delay_alu instid0(VALU_DEP_1) | instskip(NEXT) | instid1(VALU_DEP_1)
	v_fmac_f32_e32 v155, v154, v122
	v_sub_f32_e32 v119, v119, v155
	scratch_store_b32 off, v119, off offset:88
	v_cmpx_lt_u32_e32 21, v0
	s_cbranch_execz .LBB57_313
; %bb.312:
	scratch_load_b32 v119, off, off offset:84
	scratch_store_b32 off, v118, off offset:84
	s_waitcnt vmcnt(0)
	ds_store_b32 v117, v119
.LBB57_313:
	s_or_b32 exec_lo, exec_lo, s0
	s_waitcnt lgkmcnt(0)
	s_waitcnt_vscnt null, 0x0
	s_barrier
	buffer_gl0_inv
	s_clause 0x9
	scratch_load_b128 v[119:122], off, off offset:84
	scratch_load_b128 v[123:126], off, off offset:100
	;; [unrolled: 1-line block ×9, first 2 shown]
	scratch_load_b32 v163, off, off offset:228
	ds_load_2addr_b64 v[155:158], v118 offset0:41 offset1:42
	ds_load_2addr_b64 v[159:162], v118 offset0:43 offset1:44
	s_mov_b32 s0, exec_lo
	s_waitcnt vmcnt(9) lgkmcnt(1)
	v_fma_f32 v155, v120, v155, 0
	s_delay_alu instid0(VALU_DEP_1) | instskip(NEXT) | instid1(VALU_DEP_1)
	v_fmac_f32_e32 v155, v121, v156
	v_fmac_f32_e32 v155, v122, v157
	s_waitcnt vmcnt(8)
	s_delay_alu instid0(VALU_DEP_1) | instskip(SKIP_3) | instid1(VALU_DEP_1)
	v_fmac_f32_e32 v155, v123, v158
	ds_load_2addr_b64 v[120:123], v118 offset0:45 offset1:46
	s_waitcnt lgkmcnt(1)
	v_fmac_f32_e32 v155, v124, v159
	v_fmac_f32_e32 v155, v125, v160
	s_delay_alu instid0(VALU_DEP_1) | instskip(SKIP_1) | instid1(VALU_DEP_1)
	v_fmac_f32_e32 v155, v126, v161
	s_waitcnt vmcnt(7)
	v_fmac_f32_e32 v155, v127, v162
	ds_load_2addr_b64 v[124:127], v118 offset0:47 offset1:48
	s_waitcnt lgkmcnt(1)
	v_fmac_f32_e32 v155, v128, v120
	s_delay_alu instid0(VALU_DEP_1) | instskip(NEXT) | instid1(VALU_DEP_1)
	v_fmac_f32_e32 v155, v129, v121
	v_fmac_f32_e32 v155, v130, v122
	s_waitcnt vmcnt(6)
	s_delay_alu instid0(VALU_DEP_1) | instskip(SKIP_3) | instid1(VALU_DEP_1)
	v_fmac_f32_e32 v155, v131, v123
	ds_load_2addr_b64 v[120:123], v118 offset0:49 offset1:50
	s_waitcnt lgkmcnt(1)
	v_fmac_f32_e32 v155, v132, v124
	v_fmac_f32_e32 v155, v133, v125
	s_delay_alu instid0(VALU_DEP_1) | instskip(SKIP_1) | instid1(VALU_DEP_1)
	v_fmac_f32_e32 v155, v134, v126
	s_waitcnt vmcnt(5)
	v_fmac_f32_e32 v155, v135, v127
	ds_load_2addr_b64 v[124:127], v118 offset0:51 offset1:52
	s_waitcnt lgkmcnt(1)
	v_fmac_f32_e32 v155, v136, v120
	;; [unrolled: 17-line block ×3, first 2 shown]
	s_delay_alu instid0(VALU_DEP_1) | instskip(NEXT) | instid1(VALU_DEP_1)
	v_fmac_f32_e32 v155, v145, v121
	v_fmac_f32_e32 v155, v146, v122
	s_waitcnt vmcnt(2)
	s_delay_alu instid0(VALU_DEP_1) | instskip(SKIP_3) | instid1(VALU_DEP_1)
	v_fmac_f32_e32 v155, v147, v123
	ds_load_2addr_b64 v[120:123], v118 offset0:57 offset1:58
	s_waitcnt lgkmcnt(1)
	v_fmac_f32_e32 v155, v148, v124
	v_fmac_f32_e32 v155, v149, v125
	s_delay_alu instid0(VALU_DEP_1) | instskip(SKIP_1) | instid1(VALU_DEP_1)
	v_fmac_f32_e32 v155, v150, v126
	s_waitcnt vmcnt(1)
	v_fmac_f32_e32 v155, v151, v127
	s_waitcnt lgkmcnt(0)
	s_delay_alu instid0(VALU_DEP_1) | instskip(NEXT) | instid1(VALU_DEP_1)
	v_fmac_f32_e32 v155, v152, v120
	v_fmac_f32_e32 v155, v153, v121
	s_delay_alu instid0(VALU_DEP_1) | instskip(SKIP_1) | instid1(VALU_DEP_1)
	v_fmac_f32_e32 v155, v154, v122
	s_waitcnt vmcnt(0)
	v_fmac_f32_e32 v155, v163, v123
	s_delay_alu instid0(VALU_DEP_1)
	v_sub_f32_e32 v118, v119, v155
	scratch_store_b32 off, v118, off offset:84
	v_cmpx_lt_u32_e32 20, v0
	s_cbranch_execz .LBB57_315
; %bb.314:
	scratch_load_b32 v118, off, off offset:80
	v_mov_b32_e32 v119, 0
	scratch_store_b32 off, v119, off offset:80
	s_waitcnt vmcnt(0)
	ds_store_b32 v117, v118
.LBB57_315:
	s_or_b32 exec_lo, exec_lo, s0
	s_waitcnt lgkmcnt(0)
	s_waitcnt_vscnt null, 0x0
	s_barrier
	buffer_gl0_inv
	s_clause 0x9
	scratch_load_b128 v[119:122], off, off offset:80
	scratch_load_b128 v[123:126], off, off offset:96
	;; [unrolled: 1-line block ×9, first 2 shown]
	scratch_load_b64 v[155:156], off, off offset:224
	v_mov_b32_e32 v118, 0
	ds_load_2addr_b32 v[157:158], v118 offset0:81 offset1:82
	ds_load_2addr_b32 v[159:160], v118 offset0:83 offset1:84
	;; [unrolled: 1-line block ×4, first 2 shown]
	s_mov_b32 s0, exec_lo
	s_waitcnt vmcnt(9) lgkmcnt(3)
	v_fma_f32 v157, v120, v157, 0
	s_delay_alu instid0(VALU_DEP_1) | instskip(SKIP_4) | instid1(VALU_DEP_1)
	v_fmac_f32_e32 v157, v121, v158
	ds_load_2addr_b32 v[120:121], v118 offset0:89 offset1:90
	s_waitcnt lgkmcnt(3)
	v_fmac_f32_e32 v157, v122, v159
	s_waitcnt vmcnt(8)
	v_fmac_f32_e32 v157, v123, v160
	ds_load_2addr_b32 v[122:123], v118 offset0:91 offset1:92
	s_waitcnt lgkmcnt(3)
	v_fmac_f32_e32 v157, v124, v161
	s_delay_alu instid0(VALU_DEP_1) | instskip(SKIP_1) | instid1(VALU_DEP_1)
	v_fmac_f32_e32 v157, v125, v162
	s_waitcnt lgkmcnt(2)
	v_fmac_f32_e32 v157, v126, v163
	s_waitcnt vmcnt(7)
	s_delay_alu instid0(VALU_DEP_1) | instskip(SKIP_4) | instid1(VALU_DEP_1)
	v_fmac_f32_e32 v157, v127, v164
	ds_load_2addr_b32 v[124:125], v118 offset0:93 offset1:94
	ds_load_2addr_b32 v[126:127], v118 offset0:95 offset1:96
	s_waitcnt lgkmcnt(3)
	v_fmac_f32_e32 v157, v128, v120
	v_fmac_f32_e32 v157, v129, v121
	ds_load_2addr_b32 v[120:121], v118 offset0:97 offset1:98
	s_waitcnt lgkmcnt(3)
	v_fmac_f32_e32 v157, v130, v122
	s_waitcnt vmcnt(6)
	s_delay_alu instid0(VALU_DEP_1) | instskip(SKIP_3) | instid1(VALU_DEP_1)
	v_fmac_f32_e32 v157, v131, v123
	ds_load_2addr_b32 v[122:123], v118 offset0:99 offset1:100
	s_waitcnt lgkmcnt(3)
	v_fmac_f32_e32 v157, v132, v124
	v_fmac_f32_e32 v157, v133, v125
	s_waitcnt lgkmcnt(2)
	s_delay_alu instid0(VALU_DEP_1) | instskip(SKIP_1) | instid1(VALU_DEP_1)
	v_fmac_f32_e32 v157, v134, v126
	s_waitcnt vmcnt(5)
	v_fmac_f32_e32 v157, v135, v127
	ds_load_2addr_b32 v[124:125], v118 offset0:101 offset1:102
	ds_load_2addr_b32 v[126:127], v118 offset0:103 offset1:104
	s_waitcnt lgkmcnt(3)
	v_fmac_f32_e32 v157, v136, v120
	s_delay_alu instid0(VALU_DEP_1) | instskip(SKIP_4) | instid1(VALU_DEP_1)
	v_fmac_f32_e32 v157, v137, v121
	ds_load_2addr_b32 v[120:121], v118 offset0:105 offset1:106
	s_waitcnt lgkmcnt(3)
	v_fmac_f32_e32 v157, v138, v122
	s_waitcnt vmcnt(4)
	v_fmac_f32_e32 v157, v139, v123
	ds_load_2addr_b32 v[122:123], v118 offset0:107 offset1:108
	s_waitcnt lgkmcnt(3)
	v_fmac_f32_e32 v157, v140, v124
	s_delay_alu instid0(VALU_DEP_1) | instskip(SKIP_1) | instid1(VALU_DEP_1)
	v_fmac_f32_e32 v157, v141, v125
	s_waitcnt lgkmcnt(2)
	v_fmac_f32_e32 v157, v142, v126
	s_waitcnt vmcnt(3)
	s_delay_alu instid0(VALU_DEP_1) | instskip(SKIP_4) | instid1(VALU_DEP_1)
	v_fmac_f32_e32 v157, v143, v127
	ds_load_2addr_b32 v[124:125], v118 offset0:109 offset1:110
	ds_load_2addr_b32 v[126:127], v118 offset0:111 offset1:112
	s_waitcnt lgkmcnt(3)
	v_fmac_f32_e32 v157, v144, v120
	v_fmac_f32_e32 v157, v145, v121
	ds_load_2addr_b32 v[120:121], v118 offset0:113 offset1:114
	s_waitcnt lgkmcnt(3)
	v_fmac_f32_e32 v157, v146, v122
	s_waitcnt vmcnt(2)
	s_delay_alu instid0(VALU_DEP_1)
	v_fmac_f32_e32 v157, v147, v123
	ds_load_2addr_b32 v[122:123], v118 offset0:115 offset1:116
	s_waitcnt lgkmcnt(3)
	v_fmac_f32_e32 v157, v148, v124
	ds_load_b32 v124, v118 offset:468
	v_fmac_f32_e32 v157, v149, v125
	s_waitcnt lgkmcnt(3)
	s_delay_alu instid0(VALU_DEP_1) | instskip(SKIP_1) | instid1(VALU_DEP_1)
	v_fmac_f32_e32 v157, v150, v126
	s_waitcnt vmcnt(1)
	v_fmac_f32_e32 v157, v151, v127
	s_waitcnt lgkmcnt(2)
	s_delay_alu instid0(VALU_DEP_1) | instskip(NEXT) | instid1(VALU_DEP_1)
	v_fmac_f32_e32 v157, v152, v120
	v_fmac_f32_e32 v157, v153, v121
	s_waitcnt lgkmcnt(1)
	s_delay_alu instid0(VALU_DEP_1) | instskip(SKIP_1) | instid1(VALU_DEP_1)
	v_fmac_f32_e32 v157, v154, v122
	s_waitcnt vmcnt(0)
	v_fmac_f32_e32 v157, v155, v123
	s_waitcnt lgkmcnt(0)
	s_delay_alu instid0(VALU_DEP_1) | instskip(NEXT) | instid1(VALU_DEP_1)
	v_fmac_f32_e32 v157, v156, v124
	v_sub_f32_e32 v119, v119, v157
	scratch_store_b32 off, v119, off offset:80
	v_cmpx_lt_u32_e32 19, v0
	s_cbranch_execz .LBB57_317
; %bb.316:
	scratch_load_b32 v119, off, off offset:76
	scratch_store_b32 off, v118, off offset:76
	s_waitcnt vmcnt(0)
	ds_store_b32 v117, v119
.LBB57_317:
	s_or_b32 exec_lo, exec_lo, s0
	s_waitcnt lgkmcnt(0)
	s_waitcnt_vscnt null, 0x0
	s_barrier
	buffer_gl0_inv
	s_clause 0x9
	scratch_load_b128 v[119:122], off, off offset:76
	scratch_load_b128 v[123:126], off, off offset:92
	;; [unrolled: 1-line block ×9, first 2 shown]
	scratch_load_b96 v[163:165], off, off offset:220
	ds_load_b128 v[155:158], v118 offset:320
	ds_load_b128 v[159:162], v118 offset:336
	s_mov_b32 s0, exec_lo
	s_waitcnt vmcnt(9) lgkmcnt(1)
	v_fma_f32 v155, v120, v155, 0
	s_delay_alu instid0(VALU_DEP_1) | instskip(NEXT) | instid1(VALU_DEP_1)
	v_fmac_f32_e32 v155, v121, v156
	v_fmac_f32_e32 v155, v122, v157
	s_waitcnt vmcnt(8)
	s_delay_alu instid0(VALU_DEP_1) | instskip(SKIP_3) | instid1(VALU_DEP_1)
	v_fmac_f32_e32 v155, v123, v158
	ds_load_b128 v[120:123], v118 offset:352
	s_waitcnt lgkmcnt(1)
	v_fmac_f32_e32 v155, v124, v159
	v_fmac_f32_e32 v155, v125, v160
	s_delay_alu instid0(VALU_DEP_1) | instskip(SKIP_1) | instid1(VALU_DEP_1)
	v_fmac_f32_e32 v155, v126, v161
	s_waitcnt vmcnt(7)
	v_fmac_f32_e32 v155, v127, v162
	ds_load_b128 v[124:127], v118 offset:368
	s_waitcnt lgkmcnt(1)
	v_fmac_f32_e32 v155, v128, v120
	s_delay_alu instid0(VALU_DEP_1) | instskip(NEXT) | instid1(VALU_DEP_1)
	v_fmac_f32_e32 v155, v129, v121
	v_fmac_f32_e32 v155, v130, v122
	s_waitcnt vmcnt(6)
	s_delay_alu instid0(VALU_DEP_1) | instskip(SKIP_3) | instid1(VALU_DEP_1)
	v_fmac_f32_e32 v155, v131, v123
	ds_load_b128 v[120:123], v118 offset:384
	s_waitcnt lgkmcnt(1)
	v_fmac_f32_e32 v155, v132, v124
	v_fmac_f32_e32 v155, v133, v125
	s_delay_alu instid0(VALU_DEP_1) | instskip(SKIP_1) | instid1(VALU_DEP_1)
	v_fmac_f32_e32 v155, v134, v126
	s_waitcnt vmcnt(5)
	v_fmac_f32_e32 v155, v135, v127
	ds_load_b128 v[124:127], v118 offset:400
	s_waitcnt lgkmcnt(1)
	v_fmac_f32_e32 v155, v136, v120
	s_delay_alu instid0(VALU_DEP_1) | instskip(NEXT) | instid1(VALU_DEP_1)
	v_fmac_f32_e32 v155, v137, v121
	v_fmac_f32_e32 v155, v138, v122
	s_waitcnt vmcnt(4)
	s_delay_alu instid0(VALU_DEP_1) | instskip(SKIP_3) | instid1(VALU_DEP_1)
	v_fmac_f32_e32 v155, v139, v123
	ds_load_b128 v[120:123], v118 offset:416
	s_waitcnt lgkmcnt(1)
	v_fmac_f32_e32 v155, v140, v124
	v_fmac_f32_e32 v155, v141, v125
	s_delay_alu instid0(VALU_DEP_1) | instskip(SKIP_1) | instid1(VALU_DEP_1)
	v_fmac_f32_e32 v155, v142, v126
	s_waitcnt vmcnt(3)
	v_fmac_f32_e32 v155, v143, v127
	ds_load_b128 v[124:127], v118 offset:432
	s_waitcnt lgkmcnt(1)
	v_fmac_f32_e32 v155, v144, v120
	s_delay_alu instid0(VALU_DEP_1) | instskip(NEXT) | instid1(VALU_DEP_1)
	v_fmac_f32_e32 v155, v145, v121
	v_fmac_f32_e32 v155, v146, v122
	s_waitcnt vmcnt(2)
	s_delay_alu instid0(VALU_DEP_1) | instskip(SKIP_3) | instid1(VALU_DEP_1)
	v_fmac_f32_e32 v155, v147, v123
	ds_load_b128 v[120:123], v118 offset:448
	s_waitcnt lgkmcnt(1)
	v_fmac_f32_e32 v155, v148, v124
	v_fmac_f32_e32 v155, v149, v125
	ds_load_b64 v[124:125], v118 offset:464
	v_fmac_f32_e32 v155, v150, v126
	s_waitcnt vmcnt(1)
	s_delay_alu instid0(VALU_DEP_1) | instskip(SKIP_1) | instid1(VALU_DEP_1)
	v_fmac_f32_e32 v155, v151, v127
	s_waitcnt lgkmcnt(1)
	v_fmac_f32_e32 v155, v152, v120
	s_delay_alu instid0(VALU_DEP_1) | instskip(NEXT) | instid1(VALU_DEP_1)
	v_fmac_f32_e32 v155, v153, v121
	v_fmac_f32_e32 v155, v154, v122
	s_waitcnt vmcnt(0)
	s_delay_alu instid0(VALU_DEP_1) | instskip(SKIP_1) | instid1(VALU_DEP_1)
	v_fmac_f32_e32 v155, v163, v123
	s_waitcnt lgkmcnt(0)
	v_fmac_f32_e32 v155, v164, v124
	s_delay_alu instid0(VALU_DEP_1) | instskip(NEXT) | instid1(VALU_DEP_1)
	v_fmac_f32_e32 v155, v165, v125
	v_sub_f32_e32 v118, v119, v155
	scratch_store_b32 off, v118, off offset:76
	v_cmpx_lt_u32_e32 18, v0
	s_cbranch_execz .LBB57_319
; %bb.318:
	scratch_load_b32 v118, off, off offset:72
	v_mov_b32_e32 v119, 0
	scratch_store_b32 off, v119, off offset:72
	s_waitcnt vmcnt(0)
	ds_store_b32 v117, v118
.LBB57_319:
	s_or_b32 exec_lo, exec_lo, s0
	s_waitcnt lgkmcnt(0)
	s_waitcnt_vscnt null, 0x0
	s_barrier
	buffer_gl0_inv
	s_clause 0x9
	scratch_load_b128 v[119:122], off, off offset:72
	scratch_load_b128 v[123:126], off, off offset:88
	;; [unrolled: 1-line block ×10, first 2 shown]
	v_mov_b32_e32 v118, 0
	ds_load_2addr_b32 v[159:160], v118 offset0:79 offset1:80
	ds_load_2addr_b32 v[161:162], v118 offset0:81 offset1:82
	;; [unrolled: 1-line block ×4, first 2 shown]
	s_mov_b32 s0, exec_lo
	s_waitcnt vmcnt(9) lgkmcnt(3)
	v_fma_f32 v159, v120, v159, 0
	s_delay_alu instid0(VALU_DEP_1) | instskip(SKIP_4) | instid1(VALU_DEP_1)
	v_fmac_f32_e32 v159, v121, v160
	ds_load_2addr_b32 v[120:121], v118 offset0:87 offset1:88
	s_waitcnt lgkmcnt(3)
	v_fmac_f32_e32 v159, v122, v161
	s_waitcnt vmcnt(8)
	v_fmac_f32_e32 v159, v123, v162
	ds_load_2addr_b32 v[122:123], v118 offset0:89 offset1:90
	s_waitcnt lgkmcnt(3)
	v_fmac_f32_e32 v159, v124, v163
	s_delay_alu instid0(VALU_DEP_1) | instskip(SKIP_1) | instid1(VALU_DEP_1)
	v_fmac_f32_e32 v159, v125, v164
	s_waitcnt lgkmcnt(2)
	v_fmac_f32_e32 v159, v126, v165
	s_waitcnt vmcnt(7)
	s_delay_alu instid0(VALU_DEP_1) | instskip(SKIP_4) | instid1(VALU_DEP_1)
	v_fmac_f32_e32 v159, v127, v166
	ds_load_2addr_b32 v[124:125], v118 offset0:91 offset1:92
	ds_load_2addr_b32 v[126:127], v118 offset0:93 offset1:94
	s_waitcnt lgkmcnt(3)
	v_fmac_f32_e32 v159, v128, v120
	v_fmac_f32_e32 v159, v129, v121
	ds_load_2addr_b32 v[120:121], v118 offset0:95 offset1:96
	s_waitcnt lgkmcnt(3)
	v_fmac_f32_e32 v159, v130, v122
	s_waitcnt vmcnt(6)
	s_delay_alu instid0(VALU_DEP_1) | instskip(SKIP_3) | instid1(VALU_DEP_1)
	v_fmac_f32_e32 v159, v131, v123
	ds_load_2addr_b32 v[122:123], v118 offset0:97 offset1:98
	s_waitcnt lgkmcnt(3)
	v_fmac_f32_e32 v159, v132, v124
	v_fmac_f32_e32 v159, v133, v125
	s_waitcnt lgkmcnt(2)
	s_delay_alu instid0(VALU_DEP_1) | instskip(SKIP_1) | instid1(VALU_DEP_1)
	v_fmac_f32_e32 v159, v134, v126
	s_waitcnt vmcnt(5)
	v_fmac_f32_e32 v159, v135, v127
	ds_load_2addr_b32 v[124:125], v118 offset0:99 offset1:100
	ds_load_2addr_b32 v[126:127], v118 offset0:101 offset1:102
	s_waitcnt lgkmcnt(3)
	v_fmac_f32_e32 v159, v136, v120
	s_delay_alu instid0(VALU_DEP_1) | instskip(SKIP_4) | instid1(VALU_DEP_1)
	v_fmac_f32_e32 v159, v137, v121
	ds_load_2addr_b32 v[120:121], v118 offset0:103 offset1:104
	s_waitcnt lgkmcnt(3)
	v_fmac_f32_e32 v159, v138, v122
	s_waitcnt vmcnt(4)
	v_fmac_f32_e32 v159, v139, v123
	ds_load_2addr_b32 v[122:123], v118 offset0:105 offset1:106
	s_waitcnt lgkmcnt(3)
	v_fmac_f32_e32 v159, v140, v124
	s_delay_alu instid0(VALU_DEP_1) | instskip(SKIP_1) | instid1(VALU_DEP_1)
	v_fmac_f32_e32 v159, v141, v125
	s_waitcnt lgkmcnt(2)
	v_fmac_f32_e32 v159, v142, v126
	s_waitcnt vmcnt(3)
	s_delay_alu instid0(VALU_DEP_1) | instskip(SKIP_4) | instid1(VALU_DEP_1)
	v_fmac_f32_e32 v159, v143, v127
	ds_load_2addr_b32 v[124:125], v118 offset0:107 offset1:108
	ds_load_2addr_b32 v[126:127], v118 offset0:109 offset1:110
	s_waitcnt lgkmcnt(3)
	v_fmac_f32_e32 v159, v144, v120
	v_fmac_f32_e32 v159, v145, v121
	ds_load_2addr_b32 v[120:121], v118 offset0:111 offset1:112
	s_waitcnt lgkmcnt(3)
	v_fmac_f32_e32 v159, v146, v122
	s_waitcnt vmcnt(2)
	s_delay_alu instid0(VALU_DEP_1) | instskip(SKIP_3) | instid1(VALU_DEP_1)
	v_fmac_f32_e32 v159, v147, v123
	ds_load_2addr_b32 v[122:123], v118 offset0:113 offset1:114
	s_waitcnt lgkmcnt(3)
	v_fmac_f32_e32 v159, v148, v124
	v_fmac_f32_e32 v159, v149, v125
	s_waitcnt lgkmcnt(2)
	s_delay_alu instid0(VALU_DEP_1)
	v_fmac_f32_e32 v159, v150, v126
	ds_load_2addr_b32 v[124:125], v118 offset0:115 offset1:116
	ds_load_b32 v126, v118 offset:468
	s_waitcnt vmcnt(1)
	v_fmac_f32_e32 v159, v151, v127
	s_waitcnt lgkmcnt(3)
	s_delay_alu instid0(VALU_DEP_1) | instskip(NEXT) | instid1(VALU_DEP_1)
	v_fmac_f32_e32 v159, v152, v120
	v_fmac_f32_e32 v159, v153, v121
	s_waitcnt lgkmcnt(2)
	s_delay_alu instid0(VALU_DEP_1) | instskip(SKIP_1) | instid1(VALU_DEP_1)
	v_fmac_f32_e32 v159, v154, v122
	s_waitcnt vmcnt(0)
	v_fmac_f32_e32 v159, v155, v123
	s_waitcnt lgkmcnt(1)
	s_delay_alu instid0(VALU_DEP_1) | instskip(NEXT) | instid1(VALU_DEP_1)
	v_fmac_f32_e32 v159, v156, v124
	v_fmac_f32_e32 v159, v157, v125
	s_waitcnt lgkmcnt(0)
	s_delay_alu instid0(VALU_DEP_1) | instskip(NEXT) | instid1(VALU_DEP_1)
	v_fmac_f32_e32 v159, v158, v126
	v_sub_f32_e32 v119, v119, v159
	scratch_store_b32 off, v119, off offset:72
	v_cmpx_lt_u32_e32 17, v0
	s_cbranch_execz .LBB57_321
; %bb.320:
	scratch_load_b32 v119, off, off offset:68
	scratch_store_b32 off, v118, off offset:68
	s_waitcnt vmcnt(0)
	ds_store_b32 v117, v119
.LBB57_321:
	s_or_b32 exec_lo, exec_lo, s0
	s_waitcnt lgkmcnt(0)
	s_waitcnt_vscnt null, 0x0
	s_barrier
	buffer_gl0_inv
	s_clause 0xa
	scratch_load_b128 v[119:122], off, off offset:68
	scratch_load_b128 v[123:126], off, off offset:84
	;; [unrolled: 1-line block ×10, first 2 shown]
	scratch_load_b32 v167, off, off offset:228
	ds_load_2addr_b64 v[159:162], v118 offset0:39 offset1:40
	ds_load_2addr_b64 v[163:166], v118 offset0:41 offset1:42
	s_mov_b32 s0, exec_lo
	s_waitcnt vmcnt(10) lgkmcnt(1)
	v_fma_f32 v159, v120, v159, 0
	s_delay_alu instid0(VALU_DEP_1) | instskip(NEXT) | instid1(VALU_DEP_1)
	v_fmac_f32_e32 v159, v121, v160
	v_fmac_f32_e32 v159, v122, v161
	s_waitcnt vmcnt(9)
	s_delay_alu instid0(VALU_DEP_1) | instskip(SKIP_3) | instid1(VALU_DEP_1)
	v_fmac_f32_e32 v159, v123, v162
	ds_load_2addr_b64 v[120:123], v118 offset0:43 offset1:44
	s_waitcnt lgkmcnt(1)
	v_fmac_f32_e32 v159, v124, v163
	v_fmac_f32_e32 v159, v125, v164
	s_delay_alu instid0(VALU_DEP_1) | instskip(SKIP_1) | instid1(VALU_DEP_1)
	v_fmac_f32_e32 v159, v126, v165
	s_waitcnt vmcnt(8)
	v_fmac_f32_e32 v159, v127, v166
	ds_load_2addr_b64 v[124:127], v118 offset0:45 offset1:46
	s_waitcnt lgkmcnt(1)
	v_fmac_f32_e32 v159, v128, v120
	s_delay_alu instid0(VALU_DEP_1) | instskip(NEXT) | instid1(VALU_DEP_1)
	v_fmac_f32_e32 v159, v129, v121
	v_fmac_f32_e32 v159, v130, v122
	s_waitcnt vmcnt(7)
	s_delay_alu instid0(VALU_DEP_1) | instskip(SKIP_3) | instid1(VALU_DEP_1)
	v_fmac_f32_e32 v159, v131, v123
	ds_load_2addr_b64 v[120:123], v118 offset0:47 offset1:48
	s_waitcnt lgkmcnt(1)
	v_fmac_f32_e32 v159, v132, v124
	v_fmac_f32_e32 v159, v133, v125
	s_delay_alu instid0(VALU_DEP_1) | instskip(SKIP_1) | instid1(VALU_DEP_1)
	v_fmac_f32_e32 v159, v134, v126
	s_waitcnt vmcnt(6)
	v_fmac_f32_e32 v159, v135, v127
	ds_load_2addr_b64 v[124:127], v118 offset0:49 offset1:50
	s_waitcnt lgkmcnt(1)
	v_fmac_f32_e32 v159, v136, v120
	;; [unrolled: 17-line block ×4, first 2 shown]
	s_delay_alu instid0(VALU_DEP_1) | instskip(NEXT) | instid1(VALU_DEP_1)
	v_fmac_f32_e32 v159, v153, v121
	v_fmac_f32_e32 v159, v154, v122
	s_waitcnt vmcnt(1)
	s_delay_alu instid0(VALU_DEP_1) | instskip(SKIP_1) | instid1(VALU_DEP_1)
	v_fmac_f32_e32 v159, v155, v123
	s_waitcnt lgkmcnt(0)
	v_fmac_f32_e32 v159, v156, v124
	s_delay_alu instid0(VALU_DEP_1) | instskip(NEXT) | instid1(VALU_DEP_1)
	v_fmac_f32_e32 v159, v157, v125
	v_fmac_f32_e32 v159, v158, v126
	s_waitcnt vmcnt(0)
	s_delay_alu instid0(VALU_DEP_1) | instskip(NEXT) | instid1(VALU_DEP_1)
	v_fmac_f32_e32 v159, v167, v127
	v_sub_f32_e32 v118, v119, v159
	scratch_store_b32 off, v118, off offset:68
	v_cmpx_lt_u32_e32 16, v0
	s_cbranch_execz .LBB57_323
; %bb.322:
	scratch_load_b32 v118, off, off offset:64
	v_mov_b32_e32 v119, 0
	scratch_store_b32 off, v119, off offset:64
	s_waitcnt vmcnt(0)
	ds_store_b32 v117, v118
.LBB57_323:
	s_or_b32 exec_lo, exec_lo, s0
	s_waitcnt lgkmcnt(0)
	s_waitcnt_vscnt null, 0x0
	s_barrier
	buffer_gl0_inv
	s_clause 0xa
	scratch_load_b128 v[119:122], off, off offset:64
	scratch_load_b128 v[123:126], off, off offset:80
	;; [unrolled: 1-line block ×10, first 2 shown]
	scratch_load_b64 v[159:160], off, off offset:224
	v_mov_b32_e32 v118, 0
	ds_load_2addr_b32 v[161:162], v118 offset0:77 offset1:78
	ds_load_2addr_b32 v[163:164], v118 offset0:79 offset1:80
	ds_load_2addr_b32 v[165:166], v118 offset0:81 offset1:82
	ds_load_2addr_b32 v[167:168], v118 offset0:83 offset1:84
	s_mov_b32 s0, exec_lo
	s_waitcnt vmcnt(10) lgkmcnt(3)
	v_fma_f32 v161, v120, v161, 0
	s_delay_alu instid0(VALU_DEP_1) | instskip(SKIP_4) | instid1(VALU_DEP_1)
	v_fmac_f32_e32 v161, v121, v162
	ds_load_2addr_b32 v[120:121], v118 offset0:85 offset1:86
	s_waitcnt lgkmcnt(3)
	v_fmac_f32_e32 v161, v122, v163
	s_waitcnt vmcnt(9)
	v_fmac_f32_e32 v161, v123, v164
	ds_load_2addr_b32 v[122:123], v118 offset0:87 offset1:88
	s_waitcnt lgkmcnt(3)
	v_fmac_f32_e32 v161, v124, v165
	s_delay_alu instid0(VALU_DEP_1) | instskip(SKIP_1) | instid1(VALU_DEP_1)
	v_fmac_f32_e32 v161, v125, v166
	s_waitcnt lgkmcnt(2)
	v_fmac_f32_e32 v161, v126, v167
	s_waitcnt vmcnt(8)
	s_delay_alu instid0(VALU_DEP_1) | instskip(SKIP_4) | instid1(VALU_DEP_1)
	v_fmac_f32_e32 v161, v127, v168
	ds_load_2addr_b32 v[124:125], v118 offset0:89 offset1:90
	ds_load_2addr_b32 v[126:127], v118 offset0:91 offset1:92
	s_waitcnt lgkmcnt(3)
	v_fmac_f32_e32 v161, v128, v120
	v_fmac_f32_e32 v161, v129, v121
	ds_load_2addr_b32 v[120:121], v118 offset0:93 offset1:94
	s_waitcnt lgkmcnt(3)
	v_fmac_f32_e32 v161, v130, v122
	s_waitcnt vmcnt(7)
	s_delay_alu instid0(VALU_DEP_1) | instskip(SKIP_3) | instid1(VALU_DEP_1)
	v_fmac_f32_e32 v161, v131, v123
	ds_load_2addr_b32 v[122:123], v118 offset0:95 offset1:96
	s_waitcnt lgkmcnt(3)
	v_fmac_f32_e32 v161, v132, v124
	v_fmac_f32_e32 v161, v133, v125
	s_waitcnt lgkmcnt(2)
	s_delay_alu instid0(VALU_DEP_1) | instskip(SKIP_1) | instid1(VALU_DEP_1)
	v_fmac_f32_e32 v161, v134, v126
	s_waitcnt vmcnt(6)
	v_fmac_f32_e32 v161, v135, v127
	ds_load_2addr_b32 v[124:125], v118 offset0:97 offset1:98
	ds_load_2addr_b32 v[126:127], v118 offset0:99 offset1:100
	s_waitcnt lgkmcnt(3)
	v_fmac_f32_e32 v161, v136, v120
	s_delay_alu instid0(VALU_DEP_1) | instskip(SKIP_4) | instid1(VALU_DEP_1)
	v_fmac_f32_e32 v161, v137, v121
	ds_load_2addr_b32 v[120:121], v118 offset0:101 offset1:102
	s_waitcnt lgkmcnt(3)
	v_fmac_f32_e32 v161, v138, v122
	s_waitcnt vmcnt(5)
	v_fmac_f32_e32 v161, v139, v123
	ds_load_2addr_b32 v[122:123], v118 offset0:103 offset1:104
	s_waitcnt lgkmcnt(3)
	v_fmac_f32_e32 v161, v140, v124
	s_delay_alu instid0(VALU_DEP_1) | instskip(SKIP_1) | instid1(VALU_DEP_1)
	v_fmac_f32_e32 v161, v141, v125
	s_waitcnt lgkmcnt(2)
	v_fmac_f32_e32 v161, v142, v126
	s_waitcnt vmcnt(4)
	s_delay_alu instid0(VALU_DEP_1) | instskip(SKIP_4) | instid1(VALU_DEP_1)
	v_fmac_f32_e32 v161, v143, v127
	ds_load_2addr_b32 v[124:125], v118 offset0:105 offset1:106
	ds_load_2addr_b32 v[126:127], v118 offset0:107 offset1:108
	s_waitcnt lgkmcnt(3)
	v_fmac_f32_e32 v161, v144, v120
	v_fmac_f32_e32 v161, v145, v121
	ds_load_2addr_b32 v[120:121], v118 offset0:109 offset1:110
	s_waitcnt lgkmcnt(3)
	v_fmac_f32_e32 v161, v146, v122
	s_waitcnt vmcnt(3)
	s_delay_alu instid0(VALU_DEP_1) | instskip(SKIP_3) | instid1(VALU_DEP_1)
	v_fmac_f32_e32 v161, v147, v123
	ds_load_2addr_b32 v[122:123], v118 offset0:111 offset1:112
	s_waitcnt lgkmcnt(3)
	v_fmac_f32_e32 v161, v148, v124
	v_fmac_f32_e32 v161, v149, v125
	s_waitcnt lgkmcnt(2)
	s_delay_alu instid0(VALU_DEP_1) | instskip(SKIP_1) | instid1(VALU_DEP_1)
	v_fmac_f32_e32 v161, v150, v126
	s_waitcnt vmcnt(2)
	v_fmac_f32_e32 v161, v151, v127
	ds_load_2addr_b32 v[124:125], v118 offset0:113 offset1:114
	ds_load_2addr_b32 v[126:127], v118 offset0:115 offset1:116
	s_waitcnt lgkmcnt(3)
	v_fmac_f32_e32 v161, v152, v120
	ds_load_b32 v120, v118 offset:468
	v_fmac_f32_e32 v161, v153, v121
	s_waitcnt lgkmcnt(3)
	s_delay_alu instid0(VALU_DEP_1) | instskip(SKIP_1) | instid1(VALU_DEP_1)
	v_fmac_f32_e32 v161, v154, v122
	s_waitcnt vmcnt(1)
	v_fmac_f32_e32 v161, v155, v123
	s_waitcnt lgkmcnt(2)
	s_delay_alu instid0(VALU_DEP_1) | instskip(NEXT) | instid1(VALU_DEP_1)
	v_fmac_f32_e32 v161, v156, v124
	v_fmac_f32_e32 v161, v157, v125
	s_waitcnt lgkmcnt(1)
	s_delay_alu instid0(VALU_DEP_1) | instskip(SKIP_1) | instid1(VALU_DEP_1)
	v_fmac_f32_e32 v161, v158, v126
	s_waitcnt vmcnt(0)
	v_fmac_f32_e32 v161, v159, v127
	s_waitcnt lgkmcnt(0)
	s_delay_alu instid0(VALU_DEP_1) | instskip(NEXT) | instid1(VALU_DEP_1)
	v_fmac_f32_e32 v161, v160, v120
	v_sub_f32_e32 v119, v119, v161
	scratch_store_b32 off, v119, off offset:64
	v_cmpx_lt_u32_e32 15, v0
	s_cbranch_execz .LBB57_325
; %bb.324:
	scratch_load_b32 v119, off, off offset:60
	scratch_store_b32 off, v118, off offset:60
	s_waitcnt vmcnt(0)
	ds_store_b32 v117, v119
.LBB57_325:
	s_or_b32 exec_lo, exec_lo, s0
	s_waitcnt lgkmcnt(0)
	s_waitcnt_vscnt null, 0x0
	s_barrier
	buffer_gl0_inv
	s_clause 0xa
	scratch_load_b128 v[119:122], off, off offset:60
	scratch_load_b128 v[123:126], off, off offset:76
	;; [unrolled: 1-line block ×10, first 2 shown]
	scratch_load_b96 v[167:169], off, off offset:220
	ds_load_b128 v[159:162], v118 offset:304
	ds_load_b128 v[163:166], v118 offset:320
	s_mov_b32 s0, exec_lo
	s_waitcnt vmcnt(10) lgkmcnt(1)
	v_fma_f32 v159, v120, v159, 0
	s_delay_alu instid0(VALU_DEP_1) | instskip(NEXT) | instid1(VALU_DEP_1)
	v_fmac_f32_e32 v159, v121, v160
	v_fmac_f32_e32 v159, v122, v161
	s_waitcnt vmcnt(9)
	s_delay_alu instid0(VALU_DEP_1) | instskip(SKIP_3) | instid1(VALU_DEP_1)
	v_fmac_f32_e32 v159, v123, v162
	ds_load_b128 v[120:123], v118 offset:336
	s_waitcnt lgkmcnt(1)
	v_fmac_f32_e32 v159, v124, v163
	v_fmac_f32_e32 v159, v125, v164
	s_delay_alu instid0(VALU_DEP_1) | instskip(SKIP_1) | instid1(VALU_DEP_1)
	v_fmac_f32_e32 v159, v126, v165
	s_waitcnt vmcnt(8)
	v_fmac_f32_e32 v159, v127, v166
	ds_load_b128 v[124:127], v118 offset:352
	s_waitcnt lgkmcnt(1)
	v_fmac_f32_e32 v159, v128, v120
	s_delay_alu instid0(VALU_DEP_1) | instskip(NEXT) | instid1(VALU_DEP_1)
	v_fmac_f32_e32 v159, v129, v121
	v_fmac_f32_e32 v159, v130, v122
	s_waitcnt vmcnt(7)
	s_delay_alu instid0(VALU_DEP_1) | instskip(SKIP_3) | instid1(VALU_DEP_1)
	v_fmac_f32_e32 v159, v131, v123
	ds_load_b128 v[120:123], v118 offset:368
	s_waitcnt lgkmcnt(1)
	v_fmac_f32_e32 v159, v132, v124
	v_fmac_f32_e32 v159, v133, v125
	s_delay_alu instid0(VALU_DEP_1) | instskip(SKIP_1) | instid1(VALU_DEP_1)
	v_fmac_f32_e32 v159, v134, v126
	s_waitcnt vmcnt(6)
	v_fmac_f32_e32 v159, v135, v127
	ds_load_b128 v[124:127], v118 offset:384
	s_waitcnt lgkmcnt(1)
	v_fmac_f32_e32 v159, v136, v120
	;; [unrolled: 17-line block ×4, first 2 shown]
	s_delay_alu instid0(VALU_DEP_1) | instskip(SKIP_3) | instid1(VALU_DEP_1)
	v_fmac_f32_e32 v159, v153, v121
	ds_load_b64 v[120:121], v118 offset:464
	v_fmac_f32_e32 v159, v154, v122
	s_waitcnt vmcnt(1)
	v_fmac_f32_e32 v159, v155, v123
	s_waitcnt lgkmcnt(1)
	s_delay_alu instid0(VALU_DEP_1) | instskip(NEXT) | instid1(VALU_DEP_1)
	v_fmac_f32_e32 v159, v156, v124
	v_fmac_f32_e32 v159, v157, v125
	s_delay_alu instid0(VALU_DEP_1) | instskip(SKIP_1) | instid1(VALU_DEP_1)
	v_fmac_f32_e32 v159, v158, v126
	s_waitcnt vmcnt(0)
	v_fmac_f32_e32 v159, v167, v127
	s_waitcnt lgkmcnt(0)
	s_delay_alu instid0(VALU_DEP_1) | instskip(NEXT) | instid1(VALU_DEP_1)
	v_fmac_f32_e32 v159, v168, v120
	v_fmac_f32_e32 v159, v169, v121
	s_delay_alu instid0(VALU_DEP_1)
	v_sub_f32_e32 v118, v119, v159
	scratch_store_b32 off, v118, off offset:60
	v_cmpx_lt_u32_e32 14, v0
	s_cbranch_execz .LBB57_327
; %bb.326:
	scratch_load_b32 v118, off, off offset:56
	v_mov_b32_e32 v119, 0
	scratch_store_b32 off, v119, off offset:56
	s_waitcnt vmcnt(0)
	ds_store_b32 v117, v118
.LBB57_327:
	s_or_b32 exec_lo, exec_lo, s0
	s_waitcnt lgkmcnt(0)
	s_waitcnt_vscnt null, 0x0
	s_barrier
	buffer_gl0_inv
	s_clause 0xa
	scratch_load_b128 v[119:122], off, off offset:56
	scratch_load_b128 v[123:126], off, off offset:72
	;; [unrolled: 1-line block ×11, first 2 shown]
	v_mov_b32_e32 v118, 0
	ds_load_2addr_b32 v[163:164], v118 offset0:75 offset1:76
	ds_load_2addr_b32 v[165:166], v118 offset0:77 offset1:78
	;; [unrolled: 1-line block ×4, first 2 shown]
	s_mov_b32 s0, exec_lo
	s_waitcnt vmcnt(10) lgkmcnt(3)
	v_fma_f32 v163, v120, v163, 0
	s_delay_alu instid0(VALU_DEP_1) | instskip(SKIP_4) | instid1(VALU_DEP_1)
	v_fmac_f32_e32 v163, v121, v164
	ds_load_2addr_b32 v[120:121], v118 offset0:83 offset1:84
	s_waitcnt lgkmcnt(3)
	v_fmac_f32_e32 v163, v122, v165
	s_waitcnt vmcnt(9)
	v_fmac_f32_e32 v163, v123, v166
	ds_load_2addr_b32 v[122:123], v118 offset0:85 offset1:86
	s_waitcnt lgkmcnt(3)
	v_fmac_f32_e32 v163, v124, v167
	s_delay_alu instid0(VALU_DEP_1) | instskip(SKIP_1) | instid1(VALU_DEP_1)
	v_fmac_f32_e32 v163, v125, v168
	s_waitcnt lgkmcnt(2)
	v_fmac_f32_e32 v163, v126, v169
	s_waitcnt vmcnt(8)
	s_delay_alu instid0(VALU_DEP_1) | instskip(SKIP_4) | instid1(VALU_DEP_1)
	v_fmac_f32_e32 v163, v127, v170
	ds_load_2addr_b32 v[124:125], v118 offset0:87 offset1:88
	ds_load_2addr_b32 v[126:127], v118 offset0:89 offset1:90
	s_waitcnt lgkmcnt(3)
	v_fmac_f32_e32 v163, v128, v120
	v_fmac_f32_e32 v163, v129, v121
	ds_load_2addr_b32 v[120:121], v118 offset0:91 offset1:92
	s_waitcnt lgkmcnt(3)
	v_fmac_f32_e32 v163, v130, v122
	s_waitcnt vmcnt(7)
	s_delay_alu instid0(VALU_DEP_1) | instskip(SKIP_3) | instid1(VALU_DEP_1)
	v_fmac_f32_e32 v163, v131, v123
	ds_load_2addr_b32 v[122:123], v118 offset0:93 offset1:94
	s_waitcnt lgkmcnt(3)
	v_fmac_f32_e32 v163, v132, v124
	v_fmac_f32_e32 v163, v133, v125
	s_waitcnt lgkmcnt(2)
	s_delay_alu instid0(VALU_DEP_1) | instskip(SKIP_1) | instid1(VALU_DEP_1)
	v_fmac_f32_e32 v163, v134, v126
	s_waitcnt vmcnt(6)
	v_fmac_f32_e32 v163, v135, v127
	ds_load_2addr_b32 v[124:125], v118 offset0:95 offset1:96
	ds_load_2addr_b32 v[126:127], v118 offset0:97 offset1:98
	s_waitcnt lgkmcnt(3)
	v_fmac_f32_e32 v163, v136, v120
	s_delay_alu instid0(VALU_DEP_1) | instskip(SKIP_4) | instid1(VALU_DEP_1)
	v_fmac_f32_e32 v163, v137, v121
	ds_load_2addr_b32 v[120:121], v118 offset0:99 offset1:100
	s_waitcnt lgkmcnt(3)
	v_fmac_f32_e32 v163, v138, v122
	s_waitcnt vmcnt(5)
	v_fmac_f32_e32 v163, v139, v123
	ds_load_2addr_b32 v[122:123], v118 offset0:101 offset1:102
	s_waitcnt lgkmcnt(3)
	v_fmac_f32_e32 v163, v140, v124
	s_delay_alu instid0(VALU_DEP_1) | instskip(SKIP_1) | instid1(VALU_DEP_1)
	v_fmac_f32_e32 v163, v141, v125
	s_waitcnt lgkmcnt(2)
	v_fmac_f32_e32 v163, v142, v126
	s_waitcnt vmcnt(4)
	s_delay_alu instid0(VALU_DEP_1) | instskip(SKIP_4) | instid1(VALU_DEP_1)
	v_fmac_f32_e32 v163, v143, v127
	ds_load_2addr_b32 v[124:125], v118 offset0:103 offset1:104
	ds_load_2addr_b32 v[126:127], v118 offset0:105 offset1:106
	s_waitcnt lgkmcnt(3)
	v_fmac_f32_e32 v163, v144, v120
	v_fmac_f32_e32 v163, v145, v121
	ds_load_2addr_b32 v[120:121], v118 offset0:107 offset1:108
	s_waitcnt lgkmcnt(3)
	v_fmac_f32_e32 v163, v146, v122
	s_waitcnt vmcnt(3)
	s_delay_alu instid0(VALU_DEP_1) | instskip(SKIP_3) | instid1(VALU_DEP_1)
	v_fmac_f32_e32 v163, v147, v123
	ds_load_2addr_b32 v[122:123], v118 offset0:109 offset1:110
	s_waitcnt lgkmcnt(3)
	v_fmac_f32_e32 v163, v148, v124
	v_fmac_f32_e32 v163, v149, v125
	s_waitcnt lgkmcnt(2)
	s_delay_alu instid0(VALU_DEP_1) | instskip(SKIP_1) | instid1(VALU_DEP_1)
	v_fmac_f32_e32 v163, v150, v126
	s_waitcnt vmcnt(2)
	v_fmac_f32_e32 v163, v151, v127
	ds_load_2addr_b32 v[124:125], v118 offset0:111 offset1:112
	ds_load_2addr_b32 v[126:127], v118 offset0:113 offset1:114
	s_waitcnt lgkmcnt(3)
	v_fmac_f32_e32 v163, v152, v120
	s_delay_alu instid0(VALU_DEP_1)
	v_fmac_f32_e32 v163, v153, v121
	ds_load_2addr_b32 v[120:121], v118 offset0:115 offset1:116
	s_waitcnt lgkmcnt(3)
	v_fmac_f32_e32 v163, v154, v122
	ds_load_b32 v122, v118 offset:468
	s_waitcnt vmcnt(1)
	v_fmac_f32_e32 v163, v155, v123
	s_waitcnt lgkmcnt(3)
	s_delay_alu instid0(VALU_DEP_1) | instskip(NEXT) | instid1(VALU_DEP_1)
	v_fmac_f32_e32 v163, v156, v124
	v_fmac_f32_e32 v163, v157, v125
	s_waitcnt lgkmcnt(2)
	s_delay_alu instid0(VALU_DEP_1) | instskip(SKIP_1) | instid1(VALU_DEP_1)
	v_fmac_f32_e32 v163, v158, v126
	s_waitcnt vmcnt(0)
	v_fmac_f32_e32 v163, v159, v127
	s_waitcnt lgkmcnt(1)
	s_delay_alu instid0(VALU_DEP_1) | instskip(NEXT) | instid1(VALU_DEP_1)
	v_fmac_f32_e32 v163, v160, v120
	v_fmac_f32_e32 v163, v161, v121
	s_waitcnt lgkmcnt(0)
	s_delay_alu instid0(VALU_DEP_1) | instskip(NEXT) | instid1(VALU_DEP_1)
	v_fmac_f32_e32 v163, v162, v122
	v_sub_f32_e32 v119, v119, v163
	scratch_store_b32 off, v119, off offset:56
	v_cmpx_lt_u32_e32 13, v0
	s_cbranch_execz .LBB57_329
; %bb.328:
	scratch_load_b32 v119, off, off offset:52
	scratch_store_b32 off, v118, off offset:52
	s_waitcnt vmcnt(0)
	ds_store_b32 v117, v119
.LBB57_329:
	s_or_b32 exec_lo, exec_lo, s0
	s_waitcnt lgkmcnt(0)
	s_waitcnt_vscnt null, 0x0
	s_barrier
	buffer_gl0_inv
	s_clause 0xb
	scratch_load_b128 v[119:122], off, off offset:52
	scratch_load_b128 v[123:126], off, off offset:68
	;; [unrolled: 1-line block ×11, first 2 shown]
	scratch_load_b32 v171, off, off offset:228
	ds_load_2addr_b64 v[163:166], v118 offset0:37 offset1:38
	ds_load_2addr_b64 v[167:170], v118 offset0:39 offset1:40
	s_mov_b32 s0, exec_lo
	s_waitcnt vmcnt(11) lgkmcnt(1)
	v_fma_f32 v163, v120, v163, 0
	s_delay_alu instid0(VALU_DEP_1) | instskip(NEXT) | instid1(VALU_DEP_1)
	v_fmac_f32_e32 v163, v121, v164
	v_fmac_f32_e32 v163, v122, v165
	s_waitcnt vmcnt(10)
	s_delay_alu instid0(VALU_DEP_1) | instskip(SKIP_3) | instid1(VALU_DEP_1)
	v_fmac_f32_e32 v163, v123, v166
	ds_load_2addr_b64 v[120:123], v118 offset0:41 offset1:42
	s_waitcnt lgkmcnt(1)
	v_fmac_f32_e32 v163, v124, v167
	v_fmac_f32_e32 v163, v125, v168
	s_delay_alu instid0(VALU_DEP_1) | instskip(SKIP_1) | instid1(VALU_DEP_1)
	v_fmac_f32_e32 v163, v126, v169
	s_waitcnt vmcnt(9)
	v_fmac_f32_e32 v163, v127, v170
	ds_load_2addr_b64 v[124:127], v118 offset0:43 offset1:44
	s_waitcnt lgkmcnt(1)
	v_fmac_f32_e32 v163, v128, v120
	s_delay_alu instid0(VALU_DEP_1) | instskip(NEXT) | instid1(VALU_DEP_1)
	v_fmac_f32_e32 v163, v129, v121
	v_fmac_f32_e32 v163, v130, v122
	s_waitcnt vmcnt(8)
	s_delay_alu instid0(VALU_DEP_1) | instskip(SKIP_3) | instid1(VALU_DEP_1)
	v_fmac_f32_e32 v163, v131, v123
	ds_load_2addr_b64 v[120:123], v118 offset0:45 offset1:46
	s_waitcnt lgkmcnt(1)
	v_fmac_f32_e32 v163, v132, v124
	v_fmac_f32_e32 v163, v133, v125
	s_delay_alu instid0(VALU_DEP_1) | instskip(SKIP_1) | instid1(VALU_DEP_1)
	v_fmac_f32_e32 v163, v134, v126
	s_waitcnt vmcnt(7)
	v_fmac_f32_e32 v163, v135, v127
	ds_load_2addr_b64 v[124:127], v118 offset0:47 offset1:48
	s_waitcnt lgkmcnt(1)
	v_fmac_f32_e32 v163, v136, v120
	;; [unrolled: 17-line block ×4, first 2 shown]
	s_delay_alu instid0(VALU_DEP_1) | instskip(NEXT) | instid1(VALU_DEP_1)
	v_fmac_f32_e32 v163, v153, v121
	v_fmac_f32_e32 v163, v154, v122
	s_waitcnt vmcnt(2)
	s_delay_alu instid0(VALU_DEP_1) | instskip(SKIP_3) | instid1(VALU_DEP_1)
	v_fmac_f32_e32 v163, v155, v123
	ds_load_2addr_b64 v[120:123], v118 offset0:57 offset1:58
	s_waitcnt lgkmcnt(1)
	v_fmac_f32_e32 v163, v156, v124
	v_fmac_f32_e32 v163, v157, v125
	s_delay_alu instid0(VALU_DEP_1) | instskip(SKIP_1) | instid1(VALU_DEP_1)
	v_fmac_f32_e32 v163, v158, v126
	s_waitcnt vmcnt(1)
	v_fmac_f32_e32 v163, v159, v127
	s_waitcnt lgkmcnt(0)
	s_delay_alu instid0(VALU_DEP_1) | instskip(NEXT) | instid1(VALU_DEP_1)
	v_fmac_f32_e32 v163, v160, v120
	v_fmac_f32_e32 v163, v161, v121
	s_delay_alu instid0(VALU_DEP_1) | instskip(SKIP_1) | instid1(VALU_DEP_1)
	v_fmac_f32_e32 v163, v162, v122
	s_waitcnt vmcnt(0)
	v_fmac_f32_e32 v163, v171, v123
	s_delay_alu instid0(VALU_DEP_1)
	v_sub_f32_e32 v118, v119, v163
	scratch_store_b32 off, v118, off offset:52
	v_cmpx_lt_u32_e32 12, v0
	s_cbranch_execz .LBB57_331
; %bb.330:
	scratch_load_b32 v118, off, off offset:48
	v_mov_b32_e32 v119, 0
	scratch_store_b32 off, v119, off offset:48
	s_waitcnt vmcnt(0)
	ds_store_b32 v117, v118
.LBB57_331:
	s_or_b32 exec_lo, exec_lo, s0
	s_waitcnt lgkmcnt(0)
	s_waitcnt_vscnt null, 0x0
	s_barrier
	buffer_gl0_inv
	s_clause 0xb
	scratch_load_b128 v[119:122], off, off offset:48
	scratch_load_b128 v[123:126], off, off offset:64
	;; [unrolled: 1-line block ×11, first 2 shown]
	scratch_load_b64 v[163:164], off, off offset:224
	v_mov_b32_e32 v118, 0
	ds_load_2addr_b32 v[165:166], v118 offset0:73 offset1:74
	ds_load_2addr_b32 v[167:168], v118 offset0:75 offset1:76
	;; [unrolled: 1-line block ×4, first 2 shown]
	s_mov_b32 s0, exec_lo
	s_waitcnt vmcnt(11) lgkmcnt(3)
	v_fma_f32 v165, v120, v165, 0
	s_delay_alu instid0(VALU_DEP_1) | instskip(SKIP_4) | instid1(VALU_DEP_1)
	v_fmac_f32_e32 v165, v121, v166
	ds_load_2addr_b32 v[120:121], v118 offset0:81 offset1:82
	s_waitcnt lgkmcnt(3)
	v_fmac_f32_e32 v165, v122, v167
	s_waitcnt vmcnt(10)
	v_fmac_f32_e32 v165, v123, v168
	ds_load_2addr_b32 v[122:123], v118 offset0:83 offset1:84
	s_waitcnt lgkmcnt(3)
	v_fmac_f32_e32 v165, v124, v169
	s_delay_alu instid0(VALU_DEP_1) | instskip(SKIP_1) | instid1(VALU_DEP_1)
	v_fmac_f32_e32 v165, v125, v170
	s_waitcnt lgkmcnt(2)
	v_fmac_f32_e32 v165, v126, v171
	s_waitcnt vmcnt(9)
	s_delay_alu instid0(VALU_DEP_1) | instskip(SKIP_4) | instid1(VALU_DEP_1)
	v_fmac_f32_e32 v165, v127, v172
	ds_load_2addr_b32 v[124:125], v118 offset0:85 offset1:86
	ds_load_2addr_b32 v[126:127], v118 offset0:87 offset1:88
	s_waitcnt lgkmcnt(3)
	v_fmac_f32_e32 v165, v128, v120
	v_fmac_f32_e32 v165, v129, v121
	ds_load_2addr_b32 v[120:121], v118 offset0:89 offset1:90
	s_waitcnt lgkmcnt(3)
	v_fmac_f32_e32 v165, v130, v122
	s_waitcnt vmcnt(8)
	s_delay_alu instid0(VALU_DEP_1) | instskip(SKIP_3) | instid1(VALU_DEP_1)
	v_fmac_f32_e32 v165, v131, v123
	ds_load_2addr_b32 v[122:123], v118 offset0:91 offset1:92
	s_waitcnt lgkmcnt(3)
	v_fmac_f32_e32 v165, v132, v124
	v_fmac_f32_e32 v165, v133, v125
	s_waitcnt lgkmcnt(2)
	s_delay_alu instid0(VALU_DEP_1) | instskip(SKIP_1) | instid1(VALU_DEP_1)
	v_fmac_f32_e32 v165, v134, v126
	s_waitcnt vmcnt(7)
	v_fmac_f32_e32 v165, v135, v127
	ds_load_2addr_b32 v[124:125], v118 offset0:93 offset1:94
	ds_load_2addr_b32 v[126:127], v118 offset0:95 offset1:96
	s_waitcnt lgkmcnt(3)
	v_fmac_f32_e32 v165, v136, v120
	s_delay_alu instid0(VALU_DEP_1) | instskip(SKIP_4) | instid1(VALU_DEP_1)
	v_fmac_f32_e32 v165, v137, v121
	ds_load_2addr_b32 v[120:121], v118 offset0:97 offset1:98
	s_waitcnt lgkmcnt(3)
	v_fmac_f32_e32 v165, v138, v122
	s_waitcnt vmcnt(6)
	v_fmac_f32_e32 v165, v139, v123
	ds_load_2addr_b32 v[122:123], v118 offset0:99 offset1:100
	s_waitcnt lgkmcnt(3)
	v_fmac_f32_e32 v165, v140, v124
	s_delay_alu instid0(VALU_DEP_1) | instskip(SKIP_1) | instid1(VALU_DEP_1)
	v_fmac_f32_e32 v165, v141, v125
	s_waitcnt lgkmcnt(2)
	v_fmac_f32_e32 v165, v142, v126
	s_waitcnt vmcnt(5)
	s_delay_alu instid0(VALU_DEP_1) | instskip(SKIP_4) | instid1(VALU_DEP_1)
	v_fmac_f32_e32 v165, v143, v127
	ds_load_2addr_b32 v[124:125], v118 offset0:101 offset1:102
	ds_load_2addr_b32 v[126:127], v118 offset0:103 offset1:104
	s_waitcnt lgkmcnt(3)
	v_fmac_f32_e32 v165, v144, v120
	v_fmac_f32_e32 v165, v145, v121
	ds_load_2addr_b32 v[120:121], v118 offset0:105 offset1:106
	s_waitcnt lgkmcnt(3)
	v_fmac_f32_e32 v165, v146, v122
	s_waitcnt vmcnt(4)
	s_delay_alu instid0(VALU_DEP_1) | instskip(SKIP_3) | instid1(VALU_DEP_1)
	v_fmac_f32_e32 v165, v147, v123
	ds_load_2addr_b32 v[122:123], v118 offset0:107 offset1:108
	s_waitcnt lgkmcnt(3)
	v_fmac_f32_e32 v165, v148, v124
	v_fmac_f32_e32 v165, v149, v125
	s_waitcnt lgkmcnt(2)
	s_delay_alu instid0(VALU_DEP_1) | instskip(SKIP_1) | instid1(VALU_DEP_1)
	v_fmac_f32_e32 v165, v150, v126
	s_waitcnt vmcnt(3)
	v_fmac_f32_e32 v165, v151, v127
	ds_load_2addr_b32 v[124:125], v118 offset0:109 offset1:110
	ds_load_2addr_b32 v[126:127], v118 offset0:111 offset1:112
	s_waitcnt lgkmcnt(3)
	v_fmac_f32_e32 v165, v152, v120
	s_delay_alu instid0(VALU_DEP_1) | instskip(SKIP_4) | instid1(VALU_DEP_1)
	v_fmac_f32_e32 v165, v153, v121
	ds_load_2addr_b32 v[120:121], v118 offset0:113 offset1:114
	s_waitcnt lgkmcnt(3)
	v_fmac_f32_e32 v165, v154, v122
	s_waitcnt vmcnt(2)
	v_fmac_f32_e32 v165, v155, v123
	ds_load_2addr_b32 v[122:123], v118 offset0:115 offset1:116
	s_waitcnt lgkmcnt(3)
	v_fmac_f32_e32 v165, v156, v124
	ds_load_b32 v124, v118 offset:468
	v_fmac_f32_e32 v165, v157, v125
	s_waitcnt lgkmcnt(3)
	s_delay_alu instid0(VALU_DEP_1) | instskip(SKIP_1) | instid1(VALU_DEP_1)
	v_fmac_f32_e32 v165, v158, v126
	s_waitcnt vmcnt(1)
	v_fmac_f32_e32 v165, v159, v127
	s_waitcnt lgkmcnt(2)
	s_delay_alu instid0(VALU_DEP_1) | instskip(NEXT) | instid1(VALU_DEP_1)
	v_fmac_f32_e32 v165, v160, v120
	v_fmac_f32_e32 v165, v161, v121
	s_waitcnt lgkmcnt(1)
	s_delay_alu instid0(VALU_DEP_1) | instskip(SKIP_1) | instid1(VALU_DEP_1)
	v_fmac_f32_e32 v165, v162, v122
	s_waitcnt vmcnt(0)
	v_fmac_f32_e32 v165, v163, v123
	s_waitcnt lgkmcnt(0)
	s_delay_alu instid0(VALU_DEP_1) | instskip(NEXT) | instid1(VALU_DEP_1)
	v_fmac_f32_e32 v165, v164, v124
	v_sub_f32_e32 v119, v119, v165
	scratch_store_b32 off, v119, off offset:48
	v_cmpx_lt_u32_e32 11, v0
	s_cbranch_execz .LBB57_333
; %bb.332:
	scratch_load_b32 v119, off, off offset:44
	scratch_store_b32 off, v118, off offset:44
	s_waitcnt vmcnt(0)
	ds_store_b32 v117, v119
.LBB57_333:
	s_or_b32 exec_lo, exec_lo, s0
	s_waitcnt lgkmcnt(0)
	s_waitcnt_vscnt null, 0x0
	s_barrier
	buffer_gl0_inv
	s_clause 0xb
	scratch_load_b128 v[119:122], off, off offset:44
	scratch_load_b128 v[123:126], off, off offset:60
	;; [unrolled: 1-line block ×11, first 2 shown]
	scratch_load_b96 v[171:173], off, off offset:220
	ds_load_b128 v[163:166], v118 offset:288
	ds_load_b128 v[167:170], v118 offset:304
	s_mov_b32 s0, exec_lo
	s_waitcnt vmcnt(11) lgkmcnt(1)
	v_fma_f32 v163, v120, v163, 0
	s_delay_alu instid0(VALU_DEP_1) | instskip(NEXT) | instid1(VALU_DEP_1)
	v_fmac_f32_e32 v163, v121, v164
	v_fmac_f32_e32 v163, v122, v165
	s_waitcnt vmcnt(10)
	s_delay_alu instid0(VALU_DEP_1) | instskip(SKIP_3) | instid1(VALU_DEP_1)
	v_fmac_f32_e32 v163, v123, v166
	ds_load_b128 v[120:123], v118 offset:320
	s_waitcnt lgkmcnt(1)
	v_fmac_f32_e32 v163, v124, v167
	v_fmac_f32_e32 v163, v125, v168
	s_delay_alu instid0(VALU_DEP_1) | instskip(SKIP_1) | instid1(VALU_DEP_1)
	v_fmac_f32_e32 v163, v126, v169
	s_waitcnt vmcnt(9)
	v_fmac_f32_e32 v163, v127, v170
	ds_load_b128 v[124:127], v118 offset:336
	s_waitcnt lgkmcnt(1)
	v_fmac_f32_e32 v163, v128, v120
	s_delay_alu instid0(VALU_DEP_1) | instskip(NEXT) | instid1(VALU_DEP_1)
	v_fmac_f32_e32 v163, v129, v121
	v_fmac_f32_e32 v163, v130, v122
	s_waitcnt vmcnt(8)
	s_delay_alu instid0(VALU_DEP_1) | instskip(SKIP_3) | instid1(VALU_DEP_1)
	v_fmac_f32_e32 v163, v131, v123
	ds_load_b128 v[120:123], v118 offset:352
	s_waitcnt lgkmcnt(1)
	v_fmac_f32_e32 v163, v132, v124
	v_fmac_f32_e32 v163, v133, v125
	s_delay_alu instid0(VALU_DEP_1) | instskip(SKIP_1) | instid1(VALU_DEP_1)
	v_fmac_f32_e32 v163, v134, v126
	s_waitcnt vmcnt(7)
	v_fmac_f32_e32 v163, v135, v127
	ds_load_b128 v[124:127], v118 offset:368
	s_waitcnt lgkmcnt(1)
	v_fmac_f32_e32 v163, v136, v120
	;; [unrolled: 17-line block ×4, first 2 shown]
	s_delay_alu instid0(VALU_DEP_1) | instskip(NEXT) | instid1(VALU_DEP_1)
	v_fmac_f32_e32 v163, v153, v121
	v_fmac_f32_e32 v163, v154, v122
	s_waitcnt vmcnt(2)
	s_delay_alu instid0(VALU_DEP_1) | instskip(SKIP_3) | instid1(VALU_DEP_1)
	v_fmac_f32_e32 v163, v155, v123
	ds_load_b128 v[120:123], v118 offset:448
	s_waitcnt lgkmcnt(1)
	v_fmac_f32_e32 v163, v156, v124
	v_fmac_f32_e32 v163, v157, v125
	ds_load_b64 v[124:125], v118 offset:464
	v_fmac_f32_e32 v163, v158, v126
	s_waitcnt vmcnt(1)
	s_delay_alu instid0(VALU_DEP_1) | instskip(SKIP_1) | instid1(VALU_DEP_1)
	v_fmac_f32_e32 v163, v159, v127
	s_waitcnt lgkmcnt(1)
	v_fmac_f32_e32 v163, v160, v120
	s_delay_alu instid0(VALU_DEP_1) | instskip(NEXT) | instid1(VALU_DEP_1)
	v_fmac_f32_e32 v163, v161, v121
	v_fmac_f32_e32 v163, v162, v122
	s_waitcnt vmcnt(0)
	s_delay_alu instid0(VALU_DEP_1) | instskip(SKIP_1) | instid1(VALU_DEP_1)
	v_fmac_f32_e32 v163, v171, v123
	s_waitcnt lgkmcnt(0)
	v_fmac_f32_e32 v163, v172, v124
	s_delay_alu instid0(VALU_DEP_1) | instskip(NEXT) | instid1(VALU_DEP_1)
	v_fmac_f32_e32 v163, v173, v125
	v_sub_f32_e32 v118, v119, v163
	scratch_store_b32 off, v118, off offset:44
	v_cmpx_lt_u32_e32 10, v0
	s_cbranch_execz .LBB57_335
; %bb.334:
	scratch_load_b32 v118, off, off offset:40
	v_mov_b32_e32 v119, 0
	scratch_store_b32 off, v119, off offset:40
	s_waitcnt vmcnt(0)
	ds_store_b32 v117, v118
.LBB57_335:
	s_or_b32 exec_lo, exec_lo, s0
	s_waitcnt lgkmcnt(0)
	s_waitcnt_vscnt null, 0x0
	s_barrier
	buffer_gl0_inv
	s_clause 0xb
	scratch_load_b128 v[119:122], off, off offset:40
	scratch_load_b128 v[123:126], off, off offset:56
	;; [unrolled: 1-line block ×12, first 2 shown]
	v_mov_b32_e32 v118, 0
	ds_load_2addr_b32 v[167:168], v118 offset0:71 offset1:72
	ds_load_2addr_b32 v[169:170], v118 offset0:73 offset1:74
	;; [unrolled: 1-line block ×4, first 2 shown]
	s_mov_b32 s0, exec_lo
	s_waitcnt vmcnt(11) lgkmcnt(3)
	v_fma_f32 v167, v120, v167, 0
	s_delay_alu instid0(VALU_DEP_1) | instskip(SKIP_4) | instid1(VALU_DEP_1)
	v_fmac_f32_e32 v167, v121, v168
	ds_load_2addr_b32 v[120:121], v118 offset0:79 offset1:80
	s_waitcnt lgkmcnt(3)
	v_fmac_f32_e32 v167, v122, v169
	s_waitcnt vmcnt(10)
	v_fmac_f32_e32 v167, v123, v170
	ds_load_2addr_b32 v[122:123], v118 offset0:81 offset1:82
	s_waitcnt lgkmcnt(3)
	v_fmac_f32_e32 v167, v124, v171
	s_delay_alu instid0(VALU_DEP_1) | instskip(SKIP_1) | instid1(VALU_DEP_1)
	v_fmac_f32_e32 v167, v125, v172
	s_waitcnt lgkmcnt(2)
	v_fmac_f32_e32 v167, v126, v173
	s_waitcnt vmcnt(9)
	s_delay_alu instid0(VALU_DEP_1) | instskip(SKIP_4) | instid1(VALU_DEP_1)
	v_fmac_f32_e32 v167, v127, v174
	ds_load_2addr_b32 v[124:125], v118 offset0:83 offset1:84
	ds_load_2addr_b32 v[126:127], v118 offset0:85 offset1:86
	s_waitcnt lgkmcnt(3)
	v_fmac_f32_e32 v167, v128, v120
	v_fmac_f32_e32 v167, v129, v121
	ds_load_2addr_b32 v[120:121], v118 offset0:87 offset1:88
	s_waitcnt lgkmcnt(3)
	v_fmac_f32_e32 v167, v130, v122
	s_waitcnt vmcnt(8)
	s_delay_alu instid0(VALU_DEP_1) | instskip(SKIP_3) | instid1(VALU_DEP_1)
	v_fmac_f32_e32 v167, v131, v123
	ds_load_2addr_b32 v[122:123], v118 offset0:89 offset1:90
	s_waitcnt lgkmcnt(3)
	v_fmac_f32_e32 v167, v132, v124
	v_fmac_f32_e32 v167, v133, v125
	s_waitcnt lgkmcnt(2)
	s_delay_alu instid0(VALU_DEP_1) | instskip(SKIP_1) | instid1(VALU_DEP_1)
	v_fmac_f32_e32 v167, v134, v126
	s_waitcnt vmcnt(7)
	v_fmac_f32_e32 v167, v135, v127
	ds_load_2addr_b32 v[124:125], v118 offset0:91 offset1:92
	ds_load_2addr_b32 v[126:127], v118 offset0:93 offset1:94
	s_waitcnt lgkmcnt(3)
	v_fmac_f32_e32 v167, v136, v120
	s_delay_alu instid0(VALU_DEP_1) | instskip(SKIP_4) | instid1(VALU_DEP_1)
	v_fmac_f32_e32 v167, v137, v121
	ds_load_2addr_b32 v[120:121], v118 offset0:95 offset1:96
	s_waitcnt lgkmcnt(3)
	v_fmac_f32_e32 v167, v138, v122
	s_waitcnt vmcnt(6)
	v_fmac_f32_e32 v167, v139, v123
	ds_load_2addr_b32 v[122:123], v118 offset0:97 offset1:98
	s_waitcnt lgkmcnt(3)
	v_fmac_f32_e32 v167, v140, v124
	s_delay_alu instid0(VALU_DEP_1) | instskip(SKIP_1) | instid1(VALU_DEP_1)
	v_fmac_f32_e32 v167, v141, v125
	s_waitcnt lgkmcnt(2)
	v_fmac_f32_e32 v167, v142, v126
	s_waitcnt vmcnt(5)
	s_delay_alu instid0(VALU_DEP_1) | instskip(SKIP_4) | instid1(VALU_DEP_1)
	v_fmac_f32_e32 v167, v143, v127
	ds_load_2addr_b32 v[124:125], v118 offset0:99 offset1:100
	ds_load_2addr_b32 v[126:127], v118 offset0:101 offset1:102
	s_waitcnt lgkmcnt(3)
	v_fmac_f32_e32 v167, v144, v120
	v_fmac_f32_e32 v167, v145, v121
	ds_load_2addr_b32 v[120:121], v118 offset0:103 offset1:104
	s_waitcnt lgkmcnt(3)
	v_fmac_f32_e32 v167, v146, v122
	s_waitcnt vmcnt(4)
	s_delay_alu instid0(VALU_DEP_1) | instskip(SKIP_3) | instid1(VALU_DEP_1)
	v_fmac_f32_e32 v167, v147, v123
	ds_load_2addr_b32 v[122:123], v118 offset0:105 offset1:106
	s_waitcnt lgkmcnt(3)
	v_fmac_f32_e32 v167, v148, v124
	v_fmac_f32_e32 v167, v149, v125
	s_waitcnt lgkmcnt(2)
	s_delay_alu instid0(VALU_DEP_1) | instskip(SKIP_1) | instid1(VALU_DEP_1)
	v_fmac_f32_e32 v167, v150, v126
	s_waitcnt vmcnt(3)
	v_fmac_f32_e32 v167, v151, v127
	ds_load_2addr_b32 v[124:125], v118 offset0:107 offset1:108
	ds_load_2addr_b32 v[126:127], v118 offset0:109 offset1:110
	s_waitcnt lgkmcnt(3)
	v_fmac_f32_e32 v167, v152, v120
	s_delay_alu instid0(VALU_DEP_1) | instskip(SKIP_4) | instid1(VALU_DEP_1)
	v_fmac_f32_e32 v167, v153, v121
	ds_load_2addr_b32 v[120:121], v118 offset0:111 offset1:112
	s_waitcnt lgkmcnt(3)
	v_fmac_f32_e32 v167, v154, v122
	s_waitcnt vmcnt(2)
	v_fmac_f32_e32 v167, v155, v123
	ds_load_2addr_b32 v[122:123], v118 offset0:113 offset1:114
	s_waitcnt lgkmcnt(3)
	v_fmac_f32_e32 v167, v156, v124
	s_delay_alu instid0(VALU_DEP_1) | instskip(SKIP_1) | instid1(VALU_DEP_1)
	v_fmac_f32_e32 v167, v157, v125
	s_waitcnt lgkmcnt(2)
	v_fmac_f32_e32 v167, v158, v126
	ds_load_2addr_b32 v[124:125], v118 offset0:115 offset1:116
	ds_load_b32 v126, v118 offset:468
	s_waitcnt vmcnt(1)
	v_fmac_f32_e32 v167, v159, v127
	s_waitcnt lgkmcnt(3)
	s_delay_alu instid0(VALU_DEP_1) | instskip(NEXT) | instid1(VALU_DEP_1)
	v_fmac_f32_e32 v167, v160, v120
	v_fmac_f32_e32 v167, v161, v121
	s_waitcnt lgkmcnt(2)
	s_delay_alu instid0(VALU_DEP_1) | instskip(SKIP_1) | instid1(VALU_DEP_1)
	v_fmac_f32_e32 v167, v162, v122
	s_waitcnt vmcnt(0)
	v_fmac_f32_e32 v167, v163, v123
	s_waitcnt lgkmcnt(1)
	s_delay_alu instid0(VALU_DEP_1) | instskip(NEXT) | instid1(VALU_DEP_1)
	v_fmac_f32_e32 v167, v164, v124
	v_fmac_f32_e32 v167, v165, v125
	s_waitcnt lgkmcnt(0)
	s_delay_alu instid0(VALU_DEP_1) | instskip(NEXT) | instid1(VALU_DEP_1)
	v_fmac_f32_e32 v167, v166, v126
	v_sub_f32_e32 v119, v119, v167
	scratch_store_b32 off, v119, off offset:40
	v_cmpx_lt_u32_e32 9, v0
	s_cbranch_execz .LBB57_337
; %bb.336:
	scratch_load_b32 v119, off, off offset:36
	scratch_store_b32 off, v118, off offset:36
	s_waitcnt vmcnt(0)
	ds_store_b32 v117, v119
.LBB57_337:
	s_or_b32 exec_lo, exec_lo, s0
	s_waitcnt lgkmcnt(0)
	s_waitcnt_vscnt null, 0x0
	s_barrier
	buffer_gl0_inv
	s_clause 0xc
	scratch_load_b128 v[119:122], off, off offset:36
	scratch_load_b128 v[123:126], off, off offset:52
	;; [unrolled: 1-line block ×12, first 2 shown]
	scratch_load_b32 v175, off, off offset:228
	ds_load_2addr_b64 v[167:170], v118 offset0:35 offset1:36
	ds_load_2addr_b64 v[171:174], v118 offset0:37 offset1:38
	s_mov_b32 s0, exec_lo
	s_waitcnt vmcnt(12) lgkmcnt(1)
	v_fma_f32 v167, v120, v167, 0
	s_delay_alu instid0(VALU_DEP_1) | instskip(NEXT) | instid1(VALU_DEP_1)
	v_fmac_f32_e32 v167, v121, v168
	v_fmac_f32_e32 v167, v122, v169
	s_waitcnt vmcnt(11)
	s_delay_alu instid0(VALU_DEP_1) | instskip(SKIP_3) | instid1(VALU_DEP_1)
	v_fmac_f32_e32 v167, v123, v170
	ds_load_2addr_b64 v[120:123], v118 offset0:39 offset1:40
	s_waitcnt lgkmcnt(1)
	v_fmac_f32_e32 v167, v124, v171
	v_fmac_f32_e32 v167, v125, v172
	s_delay_alu instid0(VALU_DEP_1) | instskip(SKIP_1) | instid1(VALU_DEP_1)
	v_fmac_f32_e32 v167, v126, v173
	s_waitcnt vmcnt(10)
	v_fmac_f32_e32 v167, v127, v174
	ds_load_2addr_b64 v[124:127], v118 offset0:41 offset1:42
	s_waitcnt lgkmcnt(1)
	v_fmac_f32_e32 v167, v128, v120
	s_delay_alu instid0(VALU_DEP_1) | instskip(NEXT) | instid1(VALU_DEP_1)
	v_fmac_f32_e32 v167, v129, v121
	v_fmac_f32_e32 v167, v130, v122
	s_waitcnt vmcnt(9)
	s_delay_alu instid0(VALU_DEP_1) | instskip(SKIP_3) | instid1(VALU_DEP_1)
	v_fmac_f32_e32 v167, v131, v123
	ds_load_2addr_b64 v[120:123], v118 offset0:43 offset1:44
	s_waitcnt lgkmcnt(1)
	v_fmac_f32_e32 v167, v132, v124
	v_fmac_f32_e32 v167, v133, v125
	s_delay_alu instid0(VALU_DEP_1) | instskip(SKIP_1) | instid1(VALU_DEP_1)
	v_fmac_f32_e32 v167, v134, v126
	s_waitcnt vmcnt(8)
	v_fmac_f32_e32 v167, v135, v127
	ds_load_2addr_b64 v[124:127], v118 offset0:45 offset1:46
	s_waitcnt lgkmcnt(1)
	v_fmac_f32_e32 v167, v136, v120
	;; [unrolled: 17-line block ×5, first 2 shown]
	s_delay_alu instid0(VALU_DEP_1) | instskip(NEXT) | instid1(VALU_DEP_1)
	v_fmac_f32_e32 v167, v161, v121
	v_fmac_f32_e32 v167, v162, v122
	s_waitcnt vmcnt(1)
	s_delay_alu instid0(VALU_DEP_1) | instskip(SKIP_1) | instid1(VALU_DEP_1)
	v_fmac_f32_e32 v167, v163, v123
	s_waitcnt lgkmcnt(0)
	v_fmac_f32_e32 v167, v164, v124
	s_delay_alu instid0(VALU_DEP_1) | instskip(NEXT) | instid1(VALU_DEP_1)
	v_fmac_f32_e32 v167, v165, v125
	v_fmac_f32_e32 v167, v166, v126
	s_waitcnt vmcnt(0)
	s_delay_alu instid0(VALU_DEP_1) | instskip(NEXT) | instid1(VALU_DEP_1)
	v_fmac_f32_e32 v167, v175, v127
	v_sub_f32_e32 v118, v119, v167
	scratch_store_b32 off, v118, off offset:36
	v_cmpx_lt_u32_e32 8, v0
	s_cbranch_execz .LBB57_339
; %bb.338:
	scratch_load_b32 v118, off, off offset:32
	v_mov_b32_e32 v119, 0
	scratch_store_b32 off, v119, off offset:32
	s_waitcnt vmcnt(0)
	ds_store_b32 v117, v118
.LBB57_339:
	s_or_b32 exec_lo, exec_lo, s0
	s_waitcnt lgkmcnt(0)
	s_waitcnt_vscnt null, 0x0
	s_barrier
	buffer_gl0_inv
	s_clause 0xc
	scratch_load_b128 v[119:122], off, off offset:32
	scratch_load_b128 v[123:126], off, off offset:48
	scratch_load_b128 v[127:130], off, off offset:64
	scratch_load_b128 v[131:134], off, off offset:80
	scratch_load_b128 v[135:138], off, off offset:96
	scratch_load_b128 v[139:142], off, off offset:112
	scratch_load_b128 v[143:146], off, off offset:128
	scratch_load_b128 v[147:150], off, off offset:144
	scratch_load_b128 v[151:154], off, off offset:160
	scratch_load_b128 v[155:158], off, off offset:176
	scratch_load_b128 v[159:162], off, off offset:192
	scratch_load_b128 v[163:166], off, off offset:208
	scratch_load_b64 v[167:168], off, off offset:224
	v_mov_b32_e32 v118, 0
	ds_load_2addr_b32 v[169:170], v118 offset0:69 offset1:70
	ds_load_2addr_b32 v[171:172], v118 offset0:71 offset1:72
	;; [unrolled: 1-line block ×4, first 2 shown]
	s_mov_b32 s0, exec_lo
	s_waitcnt vmcnt(12) lgkmcnt(3)
	v_fma_f32 v169, v120, v169, 0
	s_delay_alu instid0(VALU_DEP_1) | instskip(SKIP_4) | instid1(VALU_DEP_1)
	v_fmac_f32_e32 v169, v121, v170
	ds_load_2addr_b32 v[120:121], v118 offset0:77 offset1:78
	s_waitcnt lgkmcnt(3)
	v_fmac_f32_e32 v169, v122, v171
	s_waitcnt vmcnt(11)
	v_fmac_f32_e32 v169, v123, v172
	ds_load_2addr_b32 v[122:123], v118 offset0:79 offset1:80
	s_waitcnt lgkmcnt(3)
	v_fmac_f32_e32 v169, v124, v173
	s_delay_alu instid0(VALU_DEP_1) | instskip(SKIP_1) | instid1(VALU_DEP_1)
	v_fmac_f32_e32 v169, v125, v174
	s_waitcnt lgkmcnt(2)
	v_fmac_f32_e32 v169, v126, v175
	s_waitcnt vmcnt(10)
	s_delay_alu instid0(VALU_DEP_1) | instskip(SKIP_4) | instid1(VALU_DEP_1)
	v_fmac_f32_e32 v169, v127, v176
	ds_load_2addr_b32 v[124:125], v118 offset0:81 offset1:82
	ds_load_2addr_b32 v[126:127], v118 offset0:83 offset1:84
	s_waitcnt lgkmcnt(3)
	v_fmac_f32_e32 v169, v128, v120
	v_fmac_f32_e32 v169, v129, v121
	ds_load_2addr_b32 v[120:121], v118 offset0:85 offset1:86
	s_waitcnt lgkmcnt(3)
	v_fmac_f32_e32 v169, v130, v122
	s_waitcnt vmcnt(9)
	s_delay_alu instid0(VALU_DEP_1) | instskip(SKIP_3) | instid1(VALU_DEP_1)
	v_fmac_f32_e32 v169, v131, v123
	ds_load_2addr_b32 v[122:123], v118 offset0:87 offset1:88
	s_waitcnt lgkmcnt(3)
	v_fmac_f32_e32 v169, v132, v124
	v_fmac_f32_e32 v169, v133, v125
	s_waitcnt lgkmcnt(2)
	s_delay_alu instid0(VALU_DEP_1) | instskip(SKIP_1) | instid1(VALU_DEP_1)
	v_fmac_f32_e32 v169, v134, v126
	s_waitcnt vmcnt(8)
	v_fmac_f32_e32 v169, v135, v127
	ds_load_2addr_b32 v[124:125], v118 offset0:89 offset1:90
	ds_load_2addr_b32 v[126:127], v118 offset0:91 offset1:92
	s_waitcnt lgkmcnt(3)
	v_fmac_f32_e32 v169, v136, v120
	s_delay_alu instid0(VALU_DEP_1) | instskip(SKIP_4) | instid1(VALU_DEP_1)
	v_fmac_f32_e32 v169, v137, v121
	ds_load_2addr_b32 v[120:121], v118 offset0:93 offset1:94
	s_waitcnt lgkmcnt(3)
	v_fmac_f32_e32 v169, v138, v122
	s_waitcnt vmcnt(7)
	v_fmac_f32_e32 v169, v139, v123
	ds_load_2addr_b32 v[122:123], v118 offset0:95 offset1:96
	s_waitcnt lgkmcnt(3)
	v_fmac_f32_e32 v169, v140, v124
	s_delay_alu instid0(VALU_DEP_1) | instskip(SKIP_1) | instid1(VALU_DEP_1)
	v_fmac_f32_e32 v169, v141, v125
	s_waitcnt lgkmcnt(2)
	v_fmac_f32_e32 v169, v142, v126
	s_waitcnt vmcnt(6)
	s_delay_alu instid0(VALU_DEP_1) | instskip(SKIP_4) | instid1(VALU_DEP_1)
	v_fmac_f32_e32 v169, v143, v127
	ds_load_2addr_b32 v[124:125], v118 offset0:97 offset1:98
	ds_load_2addr_b32 v[126:127], v118 offset0:99 offset1:100
	s_waitcnt lgkmcnt(3)
	v_fmac_f32_e32 v169, v144, v120
	v_fmac_f32_e32 v169, v145, v121
	ds_load_2addr_b32 v[120:121], v118 offset0:101 offset1:102
	s_waitcnt lgkmcnt(3)
	v_fmac_f32_e32 v169, v146, v122
	s_waitcnt vmcnt(5)
	s_delay_alu instid0(VALU_DEP_1) | instskip(SKIP_3) | instid1(VALU_DEP_1)
	v_fmac_f32_e32 v169, v147, v123
	ds_load_2addr_b32 v[122:123], v118 offset0:103 offset1:104
	s_waitcnt lgkmcnt(3)
	v_fmac_f32_e32 v169, v148, v124
	v_fmac_f32_e32 v169, v149, v125
	s_waitcnt lgkmcnt(2)
	s_delay_alu instid0(VALU_DEP_1) | instskip(SKIP_1) | instid1(VALU_DEP_1)
	v_fmac_f32_e32 v169, v150, v126
	s_waitcnt vmcnt(4)
	v_fmac_f32_e32 v169, v151, v127
	ds_load_2addr_b32 v[124:125], v118 offset0:105 offset1:106
	ds_load_2addr_b32 v[126:127], v118 offset0:107 offset1:108
	s_waitcnt lgkmcnt(3)
	v_fmac_f32_e32 v169, v152, v120
	s_delay_alu instid0(VALU_DEP_1) | instskip(SKIP_4) | instid1(VALU_DEP_1)
	v_fmac_f32_e32 v169, v153, v121
	ds_load_2addr_b32 v[120:121], v118 offset0:109 offset1:110
	s_waitcnt lgkmcnt(3)
	v_fmac_f32_e32 v169, v154, v122
	s_waitcnt vmcnt(3)
	v_fmac_f32_e32 v169, v155, v123
	ds_load_2addr_b32 v[122:123], v118 offset0:111 offset1:112
	s_waitcnt lgkmcnt(3)
	v_fmac_f32_e32 v169, v156, v124
	s_delay_alu instid0(VALU_DEP_1) | instskip(SKIP_1) | instid1(VALU_DEP_1)
	v_fmac_f32_e32 v169, v157, v125
	s_waitcnt lgkmcnt(2)
	v_fmac_f32_e32 v169, v158, v126
	s_waitcnt vmcnt(2)
	s_delay_alu instid0(VALU_DEP_1)
	v_fmac_f32_e32 v169, v159, v127
	ds_load_2addr_b32 v[124:125], v118 offset0:113 offset1:114
	ds_load_2addr_b32 v[126:127], v118 offset0:115 offset1:116
	s_waitcnt lgkmcnt(3)
	v_fmac_f32_e32 v169, v160, v120
	ds_load_b32 v120, v118 offset:468
	v_fmac_f32_e32 v169, v161, v121
	s_waitcnt lgkmcnt(3)
	s_delay_alu instid0(VALU_DEP_1) | instskip(SKIP_1) | instid1(VALU_DEP_1)
	v_fmac_f32_e32 v169, v162, v122
	s_waitcnt vmcnt(1)
	v_fmac_f32_e32 v169, v163, v123
	s_waitcnt lgkmcnt(2)
	s_delay_alu instid0(VALU_DEP_1) | instskip(NEXT) | instid1(VALU_DEP_1)
	v_fmac_f32_e32 v169, v164, v124
	v_fmac_f32_e32 v169, v165, v125
	s_waitcnt lgkmcnt(1)
	s_delay_alu instid0(VALU_DEP_1) | instskip(SKIP_1) | instid1(VALU_DEP_1)
	v_fmac_f32_e32 v169, v166, v126
	s_waitcnt vmcnt(0)
	v_fmac_f32_e32 v169, v167, v127
	s_waitcnt lgkmcnt(0)
	s_delay_alu instid0(VALU_DEP_1) | instskip(NEXT) | instid1(VALU_DEP_1)
	v_fmac_f32_e32 v169, v168, v120
	v_sub_f32_e32 v119, v119, v169
	scratch_store_b32 off, v119, off offset:32
	v_cmpx_lt_u32_e32 7, v0
	s_cbranch_execz .LBB57_341
; %bb.340:
	scratch_load_b32 v119, off, off offset:28
	scratch_store_b32 off, v118, off offset:28
	s_waitcnt vmcnt(0)
	ds_store_b32 v117, v119
.LBB57_341:
	s_or_b32 exec_lo, exec_lo, s0
	s_waitcnt lgkmcnt(0)
	s_waitcnt_vscnt null, 0x0
	s_barrier
	buffer_gl0_inv
	s_clause 0xc
	scratch_load_b128 v[119:122], off, off offset:28
	scratch_load_b128 v[123:126], off, off offset:44
	;; [unrolled: 1-line block ×12, first 2 shown]
	scratch_load_b96 v[175:177], off, off offset:220
	ds_load_b128 v[167:170], v118 offset:272
	ds_load_b128 v[171:174], v118 offset:288
	s_mov_b32 s0, exec_lo
	s_waitcnt vmcnt(12) lgkmcnt(1)
	v_fma_f32 v167, v120, v167, 0
	s_delay_alu instid0(VALU_DEP_1) | instskip(NEXT) | instid1(VALU_DEP_1)
	v_fmac_f32_e32 v167, v121, v168
	v_fmac_f32_e32 v167, v122, v169
	s_waitcnt vmcnt(11)
	s_delay_alu instid0(VALU_DEP_1) | instskip(SKIP_3) | instid1(VALU_DEP_1)
	v_fmac_f32_e32 v167, v123, v170
	ds_load_b128 v[120:123], v118 offset:304
	s_waitcnt lgkmcnt(1)
	v_fmac_f32_e32 v167, v124, v171
	v_fmac_f32_e32 v167, v125, v172
	s_delay_alu instid0(VALU_DEP_1) | instskip(SKIP_1) | instid1(VALU_DEP_1)
	v_fmac_f32_e32 v167, v126, v173
	s_waitcnt vmcnt(10)
	v_fmac_f32_e32 v167, v127, v174
	ds_load_b128 v[124:127], v118 offset:320
	s_waitcnt lgkmcnt(1)
	v_fmac_f32_e32 v167, v128, v120
	s_delay_alu instid0(VALU_DEP_1) | instskip(NEXT) | instid1(VALU_DEP_1)
	v_fmac_f32_e32 v167, v129, v121
	v_fmac_f32_e32 v167, v130, v122
	s_waitcnt vmcnt(9)
	s_delay_alu instid0(VALU_DEP_1) | instskip(SKIP_3) | instid1(VALU_DEP_1)
	v_fmac_f32_e32 v167, v131, v123
	ds_load_b128 v[120:123], v118 offset:336
	s_waitcnt lgkmcnt(1)
	v_fmac_f32_e32 v167, v132, v124
	v_fmac_f32_e32 v167, v133, v125
	s_delay_alu instid0(VALU_DEP_1) | instskip(SKIP_1) | instid1(VALU_DEP_1)
	v_fmac_f32_e32 v167, v134, v126
	s_waitcnt vmcnt(8)
	v_fmac_f32_e32 v167, v135, v127
	ds_load_b128 v[124:127], v118 offset:352
	s_waitcnt lgkmcnt(1)
	v_fmac_f32_e32 v167, v136, v120
	;; [unrolled: 17-line block ×5, first 2 shown]
	s_delay_alu instid0(VALU_DEP_1) | instskip(SKIP_3) | instid1(VALU_DEP_1)
	v_fmac_f32_e32 v167, v161, v121
	ds_load_b64 v[120:121], v118 offset:464
	v_fmac_f32_e32 v167, v162, v122
	s_waitcnt vmcnt(1)
	v_fmac_f32_e32 v167, v163, v123
	s_waitcnt lgkmcnt(1)
	s_delay_alu instid0(VALU_DEP_1) | instskip(NEXT) | instid1(VALU_DEP_1)
	v_fmac_f32_e32 v167, v164, v124
	v_fmac_f32_e32 v167, v165, v125
	s_delay_alu instid0(VALU_DEP_1) | instskip(SKIP_1) | instid1(VALU_DEP_1)
	v_fmac_f32_e32 v167, v166, v126
	s_waitcnt vmcnt(0)
	v_fmac_f32_e32 v167, v175, v127
	s_waitcnt lgkmcnt(0)
	s_delay_alu instid0(VALU_DEP_1) | instskip(NEXT) | instid1(VALU_DEP_1)
	v_fmac_f32_e32 v167, v176, v120
	v_fmac_f32_e32 v167, v177, v121
	s_delay_alu instid0(VALU_DEP_1)
	v_sub_f32_e32 v118, v119, v167
	scratch_store_b32 off, v118, off offset:28
	v_cmpx_lt_u32_e32 6, v0
	s_cbranch_execz .LBB57_343
; %bb.342:
	scratch_load_b32 v118, off, off offset:24
	v_mov_b32_e32 v119, 0
	scratch_store_b32 off, v119, off offset:24
	s_waitcnt vmcnt(0)
	ds_store_b32 v117, v118
.LBB57_343:
	s_or_b32 exec_lo, exec_lo, s0
	s_waitcnt lgkmcnt(0)
	s_waitcnt_vscnt null, 0x0
	s_barrier
	buffer_gl0_inv
	s_clause 0xc
	scratch_load_b128 v[119:122], off, off offset:24
	scratch_load_b128 v[123:126], off, off offset:40
	scratch_load_b128 v[127:130], off, off offset:56
	scratch_load_b128 v[131:134], off, off offset:72
	scratch_load_b128 v[135:138], off, off offset:88
	scratch_load_b128 v[139:142], off, off offset:104
	scratch_load_b128 v[143:146], off, off offset:120
	scratch_load_b128 v[147:150], off, off offset:136
	scratch_load_b128 v[151:154], off, off offset:152
	scratch_load_b128 v[155:158], off, off offset:168
	scratch_load_b128 v[159:162], off, off offset:184
	scratch_load_b128 v[163:166], off, off offset:200
	scratch_load_b128 v[167:170], off, off offset:216
	v_mov_b32_e32 v118, 0
	ds_load_2addr_b32 v[171:172], v118 offset0:67 offset1:68
	ds_load_2addr_b32 v[173:174], v118 offset0:69 offset1:70
	;; [unrolled: 1-line block ×4, first 2 shown]
	s_mov_b32 s0, exec_lo
	s_waitcnt vmcnt(12) lgkmcnt(3)
	v_fma_f32 v171, v120, v171, 0
	s_delay_alu instid0(VALU_DEP_1) | instskip(SKIP_4) | instid1(VALU_DEP_1)
	v_fmac_f32_e32 v171, v121, v172
	ds_load_2addr_b32 v[120:121], v118 offset0:75 offset1:76
	s_waitcnt lgkmcnt(3)
	v_fmac_f32_e32 v171, v122, v173
	s_waitcnt vmcnt(11)
	v_fmac_f32_e32 v171, v123, v174
	ds_load_2addr_b32 v[122:123], v118 offset0:77 offset1:78
	s_waitcnt lgkmcnt(3)
	v_fmac_f32_e32 v171, v124, v175
	s_delay_alu instid0(VALU_DEP_1) | instskip(SKIP_1) | instid1(VALU_DEP_1)
	v_fmac_f32_e32 v171, v125, v176
	s_waitcnt lgkmcnt(2)
	v_fmac_f32_e32 v171, v126, v177
	s_waitcnt vmcnt(10)
	s_delay_alu instid0(VALU_DEP_1) | instskip(SKIP_4) | instid1(VALU_DEP_1)
	v_fmac_f32_e32 v171, v127, v178
	ds_load_2addr_b32 v[124:125], v118 offset0:79 offset1:80
	ds_load_2addr_b32 v[126:127], v118 offset0:81 offset1:82
	s_waitcnt lgkmcnt(3)
	v_fmac_f32_e32 v171, v128, v120
	v_fmac_f32_e32 v171, v129, v121
	ds_load_2addr_b32 v[120:121], v118 offset0:83 offset1:84
	s_waitcnt lgkmcnt(3)
	v_fmac_f32_e32 v171, v130, v122
	s_waitcnt vmcnt(9)
	s_delay_alu instid0(VALU_DEP_1) | instskip(SKIP_3) | instid1(VALU_DEP_1)
	v_fmac_f32_e32 v171, v131, v123
	ds_load_2addr_b32 v[122:123], v118 offset0:85 offset1:86
	s_waitcnt lgkmcnt(3)
	v_fmac_f32_e32 v171, v132, v124
	v_fmac_f32_e32 v171, v133, v125
	s_waitcnt lgkmcnt(2)
	s_delay_alu instid0(VALU_DEP_1) | instskip(SKIP_1) | instid1(VALU_DEP_1)
	v_fmac_f32_e32 v171, v134, v126
	s_waitcnt vmcnt(8)
	v_fmac_f32_e32 v171, v135, v127
	ds_load_2addr_b32 v[124:125], v118 offset0:87 offset1:88
	ds_load_2addr_b32 v[126:127], v118 offset0:89 offset1:90
	s_waitcnt lgkmcnt(3)
	v_fmac_f32_e32 v171, v136, v120
	s_delay_alu instid0(VALU_DEP_1) | instskip(SKIP_4) | instid1(VALU_DEP_1)
	v_fmac_f32_e32 v171, v137, v121
	ds_load_2addr_b32 v[120:121], v118 offset0:91 offset1:92
	s_waitcnt lgkmcnt(3)
	v_fmac_f32_e32 v171, v138, v122
	s_waitcnt vmcnt(7)
	v_fmac_f32_e32 v171, v139, v123
	ds_load_2addr_b32 v[122:123], v118 offset0:93 offset1:94
	s_waitcnt lgkmcnt(3)
	v_fmac_f32_e32 v171, v140, v124
	s_delay_alu instid0(VALU_DEP_1) | instskip(SKIP_1) | instid1(VALU_DEP_1)
	v_fmac_f32_e32 v171, v141, v125
	s_waitcnt lgkmcnt(2)
	v_fmac_f32_e32 v171, v142, v126
	s_waitcnt vmcnt(6)
	s_delay_alu instid0(VALU_DEP_1) | instskip(SKIP_4) | instid1(VALU_DEP_1)
	v_fmac_f32_e32 v171, v143, v127
	ds_load_2addr_b32 v[124:125], v118 offset0:95 offset1:96
	ds_load_2addr_b32 v[126:127], v118 offset0:97 offset1:98
	s_waitcnt lgkmcnt(3)
	v_fmac_f32_e32 v171, v144, v120
	v_fmac_f32_e32 v171, v145, v121
	ds_load_2addr_b32 v[120:121], v118 offset0:99 offset1:100
	s_waitcnt lgkmcnt(3)
	v_fmac_f32_e32 v171, v146, v122
	s_waitcnt vmcnt(5)
	s_delay_alu instid0(VALU_DEP_1) | instskip(SKIP_3) | instid1(VALU_DEP_1)
	v_fmac_f32_e32 v171, v147, v123
	ds_load_2addr_b32 v[122:123], v118 offset0:101 offset1:102
	s_waitcnt lgkmcnt(3)
	v_fmac_f32_e32 v171, v148, v124
	v_fmac_f32_e32 v171, v149, v125
	s_waitcnt lgkmcnt(2)
	s_delay_alu instid0(VALU_DEP_1) | instskip(SKIP_1) | instid1(VALU_DEP_1)
	v_fmac_f32_e32 v171, v150, v126
	s_waitcnt vmcnt(4)
	v_fmac_f32_e32 v171, v151, v127
	ds_load_2addr_b32 v[124:125], v118 offset0:103 offset1:104
	ds_load_2addr_b32 v[126:127], v118 offset0:105 offset1:106
	s_waitcnt lgkmcnt(3)
	v_fmac_f32_e32 v171, v152, v120
	s_delay_alu instid0(VALU_DEP_1) | instskip(SKIP_4) | instid1(VALU_DEP_1)
	v_fmac_f32_e32 v171, v153, v121
	ds_load_2addr_b32 v[120:121], v118 offset0:107 offset1:108
	s_waitcnt lgkmcnt(3)
	v_fmac_f32_e32 v171, v154, v122
	s_waitcnt vmcnt(3)
	v_fmac_f32_e32 v171, v155, v123
	ds_load_2addr_b32 v[122:123], v118 offset0:109 offset1:110
	s_waitcnt lgkmcnt(3)
	v_fmac_f32_e32 v171, v156, v124
	s_delay_alu instid0(VALU_DEP_1) | instskip(SKIP_1) | instid1(VALU_DEP_1)
	v_fmac_f32_e32 v171, v157, v125
	s_waitcnt lgkmcnt(2)
	v_fmac_f32_e32 v171, v158, v126
	s_waitcnt vmcnt(2)
	s_delay_alu instid0(VALU_DEP_1) | instskip(SKIP_4) | instid1(VALU_DEP_1)
	v_fmac_f32_e32 v171, v159, v127
	ds_load_2addr_b32 v[124:125], v118 offset0:111 offset1:112
	ds_load_2addr_b32 v[126:127], v118 offset0:113 offset1:114
	s_waitcnt lgkmcnt(3)
	v_fmac_f32_e32 v171, v160, v120
	v_fmac_f32_e32 v171, v161, v121
	ds_load_2addr_b32 v[120:121], v118 offset0:115 offset1:116
	s_waitcnt lgkmcnt(3)
	v_fmac_f32_e32 v171, v162, v122
	ds_load_b32 v122, v118 offset:468
	s_waitcnt vmcnt(1)
	v_fmac_f32_e32 v171, v163, v123
	s_waitcnt lgkmcnt(3)
	s_delay_alu instid0(VALU_DEP_1) | instskip(NEXT) | instid1(VALU_DEP_1)
	v_fmac_f32_e32 v171, v164, v124
	v_fmac_f32_e32 v171, v165, v125
	s_waitcnt lgkmcnt(2)
	s_delay_alu instid0(VALU_DEP_1) | instskip(SKIP_1) | instid1(VALU_DEP_1)
	v_fmac_f32_e32 v171, v166, v126
	s_waitcnt vmcnt(0)
	v_fmac_f32_e32 v171, v167, v127
	s_waitcnt lgkmcnt(1)
	s_delay_alu instid0(VALU_DEP_1) | instskip(NEXT) | instid1(VALU_DEP_1)
	v_fmac_f32_e32 v171, v168, v120
	v_fmac_f32_e32 v171, v169, v121
	s_waitcnt lgkmcnt(0)
	s_delay_alu instid0(VALU_DEP_1) | instskip(NEXT) | instid1(VALU_DEP_1)
	v_fmac_f32_e32 v171, v170, v122
	v_sub_f32_e32 v119, v119, v171
	scratch_store_b32 off, v119, off offset:24
	v_cmpx_lt_u32_e32 5, v0
	s_cbranch_execz .LBB57_345
; %bb.344:
	scratch_load_b32 v119, off, off offset:20
	scratch_store_b32 off, v118, off offset:20
	s_waitcnt vmcnt(0)
	ds_store_b32 v117, v119
.LBB57_345:
	s_or_b32 exec_lo, exec_lo, s0
	s_waitcnt lgkmcnt(0)
	s_waitcnt_vscnt null, 0x0
	s_barrier
	buffer_gl0_inv
	s_clause 0xd
	scratch_load_b128 v[119:122], off, off offset:20
	scratch_load_b128 v[123:126], off, off offset:36
	;; [unrolled: 1-line block ×13, first 2 shown]
	scratch_load_b32 v179, off, off offset:228
	ds_load_2addr_b64 v[171:174], v118 offset0:33 offset1:34
	ds_load_2addr_b64 v[175:178], v118 offset0:35 offset1:36
	s_mov_b32 s0, exec_lo
	s_waitcnt vmcnt(13) lgkmcnt(1)
	v_fma_f32 v171, v120, v171, 0
	s_delay_alu instid0(VALU_DEP_1) | instskip(NEXT) | instid1(VALU_DEP_1)
	v_fmac_f32_e32 v171, v121, v172
	v_fmac_f32_e32 v171, v122, v173
	s_waitcnt vmcnt(12)
	s_delay_alu instid0(VALU_DEP_1) | instskip(SKIP_3) | instid1(VALU_DEP_1)
	v_fmac_f32_e32 v171, v123, v174
	ds_load_2addr_b64 v[120:123], v118 offset0:37 offset1:38
	s_waitcnt lgkmcnt(1)
	v_fmac_f32_e32 v171, v124, v175
	v_fmac_f32_e32 v171, v125, v176
	s_delay_alu instid0(VALU_DEP_1) | instskip(SKIP_1) | instid1(VALU_DEP_1)
	v_fmac_f32_e32 v171, v126, v177
	s_waitcnt vmcnt(11)
	v_fmac_f32_e32 v171, v127, v178
	ds_load_2addr_b64 v[124:127], v118 offset0:39 offset1:40
	s_waitcnt lgkmcnt(1)
	v_fmac_f32_e32 v171, v128, v120
	s_delay_alu instid0(VALU_DEP_1) | instskip(NEXT) | instid1(VALU_DEP_1)
	v_fmac_f32_e32 v171, v129, v121
	v_fmac_f32_e32 v171, v130, v122
	s_waitcnt vmcnt(10)
	s_delay_alu instid0(VALU_DEP_1) | instskip(SKIP_3) | instid1(VALU_DEP_1)
	v_fmac_f32_e32 v171, v131, v123
	ds_load_2addr_b64 v[120:123], v118 offset0:41 offset1:42
	s_waitcnt lgkmcnt(1)
	v_fmac_f32_e32 v171, v132, v124
	v_fmac_f32_e32 v171, v133, v125
	s_delay_alu instid0(VALU_DEP_1) | instskip(SKIP_1) | instid1(VALU_DEP_1)
	v_fmac_f32_e32 v171, v134, v126
	s_waitcnt vmcnt(9)
	v_fmac_f32_e32 v171, v135, v127
	ds_load_2addr_b64 v[124:127], v118 offset0:43 offset1:44
	s_waitcnt lgkmcnt(1)
	v_fmac_f32_e32 v171, v136, v120
	;; [unrolled: 17-line block ×5, first 2 shown]
	s_delay_alu instid0(VALU_DEP_1) | instskip(NEXT) | instid1(VALU_DEP_1)
	v_fmac_f32_e32 v171, v161, v121
	v_fmac_f32_e32 v171, v162, v122
	s_waitcnt vmcnt(2)
	s_delay_alu instid0(VALU_DEP_1) | instskip(SKIP_3) | instid1(VALU_DEP_1)
	v_fmac_f32_e32 v171, v163, v123
	ds_load_2addr_b64 v[120:123], v118 offset0:57 offset1:58
	s_waitcnt lgkmcnt(1)
	v_fmac_f32_e32 v171, v164, v124
	v_fmac_f32_e32 v171, v165, v125
	s_delay_alu instid0(VALU_DEP_1) | instskip(SKIP_1) | instid1(VALU_DEP_1)
	v_fmac_f32_e32 v171, v166, v126
	s_waitcnt vmcnt(1)
	v_fmac_f32_e32 v171, v167, v127
	s_waitcnt lgkmcnt(0)
	s_delay_alu instid0(VALU_DEP_1) | instskip(NEXT) | instid1(VALU_DEP_1)
	v_fmac_f32_e32 v171, v168, v120
	v_fmac_f32_e32 v171, v169, v121
	s_delay_alu instid0(VALU_DEP_1) | instskip(SKIP_1) | instid1(VALU_DEP_1)
	v_fmac_f32_e32 v171, v170, v122
	s_waitcnt vmcnt(0)
	v_fmac_f32_e32 v171, v179, v123
	s_delay_alu instid0(VALU_DEP_1)
	v_sub_f32_e32 v118, v119, v171
	scratch_store_b32 off, v118, off offset:20
	v_cmpx_lt_u32_e32 4, v0
	s_cbranch_execz .LBB57_347
; %bb.346:
	scratch_load_b32 v118, off, off offset:16
	v_mov_b32_e32 v119, 0
	scratch_store_b32 off, v119, off offset:16
	s_waitcnt vmcnt(0)
	ds_store_b32 v117, v118
.LBB57_347:
	s_or_b32 exec_lo, exec_lo, s0
	s_waitcnt lgkmcnt(0)
	s_waitcnt_vscnt null, 0x0
	s_barrier
	buffer_gl0_inv
	s_clause 0xd
	scratch_load_b128 v[119:122], off, off offset:16
	scratch_load_b128 v[123:126], off, off offset:32
	;; [unrolled: 1-line block ×13, first 2 shown]
	scratch_load_b64 v[171:172], off, off offset:224
	v_mov_b32_e32 v118, 0
	ds_load_2addr_b32 v[173:174], v118 offset0:65 offset1:66
	ds_load_2addr_b32 v[175:176], v118 offset0:67 offset1:68
	;; [unrolled: 1-line block ×4, first 2 shown]
	s_mov_b32 s0, exec_lo
	s_waitcnt vmcnt(13) lgkmcnt(3)
	v_fma_f32 v173, v120, v173, 0
	s_delay_alu instid0(VALU_DEP_1) | instskip(SKIP_4) | instid1(VALU_DEP_1)
	v_fmac_f32_e32 v173, v121, v174
	ds_load_2addr_b32 v[120:121], v118 offset0:73 offset1:74
	s_waitcnt lgkmcnt(3)
	v_fmac_f32_e32 v173, v122, v175
	s_waitcnt vmcnt(12)
	v_fmac_f32_e32 v173, v123, v176
	ds_load_2addr_b32 v[122:123], v118 offset0:75 offset1:76
	s_waitcnt lgkmcnt(3)
	v_fmac_f32_e32 v173, v124, v177
	s_delay_alu instid0(VALU_DEP_1) | instskip(SKIP_1) | instid1(VALU_DEP_1)
	v_fmac_f32_e32 v173, v125, v178
	s_waitcnt lgkmcnt(2)
	v_fmac_f32_e32 v173, v126, v179
	s_waitcnt vmcnt(11)
	s_delay_alu instid0(VALU_DEP_1) | instskip(SKIP_4) | instid1(VALU_DEP_1)
	v_fmac_f32_e32 v173, v127, v180
	ds_load_2addr_b32 v[124:125], v118 offset0:77 offset1:78
	ds_load_2addr_b32 v[126:127], v118 offset0:79 offset1:80
	s_waitcnt lgkmcnt(3)
	v_fmac_f32_e32 v173, v128, v120
	v_fmac_f32_e32 v173, v129, v121
	ds_load_2addr_b32 v[120:121], v118 offset0:81 offset1:82
	s_waitcnt lgkmcnt(3)
	v_fmac_f32_e32 v173, v130, v122
	s_waitcnt vmcnt(10)
	s_delay_alu instid0(VALU_DEP_1) | instskip(SKIP_3) | instid1(VALU_DEP_1)
	v_fmac_f32_e32 v173, v131, v123
	ds_load_2addr_b32 v[122:123], v118 offset0:83 offset1:84
	s_waitcnt lgkmcnt(3)
	v_fmac_f32_e32 v173, v132, v124
	v_fmac_f32_e32 v173, v133, v125
	s_waitcnt lgkmcnt(2)
	s_delay_alu instid0(VALU_DEP_1) | instskip(SKIP_1) | instid1(VALU_DEP_1)
	v_fmac_f32_e32 v173, v134, v126
	s_waitcnt vmcnt(9)
	v_fmac_f32_e32 v173, v135, v127
	ds_load_2addr_b32 v[124:125], v118 offset0:85 offset1:86
	ds_load_2addr_b32 v[126:127], v118 offset0:87 offset1:88
	s_waitcnt lgkmcnt(3)
	v_fmac_f32_e32 v173, v136, v120
	s_delay_alu instid0(VALU_DEP_1) | instskip(SKIP_4) | instid1(VALU_DEP_1)
	v_fmac_f32_e32 v173, v137, v121
	ds_load_2addr_b32 v[120:121], v118 offset0:89 offset1:90
	s_waitcnt lgkmcnt(3)
	v_fmac_f32_e32 v173, v138, v122
	s_waitcnt vmcnt(8)
	v_fmac_f32_e32 v173, v139, v123
	ds_load_2addr_b32 v[122:123], v118 offset0:91 offset1:92
	s_waitcnt lgkmcnt(3)
	v_fmac_f32_e32 v173, v140, v124
	s_delay_alu instid0(VALU_DEP_1) | instskip(SKIP_1) | instid1(VALU_DEP_1)
	v_fmac_f32_e32 v173, v141, v125
	s_waitcnt lgkmcnt(2)
	v_fmac_f32_e32 v173, v142, v126
	s_waitcnt vmcnt(7)
	s_delay_alu instid0(VALU_DEP_1) | instskip(SKIP_4) | instid1(VALU_DEP_1)
	v_fmac_f32_e32 v173, v143, v127
	ds_load_2addr_b32 v[124:125], v118 offset0:93 offset1:94
	ds_load_2addr_b32 v[126:127], v118 offset0:95 offset1:96
	s_waitcnt lgkmcnt(3)
	v_fmac_f32_e32 v173, v144, v120
	v_fmac_f32_e32 v173, v145, v121
	ds_load_2addr_b32 v[120:121], v118 offset0:97 offset1:98
	s_waitcnt lgkmcnt(3)
	v_fmac_f32_e32 v173, v146, v122
	s_waitcnt vmcnt(6)
	s_delay_alu instid0(VALU_DEP_1) | instskip(SKIP_3) | instid1(VALU_DEP_1)
	v_fmac_f32_e32 v173, v147, v123
	ds_load_2addr_b32 v[122:123], v118 offset0:99 offset1:100
	s_waitcnt lgkmcnt(3)
	v_fmac_f32_e32 v173, v148, v124
	v_fmac_f32_e32 v173, v149, v125
	s_waitcnt lgkmcnt(2)
	s_delay_alu instid0(VALU_DEP_1) | instskip(SKIP_1) | instid1(VALU_DEP_1)
	v_fmac_f32_e32 v173, v150, v126
	s_waitcnt vmcnt(5)
	v_fmac_f32_e32 v173, v151, v127
	ds_load_2addr_b32 v[124:125], v118 offset0:101 offset1:102
	ds_load_2addr_b32 v[126:127], v118 offset0:103 offset1:104
	s_waitcnt lgkmcnt(3)
	v_fmac_f32_e32 v173, v152, v120
	s_delay_alu instid0(VALU_DEP_1) | instskip(SKIP_4) | instid1(VALU_DEP_1)
	v_fmac_f32_e32 v173, v153, v121
	ds_load_2addr_b32 v[120:121], v118 offset0:105 offset1:106
	s_waitcnt lgkmcnt(3)
	v_fmac_f32_e32 v173, v154, v122
	s_waitcnt vmcnt(4)
	v_fmac_f32_e32 v173, v155, v123
	ds_load_2addr_b32 v[122:123], v118 offset0:107 offset1:108
	s_waitcnt lgkmcnt(3)
	v_fmac_f32_e32 v173, v156, v124
	s_delay_alu instid0(VALU_DEP_1) | instskip(SKIP_1) | instid1(VALU_DEP_1)
	v_fmac_f32_e32 v173, v157, v125
	s_waitcnt lgkmcnt(2)
	v_fmac_f32_e32 v173, v158, v126
	s_waitcnt vmcnt(3)
	s_delay_alu instid0(VALU_DEP_1) | instskip(SKIP_4) | instid1(VALU_DEP_1)
	v_fmac_f32_e32 v173, v159, v127
	ds_load_2addr_b32 v[124:125], v118 offset0:109 offset1:110
	ds_load_2addr_b32 v[126:127], v118 offset0:111 offset1:112
	s_waitcnt lgkmcnt(3)
	v_fmac_f32_e32 v173, v160, v120
	v_fmac_f32_e32 v173, v161, v121
	ds_load_2addr_b32 v[120:121], v118 offset0:113 offset1:114
	s_waitcnt lgkmcnt(3)
	v_fmac_f32_e32 v173, v162, v122
	s_waitcnt vmcnt(2)
	s_delay_alu instid0(VALU_DEP_1)
	v_fmac_f32_e32 v173, v163, v123
	ds_load_2addr_b32 v[122:123], v118 offset0:115 offset1:116
	s_waitcnt lgkmcnt(3)
	v_fmac_f32_e32 v173, v164, v124
	ds_load_b32 v124, v118 offset:468
	v_fmac_f32_e32 v173, v165, v125
	s_waitcnt lgkmcnt(3)
	s_delay_alu instid0(VALU_DEP_1) | instskip(SKIP_1) | instid1(VALU_DEP_1)
	v_fmac_f32_e32 v173, v166, v126
	s_waitcnt vmcnt(1)
	v_fmac_f32_e32 v173, v167, v127
	s_waitcnt lgkmcnt(2)
	s_delay_alu instid0(VALU_DEP_1) | instskip(NEXT) | instid1(VALU_DEP_1)
	v_fmac_f32_e32 v173, v168, v120
	v_fmac_f32_e32 v173, v169, v121
	s_waitcnt lgkmcnt(1)
	s_delay_alu instid0(VALU_DEP_1) | instskip(SKIP_1) | instid1(VALU_DEP_1)
	v_fmac_f32_e32 v173, v170, v122
	s_waitcnt vmcnt(0)
	v_fmac_f32_e32 v173, v171, v123
	s_waitcnt lgkmcnt(0)
	s_delay_alu instid0(VALU_DEP_1) | instskip(NEXT) | instid1(VALU_DEP_1)
	v_fmac_f32_e32 v173, v172, v124
	v_sub_f32_e32 v119, v119, v173
	scratch_store_b32 off, v119, off offset:16
	v_cmpx_lt_u32_e32 3, v0
	s_cbranch_execz .LBB57_349
; %bb.348:
	scratch_load_b32 v119, off, off offset:12
	scratch_store_b32 off, v118, off offset:12
	s_waitcnt vmcnt(0)
	ds_store_b32 v117, v119
.LBB57_349:
	s_or_b32 exec_lo, exec_lo, s0
	s_waitcnt lgkmcnt(0)
	s_waitcnt_vscnt null, 0x0
	s_barrier
	buffer_gl0_inv
	s_clause 0xd
	scratch_load_b128 v[119:122], off, off offset:12
	scratch_load_b128 v[123:126], off, off offset:28
	;; [unrolled: 1-line block ×13, first 2 shown]
	scratch_load_b96 v[179:181], off, off offset:220
	ds_load_b128 v[171:174], v118 offset:256
	ds_load_b128 v[175:178], v118 offset:272
	s_mov_b32 s0, exec_lo
	s_waitcnt vmcnt(13) lgkmcnt(1)
	v_fma_f32 v171, v120, v171, 0
	s_delay_alu instid0(VALU_DEP_1) | instskip(NEXT) | instid1(VALU_DEP_1)
	v_fmac_f32_e32 v171, v121, v172
	v_fmac_f32_e32 v171, v122, v173
	s_waitcnt vmcnt(12)
	s_delay_alu instid0(VALU_DEP_1) | instskip(SKIP_3) | instid1(VALU_DEP_1)
	v_fmac_f32_e32 v171, v123, v174
	ds_load_b128 v[120:123], v118 offset:288
	s_waitcnt lgkmcnt(1)
	v_fmac_f32_e32 v171, v124, v175
	v_fmac_f32_e32 v171, v125, v176
	s_delay_alu instid0(VALU_DEP_1) | instskip(SKIP_1) | instid1(VALU_DEP_1)
	v_fmac_f32_e32 v171, v126, v177
	s_waitcnt vmcnt(11)
	v_fmac_f32_e32 v171, v127, v178
	ds_load_b128 v[124:127], v118 offset:304
	s_waitcnt lgkmcnt(1)
	v_fmac_f32_e32 v171, v128, v120
	s_delay_alu instid0(VALU_DEP_1) | instskip(NEXT) | instid1(VALU_DEP_1)
	v_fmac_f32_e32 v171, v129, v121
	v_fmac_f32_e32 v171, v130, v122
	s_waitcnt vmcnt(10)
	s_delay_alu instid0(VALU_DEP_1) | instskip(SKIP_3) | instid1(VALU_DEP_1)
	v_fmac_f32_e32 v171, v131, v123
	ds_load_b128 v[120:123], v118 offset:320
	s_waitcnt lgkmcnt(1)
	v_fmac_f32_e32 v171, v132, v124
	v_fmac_f32_e32 v171, v133, v125
	s_delay_alu instid0(VALU_DEP_1) | instskip(SKIP_1) | instid1(VALU_DEP_1)
	v_fmac_f32_e32 v171, v134, v126
	s_waitcnt vmcnt(9)
	v_fmac_f32_e32 v171, v135, v127
	ds_load_b128 v[124:127], v118 offset:336
	s_waitcnt lgkmcnt(1)
	v_fmac_f32_e32 v171, v136, v120
	;; [unrolled: 17-line block ×5, first 2 shown]
	s_delay_alu instid0(VALU_DEP_1) | instskip(NEXT) | instid1(VALU_DEP_1)
	v_fmac_f32_e32 v171, v161, v121
	v_fmac_f32_e32 v171, v162, v122
	s_waitcnt vmcnt(2)
	s_delay_alu instid0(VALU_DEP_1) | instskip(SKIP_3) | instid1(VALU_DEP_1)
	v_fmac_f32_e32 v171, v163, v123
	ds_load_b128 v[120:123], v118 offset:448
	s_waitcnt lgkmcnt(1)
	v_fmac_f32_e32 v171, v164, v124
	v_fmac_f32_e32 v171, v165, v125
	ds_load_b64 v[124:125], v118 offset:464
	v_fmac_f32_e32 v171, v166, v126
	s_waitcnt vmcnt(1)
	s_delay_alu instid0(VALU_DEP_1) | instskip(SKIP_1) | instid1(VALU_DEP_1)
	v_fmac_f32_e32 v171, v167, v127
	s_waitcnt lgkmcnt(1)
	v_fmac_f32_e32 v171, v168, v120
	s_delay_alu instid0(VALU_DEP_1) | instskip(NEXT) | instid1(VALU_DEP_1)
	v_fmac_f32_e32 v171, v169, v121
	v_fmac_f32_e32 v171, v170, v122
	s_waitcnt vmcnt(0)
	s_delay_alu instid0(VALU_DEP_1) | instskip(SKIP_1) | instid1(VALU_DEP_1)
	v_fmac_f32_e32 v171, v179, v123
	s_waitcnt lgkmcnt(0)
	v_fmac_f32_e32 v171, v180, v124
	s_delay_alu instid0(VALU_DEP_1) | instskip(NEXT) | instid1(VALU_DEP_1)
	v_fmac_f32_e32 v171, v181, v125
	v_sub_f32_e32 v118, v119, v171
	scratch_store_b32 off, v118, off offset:12
	v_cmpx_lt_u32_e32 2, v0
	s_cbranch_execz .LBB57_351
; %bb.350:
	scratch_load_b32 v118, off, off offset:8
	v_mov_b32_e32 v119, 0
	scratch_store_b32 off, v119, off offset:8
	s_waitcnt vmcnt(0)
	ds_store_b32 v117, v118
.LBB57_351:
	s_or_b32 exec_lo, exec_lo, s0
	s_waitcnt lgkmcnt(0)
	s_waitcnt_vscnt null, 0x0
	s_barrier
	buffer_gl0_inv
	s_clause 0xd
	scratch_load_b128 v[119:122], off, off offset:8
	scratch_load_b128 v[123:126], off, off offset:24
	;; [unrolled: 1-line block ×14, first 2 shown]
	v_mov_b32_e32 v118, 0
	ds_load_2addr_b32 v[175:176], v118 offset0:63 offset1:64
	ds_load_2addr_b32 v[177:178], v118 offset0:65 offset1:66
	;; [unrolled: 1-line block ×4, first 2 shown]
	s_mov_b32 s0, exec_lo
	s_waitcnt vmcnt(13) lgkmcnt(3)
	v_fma_f32 v175, v120, v175, 0
	s_delay_alu instid0(VALU_DEP_1) | instskip(SKIP_4) | instid1(VALU_DEP_1)
	v_fmac_f32_e32 v175, v121, v176
	ds_load_2addr_b32 v[120:121], v118 offset0:71 offset1:72
	s_waitcnt lgkmcnt(3)
	v_fmac_f32_e32 v175, v122, v177
	s_waitcnt vmcnt(12)
	v_fmac_f32_e32 v175, v123, v178
	ds_load_2addr_b32 v[122:123], v118 offset0:73 offset1:74
	s_waitcnt lgkmcnt(3)
	v_fmac_f32_e32 v175, v124, v179
	s_delay_alu instid0(VALU_DEP_1) | instskip(SKIP_1) | instid1(VALU_DEP_1)
	v_fmac_f32_e32 v175, v125, v180
	s_waitcnt lgkmcnt(2)
	v_fmac_f32_e32 v175, v126, v181
	s_waitcnt vmcnt(11)
	s_delay_alu instid0(VALU_DEP_1) | instskip(SKIP_4) | instid1(VALU_DEP_1)
	v_fmac_f32_e32 v175, v127, v182
	ds_load_2addr_b32 v[124:125], v118 offset0:75 offset1:76
	ds_load_2addr_b32 v[126:127], v118 offset0:77 offset1:78
	s_waitcnt lgkmcnt(3)
	v_fmac_f32_e32 v175, v128, v120
	v_fmac_f32_e32 v175, v129, v121
	ds_load_2addr_b32 v[120:121], v118 offset0:79 offset1:80
	s_waitcnt lgkmcnt(3)
	v_fmac_f32_e32 v175, v130, v122
	s_waitcnt vmcnt(10)
	s_delay_alu instid0(VALU_DEP_1) | instskip(SKIP_3) | instid1(VALU_DEP_1)
	v_fmac_f32_e32 v175, v131, v123
	ds_load_2addr_b32 v[122:123], v118 offset0:81 offset1:82
	s_waitcnt lgkmcnt(3)
	v_fmac_f32_e32 v175, v132, v124
	v_fmac_f32_e32 v175, v133, v125
	s_waitcnt lgkmcnt(2)
	s_delay_alu instid0(VALU_DEP_1) | instskip(SKIP_1) | instid1(VALU_DEP_1)
	v_fmac_f32_e32 v175, v134, v126
	s_waitcnt vmcnt(9)
	v_fmac_f32_e32 v175, v135, v127
	ds_load_2addr_b32 v[124:125], v118 offset0:83 offset1:84
	ds_load_2addr_b32 v[126:127], v118 offset0:85 offset1:86
	s_waitcnt lgkmcnt(3)
	v_fmac_f32_e32 v175, v136, v120
	s_delay_alu instid0(VALU_DEP_1) | instskip(SKIP_4) | instid1(VALU_DEP_1)
	v_fmac_f32_e32 v175, v137, v121
	ds_load_2addr_b32 v[120:121], v118 offset0:87 offset1:88
	s_waitcnt lgkmcnt(3)
	v_fmac_f32_e32 v175, v138, v122
	s_waitcnt vmcnt(8)
	v_fmac_f32_e32 v175, v139, v123
	ds_load_2addr_b32 v[122:123], v118 offset0:89 offset1:90
	s_waitcnt lgkmcnt(3)
	v_fmac_f32_e32 v175, v140, v124
	s_delay_alu instid0(VALU_DEP_1) | instskip(SKIP_1) | instid1(VALU_DEP_1)
	v_fmac_f32_e32 v175, v141, v125
	s_waitcnt lgkmcnt(2)
	v_fmac_f32_e32 v175, v142, v126
	s_waitcnt vmcnt(7)
	s_delay_alu instid0(VALU_DEP_1) | instskip(SKIP_4) | instid1(VALU_DEP_1)
	v_fmac_f32_e32 v175, v143, v127
	ds_load_2addr_b32 v[124:125], v118 offset0:91 offset1:92
	ds_load_2addr_b32 v[126:127], v118 offset0:93 offset1:94
	s_waitcnt lgkmcnt(3)
	v_fmac_f32_e32 v175, v144, v120
	v_fmac_f32_e32 v175, v145, v121
	ds_load_2addr_b32 v[120:121], v118 offset0:95 offset1:96
	s_waitcnt lgkmcnt(3)
	v_fmac_f32_e32 v175, v146, v122
	s_waitcnt vmcnt(6)
	s_delay_alu instid0(VALU_DEP_1) | instskip(SKIP_3) | instid1(VALU_DEP_1)
	v_fmac_f32_e32 v175, v147, v123
	ds_load_2addr_b32 v[122:123], v118 offset0:97 offset1:98
	s_waitcnt lgkmcnt(3)
	v_fmac_f32_e32 v175, v148, v124
	v_fmac_f32_e32 v175, v149, v125
	s_waitcnt lgkmcnt(2)
	s_delay_alu instid0(VALU_DEP_1) | instskip(SKIP_1) | instid1(VALU_DEP_1)
	v_fmac_f32_e32 v175, v150, v126
	s_waitcnt vmcnt(5)
	v_fmac_f32_e32 v175, v151, v127
	ds_load_2addr_b32 v[124:125], v118 offset0:99 offset1:100
	ds_load_2addr_b32 v[126:127], v118 offset0:101 offset1:102
	s_waitcnt lgkmcnt(3)
	v_fmac_f32_e32 v175, v152, v120
	s_delay_alu instid0(VALU_DEP_1) | instskip(SKIP_4) | instid1(VALU_DEP_1)
	v_fmac_f32_e32 v175, v153, v121
	ds_load_2addr_b32 v[120:121], v118 offset0:103 offset1:104
	s_waitcnt lgkmcnt(3)
	v_fmac_f32_e32 v175, v154, v122
	s_waitcnt vmcnt(4)
	v_fmac_f32_e32 v175, v155, v123
	ds_load_2addr_b32 v[122:123], v118 offset0:105 offset1:106
	s_waitcnt lgkmcnt(3)
	v_fmac_f32_e32 v175, v156, v124
	s_delay_alu instid0(VALU_DEP_1) | instskip(SKIP_1) | instid1(VALU_DEP_1)
	v_fmac_f32_e32 v175, v157, v125
	s_waitcnt lgkmcnt(2)
	v_fmac_f32_e32 v175, v158, v126
	s_waitcnt vmcnt(3)
	s_delay_alu instid0(VALU_DEP_1) | instskip(SKIP_4) | instid1(VALU_DEP_1)
	v_fmac_f32_e32 v175, v159, v127
	ds_load_2addr_b32 v[124:125], v118 offset0:107 offset1:108
	ds_load_2addr_b32 v[126:127], v118 offset0:109 offset1:110
	s_waitcnt lgkmcnt(3)
	v_fmac_f32_e32 v175, v160, v120
	v_fmac_f32_e32 v175, v161, v121
	ds_load_2addr_b32 v[120:121], v118 offset0:111 offset1:112
	s_waitcnt lgkmcnt(3)
	v_fmac_f32_e32 v175, v162, v122
	s_waitcnt vmcnt(2)
	s_delay_alu instid0(VALU_DEP_1) | instskip(SKIP_3) | instid1(VALU_DEP_1)
	v_fmac_f32_e32 v175, v163, v123
	ds_load_2addr_b32 v[122:123], v118 offset0:113 offset1:114
	s_waitcnt lgkmcnt(3)
	v_fmac_f32_e32 v175, v164, v124
	v_fmac_f32_e32 v175, v165, v125
	s_waitcnt lgkmcnt(2)
	s_delay_alu instid0(VALU_DEP_1)
	v_fmac_f32_e32 v175, v166, v126
	ds_load_2addr_b32 v[124:125], v118 offset0:115 offset1:116
	ds_load_b32 v126, v118 offset:468
	s_waitcnt vmcnt(1)
	v_fmac_f32_e32 v175, v167, v127
	s_waitcnt lgkmcnt(3)
	s_delay_alu instid0(VALU_DEP_1) | instskip(NEXT) | instid1(VALU_DEP_1)
	v_fmac_f32_e32 v175, v168, v120
	v_fmac_f32_e32 v175, v169, v121
	s_waitcnt lgkmcnt(2)
	s_delay_alu instid0(VALU_DEP_1) | instskip(SKIP_1) | instid1(VALU_DEP_1)
	v_fmac_f32_e32 v175, v170, v122
	s_waitcnt vmcnt(0)
	v_fmac_f32_e32 v175, v171, v123
	s_waitcnt lgkmcnt(1)
	s_delay_alu instid0(VALU_DEP_1) | instskip(NEXT) | instid1(VALU_DEP_1)
	v_fmac_f32_e32 v175, v172, v124
	v_fmac_f32_e32 v175, v173, v125
	s_waitcnt lgkmcnt(0)
	s_delay_alu instid0(VALU_DEP_1) | instskip(NEXT) | instid1(VALU_DEP_1)
	v_fmac_f32_e32 v175, v174, v126
	v_sub_f32_e32 v119, v119, v175
	scratch_store_b32 off, v119, off offset:8
	v_cmpx_lt_u32_e32 1, v0
	s_cbranch_execz .LBB57_353
; %bb.352:
	scratch_load_b32 v119, off, off offset:4
	scratch_store_b32 off, v118, off offset:4
	s_waitcnt vmcnt(0)
	ds_store_b32 v117, v119
.LBB57_353:
	s_or_b32 exec_lo, exec_lo, s0
	s_waitcnt lgkmcnt(0)
	s_waitcnt_vscnt null, 0x0
	s_barrier
	buffer_gl0_inv
	s_clause 0xe
	scratch_load_b128 v[119:122], off, off offset:4
	scratch_load_b128 v[123:126], off, off offset:20
	scratch_load_b128 v[127:130], off, off offset:36
	scratch_load_b128 v[131:134], off, off offset:52
	scratch_load_b128 v[135:138], off, off offset:68
	scratch_load_b128 v[139:142], off, off offset:84
	scratch_load_b128 v[143:146], off, off offset:100
	scratch_load_b128 v[147:150], off, off offset:116
	scratch_load_b128 v[151:154], off, off offset:132
	scratch_load_b128 v[155:158], off, off offset:148
	scratch_load_b128 v[159:162], off, off offset:164
	scratch_load_b128 v[163:166], off, off offset:180
	scratch_load_b128 v[167:170], off, off offset:196
	scratch_load_b128 v[171:174], off, off offset:212
	scratch_load_b32 v183, off, off offset:228
	ds_load_2addr_b64 v[175:178], v118 offset0:31 offset1:32
	ds_load_2addr_b64 v[179:182], v118 offset0:33 offset1:34
	s_mov_b32 s0, exec_lo
	s_waitcnt vmcnt(14) lgkmcnt(1)
	v_fma_f32 v175, v120, v175, 0
	s_delay_alu instid0(VALU_DEP_1) | instskip(NEXT) | instid1(VALU_DEP_1)
	v_fmac_f32_e32 v175, v121, v176
	v_fmac_f32_e32 v175, v122, v177
	s_waitcnt vmcnt(13)
	s_delay_alu instid0(VALU_DEP_1) | instskip(SKIP_3) | instid1(VALU_DEP_1)
	v_fmac_f32_e32 v175, v123, v178
	ds_load_2addr_b64 v[120:123], v118 offset0:35 offset1:36
	s_waitcnt lgkmcnt(1)
	v_fmac_f32_e32 v175, v124, v179
	v_fmac_f32_e32 v175, v125, v180
	s_delay_alu instid0(VALU_DEP_1) | instskip(SKIP_1) | instid1(VALU_DEP_1)
	v_fmac_f32_e32 v175, v126, v181
	s_waitcnt vmcnt(12)
	v_fmac_f32_e32 v175, v127, v182
	ds_load_2addr_b64 v[124:127], v118 offset0:37 offset1:38
	s_waitcnt lgkmcnt(1)
	v_fmac_f32_e32 v175, v128, v120
	s_delay_alu instid0(VALU_DEP_1) | instskip(NEXT) | instid1(VALU_DEP_1)
	v_fmac_f32_e32 v175, v129, v121
	v_fmac_f32_e32 v175, v130, v122
	s_waitcnt vmcnt(11)
	s_delay_alu instid0(VALU_DEP_1) | instskip(SKIP_3) | instid1(VALU_DEP_1)
	v_fmac_f32_e32 v175, v131, v123
	ds_load_2addr_b64 v[120:123], v118 offset0:39 offset1:40
	s_waitcnt lgkmcnt(1)
	v_fmac_f32_e32 v175, v132, v124
	v_fmac_f32_e32 v175, v133, v125
	s_delay_alu instid0(VALU_DEP_1) | instskip(SKIP_1) | instid1(VALU_DEP_1)
	v_fmac_f32_e32 v175, v134, v126
	s_waitcnt vmcnt(10)
	v_fmac_f32_e32 v175, v135, v127
	ds_load_2addr_b64 v[124:127], v118 offset0:41 offset1:42
	s_waitcnt lgkmcnt(1)
	v_fmac_f32_e32 v175, v136, v120
	;; [unrolled: 17-line block ×6, first 2 shown]
	s_delay_alu instid0(VALU_DEP_1) | instskip(NEXT) | instid1(VALU_DEP_1)
	v_fmac_f32_e32 v175, v169, v121
	v_fmac_f32_e32 v175, v170, v122
	s_waitcnt vmcnt(1)
	s_delay_alu instid0(VALU_DEP_1) | instskip(SKIP_1) | instid1(VALU_DEP_1)
	v_fmac_f32_e32 v175, v171, v123
	s_waitcnt lgkmcnt(0)
	v_fmac_f32_e32 v175, v172, v124
	s_delay_alu instid0(VALU_DEP_1) | instskip(NEXT) | instid1(VALU_DEP_1)
	v_fmac_f32_e32 v175, v173, v125
	v_fmac_f32_e32 v175, v174, v126
	s_waitcnt vmcnt(0)
	s_delay_alu instid0(VALU_DEP_1) | instskip(NEXT) | instid1(VALU_DEP_1)
	v_fmac_f32_e32 v175, v183, v127
	v_sub_f32_e32 v118, v119, v175
	scratch_store_b32 off, v118, off offset:4
	v_cmpx_ne_u32_e32 0, v0
	s_cbranch_execz .LBB57_355
; %bb.354:
	scratch_load_b32 v0, off, off
	v_mov_b32_e32 v118, 0
	scratch_store_b32 off, v118, off
	s_waitcnt vmcnt(0)
	ds_store_b32 v117, v0
.LBB57_355:
	s_or_b32 exec_lo, exec_lo, s0
	s_waitcnt lgkmcnt(0)
	s_waitcnt_vscnt null, 0x0
	s_barrier
	buffer_gl0_inv
	s_clause 0xe
	scratch_load_b128 v[119:122], off, off
	scratch_load_b128 v[123:126], off, off offset:16
	scratch_load_b128 v[127:130], off, off offset:32
	;; [unrolled: 1-line block ×13, first 2 shown]
	scratch_load_b64 v[117:118], off, off offset:224
	v_mov_b32_e32 v0, 0
	ds_load_2addr_b32 v[175:176], v0 offset0:61 offset1:62
	ds_load_2addr_b32 v[177:178], v0 offset0:63 offset1:64
	;; [unrolled: 1-line block ×4, first 2 shown]
	s_and_b32 vcc_lo, exec_lo, s16
	s_waitcnt vmcnt(14) lgkmcnt(3)
	v_fma_f32 v175, v120, v175, 0
	s_delay_alu instid0(VALU_DEP_1) | instskip(SKIP_4) | instid1(VALU_DEP_1)
	v_fmac_f32_e32 v175, v121, v176
	ds_load_2addr_b32 v[120:121], v0 offset0:69 offset1:70
	s_waitcnt lgkmcnt(3)
	v_fmac_f32_e32 v175, v122, v177
	s_waitcnt vmcnt(13)
	v_fmac_f32_e32 v175, v123, v178
	ds_load_2addr_b32 v[122:123], v0 offset0:71 offset1:72
	s_waitcnt lgkmcnt(3)
	v_fmac_f32_e32 v175, v124, v179
	s_delay_alu instid0(VALU_DEP_1) | instskip(SKIP_1) | instid1(VALU_DEP_1)
	v_fmac_f32_e32 v175, v125, v180
	s_waitcnt lgkmcnt(2)
	v_fmac_f32_e32 v175, v126, v181
	s_waitcnt vmcnt(12)
	s_delay_alu instid0(VALU_DEP_1) | instskip(SKIP_4) | instid1(VALU_DEP_1)
	v_fmac_f32_e32 v175, v127, v182
	ds_load_2addr_b32 v[124:125], v0 offset0:73 offset1:74
	ds_load_2addr_b32 v[126:127], v0 offset0:75 offset1:76
	s_waitcnt lgkmcnt(3)
	v_fmac_f32_e32 v175, v128, v120
	v_fmac_f32_e32 v175, v129, v121
	ds_load_2addr_b32 v[120:121], v0 offset0:77 offset1:78
	s_waitcnt lgkmcnt(3)
	v_fmac_f32_e32 v175, v130, v122
	s_waitcnt vmcnt(11)
	s_delay_alu instid0(VALU_DEP_1) | instskip(SKIP_3) | instid1(VALU_DEP_1)
	v_fmac_f32_e32 v175, v131, v123
	ds_load_2addr_b32 v[122:123], v0 offset0:79 offset1:80
	s_waitcnt lgkmcnt(3)
	v_fmac_f32_e32 v175, v132, v124
	v_fmac_f32_e32 v175, v133, v125
	s_waitcnt lgkmcnt(2)
	s_delay_alu instid0(VALU_DEP_1) | instskip(SKIP_1) | instid1(VALU_DEP_1)
	v_fmac_f32_e32 v175, v134, v126
	s_waitcnt vmcnt(10)
	v_fmac_f32_e32 v175, v135, v127
	ds_load_2addr_b32 v[124:125], v0 offset0:81 offset1:82
	ds_load_2addr_b32 v[126:127], v0 offset0:83 offset1:84
	s_waitcnt lgkmcnt(3)
	v_fmac_f32_e32 v175, v136, v120
	s_delay_alu instid0(VALU_DEP_1) | instskip(SKIP_4) | instid1(VALU_DEP_1)
	v_fmac_f32_e32 v175, v137, v121
	ds_load_2addr_b32 v[120:121], v0 offset0:85 offset1:86
	s_waitcnt lgkmcnt(3)
	v_fmac_f32_e32 v175, v138, v122
	s_waitcnt vmcnt(9)
	v_fmac_f32_e32 v175, v139, v123
	ds_load_2addr_b32 v[122:123], v0 offset0:87 offset1:88
	s_waitcnt lgkmcnt(3)
	v_fmac_f32_e32 v175, v140, v124
	s_delay_alu instid0(VALU_DEP_1) | instskip(SKIP_1) | instid1(VALU_DEP_1)
	v_fmac_f32_e32 v175, v141, v125
	s_waitcnt lgkmcnt(2)
	v_fmac_f32_e32 v175, v142, v126
	s_waitcnt vmcnt(8)
	s_delay_alu instid0(VALU_DEP_1) | instskip(SKIP_4) | instid1(VALU_DEP_1)
	v_fmac_f32_e32 v175, v143, v127
	ds_load_2addr_b32 v[124:125], v0 offset0:89 offset1:90
	ds_load_2addr_b32 v[126:127], v0 offset0:91 offset1:92
	s_waitcnt lgkmcnt(3)
	v_fmac_f32_e32 v175, v144, v120
	v_fmac_f32_e32 v175, v145, v121
	ds_load_2addr_b32 v[120:121], v0 offset0:93 offset1:94
	s_waitcnt lgkmcnt(3)
	v_fmac_f32_e32 v175, v146, v122
	s_waitcnt vmcnt(7)
	s_delay_alu instid0(VALU_DEP_1) | instskip(SKIP_3) | instid1(VALU_DEP_1)
	v_fmac_f32_e32 v175, v147, v123
	ds_load_2addr_b32 v[122:123], v0 offset0:95 offset1:96
	s_waitcnt lgkmcnt(3)
	v_fmac_f32_e32 v175, v148, v124
	v_fmac_f32_e32 v175, v149, v125
	s_waitcnt lgkmcnt(2)
	s_delay_alu instid0(VALU_DEP_1) | instskip(SKIP_1) | instid1(VALU_DEP_1)
	v_fmac_f32_e32 v175, v150, v126
	s_waitcnt vmcnt(6)
	v_fmac_f32_e32 v175, v151, v127
	ds_load_2addr_b32 v[124:125], v0 offset0:97 offset1:98
	ds_load_2addr_b32 v[126:127], v0 offset0:99 offset1:100
	s_waitcnt lgkmcnt(3)
	v_fmac_f32_e32 v175, v152, v120
	s_delay_alu instid0(VALU_DEP_1) | instskip(SKIP_4) | instid1(VALU_DEP_1)
	v_fmac_f32_e32 v175, v153, v121
	ds_load_2addr_b32 v[120:121], v0 offset0:101 offset1:102
	s_waitcnt lgkmcnt(3)
	v_fmac_f32_e32 v175, v154, v122
	s_waitcnt vmcnt(5)
	v_fmac_f32_e32 v175, v155, v123
	ds_load_2addr_b32 v[122:123], v0 offset0:103 offset1:104
	s_waitcnt lgkmcnt(3)
	v_fmac_f32_e32 v175, v156, v124
	s_delay_alu instid0(VALU_DEP_1) | instskip(SKIP_1) | instid1(VALU_DEP_1)
	v_fmac_f32_e32 v175, v157, v125
	s_waitcnt lgkmcnt(2)
	v_fmac_f32_e32 v175, v158, v126
	s_waitcnt vmcnt(4)
	s_delay_alu instid0(VALU_DEP_1) | instskip(SKIP_4) | instid1(VALU_DEP_1)
	v_fmac_f32_e32 v175, v159, v127
	ds_load_2addr_b32 v[124:125], v0 offset0:105 offset1:106
	ds_load_2addr_b32 v[126:127], v0 offset0:107 offset1:108
	s_waitcnt lgkmcnt(3)
	v_fmac_f32_e32 v175, v160, v120
	v_fmac_f32_e32 v175, v161, v121
	ds_load_2addr_b32 v[120:121], v0 offset0:109 offset1:110
	s_waitcnt lgkmcnt(3)
	v_fmac_f32_e32 v175, v162, v122
	s_waitcnt vmcnt(3)
	s_delay_alu instid0(VALU_DEP_1) | instskip(SKIP_3) | instid1(VALU_DEP_1)
	v_fmac_f32_e32 v175, v163, v123
	ds_load_2addr_b32 v[122:123], v0 offset0:111 offset1:112
	s_waitcnt lgkmcnt(3)
	v_fmac_f32_e32 v175, v164, v124
	v_fmac_f32_e32 v175, v165, v125
	s_waitcnt lgkmcnt(2)
	s_delay_alu instid0(VALU_DEP_1) | instskip(SKIP_1) | instid1(VALU_DEP_1)
	v_fmac_f32_e32 v175, v166, v126
	s_waitcnt vmcnt(2)
	v_fmac_f32_e32 v175, v167, v127
	ds_load_2addr_b32 v[124:125], v0 offset0:113 offset1:114
	ds_load_2addr_b32 v[126:127], v0 offset0:115 offset1:116
	ds_load_b32 v0, v0 offset:468
	s_waitcnt lgkmcnt(4)
	v_fmac_f32_e32 v175, v168, v120
	s_delay_alu instid0(VALU_DEP_1) | instskip(SKIP_1) | instid1(VALU_DEP_1)
	v_fmac_f32_e32 v175, v169, v121
	s_waitcnt lgkmcnt(3)
	v_fmac_f32_e32 v175, v170, v122
	s_waitcnt vmcnt(1)
	s_delay_alu instid0(VALU_DEP_1) | instskip(SKIP_1) | instid1(VALU_DEP_1)
	v_fmac_f32_e32 v175, v171, v123
	s_waitcnt lgkmcnt(2)
	v_fmac_f32_e32 v175, v172, v124
	s_delay_alu instid0(VALU_DEP_1) | instskip(SKIP_1) | instid1(VALU_DEP_1)
	v_fmac_f32_e32 v175, v173, v125
	s_waitcnt lgkmcnt(1)
	v_fmac_f32_e32 v175, v174, v126
	s_waitcnt vmcnt(0)
	s_delay_alu instid0(VALU_DEP_1) | instskip(SKIP_1) | instid1(VALU_DEP_1)
	v_fmac_f32_e32 v175, v117, v127
	s_waitcnt lgkmcnt(0)
	v_fmac_f32_e32 v175, v118, v0
	s_delay_alu instid0(VALU_DEP_1)
	v_sub_f32_e32 v0, v119, v175
	scratch_store_b32 off, v0, off
	s_cbranch_vccz .LBB57_471
; %bb.356:
	v_dual_mov_b32 v119, s13 :: v_dual_mov_b32 v118, s12
	s_mov_b32 s0, exec_lo
	flat_load_b32 v0, v[118:119] offset:224
	s_waitcnt vmcnt(0) lgkmcnt(0)
	v_cmpx_ne_u32_e32 57, v0
	s_cbranch_execz .LBB57_358
; %bb.357:
	v_lshl_add_u32 v0, v0, 2, 0
	scratch_load_b32 v118, v0, off offset:-4
	s_waitcnt vmcnt(0)
	scratch_store_b32 off, v118, off offset:224
	scratch_store_b32 v0, v117, off offset:-4
.LBB57_358:
	s_or_b32 exec_lo, exec_lo, s0
	v_dual_mov_b32 v118, s13 :: v_dual_mov_b32 v117, s12
	s_mov_b32 s0, exec_lo
	flat_load_b32 v0, v[117:118] offset:220
	s_waitcnt vmcnt(0) lgkmcnt(0)
	v_cmpx_ne_u32_e32 56, v0
	s_cbranch_execz .LBB57_360
; %bb.359:
	v_lshl_add_u32 v0, v0, 2, 0
	scratch_load_b32 v117, v0, off offset:-4
	scratch_load_b32 v118, off, off offset:220
	s_waitcnt vmcnt(1)
	scratch_store_b32 off, v117, off offset:220
	s_waitcnt vmcnt(0)
	scratch_store_b32 v0, v118, off offset:-4
.LBB57_360:
	s_or_b32 exec_lo, exec_lo, s0
	v_dual_mov_b32 v118, s13 :: v_dual_mov_b32 v117, s12
	s_mov_b32 s0, exec_lo
	flat_load_b32 v0, v[117:118] offset:216
	s_waitcnt vmcnt(0) lgkmcnt(0)
	v_cmpx_ne_u32_e32 55, v0
	s_cbranch_execz .LBB57_362
; %bb.361:
	v_lshl_add_u32 v0, v0, 2, 0
	scratch_load_b32 v117, v0, off offset:-4
	scratch_load_b32 v118, off, off offset:216
	s_waitcnt vmcnt(1)
	scratch_store_b32 off, v117, off offset:216
	s_waitcnt vmcnt(0)
	scratch_store_b32 v0, v118, off offset:-4
.LBB57_362:
	;; [unrolled: 16-line block ×55, first 2 shown]
	s_or_b32 exec_lo, exec_lo, s0
	v_dual_mov_b32 v118, s13 :: v_dual_mov_b32 v117, s12
	s_mov_b32 s0, exec_lo
	flat_load_b32 v117, v[117:118]
	scratch_load_b32 v0, off, off
	s_waitcnt vmcnt(1) lgkmcnt(0)
	v_cmpx_ne_u32_e32 1, v117
	s_cbranch_execz .LBB57_470
; %bb.469:
	v_lshl_add_u32 v117, v117, 2, 0
	scratch_load_b32 v118, v117, off offset:-4
	s_waitcnt vmcnt(0)
	scratch_store_b32 off, v118, off
	scratch_store_b32 v117, v0, off offset:-4
	scratch_load_b32 v0, off, off
.LBB57_470:
	s_or_b32 exec_lo, exec_lo, s0
.LBB57_471:
	s_clause 0xe
	scratch_load_b128 v[117:120], off, off offset:4
	scratch_load_b128 v[121:124], off, off offset:20
	;; [unrolled: 1-line block ×14, first 2 shown]
	scratch_load_b32 v173, off, off offset:228
	s_waitcnt vmcnt(15)
	global_store_b32 v[1:2], v0, off
	s_waitcnt vmcnt(14)
	s_clause 0x3
	global_store_b32 v[3:4], v117, off
	global_store_b32 v[5:6], v118, off
	global_store_b32 v[7:8], v119, off
	global_store_b32 v[9:10], v120, off
	s_waitcnt vmcnt(13)
	s_clause 0x3
	global_store_b32 v[11:12], v121, off
	global_store_b32 v[13:14], v122, off
	global_store_b32 v[15:16], v123, off
	;; [unrolled: 6-line block ×14, first 2 shown]
	global_store_b32 v[115:116], v172, off
	s_waitcnt vmcnt(0)
	global_store_b32 v[63:64], v173, off
	s_endpgm
	.section	.rodata,"a",@progbits
	.p2align	6, 0x0
	.amdhsa_kernel _ZN9rocsolver6v33100L18getri_kernel_smallILi58EfPfEEvT1_iilPiilS4_bb
		.amdhsa_group_segment_fixed_size 472
		.amdhsa_private_segment_fixed_size 240
		.amdhsa_kernarg_size 60
		.amdhsa_user_sgpr_count 15
		.amdhsa_user_sgpr_dispatch_ptr 0
		.amdhsa_user_sgpr_queue_ptr 0
		.amdhsa_user_sgpr_kernarg_segment_ptr 1
		.amdhsa_user_sgpr_dispatch_id 0
		.amdhsa_user_sgpr_private_segment_size 0
		.amdhsa_wavefront_size32 1
		.amdhsa_uses_dynamic_stack 0
		.amdhsa_enable_private_segment 1
		.amdhsa_system_sgpr_workgroup_id_x 1
		.amdhsa_system_sgpr_workgroup_id_y 0
		.amdhsa_system_sgpr_workgroup_id_z 0
		.amdhsa_system_sgpr_workgroup_info 0
		.amdhsa_system_vgpr_workitem_id 0
		.amdhsa_next_free_vgpr 184
		.amdhsa_next_free_sgpr 18
		.amdhsa_reserve_vcc 1
		.amdhsa_float_round_mode_32 0
		.amdhsa_float_round_mode_16_64 0
		.amdhsa_float_denorm_mode_32 3
		.amdhsa_float_denorm_mode_16_64 3
		.amdhsa_dx10_clamp 1
		.amdhsa_ieee_mode 1
		.amdhsa_fp16_overflow 0
		.amdhsa_workgroup_processor_mode 1
		.amdhsa_memory_ordered 1
		.amdhsa_forward_progress 0
		.amdhsa_shared_vgpr_count 0
		.amdhsa_exception_fp_ieee_invalid_op 0
		.amdhsa_exception_fp_denorm_src 0
		.amdhsa_exception_fp_ieee_div_zero 0
		.amdhsa_exception_fp_ieee_overflow 0
		.amdhsa_exception_fp_ieee_underflow 0
		.amdhsa_exception_fp_ieee_inexact 0
		.amdhsa_exception_int_div_zero 0
	.end_amdhsa_kernel
	.section	.text._ZN9rocsolver6v33100L18getri_kernel_smallILi58EfPfEEvT1_iilPiilS4_bb,"axG",@progbits,_ZN9rocsolver6v33100L18getri_kernel_smallILi58EfPfEEvT1_iilPiilS4_bb,comdat
.Lfunc_end57:
	.size	_ZN9rocsolver6v33100L18getri_kernel_smallILi58EfPfEEvT1_iilPiilS4_bb, .Lfunc_end57-_ZN9rocsolver6v33100L18getri_kernel_smallILi58EfPfEEvT1_iilPiilS4_bb
                                        ; -- End function
	.section	.AMDGPU.csdata,"",@progbits
; Kernel info:
; codeLenInByte = 45828
; NumSgprs: 20
; NumVgprs: 184
; ScratchSize: 240
; MemoryBound: 0
; FloatMode: 240
; IeeeMode: 1
; LDSByteSize: 472 bytes/workgroup (compile time only)
; SGPRBlocks: 2
; VGPRBlocks: 22
; NumSGPRsForWavesPerEU: 20
; NumVGPRsForWavesPerEU: 184
; Occupancy: 8
; WaveLimiterHint : 1
; COMPUTE_PGM_RSRC2:SCRATCH_EN: 1
; COMPUTE_PGM_RSRC2:USER_SGPR: 15
; COMPUTE_PGM_RSRC2:TRAP_HANDLER: 0
; COMPUTE_PGM_RSRC2:TGID_X_EN: 1
; COMPUTE_PGM_RSRC2:TGID_Y_EN: 0
; COMPUTE_PGM_RSRC2:TGID_Z_EN: 0
; COMPUTE_PGM_RSRC2:TIDIG_COMP_CNT: 0
	.section	.text._ZN9rocsolver6v33100L18getri_kernel_smallILi59EfPfEEvT1_iilPiilS4_bb,"axG",@progbits,_ZN9rocsolver6v33100L18getri_kernel_smallILi59EfPfEEvT1_iilPiilS4_bb,comdat
	.globl	_ZN9rocsolver6v33100L18getri_kernel_smallILi59EfPfEEvT1_iilPiilS4_bb ; -- Begin function _ZN9rocsolver6v33100L18getri_kernel_smallILi59EfPfEEvT1_iilPiilS4_bb
	.p2align	8
	.type	_ZN9rocsolver6v33100L18getri_kernel_smallILi59EfPfEEvT1_iilPiilS4_bb,@function
_ZN9rocsolver6v33100L18getri_kernel_smallILi59EfPfEEvT1_iilPiilS4_bb: ; @_ZN9rocsolver6v33100L18getri_kernel_smallILi59EfPfEEvT1_iilPiilS4_bb
; %bb.0:
	s_mov_b32 s2, exec_lo
	v_cmpx_gt_u32_e32 59, v0
	s_cbranch_execz .LBB58_244
; %bb.1:
	s_clause 0x2
	s_load_b32 s17, s[0:1], 0x38
	s_load_b128 s[8:11], s[0:1], 0x10
	s_load_b128 s[4:7], s[0:1], 0x28
	s_mov_b32 s14, s15
                                        ; implicit-def: $sgpr12_sgpr13
	s_waitcnt lgkmcnt(0)
	s_bitcmp1_b32 s17, 8
	s_cselect_b32 s16, -1, 0
	s_bfe_u32 s2, s17, 0x10008
	s_ashr_i32 s15, s15, 31
	s_cmp_eq_u32 s2, 0
	s_cbranch_scc1 .LBB58_3
; %bb.2:
	s_load_b32 s2, s[0:1], 0x20
	s_mul_i32 s3, s14, s5
	s_mul_hi_u32 s5, s14, s4
	s_mul_i32 s12, s15, s4
	s_add_i32 s3, s5, s3
	s_mul_i32 s4, s14, s4
	s_add_i32 s5, s3, s12
	s_delay_alu instid0(SALU_CYCLE_1)
	s_lshl_b64 s[4:5], s[4:5], 2
	s_waitcnt lgkmcnt(0)
	s_ashr_i32 s3, s2, 31
	s_add_u32 s4, s10, s4
	s_addc_u32 s5, s11, s5
	s_lshl_b64 s[2:3], s[2:3], 2
	s_delay_alu instid0(SALU_CYCLE_1)
	s_add_u32 s12, s4, s2
	s_addc_u32 s13, s5, s3
.LBB58_3:
	s_load_b128 s[0:3], s[0:1], 0x0
	s_mul_i32 s4, s14, s9
	s_mul_hi_u32 s5, s14, s8
	s_mul_i32 s9, s15, s8
	s_add_i32 s5, s5, s4
	s_mul_i32 s4, s14, s8
	s_add_i32 s5, s5, s9
	v_lshlrev_b32_e32 v121, 2, v0
	s_lshl_b64 s[4:5], s[4:5], 2
	s_waitcnt lgkmcnt(0)
	v_add3_u32 v1, s3, s3, v0
	s_ashr_i32 s9, s2, 31
	s_mov_b32 s8, s2
	s_add_u32 s2, s0, s4
	s_addc_u32 s4, s1, s5
	v_add_nc_u32_e32 v7, s3, v1
	s_lshl_b64 s[0:1], s[8:9], 2
	v_ashrrev_i32_e32 v2, 31, v1
	s_add_u32 s0, s2, s0
	s_addc_u32 s1, s4, s1
	v_add_nc_u32_e32 v9, s3, v7
	v_add_co_u32 v3, s2, s0, v121
	s_mov_b32 s10, s3
	s_ashr_i32 s11, s3, 31
	s_delay_alu instid0(VALU_DEP_2) | instskip(SKIP_3) | instid1(VALU_DEP_4)
	v_add_nc_u32_e32 v11, s3, v9
	v_add_co_ci_u32_e64 v4, null, s1, 0, s2
	v_ashrrev_i32_e32 v8, 31, v7
	v_lshlrev_b64 v[1:2], 2, v[1:2]
	v_add_nc_u32_e32 v13, s3, v11
	s_lshl_b64 s[4:5], s[10:11], 2
	v_ashrrev_i32_e32 v10, 31, v9
	v_add_co_u32 v5, vcc_lo, v3, s4
	s_delay_alu instid0(VALU_DEP_3) | instskip(SKIP_3) | instid1(VALU_DEP_4)
	v_add_nc_u32_e32 v15, s3, v13
	v_add_co_ci_u32_e32 v6, vcc_lo, s5, v4, vcc_lo
	v_lshlrev_b64 v[52:53], 2, v[7:8]
	v_add_co_u32 v7, vcc_lo, s0, v1
	v_add_nc_u32_e32 v17, s3, v15
	v_add_co_ci_u32_e32 v8, vcc_lo, s1, v2, vcc_lo
	v_lshlrev_b64 v[1:2], 2, v[9:10]
	v_ashrrev_i32_e32 v12, 31, v11
	s_delay_alu instid0(VALU_DEP_4) | instskip(SKIP_3) | instid1(VALU_DEP_4)
	v_add_nc_u32_e32 v19, s3, v17
	v_add_co_u32 v9, vcc_lo, s0, v52
	v_ashrrev_i32_e32 v14, 31, v13
	v_add_co_ci_u32_e32 v10, vcc_lo, s1, v53, vcc_lo
	v_add_nc_u32_e32 v21, s3, v19
	v_lshlrev_b64 v[52:53], 2, v[11:12]
	v_add_co_u32 v11, vcc_lo, s0, v1
	v_add_co_ci_u32_e32 v12, vcc_lo, s1, v2, vcc_lo
	s_delay_alu instid0(VALU_DEP_4) | instskip(SKIP_3) | instid1(VALU_DEP_4)
	v_add_nc_u32_e32 v23, s3, v21
	v_lshlrev_b64 v[1:2], 2, v[13:14]
	v_ashrrev_i32_e32 v16, 31, v15
	v_add_co_u32 v13, vcc_lo, s0, v52
	v_add_nc_u32_e32 v25, s3, v23
	v_ashrrev_i32_e32 v18, 31, v17
	v_add_co_ci_u32_e32 v14, vcc_lo, s1, v53, vcc_lo
	v_lshlrev_b64 v[52:53], 2, v[15:16]
	s_delay_alu instid0(VALU_DEP_4) | instskip(SKIP_2) | instid1(VALU_DEP_3)
	v_add_nc_u32_e32 v27, s3, v25
	v_add_co_u32 v15, vcc_lo, s0, v1
	v_add_co_ci_u32_e32 v16, vcc_lo, s1, v2, vcc_lo
	v_add_nc_u32_e32 v29, s3, v27
	v_lshlrev_b64 v[1:2], 2, v[17:18]
	v_ashrrev_i32_e32 v20, 31, v19
	v_add_co_u32 v17, vcc_lo, s0, v52
	s_delay_alu instid0(VALU_DEP_4) | instskip(SKIP_3) | instid1(VALU_DEP_4)
	v_add_nc_u32_e32 v31, s3, v29
	v_ashrrev_i32_e32 v22, 31, v21
	v_add_co_ci_u32_e32 v18, vcc_lo, s1, v53, vcc_lo
	v_lshlrev_b64 v[52:53], 2, v[19:20]
	v_add_nc_u32_e32 v33, s3, v31
	v_add_co_u32 v19, vcc_lo, s0, v1
	v_add_co_ci_u32_e32 v20, vcc_lo, s1, v2, vcc_lo
	s_delay_alu instid0(VALU_DEP_3) | instskip(SKIP_3) | instid1(VALU_DEP_4)
	v_add_nc_u32_e32 v35, s3, v33
	v_lshlrev_b64 v[1:2], 2, v[21:22]
	v_ashrrev_i32_e32 v24, 31, v23
	v_add_co_u32 v21, vcc_lo, s0, v52
	v_add_nc_u32_e32 v37, s3, v35
	v_ashrrev_i32_e32 v26, 31, v25
	v_add_co_ci_u32_e32 v22, vcc_lo, s1, v53, vcc_lo
	v_lshlrev_b64 v[52:53], 2, v[23:24]
	s_delay_alu instid0(VALU_DEP_4) | instskip(SKIP_2) | instid1(VALU_DEP_3)
	v_add_nc_u32_e32 v39, s3, v37
	v_add_co_u32 v23, vcc_lo, s0, v1
	v_add_co_ci_u32_e32 v24, vcc_lo, s1, v2, vcc_lo
	v_add_nc_u32_e32 v41, s3, v39
	v_lshlrev_b64 v[1:2], 2, v[25:26]
	v_ashrrev_i32_e32 v28, 31, v27
	v_add_co_u32 v25, vcc_lo, s0, v52
	s_delay_alu instid0(VALU_DEP_4) | instskip(SKIP_3) | instid1(VALU_DEP_4)
	v_add_nc_u32_e32 v43, s3, v41
	v_ashrrev_i32_e32 v30, 31, v29
	v_add_co_ci_u32_e32 v26, vcc_lo, s1, v53, vcc_lo
	v_lshlrev_b64 v[52:53], 2, v[27:28]
	v_add_nc_u32_e32 v45, s3, v43
	v_add_co_u32 v27, vcc_lo, s0, v1
	v_add_co_ci_u32_e32 v28, vcc_lo, s1, v2, vcc_lo
	s_delay_alu instid0(VALU_DEP_3) | instskip(SKIP_3) | instid1(VALU_DEP_4)
	v_add_nc_u32_e32 v47, s3, v45
	v_lshlrev_b64 v[1:2], 2, v[29:30]
	v_ashrrev_i32_e32 v32, 31, v31
	v_add_co_u32 v29, vcc_lo, s0, v52
	v_add_nc_u32_e32 v49, s3, v47
	v_ashrrev_i32_e32 v34, 31, v33
	v_add_co_ci_u32_e32 v30, vcc_lo, s1, v53, vcc_lo
	v_lshlrev_b64 v[52:53], 2, v[31:32]
	s_delay_alu instid0(VALU_DEP_4) | instskip(SKIP_2) | instid1(VALU_DEP_3)
	v_add_nc_u32_e32 v51, s3, v49
	v_add_co_u32 v31, vcc_lo, s0, v1
	v_add_co_ci_u32_e32 v32, vcc_lo, s1, v2, vcc_lo
	v_add_nc_u32_e32 v54, s3, v51
	v_lshlrev_b64 v[1:2], 2, v[33:34]
	v_ashrrev_i32_e32 v36, 31, v35
	v_add_co_u32 v33, vcc_lo, s0, v52
	s_delay_alu instid0(VALU_DEP_4) | instskip(SKIP_3) | instid1(VALU_DEP_4)
	v_add_nc_u32_e32 v56, s3, v54
	v_ashrrev_i32_e32 v38, 31, v37
	v_add_co_ci_u32_e32 v34, vcc_lo, s1, v53, vcc_lo
	v_lshlrev_b64 v[52:53], 2, v[35:36]
	v_add_nc_u32_e32 v58, s3, v56
	v_add_co_u32 v35, vcc_lo, s0, v1
	v_add_co_ci_u32_e32 v36, vcc_lo, s1, v2, vcc_lo
	s_delay_alu instid0(VALU_DEP_3) | instskip(SKIP_3) | instid1(VALU_DEP_4)
	v_add_nc_u32_e32 v60, s3, v58
	v_lshlrev_b64 v[1:2], 2, v[37:38]
	v_ashrrev_i32_e32 v40, 31, v39
	v_add_co_u32 v37, vcc_lo, s0, v52
	v_add_nc_u32_e32 v62, s3, v60
	v_ashrrev_i32_e32 v42, 31, v41
	v_add_co_ci_u32_e32 v38, vcc_lo, s1, v53, vcc_lo
	v_lshlrev_b64 v[52:53], 2, v[39:40]
	s_delay_alu instid0(VALU_DEP_4) | instskip(SKIP_2) | instid1(VALU_DEP_3)
	v_add_nc_u32_e32 v64, s3, v62
	v_add_co_u32 v39, vcc_lo, s0, v1
	v_add_co_ci_u32_e32 v40, vcc_lo, s1, v2, vcc_lo
	v_add_nc_u32_e32 v66, s3, v64
	v_lshlrev_b64 v[1:2], 2, v[41:42]
	v_ashrrev_i32_e32 v44, 31, v43
	v_add_co_u32 v41, vcc_lo, s0, v52
	s_delay_alu instid0(VALU_DEP_4) | instskip(SKIP_3) | instid1(VALU_DEP_4)
	v_add_nc_u32_e32 v69, s3, v66
	v_ashrrev_i32_e32 v46, 31, v45
	v_add_co_ci_u32_e32 v42, vcc_lo, s1, v53, vcc_lo
	v_lshlrev_b64 v[52:53], 2, v[43:44]
	v_add_nc_u32_e32 v71, s3, v69
	v_add_co_u32 v43, vcc_lo, s0, v1
	v_add_co_ci_u32_e32 v44, vcc_lo, s1, v2, vcc_lo
	s_delay_alu instid0(VALU_DEP_3) | instskip(SKIP_3) | instid1(VALU_DEP_4)
	v_add_nc_u32_e32 v73, s3, v71
	v_lshlrev_b64 v[1:2], 2, v[45:46]
	v_ashrrev_i32_e32 v48, 31, v47
	v_add_co_u32 v45, vcc_lo, s0, v52
	v_add_nc_u32_e32 v75, s3, v73
	v_ashrrev_i32_e32 v50, 31, v49
	v_add_co_ci_u32_e32 v46, vcc_lo, s1, v53, vcc_lo
	v_lshlrev_b64 v[67:68], 2, v[47:48]
	s_delay_alu instid0(VALU_DEP_4) | instskip(SKIP_2) | instid1(VALU_DEP_3)
	v_add_nc_u32_e32 v77, s3, v75
	v_add_co_u32 v47, vcc_lo, s0, v1
	v_add_co_ci_u32_e32 v48, vcc_lo, s1, v2, vcc_lo
	v_add_nc_u32_e32 v79, s3, v77
	v_lshlrev_b64 v[1:2], 2, v[49:50]
	v_ashrrev_i32_e32 v52, 31, v51
	v_add_co_u32 v49, vcc_lo, s0, v67
	s_delay_alu instid0(VALU_DEP_4) | instskip(SKIP_3) | instid1(VALU_DEP_4)
	v_add_nc_u32_e32 v81, s3, v79
	v_ashrrev_i32_e32 v55, 31, v54
	v_add_co_ci_u32_e32 v50, vcc_lo, s1, v68, vcc_lo
	v_lshlrev_b64 v[67:68], 2, v[51:52]
	v_add_nc_u32_e32 v83, s3, v81
	v_add_co_u32 v51, vcc_lo, s0, v1
	v_add_co_ci_u32_e32 v52, vcc_lo, s1, v2, vcc_lo
	s_delay_alu instid0(VALU_DEP_3) | instskip(SKIP_3) | instid1(VALU_DEP_4)
	v_add_nc_u32_e32 v87, s3, v83
	v_lshlrev_b64 v[1:2], 2, v[54:55]
	v_ashrrev_i32_e32 v57, 31, v56
	v_add_co_u32 v53, vcc_lo, s0, v67
	v_add_nc_u32_e32 v89, s3, v87
	v_ashrrev_i32_e32 v59, 31, v58
	v_add_co_ci_u32_e32 v54, vcc_lo, s1, v68, vcc_lo
	v_lshlrev_b64 v[67:68], 2, v[56:57]
	s_delay_alu instid0(VALU_DEP_4) | instskip(SKIP_2) | instid1(VALU_DEP_3)
	v_add_nc_u32_e32 v91, s3, v89
	v_add_co_u32 v55, vcc_lo, s0, v1
	v_add_co_ci_u32_e32 v56, vcc_lo, s1, v2, vcc_lo
	v_add_nc_u32_e32 v93, s3, v91
	v_lshlrev_b64 v[1:2], 2, v[58:59]
	v_ashrrev_i32_e32 v61, 31, v60
	v_add_co_u32 v57, vcc_lo, s0, v67
	s_delay_alu instid0(VALU_DEP_4) | instskip(SKIP_3) | instid1(VALU_DEP_4)
	v_add_nc_u32_e32 v95, s3, v93
	v_ashrrev_i32_e32 v63, 31, v62
	v_add_co_ci_u32_e32 v58, vcc_lo, s1, v68, vcc_lo
	v_lshlrev_b64 v[67:68], 2, v[60:61]
	v_add_nc_u32_e32 v97, s3, v95
	v_add_co_u32 v59, vcc_lo, s0, v1
	v_ashrrev_i32_e32 v65, 31, v64
	v_add_co_ci_u32_e32 v60, vcc_lo, s1, v2, vcc_lo
	s_delay_alu instid0(VALU_DEP_4) | instskip(SKIP_3) | instid1(VALU_DEP_4)
	v_add_nc_u32_e32 v99, s3, v97
	v_lshlrev_b64 v[1:2], 2, v[62:63]
	v_add_co_u32 v61, vcc_lo, s0, v67
	v_lshlrev_b64 v[84:85], 2, v[64:65]
	v_add_nc_u32_e32 v101, s3, v99
	v_ashrrev_i32_e32 v67, 31, v66
	v_add_co_ci_u32_e32 v62, vcc_lo, s1, v68, vcc_lo
	v_add_co_u32 v63, vcc_lo, s0, v1
	s_delay_alu instid0(VALU_DEP_4) | instskip(SKIP_3) | instid1(VALU_DEP_4)
	v_add_nc_u32_e32 v103, s3, v101
	v_add_co_ci_u32_e32 v64, vcc_lo, s1, v2, vcc_lo
	v_lshlrev_b64 v[1:2], 2, v[66:67]
	v_ashrrev_i32_e32 v70, 31, v69
	v_add_nc_u32_e32 v105, s3, v103
	v_add_co_u32 v67, vcc_lo, s0, v84
	v_ashrrev_i32_e32 v72, 31, v71
	v_add_co_ci_u32_e32 v68, vcc_lo, s1, v85, vcc_lo
	s_delay_alu instid0(VALU_DEP_4) | instskip(SKIP_3) | instid1(VALU_DEP_4)
	v_add_nc_u32_e32 v107, s3, v105
	v_lshlrev_b64 v[84:85], 2, v[69:70]
	v_add_co_u32 v69, vcc_lo, s0, v1
	v_add_co_ci_u32_e32 v70, vcc_lo, s1, v2, vcc_lo
	v_add_nc_u32_e32 v109, s3, v107
	v_lshlrev_b64 v[1:2], 2, v[71:72]
	v_ashrrev_i32_e32 v74, 31, v73
	v_ashrrev_i32_e32 v76, 31, v75
	;; [unrolled: 1-line block ×3, first 2 shown]
	v_add_nc_u32_e32 v111, s3, v109
	v_ashrrev_i32_e32 v80, 31, v79
	v_ashrrev_i32_e32 v82, 31, v81
	v_ashrrev_i32_e32 v88, 31, v87
	v_ashrrev_i32_e32 v90, 31, v89
	v_add_nc_u32_e32 v113, s3, v111
	v_ashrrev_i32_e32 v92, 31, v91
	v_ashrrev_i32_e32 v94, 31, v93
	v_ashrrev_i32_e32 v96, 31, v95
	v_lshlrev_b64 v[89:90], 2, v[89:90]
	v_add_nc_u32_e32 v115, s3, v113
	v_ashrrev_i32_e32 v98, 31, v97
	v_lshlrev_b64 v[93:94], 2, v[93:94]
	v_ashrrev_i32_e32 v100, 31, v99
	v_ashrrev_i32_e32 v102, 31, v101
	v_add_nc_u32_e32 v117, s3, v115
	v_lshlrev_b64 v[97:98], 2, v[97:98]
	v_ashrrev_i32_e32 v104, 31, v103
	v_ashrrev_i32_e32 v106, 31, v105
	v_lshlrev_b64 v[101:102], 2, v[101:102]
	v_add_nc_u32_e32 v119, s3, v117
	v_ashrrev_i32_e32 v108, 31, v107
	v_ashrrev_i32_e32 v110, 31, v109
	v_lshlrev_b64 v[105:106], 2, v[105:106]
	v_ashrrev_i32_e32 v112, 31, v111
	v_add_nc_u32_e32 v65, s3, v119
	v_ashrrev_i32_e32 v114, 31, v113
	v_lshlrev_b64 v[109:110], 2, v[109:110]
	v_ashrrev_i32_e32 v116, 31, v115
	v_ashrrev_i32_e32 v118, 31, v117
	;; [unrolled: 1-line block ×3, first 2 shown]
	v_lshlrev_b64 v[113:114], 2, v[113:114]
	v_ashrrev_i32_e32 v120, 31, v119
	global_load_b32 v122, v121, s[0:1]
	v_lshlrev_b64 v[117:118], 2, v[117:118]
	v_lshlrev_b64 v[65:66], 2, v[65:66]
	s_clause 0x1f
	global_load_b32 v123, v[5:6], off
	global_load_b32 v124, v[7:8], off
	;; [unrolled: 1-line block ×32, first 2 shown]
	s_bitcmp0_b32 s17, 0
	v_add_co_u32 v65, vcc_lo, s0, v65
	v_add_co_ci_u32_e32 v66, vcc_lo, s1, v66, vcc_lo
	v_add_co_u32 v71, vcc_lo, s0, v84
	v_add_co_ci_u32_e32 v72, vcc_lo, s1, v85, vcc_lo
	v_lshlrev_b64 v[84:85], 2, v[73:74]
	v_add_co_u32 v73, vcc_lo, s0, v1
	v_add_co_ci_u32_e32 v74, vcc_lo, s1, v2, vcc_lo
	v_lshlrev_b64 v[1:2], 2, v[75:76]
	s_delay_alu instid0(VALU_DEP_4) | instskip(SKIP_2) | instid1(VALU_DEP_4)
	v_add_co_u32 v75, vcc_lo, s0, v84
	v_add_co_ci_u32_e32 v76, vcc_lo, s1, v85, vcc_lo
	v_lshlrev_b64 v[84:85], 2, v[77:78]
	v_add_co_u32 v77, vcc_lo, s0, v1
	v_add_co_ci_u32_e32 v78, vcc_lo, s1, v2, vcc_lo
	v_lshlrev_b64 v[1:2], 2, v[79:80]
	s_delay_alu instid0(VALU_DEP_4)
	v_add_co_u32 v79, vcc_lo, s0, v84
	v_ashrrev_i32_e32 v84, 31, v83
	v_add_co_ci_u32_e32 v80, vcc_lo, s1, v85, vcc_lo
	v_lshlrev_b64 v[85:86], 2, v[81:82]
	v_add_co_u32 v81, vcc_lo, s0, v1
	v_add_co_ci_u32_e32 v82, vcc_lo, s1, v2, vcc_lo
	v_lshlrev_b64 v[1:2], 2, v[83:84]
	s_delay_alu instid0(VALU_DEP_4) | instskip(SKIP_1) | instid1(VALU_DEP_3)
	v_add_co_u32 v83, vcc_lo, s0, v85
	v_add_co_ci_u32_e32 v84, vcc_lo, s1, v86, vcc_lo
	v_add_co_u32 v85, vcc_lo, s0, v1
	s_delay_alu instid0(VALU_DEP_4)
	v_add_co_ci_u32_e32 v86, vcc_lo, s1, v2, vcc_lo
	v_lshlrev_b64 v[1:2], 2, v[87:88]
	s_clause 0x7
	global_load_b32 v155, v[71:72], off
	global_load_b32 v156, v[73:74], off
	;; [unrolled: 1-line block ×8, first 2 shown]
	v_add_co_u32 v87, vcc_lo, s0, v1
	v_add_co_ci_u32_e32 v88, vcc_lo, s1, v2, vcc_lo
	v_lshlrev_b64 v[1:2], 2, v[91:92]
	v_add_co_u32 v89, vcc_lo, s0, v89
	v_add_co_ci_u32_e32 v90, vcc_lo, s1, v90, vcc_lo
	s_delay_alu instid0(VALU_DEP_3) | instskip(NEXT) | instid1(VALU_DEP_4)
	v_add_co_u32 v91, vcc_lo, s0, v1
	v_add_co_ci_u32_e32 v92, vcc_lo, s1, v2, vcc_lo
	v_lshlrev_b64 v[1:2], 2, v[95:96]
	v_add_co_u32 v93, vcc_lo, s0, v93
	v_add_co_ci_u32_e32 v94, vcc_lo, s1, v94, vcc_lo
	s_delay_alu instid0(VALU_DEP_3) | instskip(NEXT) | instid1(VALU_DEP_4)
	;; [unrolled: 6-line block ×3, first 2 shown]
	v_add_co_u32 v99, vcc_lo, s0, v1
	v_add_co_ci_u32_e32 v100, vcc_lo, s1, v2, vcc_lo
	v_lshlrev_b64 v[1:2], 2, v[103:104]
	v_add_co_u32 v101, vcc_lo, s0, v101
	v_add_co_ci_u32_e32 v102, vcc_lo, s1, v102, vcc_lo
	s_clause 0x7
	global_load_b32 v163, v[87:88], off
	global_load_b32 v164, v[89:90], off
	;; [unrolled: 1-line block ×8, first 2 shown]
	v_add_co_u32 v103, vcc_lo, s0, v1
	v_add_co_ci_u32_e32 v104, vcc_lo, s1, v2, vcc_lo
	v_lshlrev_b64 v[1:2], 2, v[107:108]
	v_add_co_u32 v105, vcc_lo, s0, v105
	v_add_co_ci_u32_e32 v106, vcc_lo, s1, v106, vcc_lo
	s_delay_alu instid0(VALU_DEP_3) | instskip(NEXT) | instid1(VALU_DEP_4)
	v_add_co_u32 v107, vcc_lo, s0, v1
	v_add_co_ci_u32_e32 v108, vcc_lo, s1, v2, vcc_lo
	v_lshlrev_b64 v[1:2], 2, v[111:112]
	v_add_co_u32 v109, vcc_lo, s0, v109
	v_add_co_ci_u32_e32 v110, vcc_lo, s1, v110, vcc_lo
	s_delay_alu instid0(VALU_DEP_3) | instskip(NEXT) | instid1(VALU_DEP_4)
	;; [unrolled: 6-line block ×4, first 2 shown]
	v_add_co_u32 v119, vcc_lo, s0, v1
	v_add_co_ci_u32_e32 v120, vcc_lo, s1, v2, vcc_lo
	s_clause 0x9
	global_load_b32 v171, v[103:104], off
	global_load_b32 v172, v[105:106], off
	;; [unrolled: 1-line block ×10, first 2 shown]
	s_mov_b32 s1, -1
	s_waitcnt vmcnt(55)
	scratch_store_b128 off, v[122:125], off
	s_waitcnt vmcnt(51)
	scratch_store_b128 off, v[126:129], off offset:16
	s_waitcnt vmcnt(47)
	scratch_store_b128 off, v[130:133], off offset:32
	;; [unrolled: 2-line block ×13, first 2 shown]
	s_waitcnt vmcnt(0)
	scratch_store_b96 off, v[178:180], off offset:224
	s_cbranch_scc1 .LBB58_242
; %bb.4:
	v_cmp_eq_u32_e64 s0, 0, v0
	s_delay_alu instid0(VALU_DEP_1)
	s_and_saveexec_b32 s1, s0
	s_cbranch_execz .LBB58_6
; %bb.5:
	v_mov_b32_e32 v1, 0
	ds_store_b32 v1, v1 offset:236
.LBB58_6:
	s_or_b32 exec_lo, exec_lo, s1
	s_waitcnt lgkmcnt(0)
	s_waitcnt_vscnt null, 0x0
	s_barrier
	buffer_gl0_inv
	scratch_load_b32 v1, v121, off
	s_mov_b32 s2, exec_lo
	s_waitcnt vmcnt(0)
	v_cmpx_eq_f32_e32 0, v1
	s_cbranch_execz .LBB58_10
; %bb.7:
	v_mov_b32_e32 v1, 0
	s_mov_b32 s3, 0
	ds_load_b32 v2, v1 offset:236
	s_waitcnt lgkmcnt(0)
	v_readfirstlane_b32 s1, v2
	v_add_nc_u32_e32 v2, 1, v0
	s_delay_alu instid0(VALU_DEP_2) | instskip(NEXT) | instid1(VALU_DEP_1)
	s_cmp_eq_u32 s1, 0
	v_cmp_gt_i32_e32 vcc_lo, s1, v2
	s_cselect_b32 s4, -1, 0
	s_delay_alu instid0(SALU_CYCLE_1) | instskip(NEXT) | instid1(SALU_CYCLE_1)
	s_or_b32 s4, s4, vcc_lo
	s_and_b32 exec_lo, exec_lo, s4
	s_cbranch_execz .LBB58_10
; %bb.8:
	v_mov_b32_e32 v122, s1
.LBB58_9:                               ; =>This Inner Loop Header: Depth=1
	ds_cmpstore_rtn_b32 v122, v1, v2, v122 offset:236
	s_waitcnt lgkmcnt(0)
	v_cmp_ne_u32_e32 vcc_lo, 0, v122
	v_cmp_le_i32_e64 s1, v122, v2
	s_delay_alu instid0(VALU_DEP_1) | instskip(NEXT) | instid1(SALU_CYCLE_1)
	s_and_b32 s1, vcc_lo, s1
	s_and_b32 s1, exec_lo, s1
	s_delay_alu instid0(SALU_CYCLE_1) | instskip(NEXT) | instid1(SALU_CYCLE_1)
	s_or_b32 s3, s1, s3
	s_and_not1_b32 exec_lo, exec_lo, s3
	s_cbranch_execnz .LBB58_9
.LBB58_10:
	s_or_b32 exec_lo, exec_lo, s2
	v_mov_b32_e32 v1, 0
	s_barrier
	buffer_gl0_inv
	ds_load_b32 v2, v1 offset:236
	s_and_saveexec_b32 s1, s0
	s_cbranch_execz .LBB58_12
; %bb.11:
	s_lshl_b64 s[2:3], s[14:15], 2
	s_delay_alu instid0(SALU_CYCLE_1)
	s_add_u32 s2, s6, s2
	s_addc_u32 s3, s7, s3
	s_waitcnt lgkmcnt(0)
	global_store_b32 v1, v2, s[2:3]
.LBB58_12:
	s_or_b32 exec_lo, exec_lo, s1
	s_waitcnt lgkmcnt(0)
	v_cmp_ne_u32_e32 vcc_lo, 0, v2
	s_mov_b32 s1, 0
	s_cbranch_vccnz .LBB58_242
; %bb.13:
	v_add_nc_u32_e32 v1, 0, v121
	scratch_load_b32 v2, v1, off
	s_waitcnt vmcnt(0)
	v_div_scale_f32 v122, null, v2, v2, 1.0
	v_div_scale_f32 v125, vcc_lo, 1.0, v2, 1.0
	s_delay_alu instid0(VALU_DEP_2) | instskip(SKIP_2) | instid1(VALU_DEP_1)
	v_rcp_f32_e32 v123, v122
	s_waitcnt_depctr 0xfff
	v_fma_f32 v124, -v122, v123, 1.0
	v_fmac_f32_e32 v123, v124, v123
	s_delay_alu instid0(VALU_DEP_1) | instskip(NEXT) | instid1(VALU_DEP_1)
	v_mul_f32_e32 v124, v125, v123
	v_fma_f32 v126, -v122, v124, v125
	s_delay_alu instid0(VALU_DEP_1) | instskip(NEXT) | instid1(VALU_DEP_1)
	v_fmac_f32_e32 v124, v126, v123
	v_fma_f32 v122, -v122, v124, v125
	s_delay_alu instid0(VALU_DEP_1) | instskip(NEXT) | instid1(VALU_DEP_1)
	v_div_fmas_f32 v122, v122, v123, v124
	v_div_fixup_f32 v2, v122, v2, 1.0
	scratch_store_b32 v1, v2, off
	scratch_load_b32 v122, off, off offset:4
	v_xor_b32_e32 v123, 0x80000000, v2
	v_add_nc_u32_e32 v2, 0xf0, v121
	s_waitcnt vmcnt(0)
	ds_store_2addr_b32 v121, v123, v122 offset1:60
	s_waitcnt lgkmcnt(0)
	s_waitcnt_vscnt null, 0x0
	s_barrier
	buffer_gl0_inv
	s_and_saveexec_b32 s1, s0
	s_cbranch_execz .LBB58_15
; %bb.14:
	scratch_load_b32 v122, v1, off
	ds_load_b32 v123, v2
	v_mov_b32_e32 v124, 0
	ds_load_b32 v124, v124 offset:4
	s_waitcnt vmcnt(0) lgkmcnt(1)
	v_fma_f32 v122, v122, v123, 0
	s_waitcnt lgkmcnt(0)
	s_delay_alu instid0(VALU_DEP_1)
	v_mul_f32_e32 v122, v122, v124
	scratch_store_b32 off, v122, off offset:4
.LBB58_15:
	s_or_b32 exec_lo, exec_lo, s1
	s_waitcnt_vscnt null, 0x0
	s_barrier
	buffer_gl0_inv
	scratch_load_b32 v122, off, off offset:8
	s_mov_b32 s1, exec_lo
	s_waitcnt vmcnt(0)
	ds_store_b32 v2, v122
	s_waitcnt lgkmcnt(0)
	s_barrier
	buffer_gl0_inv
	v_cmpx_gt_u32_e32 2, v0
	s_cbranch_execz .LBB58_17
; %bb.16:
	scratch_load_b32 v124, v1, off
	scratch_load_b32 v125, off, off offset:4
	ds_load_b32 v126, v2
	v_mov_b32_e32 v122, 0
	ds_load_2addr_b32 v[122:123], v122 offset0:2 offset1:61
	s_waitcnt vmcnt(1) lgkmcnt(1)
	v_fma_f32 v124, v124, v126, 0
	s_waitcnt vmcnt(0) lgkmcnt(0)
	s_delay_alu instid0(VALU_DEP_1) | instskip(NEXT) | instid1(VALU_DEP_1)
	v_fma_f32 v123, v125, v123, v124
	v_cndmask_b32_e64 v123, v124, v123, s0
	s_delay_alu instid0(VALU_DEP_1)
	v_mul_f32_e32 v122, v123, v122
	scratch_store_b32 off, v122, off offset:8
.LBB58_17:
	s_or_b32 exec_lo, exec_lo, s1
	s_waitcnt_vscnt null, 0x0
	s_barrier
	buffer_gl0_inv
	scratch_load_b32 v123, off, off offset:12
	v_add_nc_u32_e32 v122, -1, v0
	s_mov_b32 s0, exec_lo
	s_waitcnt vmcnt(0)
	ds_store_b32 v2, v123
	s_waitcnt lgkmcnt(0)
	s_barrier
	buffer_gl0_inv
	v_cmpx_gt_u32_e32 3, v0
	s_cbranch_execz .LBB58_21
; %bb.18:
	v_dual_mov_b32 v123, 0 :: v_dual_add_nc_u32 v124, -1, v0
	v_add_nc_u32_e32 v125, 0xf0, v121
	v_add_nc_u32_e32 v126, 0, v121
	s_mov_b32 s1, 0
.LBB58_19:                              ; =>This Inner Loop Header: Depth=1
	scratch_load_b32 v127, v126, off
	ds_load_b32 v128, v125
	v_add_nc_u32_e32 v124, 1, v124
	v_add_nc_u32_e32 v125, 4, v125
	v_add_nc_u32_e32 v126, 4, v126
	s_delay_alu instid0(VALU_DEP_3)
	v_cmp_lt_u32_e32 vcc_lo, 1, v124
	s_or_b32 s1, vcc_lo, s1
	s_waitcnt vmcnt(0) lgkmcnt(0)
	v_fmac_f32_e32 v123, v127, v128
	s_and_not1_b32 exec_lo, exec_lo, s1
	s_cbranch_execnz .LBB58_19
; %bb.20:
	s_or_b32 exec_lo, exec_lo, s1
	v_mov_b32_e32 v124, 0
	ds_load_b32 v124, v124 offset:12
	s_waitcnt lgkmcnt(0)
	v_mul_f32_e32 v123, v123, v124
	scratch_store_b32 off, v123, off offset:12
.LBB58_21:
	s_or_b32 exec_lo, exec_lo, s0
	s_waitcnt_vscnt null, 0x0
	s_barrier
	buffer_gl0_inv
	scratch_load_b32 v123, off, off offset:16
	s_mov_b32 s0, exec_lo
	s_waitcnt vmcnt(0)
	ds_store_b32 v2, v123
	s_waitcnt lgkmcnt(0)
	s_barrier
	buffer_gl0_inv
	v_cmpx_gt_u32_e32 4, v0
	s_cbranch_execz .LBB58_25
; %bb.22:
	v_dual_mov_b32 v123, 0 :: v_dual_add_nc_u32 v124, -1, v0
	v_add_nc_u32_e32 v125, 0xf0, v121
	v_add_nc_u32_e32 v126, 0, v121
	s_mov_b32 s1, 0
.LBB58_23:                              ; =>This Inner Loop Header: Depth=1
	scratch_load_b32 v127, v126, off
	ds_load_b32 v128, v125
	v_add_nc_u32_e32 v124, 1, v124
	v_add_nc_u32_e32 v125, 4, v125
	v_add_nc_u32_e32 v126, 4, v126
	s_delay_alu instid0(VALU_DEP_3)
	v_cmp_lt_u32_e32 vcc_lo, 2, v124
	s_or_b32 s1, vcc_lo, s1
	s_waitcnt vmcnt(0) lgkmcnt(0)
	v_fmac_f32_e32 v123, v127, v128
	s_and_not1_b32 exec_lo, exec_lo, s1
	s_cbranch_execnz .LBB58_23
; %bb.24:
	s_or_b32 exec_lo, exec_lo, s1
	v_mov_b32_e32 v124, 0
	ds_load_b32 v124, v124 offset:16
	s_waitcnt lgkmcnt(0)
	v_mul_f32_e32 v123, v123, v124
	scratch_store_b32 off, v123, off offset:16
.LBB58_25:
	s_or_b32 exec_lo, exec_lo, s0
	s_waitcnt_vscnt null, 0x0
	s_barrier
	buffer_gl0_inv
	scratch_load_b32 v123, off, off offset:20
	;; [unrolled: 39-line block ×21, first 2 shown]
	s_mov_b32 s0, exec_lo
	s_waitcnt vmcnt(0)
	ds_store_b32 v2, v123
	s_waitcnt lgkmcnt(0)
	s_barrier
	buffer_gl0_inv
	v_cmpx_gt_u32_e32 24, v0
	s_cbranch_execz .LBB58_105
; %bb.102:
	v_dual_mov_b32 v123, 0 :: v_dual_add_nc_u32 v124, -1, v0
	v_add_nc_u32_e32 v125, 0xf0, v121
	v_add_nc_u32_e32 v126, 0, v121
	s_mov_b32 s1, 0
.LBB58_103:                             ; =>This Inner Loop Header: Depth=1
	scratch_load_b32 v127, v126, off
	ds_load_b32 v128, v125
	v_add_nc_u32_e32 v124, 1, v124
	v_add_nc_u32_e32 v125, 4, v125
	v_add_nc_u32_e32 v126, 4, v126
	s_delay_alu instid0(VALU_DEP_3)
	v_cmp_lt_u32_e32 vcc_lo, 22, v124
	s_or_b32 s1, vcc_lo, s1
	s_waitcnt vmcnt(0) lgkmcnt(0)
	v_fmac_f32_e32 v123, v127, v128
	s_and_not1_b32 exec_lo, exec_lo, s1
	s_cbranch_execnz .LBB58_103
; %bb.104:
	s_or_b32 exec_lo, exec_lo, s1
	v_mov_b32_e32 v124, 0
	ds_load_b32 v124, v124 offset:96
	s_waitcnt lgkmcnt(0)
	v_mul_f32_e32 v123, v123, v124
	scratch_store_b32 off, v123, off offset:96
.LBB58_105:
	s_or_b32 exec_lo, exec_lo, s0
	s_waitcnt_vscnt null, 0x0
	s_barrier
	buffer_gl0_inv
	scratch_load_b32 v123, off, off offset:100
	s_mov_b32 s0, exec_lo
	s_waitcnt vmcnt(0)
	ds_store_b32 v2, v123
	s_waitcnt lgkmcnt(0)
	s_barrier
	buffer_gl0_inv
	v_cmpx_gt_u32_e32 25, v0
	s_cbranch_execz .LBB58_109
; %bb.106:
	v_dual_mov_b32 v123, 0 :: v_dual_add_nc_u32 v124, -1, v0
	v_add_nc_u32_e32 v125, 0xf0, v121
	v_add_nc_u32_e32 v126, 0, v121
	s_mov_b32 s1, 0
.LBB58_107:                             ; =>This Inner Loop Header: Depth=1
	scratch_load_b32 v127, v126, off
	ds_load_b32 v128, v125
	v_add_nc_u32_e32 v124, 1, v124
	v_add_nc_u32_e32 v125, 4, v125
	v_add_nc_u32_e32 v126, 4, v126
	s_delay_alu instid0(VALU_DEP_3)
	v_cmp_lt_u32_e32 vcc_lo, 23, v124
	s_or_b32 s1, vcc_lo, s1
	s_waitcnt vmcnt(0) lgkmcnt(0)
	v_fmac_f32_e32 v123, v127, v128
	s_and_not1_b32 exec_lo, exec_lo, s1
	s_cbranch_execnz .LBB58_107
; %bb.108:
	s_or_b32 exec_lo, exec_lo, s1
	v_mov_b32_e32 v124, 0
	ds_load_b32 v124, v124 offset:100
	s_waitcnt lgkmcnt(0)
	v_mul_f32_e32 v123, v123, v124
	scratch_store_b32 off, v123, off offset:100
.LBB58_109:
	s_or_b32 exec_lo, exec_lo, s0
	s_waitcnt_vscnt null, 0x0
	s_barrier
	buffer_gl0_inv
	scratch_load_b32 v123, off, off offset:104
	;; [unrolled: 39-line block ×33, first 2 shown]
	s_mov_b32 s0, exec_lo
	s_waitcnt vmcnt(0)
	ds_store_b32 v2, v123
	s_waitcnt lgkmcnt(0)
	s_barrier
	buffer_gl0_inv
	v_cmpx_gt_u32_e32 57, v0
	s_cbranch_execz .LBB58_237
; %bb.234:
	v_add_nc_u32_e32 v123, -1, v0
	v_add_nc_u32_e32 v124, 0xf0, v121
	v_add_nc_u32_e32 v125, 0, v121
	v_mov_b32_e32 v121, 0
	s_mov_b32 s1, 0
.LBB58_235:                             ; =>This Inner Loop Header: Depth=1
	scratch_load_b32 v126, v125, off
	ds_load_b32 v127, v124
	v_add_nc_u32_e32 v123, 1, v123
	v_add_nc_u32_e32 v124, 4, v124
	;; [unrolled: 1-line block ×3, first 2 shown]
	s_delay_alu instid0(VALU_DEP_3)
	v_cmp_lt_u32_e32 vcc_lo, 55, v123
	s_or_b32 s1, vcc_lo, s1
	s_waitcnt vmcnt(0) lgkmcnt(0)
	v_fmac_f32_e32 v121, v126, v127
	s_and_not1_b32 exec_lo, exec_lo, s1
	s_cbranch_execnz .LBB58_235
; %bb.236:
	s_or_b32 exec_lo, exec_lo, s1
	v_mov_b32_e32 v123, 0
	ds_load_b32 v123, v123 offset:228
	s_waitcnt lgkmcnt(0)
	v_mul_f32_e32 v121, v121, v123
	scratch_store_b32 off, v121, off offset:228
.LBB58_237:
	s_or_b32 exec_lo, exec_lo, s0
	s_waitcnt_vscnt null, 0x0
	s_barrier
	buffer_gl0_inv
	scratch_load_b32 v121, off, off offset:232
	s_mov_b32 s0, exec_lo
	s_waitcnt vmcnt(0)
	ds_store_b32 v2, v121
	s_waitcnt lgkmcnt(0)
	s_barrier
	buffer_gl0_inv
	v_cmpx_ne_u32_e32 58, v0
	s_cbranch_execz .LBB58_241
; %bb.238:
	v_mov_b32_e32 v121, 0
	s_mov_b32 s1, 0
.LBB58_239:                             ; =>This Inner Loop Header: Depth=1
	scratch_load_b32 v123, v1, off
	ds_load_b32 v124, v2
	v_add_nc_u32_e32 v122, 1, v122
	v_add_nc_u32_e32 v2, 4, v2
	;; [unrolled: 1-line block ×3, first 2 shown]
	s_waitcnt vmcnt(0) lgkmcnt(0)
	v_fmac_f32_e32 v121, v123, v124
	v_cmp_lt_u32_e32 vcc_lo, 56, v122
	s_or_b32 s1, vcc_lo, s1
	s_delay_alu instid0(SALU_CYCLE_1)
	s_and_not1_b32 exec_lo, exec_lo, s1
	s_cbranch_execnz .LBB58_239
; %bb.240:
	s_or_b32 exec_lo, exec_lo, s1
	v_mov_b32_e32 v1, 0
	ds_load_b32 v1, v1 offset:232
	s_waitcnt lgkmcnt(0)
	v_mul_f32_e32 v1, v121, v1
	scratch_store_b32 off, v1, off offset:232
.LBB58_241:
	s_or_b32 exec_lo, exec_lo, s0
	s_mov_b32 s1, -1
	s_waitcnt_vscnt null, 0x0
	s_barrier
	buffer_gl0_inv
.LBB58_242:
	s_and_b32 vcc_lo, exec_lo, s1
	s_cbranch_vccz .LBB58_244
; %bb.243:
	s_lshl_b64 s[0:1], s[14:15], 2
	v_mov_b32_e32 v1, 0
	s_add_u32 s0, s6, s0
	s_addc_u32 s1, s7, s1
	global_load_b32 v1, v1, s[0:1]
	s_waitcnt vmcnt(0)
	v_cmp_ne_u32_e32 vcc_lo, 0, v1
	s_cbranch_vccz .LBB58_245
.LBB58_244:
	s_endpgm
.LBB58_245:
	v_lshl_add_u32 v1, v0, 2, 0xf0
	s_mov_b32 s0, exec_lo
	v_cmpx_eq_u32_e32 58, v0
	s_cbranch_execz .LBB58_247
; %bb.246:
	scratch_load_b32 v2, off, off offset:228
	v_mov_b32_e32 v121, 0
	scratch_store_b32 off, v121, off offset:228
	s_waitcnt vmcnt(0)
	ds_store_b32 v1, v2
.LBB58_247:
	s_or_b32 exec_lo, exec_lo, s0
	s_waitcnt lgkmcnt(0)
	s_waitcnt_vscnt null, 0x0
	s_barrier
	buffer_gl0_inv
	scratch_load_b64 v[121:122], off, off offset:228
	v_mov_b32_e32 v2, 0
	s_mov_b32 s0, exec_lo
	ds_load_b32 v123, v2 offset:472
	s_waitcnt vmcnt(0) lgkmcnt(0)
	v_fma_f32 v122, v122, v123, 0
	s_delay_alu instid0(VALU_DEP_1)
	v_sub_f32_e32 v121, v121, v122
	scratch_store_b32 off, v121, off offset:228
	v_cmpx_lt_u32_e32 56, v0
	s_cbranch_execz .LBB58_249
; %bb.248:
	scratch_load_b32 v121, off, off offset:224
	scratch_store_b32 off, v2, off offset:224
	s_waitcnt vmcnt(0)
	ds_store_b32 v1, v121
.LBB58_249:
	s_or_b32 exec_lo, exec_lo, s0
	s_waitcnt lgkmcnt(0)
	s_waitcnt_vscnt null, 0x0
	s_barrier
	buffer_gl0_inv
	scratch_load_b96 v[121:123], off, off offset:224
	ds_load_2addr_b32 v[124:125], v2 offset0:117 offset1:118
	s_mov_b32 s0, exec_lo
	s_waitcnt vmcnt(0) lgkmcnt(0)
	v_fma_f32 v2, v122, v124, 0
	s_delay_alu instid0(VALU_DEP_1) | instskip(NEXT) | instid1(VALU_DEP_1)
	v_fmac_f32_e32 v2, v123, v125
	v_sub_f32_e32 v2, v121, v2
	scratch_store_b32 off, v2, off offset:224
	v_cmpx_lt_u32_e32 55, v0
	s_cbranch_execz .LBB58_251
; %bb.250:
	scratch_load_b32 v2, off, off offset:220
	v_mov_b32_e32 v121, 0
	scratch_store_b32 off, v121, off offset:220
	s_waitcnt vmcnt(0)
	ds_store_b32 v1, v2
.LBB58_251:
	s_or_b32 exec_lo, exec_lo, s0
	s_waitcnt lgkmcnt(0)
	s_waitcnt_vscnt null, 0x0
	s_barrier
	buffer_gl0_inv
	scratch_load_b128 v[121:124], off, off offset:220
	v_mov_b32_e32 v2, 0
	s_mov_b32 s0, exec_lo
	ds_load_b96 v[125:127], v2 offset:464
	s_waitcnt vmcnt(0) lgkmcnt(0)
	v_fma_f32 v122, v122, v125, 0
	s_delay_alu instid0(VALU_DEP_1) | instskip(NEXT) | instid1(VALU_DEP_1)
	v_fmac_f32_e32 v122, v123, v126
	v_fmac_f32_e32 v122, v124, v127
	s_delay_alu instid0(VALU_DEP_1)
	v_sub_f32_e32 v121, v121, v122
	scratch_store_b32 off, v121, off offset:220
	v_cmpx_lt_u32_e32 54, v0
	s_cbranch_execz .LBB58_253
; %bb.252:
	scratch_load_b32 v121, off, off offset:216
	scratch_store_b32 off, v2, off offset:216
	s_waitcnt vmcnt(0)
	ds_store_b32 v1, v121
.LBB58_253:
	s_or_b32 exec_lo, exec_lo, s0
	s_waitcnt lgkmcnt(0)
	s_waitcnt_vscnt null, 0x0
	s_barrier
	buffer_gl0_inv
	s_clause 0x1
	scratch_load_b128 v[121:124], off, off offset:216
	scratch_load_b32 v129, off, off offset:232
	ds_load_2addr_b32 v[125:126], v2 offset0:115 offset1:116
	ds_load_2addr_b32 v[127:128], v2 offset0:117 offset1:118
	s_mov_b32 s0, exec_lo
	s_waitcnt vmcnt(1) lgkmcnt(1)
	v_fma_f32 v2, v122, v125, 0
	s_delay_alu instid0(VALU_DEP_1) | instskip(SKIP_1) | instid1(VALU_DEP_1)
	v_fmac_f32_e32 v2, v123, v126
	s_waitcnt lgkmcnt(0)
	v_fmac_f32_e32 v2, v124, v127
	s_waitcnt vmcnt(0)
	s_delay_alu instid0(VALU_DEP_1) | instskip(NEXT) | instid1(VALU_DEP_1)
	v_fmac_f32_e32 v2, v129, v128
	v_sub_f32_e32 v2, v121, v2
	scratch_store_b32 off, v2, off offset:216
	v_cmpx_lt_u32_e32 53, v0
	s_cbranch_execz .LBB58_255
; %bb.254:
	scratch_load_b32 v2, off, off offset:212
	v_mov_b32_e32 v121, 0
	scratch_store_b32 off, v121, off offset:212
	s_waitcnt vmcnt(0)
	ds_store_b32 v1, v2
.LBB58_255:
	s_or_b32 exec_lo, exec_lo, s0
	s_waitcnt lgkmcnt(0)
	s_waitcnt_vscnt null, 0x0
	s_barrier
	buffer_gl0_inv
	s_clause 0x1
	scratch_load_b128 v[121:124], off, off offset:212
	scratch_load_b64 v[129:130], off, off offset:228
	v_mov_b32_e32 v2, 0
	ds_load_2addr_b64 v[125:128], v2 offset0:57 offset1:58
	ds_load_b32 v131, v2 offset:472
	s_mov_b32 s0, exec_lo
	s_waitcnt vmcnt(1) lgkmcnt(1)
	v_fma_f32 v122, v122, v125, 0
	s_delay_alu instid0(VALU_DEP_1) | instskip(NEXT) | instid1(VALU_DEP_1)
	v_fmac_f32_e32 v122, v123, v126
	v_fmac_f32_e32 v122, v124, v127
	s_waitcnt vmcnt(0)
	s_delay_alu instid0(VALU_DEP_1) | instskip(SKIP_1) | instid1(VALU_DEP_1)
	v_fmac_f32_e32 v122, v129, v128
	s_waitcnt lgkmcnt(0)
	v_fmac_f32_e32 v122, v130, v131
	s_delay_alu instid0(VALU_DEP_1)
	v_sub_f32_e32 v121, v121, v122
	scratch_store_b32 off, v121, off offset:212
	v_cmpx_lt_u32_e32 52, v0
	s_cbranch_execz .LBB58_257
; %bb.256:
	scratch_load_b32 v121, off, off offset:208
	scratch_store_b32 off, v2, off offset:208
	s_waitcnt vmcnt(0)
	ds_store_b32 v1, v121
.LBB58_257:
	s_or_b32 exec_lo, exec_lo, s0
	s_waitcnt lgkmcnt(0)
	s_waitcnt_vscnt null, 0x0
	s_barrier
	buffer_gl0_inv
	s_clause 0x1
	scratch_load_b128 v[121:124], off, off offset:208
	scratch_load_b96 v[125:127], off, off offset:224
	ds_load_2addr_b32 v[128:129], v2 offset0:113 offset1:114
	ds_load_2addr_b32 v[130:131], v2 offset0:115 offset1:116
	;; [unrolled: 1-line block ×3, first 2 shown]
	s_mov_b32 s0, exec_lo
	s_waitcnt vmcnt(1) lgkmcnt(2)
	v_fma_f32 v2, v122, v128, 0
	s_delay_alu instid0(VALU_DEP_1) | instskip(SKIP_1) | instid1(VALU_DEP_1)
	v_fmac_f32_e32 v2, v123, v129
	s_waitcnt lgkmcnt(1)
	v_fmac_f32_e32 v2, v124, v130
	s_waitcnt vmcnt(0)
	s_delay_alu instid0(VALU_DEP_1) | instskip(SKIP_1) | instid1(VALU_DEP_1)
	v_fmac_f32_e32 v2, v125, v131
	s_waitcnt lgkmcnt(0)
	v_fmac_f32_e32 v2, v126, v132
	s_delay_alu instid0(VALU_DEP_1) | instskip(NEXT) | instid1(VALU_DEP_1)
	v_fmac_f32_e32 v2, v127, v133
	v_sub_f32_e32 v2, v121, v2
	scratch_store_b32 off, v2, off offset:208
	v_cmpx_lt_u32_e32 51, v0
	s_cbranch_execz .LBB58_259
; %bb.258:
	scratch_load_b32 v2, off, off offset:204
	v_mov_b32_e32 v121, 0
	scratch_store_b32 off, v121, off offset:204
	s_waitcnt vmcnt(0)
	ds_store_b32 v1, v2
.LBB58_259:
	s_or_b32 exec_lo, exec_lo, s0
	s_waitcnt lgkmcnt(0)
	s_waitcnt_vscnt null, 0x0
	s_barrier
	buffer_gl0_inv
	s_clause 0x1
	scratch_load_b128 v[121:124], off, off offset:204
	scratch_load_b128 v[125:128], off, off offset:220
	v_mov_b32_e32 v2, 0
	ds_load_b128 v[129:132], v2 offset:448
	ds_load_b96 v[133:135], v2 offset:464
	s_mov_b32 s0, exec_lo
	s_waitcnt vmcnt(1) lgkmcnt(1)
	v_fma_f32 v122, v122, v129, 0
	s_delay_alu instid0(VALU_DEP_1) | instskip(NEXT) | instid1(VALU_DEP_1)
	v_fmac_f32_e32 v122, v123, v130
	v_fmac_f32_e32 v122, v124, v131
	s_waitcnt vmcnt(0)
	s_delay_alu instid0(VALU_DEP_1) | instskip(SKIP_1) | instid1(VALU_DEP_1)
	v_fmac_f32_e32 v122, v125, v132
	s_waitcnt lgkmcnt(0)
	v_fmac_f32_e32 v122, v126, v133
	s_delay_alu instid0(VALU_DEP_1) | instskip(NEXT) | instid1(VALU_DEP_1)
	v_fmac_f32_e32 v122, v127, v134
	v_fmac_f32_e32 v122, v128, v135
	s_delay_alu instid0(VALU_DEP_1)
	v_sub_f32_e32 v121, v121, v122
	scratch_store_b32 off, v121, off offset:204
	v_cmpx_lt_u32_e32 50, v0
	s_cbranch_execz .LBB58_261
; %bb.260:
	scratch_load_b32 v121, off, off offset:200
	scratch_store_b32 off, v2, off offset:200
	s_waitcnt vmcnt(0)
	ds_store_b32 v1, v121
.LBB58_261:
	s_or_b32 exec_lo, exec_lo, s0
	s_waitcnt lgkmcnt(0)
	s_waitcnt_vscnt null, 0x0
	s_barrier
	buffer_gl0_inv
	s_clause 0x2
	scratch_load_b128 v[121:124], off, off offset:200
	scratch_load_b128 v[125:128], off, off offset:216
	scratch_load_b32 v137, off, off offset:232
	ds_load_2addr_b32 v[129:130], v2 offset0:111 offset1:112
	ds_load_2addr_b32 v[131:132], v2 offset0:113 offset1:114
	;; [unrolled: 1-line block ×4, first 2 shown]
	s_mov_b32 s0, exec_lo
	s_waitcnt vmcnt(2) lgkmcnt(3)
	v_fma_f32 v2, v122, v129, 0
	s_delay_alu instid0(VALU_DEP_1) | instskip(SKIP_1) | instid1(VALU_DEP_1)
	v_fmac_f32_e32 v2, v123, v130
	s_waitcnt lgkmcnt(2)
	v_fmac_f32_e32 v2, v124, v131
	s_waitcnt vmcnt(1)
	s_delay_alu instid0(VALU_DEP_1) | instskip(SKIP_1) | instid1(VALU_DEP_1)
	v_fmac_f32_e32 v2, v125, v132
	s_waitcnt lgkmcnt(1)
	v_fmac_f32_e32 v2, v126, v133
	s_delay_alu instid0(VALU_DEP_1) | instskip(SKIP_1) | instid1(VALU_DEP_1)
	v_fmac_f32_e32 v2, v127, v134
	s_waitcnt lgkmcnt(0)
	v_fmac_f32_e32 v2, v128, v135
	s_waitcnt vmcnt(0)
	s_delay_alu instid0(VALU_DEP_1) | instskip(NEXT) | instid1(VALU_DEP_1)
	v_fmac_f32_e32 v2, v137, v136
	v_sub_f32_e32 v2, v121, v2
	scratch_store_b32 off, v2, off offset:200
	v_cmpx_lt_u32_e32 49, v0
	s_cbranch_execz .LBB58_263
; %bb.262:
	scratch_load_b32 v2, off, off offset:196
	v_mov_b32_e32 v121, 0
	scratch_store_b32 off, v121, off offset:196
	s_waitcnt vmcnt(0)
	ds_store_b32 v1, v2
.LBB58_263:
	s_or_b32 exec_lo, exec_lo, s0
	s_waitcnt lgkmcnt(0)
	s_waitcnt_vscnt null, 0x0
	s_barrier
	buffer_gl0_inv
	s_clause 0x2
	scratch_load_b128 v[121:124], off, off offset:196
	scratch_load_b128 v[125:128], off, off offset:212
	scratch_load_b64 v[137:138], off, off offset:228
	v_mov_b32_e32 v2, 0
	ds_load_2addr_b64 v[129:132], v2 offset0:55 offset1:56
	ds_load_2addr_b64 v[133:136], v2 offset0:57 offset1:58
	s_mov_b32 s0, exec_lo
	s_waitcnt vmcnt(2) lgkmcnt(1)
	v_fma_f32 v122, v122, v129, 0
	s_delay_alu instid0(VALU_DEP_1) | instskip(SKIP_3) | instid1(VALU_DEP_1)
	v_fmac_f32_e32 v122, v123, v130
	ds_load_b32 v123, v2 offset:472
	v_fmac_f32_e32 v122, v124, v131
	s_waitcnt vmcnt(1)
	v_fmac_f32_e32 v122, v125, v132
	s_waitcnt lgkmcnt(1)
	s_delay_alu instid0(VALU_DEP_1) | instskip(NEXT) | instid1(VALU_DEP_1)
	v_fmac_f32_e32 v122, v126, v133
	v_fmac_f32_e32 v122, v127, v134
	s_delay_alu instid0(VALU_DEP_1) | instskip(SKIP_1) | instid1(VALU_DEP_1)
	v_fmac_f32_e32 v122, v128, v135
	s_waitcnt vmcnt(0)
	v_fmac_f32_e32 v122, v137, v136
	s_waitcnt lgkmcnt(0)
	s_delay_alu instid0(VALU_DEP_1) | instskip(NEXT) | instid1(VALU_DEP_1)
	v_fmac_f32_e32 v122, v138, v123
	v_sub_f32_e32 v121, v121, v122
	scratch_store_b32 off, v121, off offset:196
	v_cmpx_lt_u32_e32 48, v0
	s_cbranch_execz .LBB58_265
; %bb.264:
	scratch_load_b32 v121, off, off offset:192
	scratch_store_b32 off, v2, off offset:192
	s_waitcnt vmcnt(0)
	ds_store_b32 v1, v121
.LBB58_265:
	s_or_b32 exec_lo, exec_lo, s0
	s_waitcnt lgkmcnt(0)
	s_waitcnt_vscnt null, 0x0
	s_barrier
	buffer_gl0_inv
	s_clause 0x2
	scratch_load_b128 v[121:124], off, off offset:192
	scratch_load_b128 v[125:128], off, off offset:208
	scratch_load_b96 v[129:131], off, off offset:224
	ds_load_2addr_b32 v[132:133], v2 offset0:109 offset1:110
	ds_load_2addr_b32 v[134:135], v2 offset0:111 offset1:112
	;; [unrolled: 1-line block ×4, first 2 shown]
	s_mov_b32 s0, exec_lo
	s_waitcnt vmcnt(2) lgkmcnt(3)
	v_fma_f32 v132, v122, v132, 0
	s_delay_alu instid0(VALU_DEP_1) | instskip(SKIP_4) | instid1(VALU_DEP_1)
	v_fmac_f32_e32 v132, v123, v133
	ds_load_2addr_b32 v[122:123], v2 offset0:117 offset1:118
	s_waitcnt lgkmcnt(3)
	v_fmac_f32_e32 v132, v124, v134
	s_waitcnt vmcnt(1)
	v_fmac_f32_e32 v132, v125, v135
	s_waitcnt lgkmcnt(2)
	s_delay_alu instid0(VALU_DEP_1) | instskip(NEXT) | instid1(VALU_DEP_1)
	v_fmac_f32_e32 v132, v126, v136
	v_fmac_f32_e32 v132, v127, v137
	s_waitcnt lgkmcnt(1)
	s_delay_alu instid0(VALU_DEP_1) | instskip(SKIP_1) | instid1(VALU_DEP_1)
	v_fmac_f32_e32 v132, v128, v138
	s_waitcnt vmcnt(0)
	v_fmac_f32_e32 v132, v129, v139
	s_waitcnt lgkmcnt(0)
	s_delay_alu instid0(VALU_DEP_1) | instskip(NEXT) | instid1(VALU_DEP_1)
	v_fmac_f32_e32 v132, v130, v122
	v_fmac_f32_e32 v132, v131, v123
	s_delay_alu instid0(VALU_DEP_1)
	v_sub_f32_e32 v2, v121, v132
	scratch_store_b32 off, v2, off offset:192
	v_cmpx_lt_u32_e32 47, v0
	s_cbranch_execz .LBB58_267
; %bb.266:
	scratch_load_b32 v2, off, off offset:188
	v_mov_b32_e32 v121, 0
	scratch_store_b32 off, v121, off offset:188
	s_waitcnt vmcnt(0)
	ds_store_b32 v1, v2
.LBB58_267:
	s_or_b32 exec_lo, exec_lo, s0
	s_waitcnt lgkmcnt(0)
	s_waitcnt_vscnt null, 0x0
	s_barrier
	buffer_gl0_inv
	s_clause 0x2
	scratch_load_b128 v[121:124], off, off offset:188
	scratch_load_b128 v[125:128], off, off offset:204
	;; [unrolled: 1-line block ×3, first 2 shown]
	v_mov_b32_e32 v2, 0
	ds_load_b128 v[133:136], v2 offset:432
	ds_load_b128 v[137:140], v2 offset:448
	s_mov_b32 s0, exec_lo
	s_waitcnt vmcnt(2) lgkmcnt(1)
	v_fma_f32 v133, v122, v133, 0
	s_delay_alu instid0(VALU_DEP_1) | instskip(NEXT) | instid1(VALU_DEP_1)
	v_fmac_f32_e32 v133, v123, v134
	v_fmac_f32_e32 v133, v124, v135
	ds_load_b96 v[122:124], v2 offset:464
	s_waitcnt vmcnt(1)
	v_fmac_f32_e32 v133, v125, v136
	s_waitcnt lgkmcnt(1)
	s_delay_alu instid0(VALU_DEP_1) | instskip(NEXT) | instid1(VALU_DEP_1)
	v_fmac_f32_e32 v133, v126, v137
	v_fmac_f32_e32 v133, v127, v138
	s_delay_alu instid0(VALU_DEP_1) | instskip(SKIP_1) | instid1(VALU_DEP_1)
	v_fmac_f32_e32 v133, v128, v139
	s_waitcnt vmcnt(0)
	v_fmac_f32_e32 v133, v129, v140
	s_waitcnt lgkmcnt(0)
	s_delay_alu instid0(VALU_DEP_1) | instskip(NEXT) | instid1(VALU_DEP_1)
	v_fmac_f32_e32 v133, v130, v122
	v_fmac_f32_e32 v133, v131, v123
	s_delay_alu instid0(VALU_DEP_1) | instskip(NEXT) | instid1(VALU_DEP_1)
	v_fmac_f32_e32 v133, v132, v124
	v_sub_f32_e32 v121, v121, v133
	scratch_store_b32 off, v121, off offset:188
	v_cmpx_lt_u32_e32 46, v0
	s_cbranch_execz .LBB58_269
; %bb.268:
	scratch_load_b32 v121, off, off offset:184
	scratch_store_b32 off, v2, off offset:184
	s_waitcnt vmcnt(0)
	ds_store_b32 v1, v121
.LBB58_269:
	s_or_b32 exec_lo, exec_lo, s0
	s_waitcnt lgkmcnt(0)
	s_waitcnt_vscnt null, 0x0
	s_barrier
	buffer_gl0_inv
	s_clause 0x3
	scratch_load_b128 v[121:124], off, off offset:184
	scratch_load_b128 v[125:128], off, off offset:200
	;; [unrolled: 1-line block ×3, first 2 shown]
	scratch_load_b32 v141, off, off offset:232
	ds_load_2addr_b32 v[133:134], v2 offset0:107 offset1:108
	ds_load_2addr_b32 v[135:136], v2 offset0:109 offset1:110
	;; [unrolled: 1-line block ×4, first 2 shown]
	s_mov_b32 s0, exec_lo
	s_waitcnt vmcnt(3) lgkmcnt(3)
	v_fma_f32 v133, v122, v133, 0
	s_delay_alu instid0(VALU_DEP_1) | instskip(SKIP_4) | instid1(VALU_DEP_1)
	v_fmac_f32_e32 v133, v123, v134
	ds_load_2addr_b32 v[122:123], v2 offset0:115 offset1:116
	s_waitcnt lgkmcnt(3)
	v_fmac_f32_e32 v133, v124, v135
	s_waitcnt vmcnt(2)
	v_fmac_f32_e32 v133, v125, v136
	ds_load_2addr_b32 v[124:125], v2 offset0:117 offset1:118
	s_waitcnt lgkmcnt(3)
	v_fmac_f32_e32 v133, v126, v137
	s_delay_alu instid0(VALU_DEP_1) | instskip(SKIP_1) | instid1(VALU_DEP_1)
	v_fmac_f32_e32 v133, v127, v138
	s_waitcnt lgkmcnt(2)
	v_fmac_f32_e32 v133, v128, v139
	s_waitcnt vmcnt(1)
	s_delay_alu instid0(VALU_DEP_1) | instskip(SKIP_1) | instid1(VALU_DEP_1)
	v_fmac_f32_e32 v133, v129, v140
	s_waitcnt lgkmcnt(1)
	v_fmac_f32_e32 v133, v130, v122
	s_delay_alu instid0(VALU_DEP_1) | instskip(SKIP_1) | instid1(VALU_DEP_1)
	v_fmac_f32_e32 v133, v131, v123
	s_waitcnt lgkmcnt(0)
	v_fmac_f32_e32 v133, v132, v124
	s_waitcnt vmcnt(0)
	s_delay_alu instid0(VALU_DEP_1) | instskip(NEXT) | instid1(VALU_DEP_1)
	v_fmac_f32_e32 v133, v141, v125
	v_sub_f32_e32 v2, v121, v133
	scratch_store_b32 off, v2, off offset:184
	v_cmpx_lt_u32_e32 45, v0
	s_cbranch_execz .LBB58_271
; %bb.270:
	scratch_load_b32 v2, off, off offset:180
	v_mov_b32_e32 v121, 0
	scratch_store_b32 off, v121, off offset:180
	s_waitcnt vmcnt(0)
	ds_store_b32 v1, v2
.LBB58_271:
	s_or_b32 exec_lo, exec_lo, s0
	s_waitcnt lgkmcnt(0)
	s_waitcnt_vscnt null, 0x0
	s_barrier
	buffer_gl0_inv
	s_clause 0x3
	scratch_load_b128 v[121:124], off, off offset:180
	scratch_load_b128 v[125:128], off, off offset:196
	;; [unrolled: 1-line block ×3, first 2 shown]
	scratch_load_b64 v[141:142], off, off offset:228
	v_mov_b32_e32 v2, 0
	ds_load_2addr_b64 v[133:136], v2 offset0:53 offset1:54
	ds_load_2addr_b64 v[137:140], v2 offset0:55 offset1:56
	s_mov_b32 s0, exec_lo
	s_waitcnt vmcnt(3) lgkmcnt(1)
	v_fma_f32 v133, v122, v133, 0
	s_delay_alu instid0(VALU_DEP_1) | instskip(NEXT) | instid1(VALU_DEP_1)
	v_fmac_f32_e32 v133, v123, v134
	v_fmac_f32_e32 v133, v124, v135
	s_waitcnt vmcnt(2)
	s_delay_alu instid0(VALU_DEP_1)
	v_fmac_f32_e32 v133, v125, v136
	ds_load_2addr_b64 v[122:125], v2 offset0:57 offset1:58
	s_waitcnt lgkmcnt(1)
	v_fmac_f32_e32 v133, v126, v137
	ds_load_b32 v126, v2 offset:472
	v_fmac_f32_e32 v133, v127, v138
	s_delay_alu instid0(VALU_DEP_1) | instskip(SKIP_1) | instid1(VALU_DEP_1)
	v_fmac_f32_e32 v133, v128, v139
	s_waitcnt vmcnt(1)
	v_fmac_f32_e32 v133, v129, v140
	s_waitcnt lgkmcnt(1)
	s_delay_alu instid0(VALU_DEP_1) | instskip(NEXT) | instid1(VALU_DEP_1)
	v_fmac_f32_e32 v133, v130, v122
	v_fmac_f32_e32 v133, v131, v123
	s_delay_alu instid0(VALU_DEP_1) | instskip(SKIP_1) | instid1(VALU_DEP_1)
	v_fmac_f32_e32 v133, v132, v124
	s_waitcnt vmcnt(0)
	v_fmac_f32_e32 v133, v141, v125
	s_waitcnt lgkmcnt(0)
	s_delay_alu instid0(VALU_DEP_1) | instskip(NEXT) | instid1(VALU_DEP_1)
	v_fmac_f32_e32 v133, v142, v126
	v_sub_f32_e32 v121, v121, v133
	scratch_store_b32 off, v121, off offset:180
	v_cmpx_lt_u32_e32 44, v0
	s_cbranch_execz .LBB58_273
; %bb.272:
	scratch_load_b32 v121, off, off offset:176
	scratch_store_b32 off, v2, off offset:176
	s_waitcnt vmcnt(0)
	ds_store_b32 v1, v121
.LBB58_273:
	s_or_b32 exec_lo, exec_lo, s0
	s_waitcnt lgkmcnt(0)
	s_waitcnt_vscnt null, 0x0
	s_barrier
	buffer_gl0_inv
	s_clause 0x3
	scratch_load_b128 v[121:124], off, off offset:176
	scratch_load_b128 v[125:128], off, off offset:192
	scratch_load_b128 v[129:132], off, off offset:208
	scratch_load_b96 v[133:135], off, off offset:224
	ds_load_2addr_b32 v[136:137], v2 offset0:105 offset1:106
	ds_load_2addr_b32 v[138:139], v2 offset0:107 offset1:108
	ds_load_2addr_b32 v[140:141], v2 offset0:109 offset1:110
	ds_load_2addr_b32 v[142:143], v2 offset0:111 offset1:112
	s_mov_b32 s0, exec_lo
	s_waitcnt vmcnt(3) lgkmcnt(3)
	v_fma_f32 v136, v122, v136, 0
	s_delay_alu instid0(VALU_DEP_1) | instskip(SKIP_4) | instid1(VALU_DEP_1)
	v_fmac_f32_e32 v136, v123, v137
	ds_load_2addr_b32 v[122:123], v2 offset0:113 offset1:114
	s_waitcnt lgkmcnt(3)
	v_fmac_f32_e32 v136, v124, v138
	s_waitcnt vmcnt(2)
	v_fmac_f32_e32 v136, v125, v139
	ds_load_2addr_b32 v[124:125], v2 offset0:115 offset1:116
	s_waitcnt lgkmcnt(3)
	v_fmac_f32_e32 v136, v126, v140
	s_delay_alu instid0(VALU_DEP_1) | instskip(SKIP_4) | instid1(VALU_DEP_1)
	v_fmac_f32_e32 v136, v127, v141
	ds_load_2addr_b32 v[126:127], v2 offset0:117 offset1:118
	s_waitcnt lgkmcnt(3)
	v_fmac_f32_e32 v136, v128, v142
	s_waitcnt vmcnt(1)
	v_fmac_f32_e32 v136, v129, v143
	s_waitcnt lgkmcnt(2)
	s_delay_alu instid0(VALU_DEP_1) | instskip(NEXT) | instid1(VALU_DEP_1)
	v_fmac_f32_e32 v136, v130, v122
	v_fmac_f32_e32 v136, v131, v123
	s_waitcnt lgkmcnt(1)
	s_delay_alu instid0(VALU_DEP_1) | instskip(SKIP_1) | instid1(VALU_DEP_1)
	v_fmac_f32_e32 v136, v132, v124
	s_waitcnt vmcnt(0)
	v_fmac_f32_e32 v136, v133, v125
	s_waitcnt lgkmcnt(0)
	s_delay_alu instid0(VALU_DEP_1) | instskip(NEXT) | instid1(VALU_DEP_1)
	v_fmac_f32_e32 v136, v134, v126
	v_fmac_f32_e32 v136, v135, v127
	s_delay_alu instid0(VALU_DEP_1)
	v_sub_f32_e32 v2, v121, v136
	scratch_store_b32 off, v2, off offset:176
	v_cmpx_lt_u32_e32 43, v0
	s_cbranch_execz .LBB58_275
; %bb.274:
	scratch_load_b32 v2, off, off offset:172
	v_mov_b32_e32 v121, 0
	scratch_store_b32 off, v121, off offset:172
	s_waitcnt vmcnt(0)
	ds_store_b32 v1, v2
.LBB58_275:
	s_or_b32 exec_lo, exec_lo, s0
	s_waitcnt lgkmcnt(0)
	s_waitcnt_vscnt null, 0x0
	s_barrier
	buffer_gl0_inv
	s_clause 0x3
	scratch_load_b128 v[121:124], off, off offset:172
	scratch_load_b128 v[125:128], off, off offset:188
	;; [unrolled: 1-line block ×4, first 2 shown]
	v_mov_b32_e32 v2, 0
	ds_load_b128 v[137:140], v2 offset:416
	ds_load_b128 v[141:144], v2 offset:432
	s_mov_b32 s0, exec_lo
	s_waitcnt vmcnt(3) lgkmcnt(1)
	v_fma_f32 v137, v122, v137, 0
	s_delay_alu instid0(VALU_DEP_1) | instskip(NEXT) | instid1(VALU_DEP_1)
	v_fmac_f32_e32 v137, v123, v138
	v_fmac_f32_e32 v137, v124, v139
	s_waitcnt vmcnt(2)
	s_delay_alu instid0(VALU_DEP_1) | instskip(SKIP_3) | instid1(VALU_DEP_1)
	v_fmac_f32_e32 v137, v125, v140
	ds_load_b128 v[122:125], v2 offset:448
	s_waitcnt lgkmcnt(1)
	v_fmac_f32_e32 v137, v126, v141
	v_fmac_f32_e32 v137, v127, v142
	s_delay_alu instid0(VALU_DEP_1) | instskip(SKIP_4) | instid1(VALU_DEP_1)
	v_fmac_f32_e32 v137, v128, v143
	ds_load_b96 v[126:128], v2 offset:464
	s_waitcnt vmcnt(1)
	v_fmac_f32_e32 v137, v129, v144
	s_waitcnt lgkmcnt(1)
	v_fmac_f32_e32 v137, v130, v122
	s_delay_alu instid0(VALU_DEP_1) | instskip(NEXT) | instid1(VALU_DEP_1)
	v_fmac_f32_e32 v137, v131, v123
	v_fmac_f32_e32 v137, v132, v124
	s_waitcnt vmcnt(0)
	s_delay_alu instid0(VALU_DEP_1) | instskip(SKIP_1) | instid1(VALU_DEP_1)
	v_fmac_f32_e32 v137, v133, v125
	s_waitcnt lgkmcnt(0)
	v_fmac_f32_e32 v137, v134, v126
	s_delay_alu instid0(VALU_DEP_1) | instskip(NEXT) | instid1(VALU_DEP_1)
	v_fmac_f32_e32 v137, v135, v127
	v_fmac_f32_e32 v137, v136, v128
	s_delay_alu instid0(VALU_DEP_1)
	v_sub_f32_e32 v121, v121, v137
	scratch_store_b32 off, v121, off offset:172
	v_cmpx_lt_u32_e32 42, v0
	s_cbranch_execz .LBB58_277
; %bb.276:
	scratch_load_b32 v121, off, off offset:168
	scratch_store_b32 off, v2, off offset:168
	s_waitcnt vmcnt(0)
	ds_store_b32 v1, v121
.LBB58_277:
	s_or_b32 exec_lo, exec_lo, s0
	s_waitcnt lgkmcnt(0)
	s_waitcnt_vscnt null, 0x0
	s_barrier
	buffer_gl0_inv
	s_clause 0x4
	scratch_load_b128 v[121:124], off, off offset:168
	scratch_load_b128 v[125:128], off, off offset:184
	;; [unrolled: 1-line block ×4, first 2 shown]
	scratch_load_b32 v145, off, off offset:232
	ds_load_2addr_b32 v[137:138], v2 offset0:103 offset1:104
	ds_load_2addr_b32 v[139:140], v2 offset0:105 offset1:106
	;; [unrolled: 1-line block ×4, first 2 shown]
	s_mov_b32 s0, exec_lo
	s_waitcnt vmcnt(4) lgkmcnt(3)
	v_fma_f32 v137, v122, v137, 0
	s_delay_alu instid0(VALU_DEP_1) | instskip(SKIP_4) | instid1(VALU_DEP_1)
	v_fmac_f32_e32 v137, v123, v138
	ds_load_2addr_b32 v[122:123], v2 offset0:111 offset1:112
	s_waitcnt lgkmcnt(3)
	v_fmac_f32_e32 v137, v124, v139
	s_waitcnt vmcnt(3)
	v_fmac_f32_e32 v137, v125, v140
	ds_load_2addr_b32 v[124:125], v2 offset0:113 offset1:114
	s_waitcnt lgkmcnt(3)
	v_fmac_f32_e32 v137, v126, v141
	s_delay_alu instid0(VALU_DEP_1) | instskip(SKIP_1) | instid1(VALU_DEP_1)
	v_fmac_f32_e32 v137, v127, v142
	s_waitcnt lgkmcnt(2)
	v_fmac_f32_e32 v137, v128, v143
	s_waitcnt vmcnt(2)
	s_delay_alu instid0(VALU_DEP_1) | instskip(SKIP_4) | instid1(VALU_DEP_1)
	v_fmac_f32_e32 v137, v129, v144
	ds_load_2addr_b32 v[126:127], v2 offset0:115 offset1:116
	ds_load_2addr_b32 v[128:129], v2 offset0:117 offset1:118
	s_waitcnt lgkmcnt(3)
	v_fmac_f32_e32 v137, v130, v122
	v_fmac_f32_e32 v137, v131, v123
	s_waitcnt lgkmcnt(2)
	s_delay_alu instid0(VALU_DEP_1) | instskip(SKIP_1) | instid1(VALU_DEP_1)
	v_fmac_f32_e32 v137, v132, v124
	s_waitcnt vmcnt(1)
	v_fmac_f32_e32 v137, v133, v125
	s_waitcnt lgkmcnt(1)
	s_delay_alu instid0(VALU_DEP_1) | instskip(NEXT) | instid1(VALU_DEP_1)
	v_fmac_f32_e32 v137, v134, v126
	v_fmac_f32_e32 v137, v135, v127
	s_waitcnt lgkmcnt(0)
	s_delay_alu instid0(VALU_DEP_1) | instskip(SKIP_1) | instid1(VALU_DEP_1)
	v_fmac_f32_e32 v137, v136, v128
	s_waitcnt vmcnt(0)
	v_fmac_f32_e32 v137, v145, v129
	s_delay_alu instid0(VALU_DEP_1)
	v_sub_f32_e32 v2, v121, v137
	scratch_store_b32 off, v2, off offset:168
	v_cmpx_lt_u32_e32 41, v0
	s_cbranch_execz .LBB58_279
; %bb.278:
	scratch_load_b32 v2, off, off offset:164
	v_mov_b32_e32 v121, 0
	scratch_store_b32 off, v121, off offset:164
	s_waitcnt vmcnt(0)
	ds_store_b32 v1, v2
.LBB58_279:
	s_or_b32 exec_lo, exec_lo, s0
	s_waitcnt lgkmcnt(0)
	s_waitcnt_vscnt null, 0x0
	s_barrier
	buffer_gl0_inv
	s_clause 0x4
	scratch_load_b128 v[121:124], off, off offset:164
	scratch_load_b128 v[125:128], off, off offset:180
	;; [unrolled: 1-line block ×4, first 2 shown]
	scratch_load_b64 v[145:146], off, off offset:228
	v_mov_b32_e32 v2, 0
	ds_load_2addr_b64 v[137:140], v2 offset0:51 offset1:52
	ds_load_2addr_b64 v[141:144], v2 offset0:53 offset1:54
	s_mov_b32 s0, exec_lo
	s_waitcnt vmcnt(4) lgkmcnt(1)
	v_fma_f32 v137, v122, v137, 0
	s_delay_alu instid0(VALU_DEP_1) | instskip(NEXT) | instid1(VALU_DEP_1)
	v_fmac_f32_e32 v137, v123, v138
	v_fmac_f32_e32 v137, v124, v139
	s_waitcnt vmcnt(3)
	s_delay_alu instid0(VALU_DEP_1) | instskip(SKIP_3) | instid1(VALU_DEP_1)
	v_fmac_f32_e32 v137, v125, v140
	ds_load_2addr_b64 v[122:125], v2 offset0:55 offset1:56
	s_waitcnt lgkmcnt(1)
	v_fmac_f32_e32 v137, v126, v141
	v_fmac_f32_e32 v137, v127, v142
	s_delay_alu instid0(VALU_DEP_1) | instskip(SKIP_1) | instid1(VALU_DEP_1)
	v_fmac_f32_e32 v137, v128, v143
	s_waitcnt vmcnt(2)
	v_fmac_f32_e32 v137, v129, v144
	ds_load_2addr_b64 v[126:129], v2 offset0:57 offset1:58
	s_waitcnt lgkmcnt(1)
	v_fmac_f32_e32 v137, v130, v122
	ds_load_b32 v122, v2 offset:472
	v_fmac_f32_e32 v137, v131, v123
	s_delay_alu instid0(VALU_DEP_1) | instskip(SKIP_1) | instid1(VALU_DEP_1)
	v_fmac_f32_e32 v137, v132, v124
	s_waitcnt vmcnt(1)
	v_fmac_f32_e32 v137, v133, v125
	s_waitcnt lgkmcnt(1)
	s_delay_alu instid0(VALU_DEP_1) | instskip(NEXT) | instid1(VALU_DEP_1)
	v_fmac_f32_e32 v137, v134, v126
	v_fmac_f32_e32 v137, v135, v127
	s_delay_alu instid0(VALU_DEP_1) | instskip(SKIP_1) | instid1(VALU_DEP_1)
	v_fmac_f32_e32 v137, v136, v128
	s_waitcnt vmcnt(0)
	v_fmac_f32_e32 v137, v145, v129
	s_waitcnt lgkmcnt(0)
	s_delay_alu instid0(VALU_DEP_1) | instskip(NEXT) | instid1(VALU_DEP_1)
	v_fmac_f32_e32 v137, v146, v122
	v_sub_f32_e32 v121, v121, v137
	scratch_store_b32 off, v121, off offset:164
	v_cmpx_lt_u32_e32 40, v0
	s_cbranch_execz .LBB58_281
; %bb.280:
	scratch_load_b32 v121, off, off offset:160
	scratch_store_b32 off, v2, off offset:160
	s_waitcnt vmcnt(0)
	ds_store_b32 v1, v121
.LBB58_281:
	s_or_b32 exec_lo, exec_lo, s0
	s_waitcnt lgkmcnt(0)
	s_waitcnt_vscnt null, 0x0
	s_barrier
	buffer_gl0_inv
	s_clause 0x4
	scratch_load_b128 v[121:124], off, off offset:160
	scratch_load_b128 v[125:128], off, off offset:176
	scratch_load_b128 v[129:132], off, off offset:192
	scratch_load_b128 v[133:136], off, off offset:208
	scratch_load_b96 v[137:139], off, off offset:224
	ds_load_2addr_b32 v[140:141], v2 offset0:101 offset1:102
	ds_load_2addr_b32 v[142:143], v2 offset0:103 offset1:104
	;; [unrolled: 1-line block ×4, first 2 shown]
	s_mov_b32 s0, exec_lo
	s_waitcnt vmcnt(4) lgkmcnt(3)
	v_fma_f32 v140, v122, v140, 0
	s_delay_alu instid0(VALU_DEP_1) | instskip(SKIP_4) | instid1(VALU_DEP_1)
	v_fmac_f32_e32 v140, v123, v141
	ds_load_2addr_b32 v[122:123], v2 offset0:109 offset1:110
	s_waitcnt lgkmcnt(3)
	v_fmac_f32_e32 v140, v124, v142
	s_waitcnt vmcnt(3)
	v_fmac_f32_e32 v140, v125, v143
	ds_load_2addr_b32 v[124:125], v2 offset0:111 offset1:112
	s_waitcnt lgkmcnt(3)
	v_fmac_f32_e32 v140, v126, v144
	s_delay_alu instid0(VALU_DEP_1) | instskip(SKIP_1) | instid1(VALU_DEP_1)
	v_fmac_f32_e32 v140, v127, v145
	s_waitcnt lgkmcnt(2)
	v_fmac_f32_e32 v140, v128, v146
	s_waitcnt vmcnt(2)
	s_delay_alu instid0(VALU_DEP_1) | instskip(SKIP_4) | instid1(VALU_DEP_1)
	v_fmac_f32_e32 v140, v129, v147
	ds_load_2addr_b32 v[126:127], v2 offset0:113 offset1:114
	ds_load_2addr_b32 v[128:129], v2 offset0:115 offset1:116
	s_waitcnt lgkmcnt(3)
	v_fmac_f32_e32 v140, v130, v122
	v_fmac_f32_e32 v140, v131, v123
	ds_load_2addr_b32 v[122:123], v2 offset0:117 offset1:118
	s_waitcnt lgkmcnt(3)
	v_fmac_f32_e32 v140, v132, v124
	s_waitcnt vmcnt(1)
	s_delay_alu instid0(VALU_DEP_1) | instskip(SKIP_1) | instid1(VALU_DEP_1)
	v_fmac_f32_e32 v140, v133, v125
	s_waitcnt lgkmcnt(2)
	v_fmac_f32_e32 v140, v134, v126
	s_delay_alu instid0(VALU_DEP_1) | instskip(SKIP_1) | instid1(VALU_DEP_1)
	v_fmac_f32_e32 v140, v135, v127
	s_waitcnt lgkmcnt(1)
	v_fmac_f32_e32 v140, v136, v128
	s_waitcnt vmcnt(0)
	s_delay_alu instid0(VALU_DEP_1) | instskip(SKIP_1) | instid1(VALU_DEP_1)
	v_fmac_f32_e32 v140, v137, v129
	s_waitcnt lgkmcnt(0)
	v_fmac_f32_e32 v140, v138, v122
	s_delay_alu instid0(VALU_DEP_1) | instskip(NEXT) | instid1(VALU_DEP_1)
	v_fmac_f32_e32 v140, v139, v123
	v_sub_f32_e32 v2, v121, v140
	scratch_store_b32 off, v2, off offset:160
	v_cmpx_lt_u32_e32 39, v0
	s_cbranch_execz .LBB58_283
; %bb.282:
	scratch_load_b32 v2, off, off offset:156
	v_mov_b32_e32 v121, 0
	scratch_store_b32 off, v121, off offset:156
	s_waitcnt vmcnt(0)
	ds_store_b32 v1, v2
.LBB58_283:
	s_or_b32 exec_lo, exec_lo, s0
	s_waitcnt lgkmcnt(0)
	s_waitcnt_vscnt null, 0x0
	s_barrier
	buffer_gl0_inv
	s_clause 0x4
	scratch_load_b128 v[121:124], off, off offset:156
	scratch_load_b128 v[125:128], off, off offset:172
	;; [unrolled: 1-line block ×5, first 2 shown]
	v_mov_b32_e32 v2, 0
	ds_load_b128 v[141:144], v2 offset:400
	ds_load_b128 v[145:148], v2 offset:416
	s_mov_b32 s0, exec_lo
	s_waitcnt vmcnt(4) lgkmcnt(1)
	v_fma_f32 v141, v122, v141, 0
	s_delay_alu instid0(VALU_DEP_1) | instskip(NEXT) | instid1(VALU_DEP_1)
	v_fmac_f32_e32 v141, v123, v142
	v_fmac_f32_e32 v141, v124, v143
	s_waitcnt vmcnt(3)
	s_delay_alu instid0(VALU_DEP_1) | instskip(SKIP_3) | instid1(VALU_DEP_1)
	v_fmac_f32_e32 v141, v125, v144
	ds_load_b128 v[122:125], v2 offset:432
	s_waitcnt lgkmcnt(1)
	v_fmac_f32_e32 v141, v126, v145
	v_fmac_f32_e32 v141, v127, v146
	s_delay_alu instid0(VALU_DEP_1) | instskip(SKIP_1) | instid1(VALU_DEP_1)
	v_fmac_f32_e32 v141, v128, v147
	s_waitcnt vmcnt(2)
	v_fmac_f32_e32 v141, v129, v148
	ds_load_b128 v[126:129], v2 offset:448
	s_waitcnt lgkmcnt(1)
	v_fmac_f32_e32 v141, v130, v122
	s_delay_alu instid0(VALU_DEP_1) | instskip(NEXT) | instid1(VALU_DEP_1)
	v_fmac_f32_e32 v141, v131, v123
	v_fmac_f32_e32 v141, v132, v124
	ds_load_b96 v[122:124], v2 offset:464
	s_waitcnt vmcnt(1)
	v_fmac_f32_e32 v141, v133, v125
	s_waitcnt lgkmcnt(1)
	s_delay_alu instid0(VALU_DEP_1) | instskip(NEXT) | instid1(VALU_DEP_1)
	v_fmac_f32_e32 v141, v134, v126
	v_fmac_f32_e32 v141, v135, v127
	s_delay_alu instid0(VALU_DEP_1) | instskip(SKIP_1) | instid1(VALU_DEP_1)
	v_fmac_f32_e32 v141, v136, v128
	s_waitcnt vmcnt(0)
	v_fmac_f32_e32 v141, v137, v129
	s_waitcnt lgkmcnt(0)
	s_delay_alu instid0(VALU_DEP_1) | instskip(NEXT) | instid1(VALU_DEP_1)
	v_fmac_f32_e32 v141, v138, v122
	v_fmac_f32_e32 v141, v139, v123
	s_delay_alu instid0(VALU_DEP_1) | instskip(NEXT) | instid1(VALU_DEP_1)
	v_fmac_f32_e32 v141, v140, v124
	v_sub_f32_e32 v121, v121, v141
	scratch_store_b32 off, v121, off offset:156
	v_cmpx_lt_u32_e32 38, v0
	s_cbranch_execz .LBB58_285
; %bb.284:
	scratch_load_b32 v121, off, off offset:152
	scratch_store_b32 off, v2, off offset:152
	s_waitcnt vmcnt(0)
	ds_store_b32 v1, v121
.LBB58_285:
	s_or_b32 exec_lo, exec_lo, s0
	s_waitcnt lgkmcnt(0)
	s_waitcnt_vscnt null, 0x0
	s_barrier
	buffer_gl0_inv
	s_clause 0x5
	scratch_load_b128 v[121:124], off, off offset:152
	scratch_load_b128 v[125:128], off, off offset:168
	;; [unrolled: 1-line block ×5, first 2 shown]
	scratch_load_b32 v149, off, off offset:232
	ds_load_2addr_b32 v[141:142], v2 offset0:99 offset1:100
	ds_load_2addr_b32 v[143:144], v2 offset0:101 offset1:102
	;; [unrolled: 1-line block ×4, first 2 shown]
	s_mov_b32 s0, exec_lo
	s_waitcnt vmcnt(5) lgkmcnt(3)
	v_fma_f32 v141, v122, v141, 0
	s_delay_alu instid0(VALU_DEP_1) | instskip(SKIP_4) | instid1(VALU_DEP_1)
	v_fmac_f32_e32 v141, v123, v142
	ds_load_2addr_b32 v[122:123], v2 offset0:107 offset1:108
	s_waitcnt lgkmcnt(3)
	v_fmac_f32_e32 v141, v124, v143
	s_waitcnt vmcnt(4)
	v_fmac_f32_e32 v141, v125, v144
	ds_load_2addr_b32 v[124:125], v2 offset0:109 offset1:110
	s_waitcnt lgkmcnt(3)
	v_fmac_f32_e32 v141, v126, v145
	s_delay_alu instid0(VALU_DEP_1) | instskip(SKIP_1) | instid1(VALU_DEP_1)
	v_fmac_f32_e32 v141, v127, v146
	s_waitcnt lgkmcnt(2)
	v_fmac_f32_e32 v141, v128, v147
	s_waitcnt vmcnt(3)
	s_delay_alu instid0(VALU_DEP_1) | instskip(SKIP_4) | instid1(VALU_DEP_1)
	v_fmac_f32_e32 v141, v129, v148
	ds_load_2addr_b32 v[126:127], v2 offset0:111 offset1:112
	ds_load_2addr_b32 v[128:129], v2 offset0:113 offset1:114
	s_waitcnt lgkmcnt(3)
	v_fmac_f32_e32 v141, v130, v122
	v_fmac_f32_e32 v141, v131, v123
	ds_load_2addr_b32 v[122:123], v2 offset0:115 offset1:116
	s_waitcnt lgkmcnt(3)
	v_fmac_f32_e32 v141, v132, v124
	s_waitcnt vmcnt(2)
	s_delay_alu instid0(VALU_DEP_1) | instskip(SKIP_3) | instid1(VALU_DEP_1)
	v_fmac_f32_e32 v141, v133, v125
	ds_load_2addr_b32 v[124:125], v2 offset0:117 offset1:118
	s_waitcnt lgkmcnt(3)
	v_fmac_f32_e32 v141, v134, v126
	v_fmac_f32_e32 v141, v135, v127
	s_waitcnt lgkmcnt(2)
	s_delay_alu instid0(VALU_DEP_1) | instskip(SKIP_1) | instid1(VALU_DEP_1)
	v_fmac_f32_e32 v141, v136, v128
	s_waitcnt vmcnt(1)
	v_fmac_f32_e32 v141, v137, v129
	s_waitcnt lgkmcnt(1)
	s_delay_alu instid0(VALU_DEP_1) | instskip(NEXT) | instid1(VALU_DEP_1)
	v_fmac_f32_e32 v141, v138, v122
	v_fmac_f32_e32 v141, v139, v123
	s_waitcnt lgkmcnt(0)
	s_delay_alu instid0(VALU_DEP_1) | instskip(SKIP_1) | instid1(VALU_DEP_1)
	v_fmac_f32_e32 v141, v140, v124
	s_waitcnt vmcnt(0)
	v_fmac_f32_e32 v141, v149, v125
	s_delay_alu instid0(VALU_DEP_1)
	v_sub_f32_e32 v2, v121, v141
	scratch_store_b32 off, v2, off offset:152
	v_cmpx_lt_u32_e32 37, v0
	s_cbranch_execz .LBB58_287
; %bb.286:
	scratch_load_b32 v2, off, off offset:148
	v_mov_b32_e32 v121, 0
	scratch_store_b32 off, v121, off offset:148
	s_waitcnt vmcnt(0)
	ds_store_b32 v1, v2
.LBB58_287:
	s_or_b32 exec_lo, exec_lo, s0
	s_waitcnt lgkmcnt(0)
	s_waitcnt_vscnt null, 0x0
	s_barrier
	buffer_gl0_inv
	s_clause 0x5
	scratch_load_b128 v[121:124], off, off offset:148
	scratch_load_b128 v[125:128], off, off offset:164
	scratch_load_b128 v[129:132], off, off offset:180
	scratch_load_b128 v[133:136], off, off offset:196
	scratch_load_b128 v[137:140], off, off offset:212
	scratch_load_b64 v[149:150], off, off offset:228
	v_mov_b32_e32 v2, 0
	ds_load_2addr_b64 v[141:144], v2 offset0:49 offset1:50
	ds_load_2addr_b64 v[145:148], v2 offset0:51 offset1:52
	s_mov_b32 s0, exec_lo
	s_waitcnt vmcnt(5) lgkmcnt(1)
	v_fma_f32 v141, v122, v141, 0
	s_delay_alu instid0(VALU_DEP_1) | instskip(NEXT) | instid1(VALU_DEP_1)
	v_fmac_f32_e32 v141, v123, v142
	v_fmac_f32_e32 v141, v124, v143
	s_waitcnt vmcnt(4)
	s_delay_alu instid0(VALU_DEP_1) | instskip(SKIP_3) | instid1(VALU_DEP_1)
	v_fmac_f32_e32 v141, v125, v144
	ds_load_2addr_b64 v[122:125], v2 offset0:53 offset1:54
	s_waitcnt lgkmcnt(1)
	v_fmac_f32_e32 v141, v126, v145
	v_fmac_f32_e32 v141, v127, v146
	s_delay_alu instid0(VALU_DEP_1) | instskip(SKIP_1) | instid1(VALU_DEP_1)
	v_fmac_f32_e32 v141, v128, v147
	s_waitcnt vmcnt(3)
	v_fmac_f32_e32 v141, v129, v148
	ds_load_2addr_b64 v[126:129], v2 offset0:55 offset1:56
	s_waitcnt lgkmcnt(1)
	v_fmac_f32_e32 v141, v130, v122
	s_delay_alu instid0(VALU_DEP_1) | instskip(NEXT) | instid1(VALU_DEP_1)
	v_fmac_f32_e32 v141, v131, v123
	v_fmac_f32_e32 v141, v132, v124
	s_waitcnt vmcnt(2)
	s_delay_alu instid0(VALU_DEP_1)
	v_fmac_f32_e32 v141, v133, v125
	ds_load_2addr_b64 v[122:125], v2 offset0:57 offset1:58
	s_waitcnt lgkmcnt(1)
	v_fmac_f32_e32 v141, v134, v126
	ds_load_b32 v126, v2 offset:472
	v_fmac_f32_e32 v141, v135, v127
	s_delay_alu instid0(VALU_DEP_1) | instskip(SKIP_1) | instid1(VALU_DEP_1)
	v_fmac_f32_e32 v141, v136, v128
	s_waitcnt vmcnt(1)
	v_fmac_f32_e32 v141, v137, v129
	s_waitcnt lgkmcnt(1)
	s_delay_alu instid0(VALU_DEP_1) | instskip(NEXT) | instid1(VALU_DEP_1)
	v_fmac_f32_e32 v141, v138, v122
	v_fmac_f32_e32 v141, v139, v123
	s_delay_alu instid0(VALU_DEP_1) | instskip(SKIP_1) | instid1(VALU_DEP_1)
	v_fmac_f32_e32 v141, v140, v124
	s_waitcnt vmcnt(0)
	v_fmac_f32_e32 v141, v149, v125
	s_waitcnt lgkmcnt(0)
	s_delay_alu instid0(VALU_DEP_1) | instskip(NEXT) | instid1(VALU_DEP_1)
	v_fmac_f32_e32 v141, v150, v126
	v_sub_f32_e32 v121, v121, v141
	scratch_store_b32 off, v121, off offset:148
	v_cmpx_lt_u32_e32 36, v0
	s_cbranch_execz .LBB58_289
; %bb.288:
	scratch_load_b32 v121, off, off offset:144
	scratch_store_b32 off, v2, off offset:144
	s_waitcnt vmcnt(0)
	ds_store_b32 v1, v121
.LBB58_289:
	s_or_b32 exec_lo, exec_lo, s0
	s_waitcnt lgkmcnt(0)
	s_waitcnt_vscnt null, 0x0
	s_barrier
	buffer_gl0_inv
	s_clause 0x5
	scratch_load_b128 v[121:124], off, off offset:144
	scratch_load_b128 v[125:128], off, off offset:160
	;; [unrolled: 1-line block ×5, first 2 shown]
	scratch_load_b96 v[141:143], off, off offset:224
	ds_load_2addr_b32 v[144:145], v2 offset0:97 offset1:98
	ds_load_2addr_b32 v[146:147], v2 offset0:99 offset1:100
	;; [unrolled: 1-line block ×4, first 2 shown]
	s_mov_b32 s0, exec_lo
	s_waitcnt vmcnt(5) lgkmcnt(3)
	v_fma_f32 v144, v122, v144, 0
	s_delay_alu instid0(VALU_DEP_1) | instskip(SKIP_4) | instid1(VALU_DEP_1)
	v_fmac_f32_e32 v144, v123, v145
	ds_load_2addr_b32 v[122:123], v2 offset0:105 offset1:106
	s_waitcnt lgkmcnt(3)
	v_fmac_f32_e32 v144, v124, v146
	s_waitcnt vmcnt(4)
	v_fmac_f32_e32 v144, v125, v147
	ds_load_2addr_b32 v[124:125], v2 offset0:107 offset1:108
	s_waitcnt lgkmcnt(3)
	v_fmac_f32_e32 v144, v126, v148
	s_delay_alu instid0(VALU_DEP_1) | instskip(SKIP_1) | instid1(VALU_DEP_1)
	v_fmac_f32_e32 v144, v127, v149
	s_waitcnt lgkmcnt(2)
	v_fmac_f32_e32 v144, v128, v150
	s_waitcnt vmcnt(3)
	s_delay_alu instid0(VALU_DEP_1) | instskip(SKIP_4) | instid1(VALU_DEP_1)
	v_fmac_f32_e32 v144, v129, v151
	ds_load_2addr_b32 v[126:127], v2 offset0:109 offset1:110
	ds_load_2addr_b32 v[128:129], v2 offset0:111 offset1:112
	s_waitcnt lgkmcnt(3)
	v_fmac_f32_e32 v144, v130, v122
	v_fmac_f32_e32 v144, v131, v123
	ds_load_2addr_b32 v[122:123], v2 offset0:113 offset1:114
	s_waitcnt lgkmcnt(3)
	v_fmac_f32_e32 v144, v132, v124
	s_waitcnt vmcnt(2)
	s_delay_alu instid0(VALU_DEP_1) | instskip(SKIP_3) | instid1(VALU_DEP_1)
	v_fmac_f32_e32 v144, v133, v125
	ds_load_2addr_b32 v[124:125], v2 offset0:115 offset1:116
	s_waitcnt lgkmcnt(3)
	v_fmac_f32_e32 v144, v134, v126
	v_fmac_f32_e32 v144, v135, v127
	ds_load_2addr_b32 v[126:127], v2 offset0:117 offset1:118
	s_waitcnt lgkmcnt(3)
	v_fmac_f32_e32 v144, v136, v128
	s_waitcnt vmcnt(1)
	s_delay_alu instid0(VALU_DEP_1) | instskip(SKIP_1) | instid1(VALU_DEP_1)
	v_fmac_f32_e32 v144, v137, v129
	s_waitcnt lgkmcnt(2)
	v_fmac_f32_e32 v144, v138, v122
	s_delay_alu instid0(VALU_DEP_1) | instskip(SKIP_1) | instid1(VALU_DEP_1)
	v_fmac_f32_e32 v144, v139, v123
	s_waitcnt lgkmcnt(1)
	v_fmac_f32_e32 v144, v140, v124
	s_waitcnt vmcnt(0)
	s_delay_alu instid0(VALU_DEP_1) | instskip(SKIP_1) | instid1(VALU_DEP_1)
	v_fmac_f32_e32 v144, v141, v125
	s_waitcnt lgkmcnt(0)
	v_fmac_f32_e32 v144, v142, v126
	s_delay_alu instid0(VALU_DEP_1) | instskip(NEXT) | instid1(VALU_DEP_1)
	v_fmac_f32_e32 v144, v143, v127
	v_sub_f32_e32 v2, v121, v144
	scratch_store_b32 off, v2, off offset:144
	v_cmpx_lt_u32_e32 35, v0
	s_cbranch_execz .LBB58_291
; %bb.290:
	scratch_load_b32 v2, off, off offset:140
	v_mov_b32_e32 v121, 0
	scratch_store_b32 off, v121, off offset:140
	s_waitcnt vmcnt(0)
	ds_store_b32 v1, v2
.LBB58_291:
	s_or_b32 exec_lo, exec_lo, s0
	s_waitcnt lgkmcnt(0)
	s_waitcnt_vscnt null, 0x0
	s_barrier
	buffer_gl0_inv
	s_clause 0x5
	scratch_load_b128 v[121:124], off, off offset:140
	scratch_load_b128 v[125:128], off, off offset:156
	;; [unrolled: 1-line block ×6, first 2 shown]
	v_mov_b32_e32 v2, 0
	ds_load_b128 v[145:148], v2 offset:384
	ds_load_b128 v[149:152], v2 offset:400
	s_mov_b32 s0, exec_lo
	s_waitcnt vmcnt(5) lgkmcnt(1)
	v_fma_f32 v145, v122, v145, 0
	s_delay_alu instid0(VALU_DEP_1) | instskip(NEXT) | instid1(VALU_DEP_1)
	v_fmac_f32_e32 v145, v123, v146
	v_fmac_f32_e32 v145, v124, v147
	s_waitcnt vmcnt(4)
	s_delay_alu instid0(VALU_DEP_1) | instskip(SKIP_3) | instid1(VALU_DEP_1)
	v_fmac_f32_e32 v145, v125, v148
	ds_load_b128 v[122:125], v2 offset:416
	s_waitcnt lgkmcnt(1)
	v_fmac_f32_e32 v145, v126, v149
	v_fmac_f32_e32 v145, v127, v150
	s_delay_alu instid0(VALU_DEP_1) | instskip(SKIP_1) | instid1(VALU_DEP_1)
	v_fmac_f32_e32 v145, v128, v151
	s_waitcnt vmcnt(3)
	v_fmac_f32_e32 v145, v129, v152
	ds_load_b128 v[126:129], v2 offset:432
	s_waitcnt lgkmcnt(1)
	v_fmac_f32_e32 v145, v130, v122
	s_delay_alu instid0(VALU_DEP_1) | instskip(NEXT) | instid1(VALU_DEP_1)
	v_fmac_f32_e32 v145, v131, v123
	v_fmac_f32_e32 v145, v132, v124
	s_waitcnt vmcnt(2)
	s_delay_alu instid0(VALU_DEP_1) | instskip(SKIP_3) | instid1(VALU_DEP_1)
	v_fmac_f32_e32 v145, v133, v125
	ds_load_b128 v[122:125], v2 offset:448
	s_waitcnt lgkmcnt(1)
	v_fmac_f32_e32 v145, v134, v126
	v_fmac_f32_e32 v145, v135, v127
	s_delay_alu instid0(VALU_DEP_1) | instskip(SKIP_4) | instid1(VALU_DEP_1)
	v_fmac_f32_e32 v145, v136, v128
	ds_load_b96 v[126:128], v2 offset:464
	s_waitcnt vmcnt(1)
	v_fmac_f32_e32 v145, v137, v129
	s_waitcnt lgkmcnt(1)
	v_fmac_f32_e32 v145, v138, v122
	s_delay_alu instid0(VALU_DEP_1) | instskip(NEXT) | instid1(VALU_DEP_1)
	v_fmac_f32_e32 v145, v139, v123
	v_fmac_f32_e32 v145, v140, v124
	s_waitcnt vmcnt(0)
	s_delay_alu instid0(VALU_DEP_1) | instskip(SKIP_1) | instid1(VALU_DEP_1)
	v_fmac_f32_e32 v145, v141, v125
	s_waitcnt lgkmcnt(0)
	v_fmac_f32_e32 v145, v142, v126
	s_delay_alu instid0(VALU_DEP_1) | instskip(NEXT) | instid1(VALU_DEP_1)
	v_fmac_f32_e32 v145, v143, v127
	v_fmac_f32_e32 v145, v144, v128
	s_delay_alu instid0(VALU_DEP_1)
	v_sub_f32_e32 v121, v121, v145
	scratch_store_b32 off, v121, off offset:140
	v_cmpx_lt_u32_e32 34, v0
	s_cbranch_execz .LBB58_293
; %bb.292:
	scratch_load_b32 v121, off, off offset:136
	scratch_store_b32 off, v2, off offset:136
	s_waitcnt vmcnt(0)
	ds_store_b32 v1, v121
.LBB58_293:
	s_or_b32 exec_lo, exec_lo, s0
	s_waitcnt lgkmcnt(0)
	s_waitcnt_vscnt null, 0x0
	s_barrier
	buffer_gl0_inv
	s_clause 0x6
	scratch_load_b128 v[121:124], off, off offset:136
	scratch_load_b128 v[125:128], off, off offset:152
	;; [unrolled: 1-line block ×6, first 2 shown]
	scratch_load_b32 v153, off, off offset:232
	ds_load_2addr_b32 v[145:146], v2 offset0:95 offset1:96
	ds_load_2addr_b32 v[147:148], v2 offset0:97 offset1:98
	;; [unrolled: 1-line block ×4, first 2 shown]
	s_mov_b32 s0, exec_lo
	s_waitcnt vmcnt(6) lgkmcnt(3)
	v_fma_f32 v145, v122, v145, 0
	s_delay_alu instid0(VALU_DEP_1) | instskip(SKIP_4) | instid1(VALU_DEP_1)
	v_fmac_f32_e32 v145, v123, v146
	ds_load_2addr_b32 v[122:123], v2 offset0:103 offset1:104
	s_waitcnt lgkmcnt(3)
	v_fmac_f32_e32 v145, v124, v147
	s_waitcnt vmcnt(5)
	v_fmac_f32_e32 v145, v125, v148
	ds_load_2addr_b32 v[124:125], v2 offset0:105 offset1:106
	s_waitcnt lgkmcnt(3)
	v_fmac_f32_e32 v145, v126, v149
	s_delay_alu instid0(VALU_DEP_1) | instskip(SKIP_1) | instid1(VALU_DEP_1)
	v_fmac_f32_e32 v145, v127, v150
	s_waitcnt lgkmcnt(2)
	v_fmac_f32_e32 v145, v128, v151
	s_waitcnt vmcnt(4)
	s_delay_alu instid0(VALU_DEP_1) | instskip(SKIP_4) | instid1(VALU_DEP_1)
	v_fmac_f32_e32 v145, v129, v152
	ds_load_2addr_b32 v[126:127], v2 offset0:107 offset1:108
	ds_load_2addr_b32 v[128:129], v2 offset0:109 offset1:110
	s_waitcnt lgkmcnt(3)
	v_fmac_f32_e32 v145, v130, v122
	v_fmac_f32_e32 v145, v131, v123
	ds_load_2addr_b32 v[122:123], v2 offset0:111 offset1:112
	s_waitcnt lgkmcnt(3)
	v_fmac_f32_e32 v145, v132, v124
	s_waitcnt vmcnt(3)
	s_delay_alu instid0(VALU_DEP_1) | instskip(SKIP_3) | instid1(VALU_DEP_1)
	v_fmac_f32_e32 v145, v133, v125
	ds_load_2addr_b32 v[124:125], v2 offset0:113 offset1:114
	s_waitcnt lgkmcnt(3)
	v_fmac_f32_e32 v145, v134, v126
	v_fmac_f32_e32 v145, v135, v127
	s_waitcnt lgkmcnt(2)
	s_delay_alu instid0(VALU_DEP_1) | instskip(SKIP_1) | instid1(VALU_DEP_1)
	v_fmac_f32_e32 v145, v136, v128
	s_waitcnt vmcnt(2)
	v_fmac_f32_e32 v145, v137, v129
	ds_load_2addr_b32 v[126:127], v2 offset0:115 offset1:116
	ds_load_2addr_b32 v[128:129], v2 offset0:117 offset1:118
	s_waitcnt lgkmcnt(3)
	v_fmac_f32_e32 v145, v138, v122
	s_delay_alu instid0(VALU_DEP_1) | instskip(SKIP_1) | instid1(VALU_DEP_1)
	v_fmac_f32_e32 v145, v139, v123
	s_waitcnt lgkmcnt(2)
	v_fmac_f32_e32 v145, v140, v124
	s_waitcnt vmcnt(1)
	s_delay_alu instid0(VALU_DEP_1) | instskip(SKIP_1) | instid1(VALU_DEP_1)
	v_fmac_f32_e32 v145, v141, v125
	s_waitcnt lgkmcnt(1)
	v_fmac_f32_e32 v145, v142, v126
	s_delay_alu instid0(VALU_DEP_1) | instskip(SKIP_1) | instid1(VALU_DEP_1)
	v_fmac_f32_e32 v145, v143, v127
	s_waitcnt lgkmcnt(0)
	v_fmac_f32_e32 v145, v144, v128
	s_waitcnt vmcnt(0)
	s_delay_alu instid0(VALU_DEP_1) | instskip(NEXT) | instid1(VALU_DEP_1)
	v_fmac_f32_e32 v145, v153, v129
	v_sub_f32_e32 v2, v121, v145
	scratch_store_b32 off, v2, off offset:136
	v_cmpx_lt_u32_e32 33, v0
	s_cbranch_execz .LBB58_295
; %bb.294:
	scratch_load_b32 v2, off, off offset:132
	v_mov_b32_e32 v121, 0
	scratch_store_b32 off, v121, off offset:132
	s_waitcnt vmcnt(0)
	ds_store_b32 v1, v2
.LBB58_295:
	s_or_b32 exec_lo, exec_lo, s0
	s_waitcnt lgkmcnt(0)
	s_waitcnt_vscnt null, 0x0
	s_barrier
	buffer_gl0_inv
	s_clause 0x6
	scratch_load_b128 v[121:124], off, off offset:132
	scratch_load_b128 v[125:128], off, off offset:148
	;; [unrolled: 1-line block ×6, first 2 shown]
	scratch_load_b64 v[153:154], off, off offset:228
	v_mov_b32_e32 v2, 0
	ds_load_2addr_b64 v[145:148], v2 offset0:47 offset1:48
	ds_load_2addr_b64 v[149:152], v2 offset0:49 offset1:50
	s_mov_b32 s0, exec_lo
	s_waitcnt vmcnt(6) lgkmcnt(1)
	v_fma_f32 v145, v122, v145, 0
	s_delay_alu instid0(VALU_DEP_1) | instskip(NEXT) | instid1(VALU_DEP_1)
	v_fmac_f32_e32 v145, v123, v146
	v_fmac_f32_e32 v145, v124, v147
	s_waitcnt vmcnt(5)
	s_delay_alu instid0(VALU_DEP_1) | instskip(SKIP_3) | instid1(VALU_DEP_1)
	v_fmac_f32_e32 v145, v125, v148
	ds_load_2addr_b64 v[122:125], v2 offset0:51 offset1:52
	s_waitcnt lgkmcnt(1)
	v_fmac_f32_e32 v145, v126, v149
	v_fmac_f32_e32 v145, v127, v150
	s_delay_alu instid0(VALU_DEP_1) | instskip(SKIP_1) | instid1(VALU_DEP_1)
	v_fmac_f32_e32 v145, v128, v151
	s_waitcnt vmcnt(4)
	v_fmac_f32_e32 v145, v129, v152
	ds_load_2addr_b64 v[126:129], v2 offset0:53 offset1:54
	s_waitcnt lgkmcnt(1)
	v_fmac_f32_e32 v145, v130, v122
	s_delay_alu instid0(VALU_DEP_1) | instskip(NEXT) | instid1(VALU_DEP_1)
	v_fmac_f32_e32 v145, v131, v123
	v_fmac_f32_e32 v145, v132, v124
	s_waitcnt vmcnt(3)
	s_delay_alu instid0(VALU_DEP_1) | instskip(SKIP_3) | instid1(VALU_DEP_1)
	v_fmac_f32_e32 v145, v133, v125
	ds_load_2addr_b64 v[122:125], v2 offset0:55 offset1:56
	s_waitcnt lgkmcnt(1)
	v_fmac_f32_e32 v145, v134, v126
	v_fmac_f32_e32 v145, v135, v127
	s_delay_alu instid0(VALU_DEP_1) | instskip(SKIP_1) | instid1(VALU_DEP_1)
	v_fmac_f32_e32 v145, v136, v128
	s_waitcnt vmcnt(2)
	v_fmac_f32_e32 v145, v137, v129
	ds_load_2addr_b64 v[126:129], v2 offset0:57 offset1:58
	s_waitcnt lgkmcnt(1)
	v_fmac_f32_e32 v145, v138, v122
	ds_load_b32 v122, v2 offset:472
	v_fmac_f32_e32 v145, v139, v123
	s_delay_alu instid0(VALU_DEP_1) | instskip(SKIP_1) | instid1(VALU_DEP_1)
	v_fmac_f32_e32 v145, v140, v124
	s_waitcnt vmcnt(1)
	v_fmac_f32_e32 v145, v141, v125
	s_waitcnt lgkmcnt(1)
	s_delay_alu instid0(VALU_DEP_1) | instskip(NEXT) | instid1(VALU_DEP_1)
	v_fmac_f32_e32 v145, v142, v126
	v_fmac_f32_e32 v145, v143, v127
	s_delay_alu instid0(VALU_DEP_1) | instskip(SKIP_1) | instid1(VALU_DEP_1)
	v_fmac_f32_e32 v145, v144, v128
	s_waitcnt vmcnt(0)
	v_fmac_f32_e32 v145, v153, v129
	s_waitcnt lgkmcnt(0)
	s_delay_alu instid0(VALU_DEP_1) | instskip(NEXT) | instid1(VALU_DEP_1)
	v_fmac_f32_e32 v145, v154, v122
	v_sub_f32_e32 v121, v121, v145
	scratch_store_b32 off, v121, off offset:132
	v_cmpx_lt_u32_e32 32, v0
	s_cbranch_execz .LBB58_297
; %bb.296:
	scratch_load_b32 v121, off, off offset:128
	scratch_store_b32 off, v2, off offset:128
	s_waitcnt vmcnt(0)
	ds_store_b32 v1, v121
.LBB58_297:
	s_or_b32 exec_lo, exec_lo, s0
	s_waitcnt lgkmcnt(0)
	s_waitcnt_vscnt null, 0x0
	s_barrier
	buffer_gl0_inv
	s_clause 0x6
	scratch_load_b128 v[121:124], off, off offset:128
	scratch_load_b128 v[125:128], off, off offset:144
	;; [unrolled: 1-line block ×6, first 2 shown]
	scratch_load_b96 v[145:147], off, off offset:224
	ds_load_2addr_b32 v[148:149], v2 offset0:93 offset1:94
	ds_load_2addr_b32 v[150:151], v2 offset0:95 offset1:96
	;; [unrolled: 1-line block ×4, first 2 shown]
	s_mov_b32 s0, exec_lo
	s_waitcnt vmcnt(6) lgkmcnt(3)
	v_fma_f32 v148, v122, v148, 0
	s_delay_alu instid0(VALU_DEP_1) | instskip(SKIP_4) | instid1(VALU_DEP_1)
	v_fmac_f32_e32 v148, v123, v149
	ds_load_2addr_b32 v[122:123], v2 offset0:101 offset1:102
	s_waitcnt lgkmcnt(3)
	v_fmac_f32_e32 v148, v124, v150
	s_waitcnt vmcnt(5)
	v_fmac_f32_e32 v148, v125, v151
	ds_load_2addr_b32 v[124:125], v2 offset0:103 offset1:104
	s_waitcnt lgkmcnt(3)
	v_fmac_f32_e32 v148, v126, v152
	s_delay_alu instid0(VALU_DEP_1) | instskip(SKIP_1) | instid1(VALU_DEP_1)
	v_fmac_f32_e32 v148, v127, v153
	s_waitcnt lgkmcnt(2)
	v_fmac_f32_e32 v148, v128, v154
	s_waitcnt vmcnt(4)
	s_delay_alu instid0(VALU_DEP_1) | instskip(SKIP_4) | instid1(VALU_DEP_1)
	v_fmac_f32_e32 v148, v129, v155
	ds_load_2addr_b32 v[126:127], v2 offset0:105 offset1:106
	ds_load_2addr_b32 v[128:129], v2 offset0:107 offset1:108
	s_waitcnt lgkmcnt(3)
	v_fmac_f32_e32 v148, v130, v122
	v_fmac_f32_e32 v148, v131, v123
	ds_load_2addr_b32 v[122:123], v2 offset0:109 offset1:110
	s_waitcnt lgkmcnt(3)
	v_fmac_f32_e32 v148, v132, v124
	s_waitcnt vmcnt(3)
	s_delay_alu instid0(VALU_DEP_1) | instskip(SKIP_3) | instid1(VALU_DEP_1)
	v_fmac_f32_e32 v148, v133, v125
	ds_load_2addr_b32 v[124:125], v2 offset0:111 offset1:112
	s_waitcnt lgkmcnt(3)
	v_fmac_f32_e32 v148, v134, v126
	v_fmac_f32_e32 v148, v135, v127
	s_waitcnt lgkmcnt(2)
	s_delay_alu instid0(VALU_DEP_1) | instskip(SKIP_1) | instid1(VALU_DEP_1)
	v_fmac_f32_e32 v148, v136, v128
	s_waitcnt vmcnt(2)
	v_fmac_f32_e32 v148, v137, v129
	ds_load_2addr_b32 v[126:127], v2 offset0:113 offset1:114
	ds_load_2addr_b32 v[128:129], v2 offset0:115 offset1:116
	s_waitcnt lgkmcnt(3)
	v_fmac_f32_e32 v148, v138, v122
	s_delay_alu instid0(VALU_DEP_1) | instskip(SKIP_4) | instid1(VALU_DEP_1)
	v_fmac_f32_e32 v148, v139, v123
	ds_load_2addr_b32 v[122:123], v2 offset0:117 offset1:118
	s_waitcnt lgkmcnt(3)
	v_fmac_f32_e32 v148, v140, v124
	s_waitcnt vmcnt(1)
	v_fmac_f32_e32 v148, v141, v125
	s_waitcnt lgkmcnt(2)
	s_delay_alu instid0(VALU_DEP_1) | instskip(NEXT) | instid1(VALU_DEP_1)
	v_fmac_f32_e32 v148, v142, v126
	v_fmac_f32_e32 v148, v143, v127
	s_waitcnt lgkmcnt(1)
	s_delay_alu instid0(VALU_DEP_1) | instskip(SKIP_1) | instid1(VALU_DEP_1)
	v_fmac_f32_e32 v148, v144, v128
	s_waitcnt vmcnt(0)
	v_fmac_f32_e32 v148, v145, v129
	s_waitcnt lgkmcnt(0)
	s_delay_alu instid0(VALU_DEP_1) | instskip(NEXT) | instid1(VALU_DEP_1)
	v_fmac_f32_e32 v148, v146, v122
	v_fmac_f32_e32 v148, v147, v123
	s_delay_alu instid0(VALU_DEP_1)
	v_sub_f32_e32 v2, v121, v148
	scratch_store_b32 off, v2, off offset:128
	v_cmpx_lt_u32_e32 31, v0
	s_cbranch_execz .LBB58_299
; %bb.298:
	scratch_load_b32 v2, off, off offset:124
	v_mov_b32_e32 v121, 0
	scratch_store_b32 off, v121, off offset:124
	s_waitcnt vmcnt(0)
	ds_store_b32 v1, v2
.LBB58_299:
	s_or_b32 exec_lo, exec_lo, s0
	s_waitcnt lgkmcnt(0)
	s_waitcnt_vscnt null, 0x0
	s_barrier
	buffer_gl0_inv
	s_clause 0x6
	scratch_load_b128 v[121:124], off, off offset:124
	scratch_load_b128 v[125:128], off, off offset:140
	;; [unrolled: 1-line block ×7, first 2 shown]
	v_mov_b32_e32 v2, 0
	ds_load_b128 v[149:152], v2 offset:368
	ds_load_b128 v[153:156], v2 offset:384
	s_mov_b32 s0, exec_lo
	s_waitcnt vmcnt(6) lgkmcnt(1)
	v_fma_f32 v149, v122, v149, 0
	s_delay_alu instid0(VALU_DEP_1) | instskip(NEXT) | instid1(VALU_DEP_1)
	v_fmac_f32_e32 v149, v123, v150
	v_fmac_f32_e32 v149, v124, v151
	s_waitcnt vmcnt(5)
	s_delay_alu instid0(VALU_DEP_1) | instskip(SKIP_3) | instid1(VALU_DEP_1)
	v_fmac_f32_e32 v149, v125, v152
	ds_load_b128 v[122:125], v2 offset:400
	s_waitcnt lgkmcnt(1)
	v_fmac_f32_e32 v149, v126, v153
	v_fmac_f32_e32 v149, v127, v154
	s_delay_alu instid0(VALU_DEP_1) | instskip(SKIP_1) | instid1(VALU_DEP_1)
	v_fmac_f32_e32 v149, v128, v155
	s_waitcnt vmcnt(4)
	v_fmac_f32_e32 v149, v129, v156
	ds_load_b128 v[126:129], v2 offset:416
	s_waitcnt lgkmcnt(1)
	v_fmac_f32_e32 v149, v130, v122
	s_delay_alu instid0(VALU_DEP_1) | instskip(NEXT) | instid1(VALU_DEP_1)
	v_fmac_f32_e32 v149, v131, v123
	v_fmac_f32_e32 v149, v132, v124
	s_waitcnt vmcnt(3)
	s_delay_alu instid0(VALU_DEP_1) | instskip(SKIP_3) | instid1(VALU_DEP_1)
	v_fmac_f32_e32 v149, v133, v125
	ds_load_b128 v[122:125], v2 offset:432
	s_waitcnt lgkmcnt(1)
	v_fmac_f32_e32 v149, v134, v126
	v_fmac_f32_e32 v149, v135, v127
	s_delay_alu instid0(VALU_DEP_1) | instskip(SKIP_1) | instid1(VALU_DEP_1)
	v_fmac_f32_e32 v149, v136, v128
	s_waitcnt vmcnt(2)
	v_fmac_f32_e32 v149, v137, v129
	ds_load_b128 v[126:129], v2 offset:448
	s_waitcnt lgkmcnt(1)
	v_fmac_f32_e32 v149, v138, v122
	s_delay_alu instid0(VALU_DEP_1) | instskip(NEXT) | instid1(VALU_DEP_1)
	v_fmac_f32_e32 v149, v139, v123
	v_fmac_f32_e32 v149, v140, v124
	ds_load_b96 v[122:124], v2 offset:464
	s_waitcnt vmcnt(1)
	v_fmac_f32_e32 v149, v141, v125
	s_waitcnt lgkmcnt(1)
	s_delay_alu instid0(VALU_DEP_1) | instskip(NEXT) | instid1(VALU_DEP_1)
	v_fmac_f32_e32 v149, v142, v126
	v_fmac_f32_e32 v149, v143, v127
	s_delay_alu instid0(VALU_DEP_1) | instskip(SKIP_1) | instid1(VALU_DEP_1)
	v_fmac_f32_e32 v149, v144, v128
	s_waitcnt vmcnt(0)
	v_fmac_f32_e32 v149, v145, v129
	s_waitcnt lgkmcnt(0)
	s_delay_alu instid0(VALU_DEP_1) | instskip(NEXT) | instid1(VALU_DEP_1)
	v_fmac_f32_e32 v149, v146, v122
	v_fmac_f32_e32 v149, v147, v123
	s_delay_alu instid0(VALU_DEP_1) | instskip(NEXT) | instid1(VALU_DEP_1)
	v_fmac_f32_e32 v149, v148, v124
	v_sub_f32_e32 v121, v121, v149
	scratch_store_b32 off, v121, off offset:124
	v_cmpx_lt_u32_e32 30, v0
	s_cbranch_execz .LBB58_301
; %bb.300:
	scratch_load_b32 v121, off, off offset:120
	scratch_store_b32 off, v2, off offset:120
	s_waitcnt vmcnt(0)
	ds_store_b32 v1, v121
.LBB58_301:
	s_or_b32 exec_lo, exec_lo, s0
	s_waitcnt lgkmcnt(0)
	s_waitcnt_vscnt null, 0x0
	s_barrier
	buffer_gl0_inv
	s_clause 0x7
	scratch_load_b128 v[121:124], off, off offset:120
	scratch_load_b128 v[125:128], off, off offset:136
	;; [unrolled: 1-line block ×7, first 2 shown]
	scratch_load_b32 v157, off, off offset:232
	ds_load_2addr_b32 v[149:150], v2 offset0:91 offset1:92
	ds_load_2addr_b32 v[151:152], v2 offset0:93 offset1:94
	;; [unrolled: 1-line block ×4, first 2 shown]
	s_mov_b32 s0, exec_lo
	s_waitcnt vmcnt(7) lgkmcnt(3)
	v_fma_f32 v149, v122, v149, 0
	s_delay_alu instid0(VALU_DEP_1) | instskip(SKIP_4) | instid1(VALU_DEP_1)
	v_fmac_f32_e32 v149, v123, v150
	ds_load_2addr_b32 v[122:123], v2 offset0:99 offset1:100
	s_waitcnt lgkmcnt(3)
	v_fmac_f32_e32 v149, v124, v151
	s_waitcnt vmcnt(6)
	v_fmac_f32_e32 v149, v125, v152
	ds_load_2addr_b32 v[124:125], v2 offset0:101 offset1:102
	s_waitcnt lgkmcnt(3)
	v_fmac_f32_e32 v149, v126, v153
	s_delay_alu instid0(VALU_DEP_1) | instskip(SKIP_1) | instid1(VALU_DEP_1)
	v_fmac_f32_e32 v149, v127, v154
	s_waitcnt lgkmcnt(2)
	v_fmac_f32_e32 v149, v128, v155
	s_waitcnt vmcnt(5)
	s_delay_alu instid0(VALU_DEP_1) | instskip(SKIP_4) | instid1(VALU_DEP_1)
	v_fmac_f32_e32 v149, v129, v156
	ds_load_2addr_b32 v[126:127], v2 offset0:103 offset1:104
	ds_load_2addr_b32 v[128:129], v2 offset0:105 offset1:106
	s_waitcnt lgkmcnt(3)
	v_fmac_f32_e32 v149, v130, v122
	v_fmac_f32_e32 v149, v131, v123
	ds_load_2addr_b32 v[122:123], v2 offset0:107 offset1:108
	s_waitcnt lgkmcnt(3)
	v_fmac_f32_e32 v149, v132, v124
	s_waitcnt vmcnt(4)
	s_delay_alu instid0(VALU_DEP_1) | instskip(SKIP_3) | instid1(VALU_DEP_1)
	v_fmac_f32_e32 v149, v133, v125
	ds_load_2addr_b32 v[124:125], v2 offset0:109 offset1:110
	s_waitcnt lgkmcnt(3)
	v_fmac_f32_e32 v149, v134, v126
	v_fmac_f32_e32 v149, v135, v127
	s_waitcnt lgkmcnt(2)
	s_delay_alu instid0(VALU_DEP_1) | instskip(SKIP_1) | instid1(VALU_DEP_1)
	v_fmac_f32_e32 v149, v136, v128
	s_waitcnt vmcnt(3)
	v_fmac_f32_e32 v149, v137, v129
	ds_load_2addr_b32 v[126:127], v2 offset0:111 offset1:112
	ds_load_2addr_b32 v[128:129], v2 offset0:113 offset1:114
	s_waitcnt lgkmcnt(3)
	v_fmac_f32_e32 v149, v138, v122
	s_delay_alu instid0(VALU_DEP_1) | instskip(SKIP_4) | instid1(VALU_DEP_1)
	v_fmac_f32_e32 v149, v139, v123
	ds_load_2addr_b32 v[122:123], v2 offset0:115 offset1:116
	s_waitcnt lgkmcnt(3)
	v_fmac_f32_e32 v149, v140, v124
	s_waitcnt vmcnt(2)
	v_fmac_f32_e32 v149, v141, v125
	ds_load_2addr_b32 v[124:125], v2 offset0:117 offset1:118
	s_waitcnt lgkmcnt(3)
	v_fmac_f32_e32 v149, v142, v126
	s_delay_alu instid0(VALU_DEP_1) | instskip(SKIP_1) | instid1(VALU_DEP_1)
	v_fmac_f32_e32 v149, v143, v127
	s_waitcnt lgkmcnt(2)
	v_fmac_f32_e32 v149, v144, v128
	s_waitcnt vmcnt(1)
	s_delay_alu instid0(VALU_DEP_1) | instskip(SKIP_1) | instid1(VALU_DEP_1)
	v_fmac_f32_e32 v149, v145, v129
	s_waitcnt lgkmcnt(1)
	v_fmac_f32_e32 v149, v146, v122
	s_delay_alu instid0(VALU_DEP_1) | instskip(SKIP_1) | instid1(VALU_DEP_1)
	v_fmac_f32_e32 v149, v147, v123
	s_waitcnt lgkmcnt(0)
	v_fmac_f32_e32 v149, v148, v124
	s_waitcnt vmcnt(0)
	s_delay_alu instid0(VALU_DEP_1) | instskip(NEXT) | instid1(VALU_DEP_1)
	v_fmac_f32_e32 v149, v157, v125
	v_sub_f32_e32 v2, v121, v149
	scratch_store_b32 off, v2, off offset:120
	v_cmpx_lt_u32_e32 29, v0
	s_cbranch_execz .LBB58_303
; %bb.302:
	scratch_load_b32 v2, off, off offset:116
	v_mov_b32_e32 v121, 0
	scratch_store_b32 off, v121, off offset:116
	s_waitcnt vmcnt(0)
	ds_store_b32 v1, v2
.LBB58_303:
	s_or_b32 exec_lo, exec_lo, s0
	s_waitcnt lgkmcnt(0)
	s_waitcnt_vscnt null, 0x0
	s_barrier
	buffer_gl0_inv
	s_clause 0x7
	scratch_load_b128 v[121:124], off, off offset:116
	scratch_load_b128 v[125:128], off, off offset:132
	scratch_load_b128 v[129:132], off, off offset:148
	scratch_load_b128 v[133:136], off, off offset:164
	scratch_load_b128 v[137:140], off, off offset:180
	scratch_load_b128 v[141:144], off, off offset:196
	scratch_load_b128 v[145:148], off, off offset:212
	scratch_load_b64 v[157:158], off, off offset:228
	v_mov_b32_e32 v2, 0
	ds_load_2addr_b64 v[149:152], v2 offset0:45 offset1:46
	ds_load_2addr_b64 v[153:156], v2 offset0:47 offset1:48
	s_mov_b32 s0, exec_lo
	s_waitcnt vmcnt(7) lgkmcnt(1)
	v_fma_f32 v149, v122, v149, 0
	s_delay_alu instid0(VALU_DEP_1) | instskip(NEXT) | instid1(VALU_DEP_1)
	v_fmac_f32_e32 v149, v123, v150
	v_fmac_f32_e32 v149, v124, v151
	s_waitcnt vmcnt(6)
	s_delay_alu instid0(VALU_DEP_1) | instskip(SKIP_3) | instid1(VALU_DEP_1)
	v_fmac_f32_e32 v149, v125, v152
	ds_load_2addr_b64 v[122:125], v2 offset0:49 offset1:50
	s_waitcnt lgkmcnt(1)
	v_fmac_f32_e32 v149, v126, v153
	v_fmac_f32_e32 v149, v127, v154
	s_delay_alu instid0(VALU_DEP_1) | instskip(SKIP_1) | instid1(VALU_DEP_1)
	v_fmac_f32_e32 v149, v128, v155
	s_waitcnt vmcnt(5)
	v_fmac_f32_e32 v149, v129, v156
	ds_load_2addr_b64 v[126:129], v2 offset0:51 offset1:52
	s_waitcnt lgkmcnt(1)
	v_fmac_f32_e32 v149, v130, v122
	s_delay_alu instid0(VALU_DEP_1) | instskip(NEXT) | instid1(VALU_DEP_1)
	v_fmac_f32_e32 v149, v131, v123
	v_fmac_f32_e32 v149, v132, v124
	s_waitcnt vmcnt(4)
	s_delay_alu instid0(VALU_DEP_1) | instskip(SKIP_3) | instid1(VALU_DEP_1)
	v_fmac_f32_e32 v149, v133, v125
	ds_load_2addr_b64 v[122:125], v2 offset0:53 offset1:54
	s_waitcnt lgkmcnt(1)
	v_fmac_f32_e32 v149, v134, v126
	v_fmac_f32_e32 v149, v135, v127
	s_delay_alu instid0(VALU_DEP_1) | instskip(SKIP_1) | instid1(VALU_DEP_1)
	v_fmac_f32_e32 v149, v136, v128
	s_waitcnt vmcnt(3)
	v_fmac_f32_e32 v149, v137, v129
	ds_load_2addr_b64 v[126:129], v2 offset0:55 offset1:56
	s_waitcnt lgkmcnt(1)
	v_fmac_f32_e32 v149, v138, v122
	s_delay_alu instid0(VALU_DEP_1) | instskip(NEXT) | instid1(VALU_DEP_1)
	v_fmac_f32_e32 v149, v139, v123
	v_fmac_f32_e32 v149, v140, v124
	s_waitcnt vmcnt(2)
	s_delay_alu instid0(VALU_DEP_1)
	v_fmac_f32_e32 v149, v141, v125
	ds_load_2addr_b64 v[122:125], v2 offset0:57 offset1:58
	s_waitcnt lgkmcnt(1)
	v_fmac_f32_e32 v149, v142, v126
	ds_load_b32 v126, v2 offset:472
	v_fmac_f32_e32 v149, v143, v127
	s_delay_alu instid0(VALU_DEP_1) | instskip(SKIP_1) | instid1(VALU_DEP_1)
	v_fmac_f32_e32 v149, v144, v128
	s_waitcnt vmcnt(1)
	v_fmac_f32_e32 v149, v145, v129
	s_waitcnt lgkmcnt(1)
	s_delay_alu instid0(VALU_DEP_1) | instskip(NEXT) | instid1(VALU_DEP_1)
	v_fmac_f32_e32 v149, v146, v122
	v_fmac_f32_e32 v149, v147, v123
	s_delay_alu instid0(VALU_DEP_1) | instskip(SKIP_1) | instid1(VALU_DEP_1)
	v_fmac_f32_e32 v149, v148, v124
	s_waitcnt vmcnt(0)
	v_fmac_f32_e32 v149, v157, v125
	s_waitcnt lgkmcnt(0)
	s_delay_alu instid0(VALU_DEP_1) | instskip(NEXT) | instid1(VALU_DEP_1)
	v_fmac_f32_e32 v149, v158, v126
	v_sub_f32_e32 v121, v121, v149
	scratch_store_b32 off, v121, off offset:116
	v_cmpx_lt_u32_e32 28, v0
	s_cbranch_execz .LBB58_305
; %bb.304:
	scratch_load_b32 v121, off, off offset:112
	scratch_store_b32 off, v2, off offset:112
	s_waitcnt vmcnt(0)
	ds_store_b32 v1, v121
.LBB58_305:
	s_or_b32 exec_lo, exec_lo, s0
	s_waitcnt lgkmcnt(0)
	s_waitcnt_vscnt null, 0x0
	s_barrier
	buffer_gl0_inv
	s_clause 0x7
	scratch_load_b128 v[121:124], off, off offset:112
	scratch_load_b128 v[125:128], off, off offset:128
	scratch_load_b128 v[129:132], off, off offset:144
	scratch_load_b128 v[133:136], off, off offset:160
	scratch_load_b128 v[137:140], off, off offset:176
	scratch_load_b128 v[141:144], off, off offset:192
	scratch_load_b128 v[145:148], off, off offset:208
	scratch_load_b96 v[149:151], off, off offset:224
	ds_load_2addr_b32 v[152:153], v2 offset0:89 offset1:90
	ds_load_2addr_b32 v[154:155], v2 offset0:91 offset1:92
	;; [unrolled: 1-line block ×4, first 2 shown]
	s_mov_b32 s0, exec_lo
	s_waitcnt vmcnt(7) lgkmcnt(3)
	v_fma_f32 v152, v122, v152, 0
	s_delay_alu instid0(VALU_DEP_1) | instskip(SKIP_4) | instid1(VALU_DEP_1)
	v_fmac_f32_e32 v152, v123, v153
	ds_load_2addr_b32 v[122:123], v2 offset0:97 offset1:98
	s_waitcnt lgkmcnt(3)
	v_fmac_f32_e32 v152, v124, v154
	s_waitcnt vmcnt(6)
	v_fmac_f32_e32 v152, v125, v155
	ds_load_2addr_b32 v[124:125], v2 offset0:99 offset1:100
	s_waitcnt lgkmcnt(3)
	v_fmac_f32_e32 v152, v126, v156
	s_delay_alu instid0(VALU_DEP_1) | instskip(SKIP_1) | instid1(VALU_DEP_1)
	v_fmac_f32_e32 v152, v127, v157
	s_waitcnt lgkmcnt(2)
	v_fmac_f32_e32 v152, v128, v158
	s_waitcnt vmcnt(5)
	s_delay_alu instid0(VALU_DEP_1) | instskip(SKIP_4) | instid1(VALU_DEP_1)
	v_fmac_f32_e32 v152, v129, v159
	ds_load_2addr_b32 v[126:127], v2 offset0:101 offset1:102
	ds_load_2addr_b32 v[128:129], v2 offset0:103 offset1:104
	s_waitcnt lgkmcnt(3)
	v_fmac_f32_e32 v152, v130, v122
	v_fmac_f32_e32 v152, v131, v123
	ds_load_2addr_b32 v[122:123], v2 offset0:105 offset1:106
	s_waitcnt lgkmcnt(3)
	v_fmac_f32_e32 v152, v132, v124
	s_waitcnt vmcnt(4)
	s_delay_alu instid0(VALU_DEP_1) | instskip(SKIP_3) | instid1(VALU_DEP_1)
	v_fmac_f32_e32 v152, v133, v125
	ds_load_2addr_b32 v[124:125], v2 offset0:107 offset1:108
	s_waitcnt lgkmcnt(3)
	v_fmac_f32_e32 v152, v134, v126
	v_fmac_f32_e32 v152, v135, v127
	s_waitcnt lgkmcnt(2)
	s_delay_alu instid0(VALU_DEP_1) | instskip(SKIP_1) | instid1(VALU_DEP_1)
	v_fmac_f32_e32 v152, v136, v128
	s_waitcnt vmcnt(3)
	v_fmac_f32_e32 v152, v137, v129
	ds_load_2addr_b32 v[126:127], v2 offset0:109 offset1:110
	ds_load_2addr_b32 v[128:129], v2 offset0:111 offset1:112
	s_waitcnt lgkmcnt(3)
	v_fmac_f32_e32 v152, v138, v122
	s_delay_alu instid0(VALU_DEP_1) | instskip(SKIP_4) | instid1(VALU_DEP_1)
	v_fmac_f32_e32 v152, v139, v123
	ds_load_2addr_b32 v[122:123], v2 offset0:113 offset1:114
	s_waitcnt lgkmcnt(3)
	v_fmac_f32_e32 v152, v140, v124
	s_waitcnt vmcnt(2)
	v_fmac_f32_e32 v152, v141, v125
	ds_load_2addr_b32 v[124:125], v2 offset0:115 offset1:116
	s_waitcnt lgkmcnt(3)
	v_fmac_f32_e32 v152, v142, v126
	s_delay_alu instid0(VALU_DEP_1) | instskip(SKIP_4) | instid1(VALU_DEP_1)
	v_fmac_f32_e32 v152, v143, v127
	ds_load_2addr_b32 v[126:127], v2 offset0:117 offset1:118
	s_waitcnt lgkmcnt(3)
	v_fmac_f32_e32 v152, v144, v128
	s_waitcnt vmcnt(1)
	v_fmac_f32_e32 v152, v145, v129
	s_waitcnt lgkmcnt(2)
	s_delay_alu instid0(VALU_DEP_1) | instskip(NEXT) | instid1(VALU_DEP_1)
	v_fmac_f32_e32 v152, v146, v122
	v_fmac_f32_e32 v152, v147, v123
	s_waitcnt lgkmcnt(1)
	s_delay_alu instid0(VALU_DEP_1) | instskip(SKIP_1) | instid1(VALU_DEP_1)
	v_fmac_f32_e32 v152, v148, v124
	s_waitcnt vmcnt(0)
	v_fmac_f32_e32 v152, v149, v125
	s_waitcnt lgkmcnt(0)
	s_delay_alu instid0(VALU_DEP_1) | instskip(NEXT) | instid1(VALU_DEP_1)
	v_fmac_f32_e32 v152, v150, v126
	v_fmac_f32_e32 v152, v151, v127
	s_delay_alu instid0(VALU_DEP_1)
	v_sub_f32_e32 v2, v121, v152
	scratch_store_b32 off, v2, off offset:112
	v_cmpx_lt_u32_e32 27, v0
	s_cbranch_execz .LBB58_307
; %bb.306:
	scratch_load_b32 v2, off, off offset:108
	v_mov_b32_e32 v121, 0
	scratch_store_b32 off, v121, off offset:108
	s_waitcnt vmcnt(0)
	ds_store_b32 v1, v2
.LBB58_307:
	s_or_b32 exec_lo, exec_lo, s0
	s_waitcnt lgkmcnt(0)
	s_waitcnt_vscnt null, 0x0
	s_barrier
	buffer_gl0_inv
	s_clause 0x7
	scratch_load_b128 v[121:124], off, off offset:108
	scratch_load_b128 v[125:128], off, off offset:124
	;; [unrolled: 1-line block ×8, first 2 shown]
	v_mov_b32_e32 v2, 0
	ds_load_b128 v[153:156], v2 offset:352
	ds_load_b128 v[157:160], v2 offset:368
	s_mov_b32 s0, exec_lo
	s_waitcnt vmcnt(7) lgkmcnt(1)
	v_fma_f32 v153, v122, v153, 0
	s_delay_alu instid0(VALU_DEP_1) | instskip(NEXT) | instid1(VALU_DEP_1)
	v_fmac_f32_e32 v153, v123, v154
	v_fmac_f32_e32 v153, v124, v155
	s_waitcnt vmcnt(6)
	s_delay_alu instid0(VALU_DEP_1) | instskip(SKIP_3) | instid1(VALU_DEP_1)
	v_fmac_f32_e32 v153, v125, v156
	ds_load_b128 v[122:125], v2 offset:384
	s_waitcnt lgkmcnt(1)
	v_fmac_f32_e32 v153, v126, v157
	v_fmac_f32_e32 v153, v127, v158
	s_delay_alu instid0(VALU_DEP_1) | instskip(SKIP_1) | instid1(VALU_DEP_1)
	v_fmac_f32_e32 v153, v128, v159
	s_waitcnt vmcnt(5)
	v_fmac_f32_e32 v153, v129, v160
	ds_load_b128 v[126:129], v2 offset:400
	s_waitcnt lgkmcnt(1)
	v_fmac_f32_e32 v153, v130, v122
	s_delay_alu instid0(VALU_DEP_1) | instskip(NEXT) | instid1(VALU_DEP_1)
	v_fmac_f32_e32 v153, v131, v123
	v_fmac_f32_e32 v153, v132, v124
	s_waitcnt vmcnt(4)
	s_delay_alu instid0(VALU_DEP_1) | instskip(SKIP_3) | instid1(VALU_DEP_1)
	v_fmac_f32_e32 v153, v133, v125
	ds_load_b128 v[122:125], v2 offset:416
	s_waitcnt lgkmcnt(1)
	v_fmac_f32_e32 v153, v134, v126
	v_fmac_f32_e32 v153, v135, v127
	s_delay_alu instid0(VALU_DEP_1) | instskip(SKIP_1) | instid1(VALU_DEP_1)
	v_fmac_f32_e32 v153, v136, v128
	s_waitcnt vmcnt(3)
	v_fmac_f32_e32 v153, v137, v129
	ds_load_b128 v[126:129], v2 offset:432
	s_waitcnt lgkmcnt(1)
	v_fmac_f32_e32 v153, v138, v122
	s_delay_alu instid0(VALU_DEP_1) | instskip(NEXT) | instid1(VALU_DEP_1)
	v_fmac_f32_e32 v153, v139, v123
	v_fmac_f32_e32 v153, v140, v124
	s_waitcnt vmcnt(2)
	s_delay_alu instid0(VALU_DEP_1) | instskip(SKIP_3) | instid1(VALU_DEP_1)
	v_fmac_f32_e32 v153, v141, v125
	ds_load_b128 v[122:125], v2 offset:448
	s_waitcnt lgkmcnt(1)
	v_fmac_f32_e32 v153, v142, v126
	v_fmac_f32_e32 v153, v143, v127
	s_delay_alu instid0(VALU_DEP_1) | instskip(SKIP_4) | instid1(VALU_DEP_1)
	v_fmac_f32_e32 v153, v144, v128
	ds_load_b96 v[126:128], v2 offset:464
	s_waitcnt vmcnt(1)
	v_fmac_f32_e32 v153, v145, v129
	s_waitcnt lgkmcnt(1)
	v_fmac_f32_e32 v153, v146, v122
	s_delay_alu instid0(VALU_DEP_1) | instskip(NEXT) | instid1(VALU_DEP_1)
	v_fmac_f32_e32 v153, v147, v123
	v_fmac_f32_e32 v153, v148, v124
	s_waitcnt vmcnt(0)
	s_delay_alu instid0(VALU_DEP_1) | instskip(SKIP_1) | instid1(VALU_DEP_1)
	v_fmac_f32_e32 v153, v149, v125
	s_waitcnt lgkmcnt(0)
	v_fmac_f32_e32 v153, v150, v126
	s_delay_alu instid0(VALU_DEP_1) | instskip(NEXT) | instid1(VALU_DEP_1)
	v_fmac_f32_e32 v153, v151, v127
	v_fmac_f32_e32 v153, v152, v128
	s_delay_alu instid0(VALU_DEP_1)
	v_sub_f32_e32 v121, v121, v153
	scratch_store_b32 off, v121, off offset:108
	v_cmpx_lt_u32_e32 26, v0
	s_cbranch_execz .LBB58_309
; %bb.308:
	scratch_load_b32 v121, off, off offset:104
	scratch_store_b32 off, v2, off offset:104
	s_waitcnt vmcnt(0)
	ds_store_b32 v1, v121
.LBB58_309:
	s_or_b32 exec_lo, exec_lo, s0
	s_waitcnt lgkmcnt(0)
	s_waitcnt_vscnt null, 0x0
	s_barrier
	buffer_gl0_inv
	s_clause 0x8
	scratch_load_b128 v[121:124], off, off offset:104
	scratch_load_b128 v[125:128], off, off offset:120
	;; [unrolled: 1-line block ×8, first 2 shown]
	scratch_load_b32 v161, off, off offset:232
	ds_load_2addr_b32 v[153:154], v2 offset0:87 offset1:88
	ds_load_2addr_b32 v[155:156], v2 offset0:89 offset1:90
	;; [unrolled: 1-line block ×4, first 2 shown]
	s_mov_b32 s0, exec_lo
	s_waitcnt vmcnt(8) lgkmcnt(3)
	v_fma_f32 v153, v122, v153, 0
	s_delay_alu instid0(VALU_DEP_1) | instskip(SKIP_4) | instid1(VALU_DEP_1)
	v_fmac_f32_e32 v153, v123, v154
	ds_load_2addr_b32 v[122:123], v2 offset0:95 offset1:96
	s_waitcnt lgkmcnt(3)
	v_fmac_f32_e32 v153, v124, v155
	s_waitcnt vmcnt(7)
	v_fmac_f32_e32 v153, v125, v156
	ds_load_2addr_b32 v[124:125], v2 offset0:97 offset1:98
	s_waitcnt lgkmcnt(3)
	v_fmac_f32_e32 v153, v126, v157
	s_delay_alu instid0(VALU_DEP_1) | instskip(SKIP_1) | instid1(VALU_DEP_1)
	v_fmac_f32_e32 v153, v127, v158
	s_waitcnt lgkmcnt(2)
	v_fmac_f32_e32 v153, v128, v159
	s_waitcnt vmcnt(6)
	s_delay_alu instid0(VALU_DEP_1) | instskip(SKIP_4) | instid1(VALU_DEP_1)
	v_fmac_f32_e32 v153, v129, v160
	ds_load_2addr_b32 v[126:127], v2 offset0:99 offset1:100
	ds_load_2addr_b32 v[128:129], v2 offset0:101 offset1:102
	s_waitcnt lgkmcnt(3)
	v_fmac_f32_e32 v153, v130, v122
	v_fmac_f32_e32 v153, v131, v123
	ds_load_2addr_b32 v[122:123], v2 offset0:103 offset1:104
	s_waitcnt lgkmcnt(3)
	v_fmac_f32_e32 v153, v132, v124
	s_waitcnt vmcnt(5)
	s_delay_alu instid0(VALU_DEP_1) | instskip(SKIP_3) | instid1(VALU_DEP_1)
	v_fmac_f32_e32 v153, v133, v125
	ds_load_2addr_b32 v[124:125], v2 offset0:105 offset1:106
	s_waitcnt lgkmcnt(3)
	v_fmac_f32_e32 v153, v134, v126
	v_fmac_f32_e32 v153, v135, v127
	s_waitcnt lgkmcnt(2)
	s_delay_alu instid0(VALU_DEP_1) | instskip(SKIP_1) | instid1(VALU_DEP_1)
	v_fmac_f32_e32 v153, v136, v128
	s_waitcnt vmcnt(4)
	v_fmac_f32_e32 v153, v137, v129
	ds_load_2addr_b32 v[126:127], v2 offset0:107 offset1:108
	ds_load_2addr_b32 v[128:129], v2 offset0:109 offset1:110
	s_waitcnt lgkmcnt(3)
	v_fmac_f32_e32 v153, v138, v122
	s_delay_alu instid0(VALU_DEP_1) | instskip(SKIP_4) | instid1(VALU_DEP_1)
	v_fmac_f32_e32 v153, v139, v123
	ds_load_2addr_b32 v[122:123], v2 offset0:111 offset1:112
	s_waitcnt lgkmcnt(3)
	v_fmac_f32_e32 v153, v140, v124
	s_waitcnt vmcnt(3)
	v_fmac_f32_e32 v153, v141, v125
	ds_load_2addr_b32 v[124:125], v2 offset0:113 offset1:114
	s_waitcnt lgkmcnt(3)
	v_fmac_f32_e32 v153, v142, v126
	s_delay_alu instid0(VALU_DEP_1) | instskip(SKIP_1) | instid1(VALU_DEP_1)
	v_fmac_f32_e32 v153, v143, v127
	s_waitcnt lgkmcnt(2)
	v_fmac_f32_e32 v153, v144, v128
	s_waitcnt vmcnt(2)
	s_delay_alu instid0(VALU_DEP_1) | instskip(SKIP_4) | instid1(VALU_DEP_1)
	v_fmac_f32_e32 v153, v145, v129
	ds_load_2addr_b32 v[126:127], v2 offset0:115 offset1:116
	ds_load_2addr_b32 v[128:129], v2 offset0:117 offset1:118
	s_waitcnt lgkmcnt(3)
	v_fmac_f32_e32 v153, v146, v122
	v_fmac_f32_e32 v153, v147, v123
	s_waitcnt lgkmcnt(2)
	s_delay_alu instid0(VALU_DEP_1) | instskip(SKIP_1) | instid1(VALU_DEP_1)
	v_fmac_f32_e32 v153, v148, v124
	s_waitcnt vmcnt(1)
	v_fmac_f32_e32 v153, v149, v125
	s_waitcnt lgkmcnt(1)
	s_delay_alu instid0(VALU_DEP_1) | instskip(NEXT) | instid1(VALU_DEP_1)
	v_fmac_f32_e32 v153, v150, v126
	v_fmac_f32_e32 v153, v151, v127
	s_waitcnt lgkmcnt(0)
	s_delay_alu instid0(VALU_DEP_1) | instskip(SKIP_1) | instid1(VALU_DEP_1)
	v_fmac_f32_e32 v153, v152, v128
	s_waitcnt vmcnt(0)
	v_fmac_f32_e32 v153, v161, v129
	s_delay_alu instid0(VALU_DEP_1)
	v_sub_f32_e32 v2, v121, v153
	scratch_store_b32 off, v2, off offset:104
	v_cmpx_lt_u32_e32 25, v0
	s_cbranch_execz .LBB58_311
; %bb.310:
	scratch_load_b32 v2, off, off offset:100
	v_mov_b32_e32 v121, 0
	scratch_store_b32 off, v121, off offset:100
	s_waitcnt vmcnt(0)
	ds_store_b32 v1, v2
.LBB58_311:
	s_or_b32 exec_lo, exec_lo, s0
	s_waitcnt lgkmcnt(0)
	s_waitcnt_vscnt null, 0x0
	s_barrier
	buffer_gl0_inv
	s_clause 0x8
	scratch_load_b128 v[121:124], off, off offset:100
	scratch_load_b128 v[125:128], off, off offset:116
	;; [unrolled: 1-line block ×8, first 2 shown]
	scratch_load_b64 v[161:162], off, off offset:228
	v_mov_b32_e32 v2, 0
	ds_load_2addr_b64 v[153:156], v2 offset0:43 offset1:44
	ds_load_2addr_b64 v[157:160], v2 offset0:45 offset1:46
	s_mov_b32 s0, exec_lo
	s_waitcnt vmcnt(8) lgkmcnt(1)
	v_fma_f32 v153, v122, v153, 0
	s_delay_alu instid0(VALU_DEP_1) | instskip(NEXT) | instid1(VALU_DEP_1)
	v_fmac_f32_e32 v153, v123, v154
	v_fmac_f32_e32 v153, v124, v155
	s_waitcnt vmcnt(7)
	s_delay_alu instid0(VALU_DEP_1) | instskip(SKIP_3) | instid1(VALU_DEP_1)
	v_fmac_f32_e32 v153, v125, v156
	ds_load_2addr_b64 v[122:125], v2 offset0:47 offset1:48
	s_waitcnt lgkmcnt(1)
	v_fmac_f32_e32 v153, v126, v157
	v_fmac_f32_e32 v153, v127, v158
	s_delay_alu instid0(VALU_DEP_1) | instskip(SKIP_1) | instid1(VALU_DEP_1)
	v_fmac_f32_e32 v153, v128, v159
	s_waitcnt vmcnt(6)
	v_fmac_f32_e32 v153, v129, v160
	ds_load_2addr_b64 v[126:129], v2 offset0:49 offset1:50
	s_waitcnt lgkmcnt(1)
	v_fmac_f32_e32 v153, v130, v122
	s_delay_alu instid0(VALU_DEP_1) | instskip(NEXT) | instid1(VALU_DEP_1)
	v_fmac_f32_e32 v153, v131, v123
	v_fmac_f32_e32 v153, v132, v124
	s_waitcnt vmcnt(5)
	s_delay_alu instid0(VALU_DEP_1) | instskip(SKIP_3) | instid1(VALU_DEP_1)
	v_fmac_f32_e32 v153, v133, v125
	ds_load_2addr_b64 v[122:125], v2 offset0:51 offset1:52
	s_waitcnt lgkmcnt(1)
	v_fmac_f32_e32 v153, v134, v126
	v_fmac_f32_e32 v153, v135, v127
	s_delay_alu instid0(VALU_DEP_1) | instskip(SKIP_1) | instid1(VALU_DEP_1)
	v_fmac_f32_e32 v153, v136, v128
	s_waitcnt vmcnt(4)
	v_fmac_f32_e32 v153, v137, v129
	ds_load_2addr_b64 v[126:129], v2 offset0:53 offset1:54
	s_waitcnt lgkmcnt(1)
	v_fmac_f32_e32 v153, v138, v122
	;; [unrolled: 17-line block ×3, first 2 shown]
	ds_load_b32 v122, v2 offset:472
	v_fmac_f32_e32 v153, v147, v123
	s_delay_alu instid0(VALU_DEP_1) | instskip(SKIP_1) | instid1(VALU_DEP_1)
	v_fmac_f32_e32 v153, v148, v124
	s_waitcnt vmcnt(1)
	v_fmac_f32_e32 v153, v149, v125
	s_waitcnt lgkmcnt(1)
	s_delay_alu instid0(VALU_DEP_1) | instskip(NEXT) | instid1(VALU_DEP_1)
	v_fmac_f32_e32 v153, v150, v126
	v_fmac_f32_e32 v153, v151, v127
	s_delay_alu instid0(VALU_DEP_1) | instskip(SKIP_1) | instid1(VALU_DEP_1)
	v_fmac_f32_e32 v153, v152, v128
	s_waitcnt vmcnt(0)
	v_fmac_f32_e32 v153, v161, v129
	s_waitcnt lgkmcnt(0)
	s_delay_alu instid0(VALU_DEP_1) | instskip(NEXT) | instid1(VALU_DEP_1)
	v_fmac_f32_e32 v153, v162, v122
	v_sub_f32_e32 v121, v121, v153
	scratch_store_b32 off, v121, off offset:100
	v_cmpx_lt_u32_e32 24, v0
	s_cbranch_execz .LBB58_313
; %bb.312:
	scratch_load_b32 v121, off, off offset:96
	scratch_store_b32 off, v2, off offset:96
	s_waitcnt vmcnt(0)
	ds_store_b32 v1, v121
.LBB58_313:
	s_or_b32 exec_lo, exec_lo, s0
	s_waitcnt lgkmcnt(0)
	s_waitcnt_vscnt null, 0x0
	s_barrier
	buffer_gl0_inv
	s_clause 0x8
	scratch_load_b128 v[121:124], off, off offset:96
	scratch_load_b128 v[125:128], off, off offset:112
	;; [unrolled: 1-line block ×8, first 2 shown]
	scratch_load_b96 v[153:155], off, off offset:224
	ds_load_2addr_b32 v[156:157], v2 offset0:85 offset1:86
	ds_load_2addr_b32 v[158:159], v2 offset0:87 offset1:88
	;; [unrolled: 1-line block ×4, first 2 shown]
	s_mov_b32 s0, exec_lo
	s_waitcnt vmcnt(8) lgkmcnt(3)
	v_fma_f32 v156, v122, v156, 0
	s_delay_alu instid0(VALU_DEP_1) | instskip(SKIP_4) | instid1(VALU_DEP_1)
	v_fmac_f32_e32 v156, v123, v157
	ds_load_2addr_b32 v[122:123], v2 offset0:93 offset1:94
	s_waitcnt lgkmcnt(3)
	v_fmac_f32_e32 v156, v124, v158
	s_waitcnt vmcnt(7)
	v_fmac_f32_e32 v156, v125, v159
	ds_load_2addr_b32 v[124:125], v2 offset0:95 offset1:96
	s_waitcnt lgkmcnt(3)
	v_fmac_f32_e32 v156, v126, v160
	s_delay_alu instid0(VALU_DEP_1) | instskip(SKIP_1) | instid1(VALU_DEP_1)
	v_fmac_f32_e32 v156, v127, v161
	s_waitcnt lgkmcnt(2)
	v_fmac_f32_e32 v156, v128, v162
	s_waitcnt vmcnt(6)
	s_delay_alu instid0(VALU_DEP_1) | instskip(SKIP_4) | instid1(VALU_DEP_1)
	v_fmac_f32_e32 v156, v129, v163
	ds_load_2addr_b32 v[126:127], v2 offset0:97 offset1:98
	ds_load_2addr_b32 v[128:129], v2 offset0:99 offset1:100
	s_waitcnt lgkmcnt(3)
	v_fmac_f32_e32 v156, v130, v122
	v_fmac_f32_e32 v156, v131, v123
	ds_load_2addr_b32 v[122:123], v2 offset0:101 offset1:102
	s_waitcnt lgkmcnt(3)
	v_fmac_f32_e32 v156, v132, v124
	s_waitcnt vmcnt(5)
	s_delay_alu instid0(VALU_DEP_1) | instskip(SKIP_3) | instid1(VALU_DEP_1)
	v_fmac_f32_e32 v156, v133, v125
	ds_load_2addr_b32 v[124:125], v2 offset0:103 offset1:104
	s_waitcnt lgkmcnt(3)
	v_fmac_f32_e32 v156, v134, v126
	v_fmac_f32_e32 v156, v135, v127
	s_waitcnt lgkmcnt(2)
	s_delay_alu instid0(VALU_DEP_1) | instskip(SKIP_1) | instid1(VALU_DEP_1)
	v_fmac_f32_e32 v156, v136, v128
	s_waitcnt vmcnt(4)
	v_fmac_f32_e32 v156, v137, v129
	ds_load_2addr_b32 v[126:127], v2 offset0:105 offset1:106
	ds_load_2addr_b32 v[128:129], v2 offset0:107 offset1:108
	s_waitcnt lgkmcnt(3)
	v_fmac_f32_e32 v156, v138, v122
	s_delay_alu instid0(VALU_DEP_1) | instskip(SKIP_4) | instid1(VALU_DEP_1)
	v_fmac_f32_e32 v156, v139, v123
	ds_load_2addr_b32 v[122:123], v2 offset0:109 offset1:110
	s_waitcnt lgkmcnt(3)
	v_fmac_f32_e32 v156, v140, v124
	s_waitcnt vmcnt(3)
	v_fmac_f32_e32 v156, v141, v125
	ds_load_2addr_b32 v[124:125], v2 offset0:111 offset1:112
	s_waitcnt lgkmcnt(3)
	v_fmac_f32_e32 v156, v142, v126
	s_delay_alu instid0(VALU_DEP_1) | instskip(SKIP_1) | instid1(VALU_DEP_1)
	v_fmac_f32_e32 v156, v143, v127
	s_waitcnt lgkmcnt(2)
	v_fmac_f32_e32 v156, v144, v128
	s_waitcnt vmcnt(2)
	s_delay_alu instid0(VALU_DEP_1) | instskip(SKIP_4) | instid1(VALU_DEP_1)
	v_fmac_f32_e32 v156, v145, v129
	ds_load_2addr_b32 v[126:127], v2 offset0:113 offset1:114
	ds_load_2addr_b32 v[128:129], v2 offset0:115 offset1:116
	s_waitcnt lgkmcnt(3)
	v_fmac_f32_e32 v156, v146, v122
	v_fmac_f32_e32 v156, v147, v123
	ds_load_2addr_b32 v[122:123], v2 offset0:117 offset1:118
	s_waitcnt lgkmcnt(3)
	v_fmac_f32_e32 v156, v148, v124
	s_waitcnt vmcnt(1)
	s_delay_alu instid0(VALU_DEP_1) | instskip(SKIP_1) | instid1(VALU_DEP_1)
	v_fmac_f32_e32 v156, v149, v125
	s_waitcnt lgkmcnt(2)
	v_fmac_f32_e32 v156, v150, v126
	s_delay_alu instid0(VALU_DEP_1) | instskip(SKIP_1) | instid1(VALU_DEP_1)
	v_fmac_f32_e32 v156, v151, v127
	s_waitcnt lgkmcnt(1)
	v_fmac_f32_e32 v156, v152, v128
	s_waitcnt vmcnt(0)
	s_delay_alu instid0(VALU_DEP_1) | instskip(SKIP_1) | instid1(VALU_DEP_1)
	v_fmac_f32_e32 v156, v153, v129
	s_waitcnt lgkmcnt(0)
	v_fmac_f32_e32 v156, v154, v122
	s_delay_alu instid0(VALU_DEP_1) | instskip(NEXT) | instid1(VALU_DEP_1)
	v_fmac_f32_e32 v156, v155, v123
	v_sub_f32_e32 v2, v121, v156
	scratch_store_b32 off, v2, off offset:96
	v_cmpx_lt_u32_e32 23, v0
	s_cbranch_execz .LBB58_315
; %bb.314:
	scratch_load_b32 v2, off, off offset:92
	v_mov_b32_e32 v121, 0
	scratch_store_b32 off, v121, off offset:92
	s_waitcnt vmcnt(0)
	ds_store_b32 v1, v2
.LBB58_315:
	s_or_b32 exec_lo, exec_lo, s0
	s_waitcnt lgkmcnt(0)
	s_waitcnt_vscnt null, 0x0
	s_barrier
	buffer_gl0_inv
	s_clause 0x8
	scratch_load_b128 v[121:124], off, off offset:92
	scratch_load_b128 v[125:128], off, off offset:108
	;; [unrolled: 1-line block ×9, first 2 shown]
	v_mov_b32_e32 v2, 0
	ds_load_b128 v[157:160], v2 offset:336
	ds_load_b128 v[161:164], v2 offset:352
	s_mov_b32 s0, exec_lo
	s_waitcnt vmcnt(8) lgkmcnt(1)
	v_fma_f32 v157, v122, v157, 0
	s_delay_alu instid0(VALU_DEP_1) | instskip(NEXT) | instid1(VALU_DEP_1)
	v_fmac_f32_e32 v157, v123, v158
	v_fmac_f32_e32 v157, v124, v159
	s_waitcnt vmcnt(7)
	s_delay_alu instid0(VALU_DEP_1) | instskip(SKIP_3) | instid1(VALU_DEP_1)
	v_fmac_f32_e32 v157, v125, v160
	ds_load_b128 v[122:125], v2 offset:368
	s_waitcnt lgkmcnt(1)
	v_fmac_f32_e32 v157, v126, v161
	v_fmac_f32_e32 v157, v127, v162
	s_delay_alu instid0(VALU_DEP_1) | instskip(SKIP_1) | instid1(VALU_DEP_1)
	v_fmac_f32_e32 v157, v128, v163
	s_waitcnt vmcnt(6)
	v_fmac_f32_e32 v157, v129, v164
	ds_load_b128 v[126:129], v2 offset:384
	s_waitcnt lgkmcnt(1)
	v_fmac_f32_e32 v157, v130, v122
	s_delay_alu instid0(VALU_DEP_1) | instskip(NEXT) | instid1(VALU_DEP_1)
	v_fmac_f32_e32 v157, v131, v123
	v_fmac_f32_e32 v157, v132, v124
	s_waitcnt vmcnt(5)
	s_delay_alu instid0(VALU_DEP_1) | instskip(SKIP_3) | instid1(VALU_DEP_1)
	v_fmac_f32_e32 v157, v133, v125
	ds_load_b128 v[122:125], v2 offset:400
	s_waitcnt lgkmcnt(1)
	v_fmac_f32_e32 v157, v134, v126
	v_fmac_f32_e32 v157, v135, v127
	s_delay_alu instid0(VALU_DEP_1) | instskip(SKIP_1) | instid1(VALU_DEP_1)
	v_fmac_f32_e32 v157, v136, v128
	s_waitcnt vmcnt(4)
	v_fmac_f32_e32 v157, v137, v129
	ds_load_b128 v[126:129], v2 offset:416
	s_waitcnt lgkmcnt(1)
	v_fmac_f32_e32 v157, v138, v122
	;; [unrolled: 17-line block ×3, first 2 shown]
	s_delay_alu instid0(VALU_DEP_1) | instskip(NEXT) | instid1(VALU_DEP_1)
	v_fmac_f32_e32 v157, v147, v123
	v_fmac_f32_e32 v157, v148, v124
	ds_load_b96 v[122:124], v2 offset:464
	s_waitcnt vmcnt(1)
	v_fmac_f32_e32 v157, v149, v125
	s_waitcnt lgkmcnt(1)
	s_delay_alu instid0(VALU_DEP_1) | instskip(NEXT) | instid1(VALU_DEP_1)
	v_fmac_f32_e32 v157, v150, v126
	v_fmac_f32_e32 v157, v151, v127
	s_delay_alu instid0(VALU_DEP_1) | instskip(SKIP_1) | instid1(VALU_DEP_1)
	v_fmac_f32_e32 v157, v152, v128
	s_waitcnt vmcnt(0)
	v_fmac_f32_e32 v157, v153, v129
	s_waitcnt lgkmcnt(0)
	s_delay_alu instid0(VALU_DEP_1) | instskip(NEXT) | instid1(VALU_DEP_1)
	v_fmac_f32_e32 v157, v154, v122
	v_fmac_f32_e32 v157, v155, v123
	s_delay_alu instid0(VALU_DEP_1) | instskip(NEXT) | instid1(VALU_DEP_1)
	v_fmac_f32_e32 v157, v156, v124
	v_sub_f32_e32 v121, v121, v157
	scratch_store_b32 off, v121, off offset:92
	v_cmpx_lt_u32_e32 22, v0
	s_cbranch_execz .LBB58_317
; %bb.316:
	scratch_load_b32 v121, off, off offset:88
	scratch_store_b32 off, v2, off offset:88
	s_waitcnt vmcnt(0)
	ds_store_b32 v1, v121
.LBB58_317:
	s_or_b32 exec_lo, exec_lo, s0
	s_waitcnt lgkmcnt(0)
	s_waitcnt_vscnt null, 0x0
	s_barrier
	buffer_gl0_inv
	s_clause 0x9
	scratch_load_b128 v[121:124], off, off offset:88
	scratch_load_b128 v[125:128], off, off offset:104
	;; [unrolled: 1-line block ×9, first 2 shown]
	scratch_load_b32 v165, off, off offset:232
	ds_load_2addr_b32 v[157:158], v2 offset0:83 offset1:84
	ds_load_2addr_b32 v[159:160], v2 offset0:85 offset1:86
	;; [unrolled: 1-line block ×4, first 2 shown]
	s_mov_b32 s0, exec_lo
	s_waitcnt vmcnt(9) lgkmcnt(3)
	v_fma_f32 v157, v122, v157, 0
	s_delay_alu instid0(VALU_DEP_1) | instskip(SKIP_4) | instid1(VALU_DEP_1)
	v_fmac_f32_e32 v157, v123, v158
	ds_load_2addr_b32 v[122:123], v2 offset0:91 offset1:92
	s_waitcnt lgkmcnt(3)
	v_fmac_f32_e32 v157, v124, v159
	s_waitcnt vmcnt(8)
	v_fmac_f32_e32 v157, v125, v160
	ds_load_2addr_b32 v[124:125], v2 offset0:93 offset1:94
	s_waitcnt lgkmcnt(3)
	v_fmac_f32_e32 v157, v126, v161
	s_delay_alu instid0(VALU_DEP_1) | instskip(SKIP_1) | instid1(VALU_DEP_1)
	v_fmac_f32_e32 v157, v127, v162
	s_waitcnt lgkmcnt(2)
	v_fmac_f32_e32 v157, v128, v163
	s_waitcnt vmcnt(7)
	s_delay_alu instid0(VALU_DEP_1) | instskip(SKIP_4) | instid1(VALU_DEP_1)
	v_fmac_f32_e32 v157, v129, v164
	ds_load_2addr_b32 v[126:127], v2 offset0:95 offset1:96
	ds_load_2addr_b32 v[128:129], v2 offset0:97 offset1:98
	s_waitcnt lgkmcnt(3)
	v_fmac_f32_e32 v157, v130, v122
	v_fmac_f32_e32 v157, v131, v123
	ds_load_2addr_b32 v[122:123], v2 offset0:99 offset1:100
	s_waitcnt lgkmcnt(3)
	v_fmac_f32_e32 v157, v132, v124
	s_waitcnt vmcnt(6)
	s_delay_alu instid0(VALU_DEP_1) | instskip(SKIP_3) | instid1(VALU_DEP_1)
	v_fmac_f32_e32 v157, v133, v125
	ds_load_2addr_b32 v[124:125], v2 offset0:101 offset1:102
	s_waitcnt lgkmcnt(3)
	v_fmac_f32_e32 v157, v134, v126
	v_fmac_f32_e32 v157, v135, v127
	s_waitcnt lgkmcnt(2)
	s_delay_alu instid0(VALU_DEP_1) | instskip(SKIP_1) | instid1(VALU_DEP_1)
	v_fmac_f32_e32 v157, v136, v128
	s_waitcnt vmcnt(5)
	v_fmac_f32_e32 v157, v137, v129
	ds_load_2addr_b32 v[126:127], v2 offset0:103 offset1:104
	ds_load_2addr_b32 v[128:129], v2 offset0:105 offset1:106
	s_waitcnt lgkmcnt(3)
	v_fmac_f32_e32 v157, v138, v122
	s_delay_alu instid0(VALU_DEP_1) | instskip(SKIP_4) | instid1(VALU_DEP_1)
	v_fmac_f32_e32 v157, v139, v123
	ds_load_2addr_b32 v[122:123], v2 offset0:107 offset1:108
	s_waitcnt lgkmcnt(3)
	v_fmac_f32_e32 v157, v140, v124
	s_waitcnt vmcnt(4)
	v_fmac_f32_e32 v157, v141, v125
	ds_load_2addr_b32 v[124:125], v2 offset0:109 offset1:110
	s_waitcnt lgkmcnt(3)
	v_fmac_f32_e32 v157, v142, v126
	s_delay_alu instid0(VALU_DEP_1) | instskip(SKIP_1) | instid1(VALU_DEP_1)
	v_fmac_f32_e32 v157, v143, v127
	s_waitcnt lgkmcnt(2)
	v_fmac_f32_e32 v157, v144, v128
	s_waitcnt vmcnt(3)
	s_delay_alu instid0(VALU_DEP_1) | instskip(SKIP_4) | instid1(VALU_DEP_1)
	v_fmac_f32_e32 v157, v145, v129
	ds_load_2addr_b32 v[126:127], v2 offset0:111 offset1:112
	ds_load_2addr_b32 v[128:129], v2 offset0:113 offset1:114
	s_waitcnt lgkmcnt(3)
	v_fmac_f32_e32 v157, v146, v122
	v_fmac_f32_e32 v157, v147, v123
	ds_load_2addr_b32 v[122:123], v2 offset0:115 offset1:116
	s_waitcnt lgkmcnt(3)
	v_fmac_f32_e32 v157, v148, v124
	s_waitcnt vmcnt(2)
	s_delay_alu instid0(VALU_DEP_1) | instskip(SKIP_3) | instid1(VALU_DEP_1)
	v_fmac_f32_e32 v157, v149, v125
	ds_load_2addr_b32 v[124:125], v2 offset0:117 offset1:118
	s_waitcnt lgkmcnt(3)
	v_fmac_f32_e32 v157, v150, v126
	v_fmac_f32_e32 v157, v151, v127
	s_waitcnt lgkmcnt(2)
	s_delay_alu instid0(VALU_DEP_1) | instskip(SKIP_1) | instid1(VALU_DEP_1)
	v_fmac_f32_e32 v157, v152, v128
	s_waitcnt vmcnt(1)
	v_fmac_f32_e32 v157, v153, v129
	s_waitcnt lgkmcnt(1)
	s_delay_alu instid0(VALU_DEP_1) | instskip(NEXT) | instid1(VALU_DEP_1)
	v_fmac_f32_e32 v157, v154, v122
	v_fmac_f32_e32 v157, v155, v123
	s_waitcnt lgkmcnt(0)
	s_delay_alu instid0(VALU_DEP_1) | instskip(SKIP_1) | instid1(VALU_DEP_1)
	v_fmac_f32_e32 v157, v156, v124
	s_waitcnt vmcnt(0)
	v_fmac_f32_e32 v157, v165, v125
	s_delay_alu instid0(VALU_DEP_1)
	v_sub_f32_e32 v2, v121, v157
	scratch_store_b32 off, v2, off offset:88
	v_cmpx_lt_u32_e32 21, v0
	s_cbranch_execz .LBB58_319
; %bb.318:
	scratch_load_b32 v2, off, off offset:84
	v_mov_b32_e32 v121, 0
	scratch_store_b32 off, v121, off offset:84
	s_waitcnt vmcnt(0)
	ds_store_b32 v1, v2
.LBB58_319:
	s_or_b32 exec_lo, exec_lo, s0
	s_waitcnt lgkmcnt(0)
	s_waitcnt_vscnt null, 0x0
	s_barrier
	buffer_gl0_inv
	s_clause 0x9
	scratch_load_b128 v[121:124], off, off offset:84
	scratch_load_b128 v[125:128], off, off offset:100
	;; [unrolled: 1-line block ×9, first 2 shown]
	scratch_load_b64 v[165:166], off, off offset:228
	v_mov_b32_e32 v2, 0
	ds_load_2addr_b64 v[157:160], v2 offset0:41 offset1:42
	ds_load_2addr_b64 v[161:164], v2 offset0:43 offset1:44
	s_mov_b32 s0, exec_lo
	s_waitcnt vmcnt(9) lgkmcnt(1)
	v_fma_f32 v157, v122, v157, 0
	s_delay_alu instid0(VALU_DEP_1) | instskip(NEXT) | instid1(VALU_DEP_1)
	v_fmac_f32_e32 v157, v123, v158
	v_fmac_f32_e32 v157, v124, v159
	s_waitcnt vmcnt(8)
	s_delay_alu instid0(VALU_DEP_1) | instskip(SKIP_3) | instid1(VALU_DEP_1)
	v_fmac_f32_e32 v157, v125, v160
	ds_load_2addr_b64 v[122:125], v2 offset0:45 offset1:46
	s_waitcnt lgkmcnt(1)
	v_fmac_f32_e32 v157, v126, v161
	v_fmac_f32_e32 v157, v127, v162
	s_delay_alu instid0(VALU_DEP_1) | instskip(SKIP_1) | instid1(VALU_DEP_1)
	v_fmac_f32_e32 v157, v128, v163
	s_waitcnt vmcnt(7)
	v_fmac_f32_e32 v157, v129, v164
	ds_load_2addr_b64 v[126:129], v2 offset0:47 offset1:48
	s_waitcnt lgkmcnt(1)
	v_fmac_f32_e32 v157, v130, v122
	s_delay_alu instid0(VALU_DEP_1) | instskip(NEXT) | instid1(VALU_DEP_1)
	v_fmac_f32_e32 v157, v131, v123
	v_fmac_f32_e32 v157, v132, v124
	s_waitcnt vmcnt(6)
	s_delay_alu instid0(VALU_DEP_1) | instskip(SKIP_3) | instid1(VALU_DEP_1)
	v_fmac_f32_e32 v157, v133, v125
	ds_load_2addr_b64 v[122:125], v2 offset0:49 offset1:50
	s_waitcnt lgkmcnt(1)
	v_fmac_f32_e32 v157, v134, v126
	v_fmac_f32_e32 v157, v135, v127
	s_delay_alu instid0(VALU_DEP_1) | instskip(SKIP_1) | instid1(VALU_DEP_1)
	v_fmac_f32_e32 v157, v136, v128
	s_waitcnt vmcnt(5)
	v_fmac_f32_e32 v157, v137, v129
	ds_load_2addr_b64 v[126:129], v2 offset0:51 offset1:52
	s_waitcnt lgkmcnt(1)
	v_fmac_f32_e32 v157, v138, v122
	;; [unrolled: 17-line block ×3, first 2 shown]
	s_delay_alu instid0(VALU_DEP_1) | instskip(NEXT) | instid1(VALU_DEP_1)
	v_fmac_f32_e32 v157, v147, v123
	v_fmac_f32_e32 v157, v148, v124
	s_waitcnt vmcnt(2)
	s_delay_alu instid0(VALU_DEP_1)
	v_fmac_f32_e32 v157, v149, v125
	ds_load_2addr_b64 v[122:125], v2 offset0:57 offset1:58
	s_waitcnt lgkmcnt(1)
	v_fmac_f32_e32 v157, v150, v126
	ds_load_b32 v126, v2 offset:472
	v_fmac_f32_e32 v157, v151, v127
	s_delay_alu instid0(VALU_DEP_1) | instskip(SKIP_1) | instid1(VALU_DEP_1)
	v_fmac_f32_e32 v157, v152, v128
	s_waitcnt vmcnt(1)
	v_fmac_f32_e32 v157, v153, v129
	s_waitcnt lgkmcnt(1)
	s_delay_alu instid0(VALU_DEP_1) | instskip(NEXT) | instid1(VALU_DEP_1)
	v_fmac_f32_e32 v157, v154, v122
	v_fmac_f32_e32 v157, v155, v123
	s_delay_alu instid0(VALU_DEP_1) | instskip(SKIP_1) | instid1(VALU_DEP_1)
	v_fmac_f32_e32 v157, v156, v124
	s_waitcnt vmcnt(0)
	v_fmac_f32_e32 v157, v165, v125
	s_waitcnt lgkmcnt(0)
	s_delay_alu instid0(VALU_DEP_1) | instskip(NEXT) | instid1(VALU_DEP_1)
	v_fmac_f32_e32 v157, v166, v126
	v_sub_f32_e32 v121, v121, v157
	scratch_store_b32 off, v121, off offset:84
	v_cmpx_lt_u32_e32 20, v0
	s_cbranch_execz .LBB58_321
; %bb.320:
	scratch_load_b32 v121, off, off offset:80
	scratch_store_b32 off, v2, off offset:80
	s_waitcnt vmcnt(0)
	ds_store_b32 v1, v121
.LBB58_321:
	s_or_b32 exec_lo, exec_lo, s0
	s_waitcnt lgkmcnt(0)
	s_waitcnt_vscnt null, 0x0
	s_barrier
	buffer_gl0_inv
	s_clause 0x9
	scratch_load_b128 v[121:124], off, off offset:80
	scratch_load_b128 v[125:128], off, off offset:96
	scratch_load_b128 v[129:132], off, off offset:112
	scratch_load_b128 v[133:136], off, off offset:128
	scratch_load_b128 v[137:140], off, off offset:144
	scratch_load_b128 v[141:144], off, off offset:160
	scratch_load_b128 v[145:148], off, off offset:176
	scratch_load_b128 v[149:152], off, off offset:192
	scratch_load_b128 v[153:156], off, off offset:208
	scratch_load_b96 v[157:159], off, off offset:224
	ds_load_2addr_b32 v[160:161], v2 offset0:81 offset1:82
	ds_load_2addr_b32 v[162:163], v2 offset0:83 offset1:84
	;; [unrolled: 1-line block ×3, first 2 shown]
	s_mov_b32 s0, exec_lo
	s_waitcnt vmcnt(9) lgkmcnt(2)
	v_fma_f32 v160, v122, v160, 0
	s_delay_alu instid0(VALU_DEP_1) | instskip(SKIP_4) | instid1(VALU_DEP_1)
	v_fmac_f32_e32 v160, v123, v161
	ds_load_2addr_b32 v[122:123], v2 offset0:87 offset1:88
	s_waitcnt lgkmcnt(2)
	v_fmac_f32_e32 v160, v124, v162
	s_waitcnt vmcnt(8)
	v_fmac_f32_e32 v160, v125, v163
	ds_load_2addr_b32 v[124:125], v2 offset0:89 offset1:90
	s_waitcnt lgkmcnt(2)
	v_fmac_f32_e32 v160, v126, v164
	s_delay_alu instid0(VALU_DEP_1) | instskip(SKIP_4) | instid1(VALU_DEP_1)
	v_fmac_f32_e32 v160, v127, v165
	ds_load_2addr_b32 v[126:127], v2 offset0:91 offset1:92
	s_waitcnt lgkmcnt(2)
	v_fmac_f32_e32 v160, v128, v122
	s_waitcnt vmcnt(7)
	v_fmac_f32_e32 v160, v129, v123
	ds_load_2addr_b32 v[122:123], v2 offset0:93 offset1:94
	s_waitcnt lgkmcnt(2)
	v_fmac_f32_e32 v160, v130, v124
	;; [unrolled: 10-line block ×8, first 2 shown]
	s_delay_alu instid0(VALU_DEP_1) | instskip(SKIP_1) | instid1(VALU_DEP_1)
	v_fmac_f32_e32 v160, v155, v125
	s_waitcnt lgkmcnt(1)
	v_fmac_f32_e32 v160, v156, v126
	s_waitcnt vmcnt(0)
	s_delay_alu instid0(VALU_DEP_1) | instskip(SKIP_1) | instid1(VALU_DEP_1)
	v_fmac_f32_e32 v160, v157, v127
	s_waitcnt lgkmcnt(0)
	v_fmac_f32_e32 v160, v158, v122
	s_delay_alu instid0(VALU_DEP_1) | instskip(NEXT) | instid1(VALU_DEP_1)
	v_fmac_f32_e32 v160, v159, v123
	v_sub_f32_e32 v2, v121, v160
	scratch_store_b32 off, v2, off offset:80
	v_cmpx_lt_u32_e32 19, v0
	s_cbranch_execz .LBB58_323
; %bb.322:
	scratch_load_b32 v2, off, off offset:76
	v_mov_b32_e32 v121, 0
	scratch_store_b32 off, v121, off offset:76
	s_waitcnt vmcnt(0)
	ds_store_b32 v1, v2
.LBB58_323:
	s_or_b32 exec_lo, exec_lo, s0
	s_waitcnt lgkmcnt(0)
	s_waitcnt_vscnt null, 0x0
	s_barrier
	buffer_gl0_inv
	s_clause 0x9
	scratch_load_b128 v[121:124], off, off offset:76
	scratch_load_b128 v[125:128], off, off offset:92
	;; [unrolled: 1-line block ×10, first 2 shown]
	v_mov_b32_e32 v2, 0
	ds_load_b128 v[161:164], v2 offset:320
	ds_load_b128 v[165:168], v2 offset:336
	s_mov_b32 s0, exec_lo
	s_waitcnt vmcnt(9) lgkmcnt(1)
	v_fma_f32 v161, v122, v161, 0
	s_delay_alu instid0(VALU_DEP_1) | instskip(NEXT) | instid1(VALU_DEP_1)
	v_fmac_f32_e32 v161, v123, v162
	v_fmac_f32_e32 v161, v124, v163
	s_waitcnt vmcnt(8)
	s_delay_alu instid0(VALU_DEP_1) | instskip(SKIP_3) | instid1(VALU_DEP_1)
	v_fmac_f32_e32 v161, v125, v164
	ds_load_b128 v[122:125], v2 offset:352
	s_waitcnt lgkmcnt(1)
	v_fmac_f32_e32 v161, v126, v165
	v_fmac_f32_e32 v161, v127, v166
	s_delay_alu instid0(VALU_DEP_1) | instskip(SKIP_1) | instid1(VALU_DEP_1)
	v_fmac_f32_e32 v161, v128, v167
	s_waitcnt vmcnt(7)
	v_fmac_f32_e32 v161, v129, v168
	ds_load_b128 v[126:129], v2 offset:368
	s_waitcnt lgkmcnt(1)
	v_fmac_f32_e32 v161, v130, v122
	s_delay_alu instid0(VALU_DEP_1) | instskip(NEXT) | instid1(VALU_DEP_1)
	v_fmac_f32_e32 v161, v131, v123
	v_fmac_f32_e32 v161, v132, v124
	s_waitcnt vmcnt(6)
	s_delay_alu instid0(VALU_DEP_1) | instskip(SKIP_3) | instid1(VALU_DEP_1)
	v_fmac_f32_e32 v161, v133, v125
	ds_load_b128 v[122:125], v2 offset:384
	s_waitcnt lgkmcnt(1)
	v_fmac_f32_e32 v161, v134, v126
	v_fmac_f32_e32 v161, v135, v127
	s_delay_alu instid0(VALU_DEP_1) | instskip(SKIP_1) | instid1(VALU_DEP_1)
	v_fmac_f32_e32 v161, v136, v128
	s_waitcnt vmcnt(5)
	v_fmac_f32_e32 v161, v137, v129
	ds_load_b128 v[126:129], v2 offset:400
	s_waitcnt lgkmcnt(1)
	v_fmac_f32_e32 v161, v138, v122
	s_delay_alu instid0(VALU_DEP_1) | instskip(NEXT) | instid1(VALU_DEP_1)
	v_fmac_f32_e32 v161, v139, v123
	v_fmac_f32_e32 v161, v140, v124
	s_waitcnt vmcnt(4)
	s_delay_alu instid0(VALU_DEP_1) | instskip(SKIP_3) | instid1(VALU_DEP_1)
	v_fmac_f32_e32 v161, v141, v125
	ds_load_b128 v[122:125], v2 offset:416
	s_waitcnt lgkmcnt(1)
	v_fmac_f32_e32 v161, v142, v126
	v_fmac_f32_e32 v161, v143, v127
	s_delay_alu instid0(VALU_DEP_1) | instskip(SKIP_1) | instid1(VALU_DEP_1)
	v_fmac_f32_e32 v161, v144, v128
	s_waitcnt vmcnt(3)
	v_fmac_f32_e32 v161, v145, v129
	ds_load_b128 v[126:129], v2 offset:432
	s_waitcnt lgkmcnt(1)
	v_fmac_f32_e32 v161, v146, v122
	s_delay_alu instid0(VALU_DEP_1) | instskip(NEXT) | instid1(VALU_DEP_1)
	v_fmac_f32_e32 v161, v147, v123
	v_fmac_f32_e32 v161, v148, v124
	s_waitcnt vmcnt(2)
	s_delay_alu instid0(VALU_DEP_1) | instskip(SKIP_3) | instid1(VALU_DEP_1)
	v_fmac_f32_e32 v161, v149, v125
	ds_load_b128 v[122:125], v2 offset:448
	s_waitcnt lgkmcnt(1)
	v_fmac_f32_e32 v161, v150, v126
	v_fmac_f32_e32 v161, v151, v127
	s_delay_alu instid0(VALU_DEP_1) | instskip(SKIP_4) | instid1(VALU_DEP_1)
	v_fmac_f32_e32 v161, v152, v128
	ds_load_b96 v[126:128], v2 offset:464
	s_waitcnt vmcnt(1)
	v_fmac_f32_e32 v161, v153, v129
	s_waitcnt lgkmcnt(1)
	v_fmac_f32_e32 v161, v154, v122
	s_delay_alu instid0(VALU_DEP_1) | instskip(NEXT) | instid1(VALU_DEP_1)
	v_fmac_f32_e32 v161, v155, v123
	v_fmac_f32_e32 v161, v156, v124
	s_waitcnt vmcnt(0)
	s_delay_alu instid0(VALU_DEP_1) | instskip(SKIP_1) | instid1(VALU_DEP_1)
	v_fmac_f32_e32 v161, v157, v125
	s_waitcnt lgkmcnt(0)
	v_fmac_f32_e32 v161, v158, v126
	s_delay_alu instid0(VALU_DEP_1) | instskip(NEXT) | instid1(VALU_DEP_1)
	v_fmac_f32_e32 v161, v159, v127
	v_fmac_f32_e32 v161, v160, v128
	s_delay_alu instid0(VALU_DEP_1)
	v_sub_f32_e32 v121, v121, v161
	scratch_store_b32 off, v121, off offset:76
	v_cmpx_lt_u32_e32 18, v0
	s_cbranch_execz .LBB58_325
; %bb.324:
	scratch_load_b32 v121, off, off offset:72
	scratch_store_b32 off, v2, off offset:72
	s_waitcnt vmcnt(0)
	ds_store_b32 v1, v121
.LBB58_325:
	s_or_b32 exec_lo, exec_lo, s0
	s_waitcnt lgkmcnt(0)
	s_waitcnt_vscnt null, 0x0
	s_barrier
	buffer_gl0_inv
	s_clause 0xa
	scratch_load_b128 v[121:124], off, off offset:72
	scratch_load_b128 v[125:128], off, off offset:88
	;; [unrolled: 1-line block ×10, first 2 shown]
	scratch_load_b32 v169, off, off offset:232
	ds_load_2addr_b32 v[161:162], v2 offset0:79 offset1:80
	ds_load_2addr_b32 v[163:164], v2 offset0:81 offset1:82
	;; [unrolled: 1-line block ×4, first 2 shown]
	s_mov_b32 s0, exec_lo
	s_waitcnt vmcnt(10) lgkmcnt(3)
	v_fma_f32 v161, v122, v161, 0
	s_delay_alu instid0(VALU_DEP_1) | instskip(SKIP_4) | instid1(VALU_DEP_1)
	v_fmac_f32_e32 v161, v123, v162
	ds_load_2addr_b32 v[122:123], v2 offset0:87 offset1:88
	s_waitcnt lgkmcnt(3)
	v_fmac_f32_e32 v161, v124, v163
	s_waitcnt vmcnt(9)
	v_fmac_f32_e32 v161, v125, v164
	ds_load_2addr_b32 v[124:125], v2 offset0:89 offset1:90
	s_waitcnt lgkmcnt(3)
	v_fmac_f32_e32 v161, v126, v165
	s_delay_alu instid0(VALU_DEP_1) | instskip(SKIP_1) | instid1(VALU_DEP_1)
	v_fmac_f32_e32 v161, v127, v166
	s_waitcnt lgkmcnt(2)
	v_fmac_f32_e32 v161, v128, v167
	s_waitcnt vmcnt(8)
	s_delay_alu instid0(VALU_DEP_1) | instskip(SKIP_4) | instid1(VALU_DEP_1)
	v_fmac_f32_e32 v161, v129, v168
	ds_load_2addr_b32 v[126:127], v2 offset0:91 offset1:92
	ds_load_2addr_b32 v[128:129], v2 offset0:93 offset1:94
	s_waitcnt lgkmcnt(3)
	v_fmac_f32_e32 v161, v130, v122
	v_fmac_f32_e32 v161, v131, v123
	ds_load_2addr_b32 v[122:123], v2 offset0:95 offset1:96
	s_waitcnt lgkmcnt(3)
	v_fmac_f32_e32 v161, v132, v124
	s_waitcnt vmcnt(7)
	s_delay_alu instid0(VALU_DEP_1) | instskip(SKIP_3) | instid1(VALU_DEP_1)
	v_fmac_f32_e32 v161, v133, v125
	ds_load_2addr_b32 v[124:125], v2 offset0:97 offset1:98
	s_waitcnt lgkmcnt(3)
	v_fmac_f32_e32 v161, v134, v126
	v_fmac_f32_e32 v161, v135, v127
	s_waitcnt lgkmcnt(2)
	s_delay_alu instid0(VALU_DEP_1) | instskip(SKIP_1) | instid1(VALU_DEP_1)
	v_fmac_f32_e32 v161, v136, v128
	s_waitcnt vmcnt(6)
	v_fmac_f32_e32 v161, v137, v129
	ds_load_2addr_b32 v[126:127], v2 offset0:99 offset1:100
	ds_load_2addr_b32 v[128:129], v2 offset0:101 offset1:102
	s_waitcnt lgkmcnt(3)
	v_fmac_f32_e32 v161, v138, v122
	s_delay_alu instid0(VALU_DEP_1) | instskip(SKIP_4) | instid1(VALU_DEP_1)
	v_fmac_f32_e32 v161, v139, v123
	ds_load_2addr_b32 v[122:123], v2 offset0:103 offset1:104
	s_waitcnt lgkmcnt(3)
	v_fmac_f32_e32 v161, v140, v124
	s_waitcnt vmcnt(5)
	v_fmac_f32_e32 v161, v141, v125
	ds_load_2addr_b32 v[124:125], v2 offset0:105 offset1:106
	s_waitcnt lgkmcnt(3)
	v_fmac_f32_e32 v161, v142, v126
	s_delay_alu instid0(VALU_DEP_1) | instskip(SKIP_1) | instid1(VALU_DEP_1)
	v_fmac_f32_e32 v161, v143, v127
	s_waitcnt lgkmcnt(2)
	v_fmac_f32_e32 v161, v144, v128
	s_waitcnt vmcnt(4)
	s_delay_alu instid0(VALU_DEP_1) | instskip(SKIP_4) | instid1(VALU_DEP_1)
	v_fmac_f32_e32 v161, v145, v129
	ds_load_2addr_b32 v[126:127], v2 offset0:107 offset1:108
	ds_load_2addr_b32 v[128:129], v2 offset0:109 offset1:110
	s_waitcnt lgkmcnt(3)
	v_fmac_f32_e32 v161, v146, v122
	v_fmac_f32_e32 v161, v147, v123
	ds_load_2addr_b32 v[122:123], v2 offset0:111 offset1:112
	s_waitcnt lgkmcnt(3)
	v_fmac_f32_e32 v161, v148, v124
	s_waitcnt vmcnt(3)
	s_delay_alu instid0(VALU_DEP_1) | instskip(SKIP_3) | instid1(VALU_DEP_1)
	v_fmac_f32_e32 v161, v149, v125
	ds_load_2addr_b32 v[124:125], v2 offset0:113 offset1:114
	s_waitcnt lgkmcnt(3)
	v_fmac_f32_e32 v161, v150, v126
	v_fmac_f32_e32 v161, v151, v127
	s_waitcnt lgkmcnt(2)
	s_delay_alu instid0(VALU_DEP_1) | instskip(SKIP_1) | instid1(VALU_DEP_1)
	v_fmac_f32_e32 v161, v152, v128
	s_waitcnt vmcnt(2)
	v_fmac_f32_e32 v161, v153, v129
	ds_load_2addr_b32 v[126:127], v2 offset0:115 offset1:116
	ds_load_2addr_b32 v[128:129], v2 offset0:117 offset1:118
	s_waitcnt lgkmcnt(3)
	v_fmac_f32_e32 v161, v154, v122
	s_delay_alu instid0(VALU_DEP_1) | instskip(SKIP_1) | instid1(VALU_DEP_1)
	v_fmac_f32_e32 v161, v155, v123
	s_waitcnt lgkmcnt(2)
	v_fmac_f32_e32 v161, v156, v124
	s_waitcnt vmcnt(1)
	s_delay_alu instid0(VALU_DEP_1) | instskip(SKIP_1) | instid1(VALU_DEP_1)
	v_fmac_f32_e32 v161, v157, v125
	s_waitcnt lgkmcnt(1)
	v_fmac_f32_e32 v161, v158, v126
	s_delay_alu instid0(VALU_DEP_1) | instskip(SKIP_1) | instid1(VALU_DEP_1)
	v_fmac_f32_e32 v161, v159, v127
	s_waitcnt lgkmcnt(0)
	v_fmac_f32_e32 v161, v160, v128
	s_waitcnt vmcnt(0)
	s_delay_alu instid0(VALU_DEP_1) | instskip(NEXT) | instid1(VALU_DEP_1)
	v_fmac_f32_e32 v161, v169, v129
	v_sub_f32_e32 v2, v121, v161
	scratch_store_b32 off, v2, off offset:72
	v_cmpx_lt_u32_e32 17, v0
	s_cbranch_execz .LBB58_327
; %bb.326:
	scratch_load_b32 v2, off, off offset:68
	v_mov_b32_e32 v121, 0
	scratch_store_b32 off, v121, off offset:68
	s_waitcnt vmcnt(0)
	ds_store_b32 v1, v2
.LBB58_327:
	s_or_b32 exec_lo, exec_lo, s0
	s_waitcnt lgkmcnt(0)
	s_waitcnt_vscnt null, 0x0
	s_barrier
	buffer_gl0_inv
	s_clause 0xa
	scratch_load_b128 v[121:124], off, off offset:68
	scratch_load_b128 v[125:128], off, off offset:84
	;; [unrolled: 1-line block ×10, first 2 shown]
	scratch_load_b64 v[169:170], off, off offset:228
	v_mov_b32_e32 v2, 0
	ds_load_2addr_b64 v[161:164], v2 offset0:39 offset1:40
	ds_load_2addr_b64 v[165:168], v2 offset0:41 offset1:42
	s_mov_b32 s0, exec_lo
	s_waitcnt vmcnt(10) lgkmcnt(1)
	v_fma_f32 v161, v122, v161, 0
	s_delay_alu instid0(VALU_DEP_1) | instskip(NEXT) | instid1(VALU_DEP_1)
	v_fmac_f32_e32 v161, v123, v162
	v_fmac_f32_e32 v161, v124, v163
	s_waitcnt vmcnt(9)
	s_delay_alu instid0(VALU_DEP_1) | instskip(SKIP_3) | instid1(VALU_DEP_1)
	v_fmac_f32_e32 v161, v125, v164
	ds_load_2addr_b64 v[122:125], v2 offset0:43 offset1:44
	s_waitcnt lgkmcnt(1)
	v_fmac_f32_e32 v161, v126, v165
	v_fmac_f32_e32 v161, v127, v166
	s_delay_alu instid0(VALU_DEP_1) | instskip(SKIP_1) | instid1(VALU_DEP_1)
	v_fmac_f32_e32 v161, v128, v167
	s_waitcnt vmcnt(8)
	v_fmac_f32_e32 v161, v129, v168
	ds_load_2addr_b64 v[126:129], v2 offset0:45 offset1:46
	s_waitcnt lgkmcnt(1)
	v_fmac_f32_e32 v161, v130, v122
	s_delay_alu instid0(VALU_DEP_1) | instskip(NEXT) | instid1(VALU_DEP_1)
	v_fmac_f32_e32 v161, v131, v123
	v_fmac_f32_e32 v161, v132, v124
	s_waitcnt vmcnt(7)
	s_delay_alu instid0(VALU_DEP_1) | instskip(SKIP_3) | instid1(VALU_DEP_1)
	v_fmac_f32_e32 v161, v133, v125
	ds_load_2addr_b64 v[122:125], v2 offset0:47 offset1:48
	s_waitcnt lgkmcnt(1)
	v_fmac_f32_e32 v161, v134, v126
	v_fmac_f32_e32 v161, v135, v127
	s_delay_alu instid0(VALU_DEP_1) | instskip(SKIP_1) | instid1(VALU_DEP_1)
	v_fmac_f32_e32 v161, v136, v128
	s_waitcnt vmcnt(6)
	v_fmac_f32_e32 v161, v137, v129
	ds_load_2addr_b64 v[126:129], v2 offset0:49 offset1:50
	s_waitcnt lgkmcnt(1)
	v_fmac_f32_e32 v161, v138, v122
	;; [unrolled: 17-line block ×4, first 2 shown]
	ds_load_b32 v122, v2 offset:472
	v_fmac_f32_e32 v161, v155, v123
	s_delay_alu instid0(VALU_DEP_1) | instskip(SKIP_1) | instid1(VALU_DEP_1)
	v_fmac_f32_e32 v161, v156, v124
	s_waitcnt vmcnt(1)
	v_fmac_f32_e32 v161, v157, v125
	s_waitcnt lgkmcnt(1)
	s_delay_alu instid0(VALU_DEP_1) | instskip(NEXT) | instid1(VALU_DEP_1)
	v_fmac_f32_e32 v161, v158, v126
	v_fmac_f32_e32 v161, v159, v127
	s_delay_alu instid0(VALU_DEP_1) | instskip(SKIP_1) | instid1(VALU_DEP_1)
	v_fmac_f32_e32 v161, v160, v128
	s_waitcnt vmcnt(0)
	v_fmac_f32_e32 v161, v169, v129
	s_waitcnt lgkmcnt(0)
	s_delay_alu instid0(VALU_DEP_1) | instskip(NEXT) | instid1(VALU_DEP_1)
	v_fmac_f32_e32 v161, v170, v122
	v_sub_f32_e32 v121, v121, v161
	scratch_store_b32 off, v121, off offset:68
	v_cmpx_lt_u32_e32 16, v0
	s_cbranch_execz .LBB58_329
; %bb.328:
	scratch_load_b32 v121, off, off offset:64
	scratch_store_b32 off, v2, off offset:64
	s_waitcnt vmcnt(0)
	ds_store_b32 v1, v121
.LBB58_329:
	s_or_b32 exec_lo, exec_lo, s0
	s_waitcnt lgkmcnt(0)
	s_waitcnt_vscnt null, 0x0
	s_barrier
	buffer_gl0_inv
	s_clause 0xa
	scratch_load_b128 v[121:124], off, off offset:64
	scratch_load_b128 v[125:128], off, off offset:80
	;; [unrolled: 1-line block ×10, first 2 shown]
	scratch_load_b96 v[161:163], off, off offset:224
	ds_load_2addr_b32 v[164:165], v2 offset0:77 offset1:78
	ds_load_2addr_b32 v[166:167], v2 offset0:79 offset1:80
	;; [unrolled: 1-line block ×4, first 2 shown]
	s_mov_b32 s0, exec_lo
	s_waitcnt vmcnt(10) lgkmcnt(3)
	v_fma_f32 v164, v122, v164, 0
	s_delay_alu instid0(VALU_DEP_1) | instskip(SKIP_4) | instid1(VALU_DEP_1)
	v_fmac_f32_e32 v164, v123, v165
	ds_load_2addr_b32 v[122:123], v2 offset0:85 offset1:86
	s_waitcnt lgkmcnt(3)
	v_fmac_f32_e32 v164, v124, v166
	s_waitcnt vmcnt(9)
	v_fmac_f32_e32 v164, v125, v167
	ds_load_2addr_b32 v[124:125], v2 offset0:87 offset1:88
	s_waitcnt lgkmcnt(3)
	v_fmac_f32_e32 v164, v126, v168
	s_delay_alu instid0(VALU_DEP_1) | instskip(SKIP_1) | instid1(VALU_DEP_1)
	v_fmac_f32_e32 v164, v127, v169
	s_waitcnt lgkmcnt(2)
	v_fmac_f32_e32 v164, v128, v170
	s_waitcnt vmcnt(8)
	s_delay_alu instid0(VALU_DEP_1) | instskip(SKIP_4) | instid1(VALU_DEP_1)
	v_fmac_f32_e32 v164, v129, v171
	ds_load_2addr_b32 v[126:127], v2 offset0:89 offset1:90
	ds_load_2addr_b32 v[128:129], v2 offset0:91 offset1:92
	s_waitcnt lgkmcnt(3)
	v_fmac_f32_e32 v164, v130, v122
	v_fmac_f32_e32 v164, v131, v123
	ds_load_2addr_b32 v[122:123], v2 offset0:93 offset1:94
	s_waitcnt lgkmcnt(3)
	v_fmac_f32_e32 v164, v132, v124
	s_waitcnt vmcnt(7)
	s_delay_alu instid0(VALU_DEP_1) | instskip(SKIP_3) | instid1(VALU_DEP_1)
	v_fmac_f32_e32 v164, v133, v125
	ds_load_2addr_b32 v[124:125], v2 offset0:95 offset1:96
	s_waitcnt lgkmcnt(3)
	v_fmac_f32_e32 v164, v134, v126
	v_fmac_f32_e32 v164, v135, v127
	s_waitcnt lgkmcnt(2)
	s_delay_alu instid0(VALU_DEP_1) | instskip(SKIP_1) | instid1(VALU_DEP_1)
	v_fmac_f32_e32 v164, v136, v128
	s_waitcnt vmcnt(6)
	v_fmac_f32_e32 v164, v137, v129
	ds_load_2addr_b32 v[126:127], v2 offset0:97 offset1:98
	ds_load_2addr_b32 v[128:129], v2 offset0:99 offset1:100
	s_waitcnt lgkmcnt(3)
	v_fmac_f32_e32 v164, v138, v122
	s_delay_alu instid0(VALU_DEP_1) | instskip(SKIP_4) | instid1(VALU_DEP_1)
	v_fmac_f32_e32 v164, v139, v123
	ds_load_2addr_b32 v[122:123], v2 offset0:101 offset1:102
	s_waitcnt lgkmcnt(3)
	v_fmac_f32_e32 v164, v140, v124
	s_waitcnt vmcnt(5)
	v_fmac_f32_e32 v164, v141, v125
	ds_load_2addr_b32 v[124:125], v2 offset0:103 offset1:104
	s_waitcnt lgkmcnt(3)
	v_fmac_f32_e32 v164, v142, v126
	s_delay_alu instid0(VALU_DEP_1) | instskip(SKIP_1) | instid1(VALU_DEP_1)
	v_fmac_f32_e32 v164, v143, v127
	s_waitcnt lgkmcnt(2)
	v_fmac_f32_e32 v164, v144, v128
	s_waitcnt vmcnt(4)
	s_delay_alu instid0(VALU_DEP_1) | instskip(SKIP_4) | instid1(VALU_DEP_1)
	v_fmac_f32_e32 v164, v145, v129
	ds_load_2addr_b32 v[126:127], v2 offset0:105 offset1:106
	ds_load_2addr_b32 v[128:129], v2 offset0:107 offset1:108
	s_waitcnt lgkmcnt(3)
	v_fmac_f32_e32 v164, v146, v122
	v_fmac_f32_e32 v164, v147, v123
	ds_load_2addr_b32 v[122:123], v2 offset0:109 offset1:110
	s_waitcnt lgkmcnt(3)
	v_fmac_f32_e32 v164, v148, v124
	s_waitcnt vmcnt(3)
	s_delay_alu instid0(VALU_DEP_1) | instskip(SKIP_3) | instid1(VALU_DEP_1)
	v_fmac_f32_e32 v164, v149, v125
	ds_load_2addr_b32 v[124:125], v2 offset0:111 offset1:112
	s_waitcnt lgkmcnt(3)
	v_fmac_f32_e32 v164, v150, v126
	v_fmac_f32_e32 v164, v151, v127
	s_waitcnt lgkmcnt(2)
	s_delay_alu instid0(VALU_DEP_1) | instskip(SKIP_1) | instid1(VALU_DEP_1)
	v_fmac_f32_e32 v164, v152, v128
	s_waitcnt vmcnt(2)
	v_fmac_f32_e32 v164, v153, v129
	ds_load_2addr_b32 v[126:127], v2 offset0:113 offset1:114
	ds_load_2addr_b32 v[128:129], v2 offset0:115 offset1:116
	s_waitcnt lgkmcnt(3)
	v_fmac_f32_e32 v164, v154, v122
	s_delay_alu instid0(VALU_DEP_1) | instskip(SKIP_4) | instid1(VALU_DEP_1)
	v_fmac_f32_e32 v164, v155, v123
	ds_load_2addr_b32 v[122:123], v2 offset0:117 offset1:118
	s_waitcnt lgkmcnt(3)
	v_fmac_f32_e32 v164, v156, v124
	s_waitcnt vmcnt(1)
	v_fmac_f32_e32 v164, v157, v125
	s_waitcnt lgkmcnt(2)
	s_delay_alu instid0(VALU_DEP_1) | instskip(NEXT) | instid1(VALU_DEP_1)
	v_fmac_f32_e32 v164, v158, v126
	v_fmac_f32_e32 v164, v159, v127
	s_waitcnt lgkmcnt(1)
	s_delay_alu instid0(VALU_DEP_1) | instskip(SKIP_1) | instid1(VALU_DEP_1)
	v_fmac_f32_e32 v164, v160, v128
	s_waitcnt vmcnt(0)
	v_fmac_f32_e32 v164, v161, v129
	s_waitcnt lgkmcnt(0)
	s_delay_alu instid0(VALU_DEP_1) | instskip(NEXT) | instid1(VALU_DEP_1)
	v_fmac_f32_e32 v164, v162, v122
	v_fmac_f32_e32 v164, v163, v123
	s_delay_alu instid0(VALU_DEP_1)
	v_sub_f32_e32 v2, v121, v164
	scratch_store_b32 off, v2, off offset:64
	v_cmpx_lt_u32_e32 15, v0
	s_cbranch_execz .LBB58_331
; %bb.330:
	scratch_load_b32 v2, off, off offset:60
	v_mov_b32_e32 v121, 0
	scratch_store_b32 off, v121, off offset:60
	s_waitcnt vmcnt(0)
	ds_store_b32 v1, v2
.LBB58_331:
	s_or_b32 exec_lo, exec_lo, s0
	s_waitcnt lgkmcnt(0)
	s_waitcnt_vscnt null, 0x0
	s_barrier
	buffer_gl0_inv
	s_clause 0xa
	scratch_load_b128 v[121:124], off, off offset:60
	scratch_load_b128 v[125:128], off, off offset:76
	;; [unrolled: 1-line block ×11, first 2 shown]
	v_mov_b32_e32 v2, 0
	ds_load_b128 v[165:168], v2 offset:304
	ds_load_b128 v[169:172], v2 offset:320
	s_mov_b32 s0, exec_lo
	s_waitcnt vmcnt(10) lgkmcnt(1)
	v_fma_f32 v165, v122, v165, 0
	s_delay_alu instid0(VALU_DEP_1) | instskip(NEXT) | instid1(VALU_DEP_1)
	v_fmac_f32_e32 v165, v123, v166
	v_fmac_f32_e32 v165, v124, v167
	s_waitcnt vmcnt(9)
	s_delay_alu instid0(VALU_DEP_1) | instskip(SKIP_3) | instid1(VALU_DEP_1)
	v_fmac_f32_e32 v165, v125, v168
	ds_load_b128 v[122:125], v2 offset:336
	s_waitcnt lgkmcnt(1)
	v_fmac_f32_e32 v165, v126, v169
	v_fmac_f32_e32 v165, v127, v170
	s_delay_alu instid0(VALU_DEP_1) | instskip(SKIP_1) | instid1(VALU_DEP_1)
	v_fmac_f32_e32 v165, v128, v171
	s_waitcnt vmcnt(8)
	v_fmac_f32_e32 v165, v129, v172
	ds_load_b128 v[126:129], v2 offset:352
	s_waitcnt lgkmcnt(1)
	v_fmac_f32_e32 v165, v130, v122
	s_delay_alu instid0(VALU_DEP_1) | instskip(NEXT) | instid1(VALU_DEP_1)
	v_fmac_f32_e32 v165, v131, v123
	v_fmac_f32_e32 v165, v132, v124
	s_waitcnt vmcnt(7)
	s_delay_alu instid0(VALU_DEP_1) | instskip(SKIP_3) | instid1(VALU_DEP_1)
	v_fmac_f32_e32 v165, v133, v125
	ds_load_b128 v[122:125], v2 offset:368
	s_waitcnt lgkmcnt(1)
	v_fmac_f32_e32 v165, v134, v126
	v_fmac_f32_e32 v165, v135, v127
	s_delay_alu instid0(VALU_DEP_1) | instskip(SKIP_1) | instid1(VALU_DEP_1)
	v_fmac_f32_e32 v165, v136, v128
	s_waitcnt vmcnt(6)
	v_fmac_f32_e32 v165, v137, v129
	ds_load_b128 v[126:129], v2 offset:384
	s_waitcnt lgkmcnt(1)
	v_fmac_f32_e32 v165, v138, v122
	;; [unrolled: 17-line block ×4, first 2 shown]
	s_delay_alu instid0(VALU_DEP_1) | instskip(NEXT) | instid1(VALU_DEP_1)
	v_fmac_f32_e32 v165, v155, v123
	v_fmac_f32_e32 v165, v156, v124
	ds_load_b96 v[122:124], v2 offset:464
	s_waitcnt vmcnt(1)
	v_fmac_f32_e32 v165, v157, v125
	s_waitcnt lgkmcnt(1)
	s_delay_alu instid0(VALU_DEP_1) | instskip(NEXT) | instid1(VALU_DEP_1)
	v_fmac_f32_e32 v165, v158, v126
	v_fmac_f32_e32 v165, v159, v127
	s_delay_alu instid0(VALU_DEP_1) | instskip(SKIP_1) | instid1(VALU_DEP_1)
	v_fmac_f32_e32 v165, v160, v128
	s_waitcnt vmcnt(0)
	v_fmac_f32_e32 v165, v161, v129
	s_waitcnt lgkmcnt(0)
	s_delay_alu instid0(VALU_DEP_1) | instskip(NEXT) | instid1(VALU_DEP_1)
	v_fmac_f32_e32 v165, v162, v122
	v_fmac_f32_e32 v165, v163, v123
	s_delay_alu instid0(VALU_DEP_1) | instskip(NEXT) | instid1(VALU_DEP_1)
	v_fmac_f32_e32 v165, v164, v124
	v_sub_f32_e32 v121, v121, v165
	scratch_store_b32 off, v121, off offset:60
	v_cmpx_lt_u32_e32 14, v0
	s_cbranch_execz .LBB58_333
; %bb.332:
	scratch_load_b32 v121, off, off offset:56
	scratch_store_b32 off, v2, off offset:56
	s_waitcnt vmcnt(0)
	ds_store_b32 v1, v121
.LBB58_333:
	s_or_b32 exec_lo, exec_lo, s0
	s_waitcnt lgkmcnt(0)
	s_waitcnt_vscnt null, 0x0
	s_barrier
	buffer_gl0_inv
	s_clause 0xb
	scratch_load_b128 v[121:124], off, off offset:56
	scratch_load_b128 v[125:128], off, off offset:72
	;; [unrolled: 1-line block ×11, first 2 shown]
	scratch_load_b32 v173, off, off offset:232
	ds_load_2addr_b32 v[165:166], v2 offset0:75 offset1:76
	ds_load_2addr_b32 v[167:168], v2 offset0:77 offset1:78
	;; [unrolled: 1-line block ×4, first 2 shown]
	s_mov_b32 s0, exec_lo
	s_waitcnt vmcnt(11) lgkmcnt(3)
	v_fma_f32 v165, v122, v165, 0
	s_delay_alu instid0(VALU_DEP_1) | instskip(SKIP_4) | instid1(VALU_DEP_1)
	v_fmac_f32_e32 v165, v123, v166
	ds_load_2addr_b32 v[122:123], v2 offset0:83 offset1:84
	s_waitcnt lgkmcnt(3)
	v_fmac_f32_e32 v165, v124, v167
	s_waitcnt vmcnt(10)
	v_fmac_f32_e32 v165, v125, v168
	ds_load_2addr_b32 v[124:125], v2 offset0:85 offset1:86
	s_waitcnt lgkmcnt(3)
	v_fmac_f32_e32 v165, v126, v169
	s_delay_alu instid0(VALU_DEP_1) | instskip(SKIP_1) | instid1(VALU_DEP_1)
	v_fmac_f32_e32 v165, v127, v170
	s_waitcnt lgkmcnt(2)
	v_fmac_f32_e32 v165, v128, v171
	s_waitcnt vmcnt(9)
	s_delay_alu instid0(VALU_DEP_1) | instskip(SKIP_4) | instid1(VALU_DEP_1)
	v_fmac_f32_e32 v165, v129, v172
	ds_load_2addr_b32 v[126:127], v2 offset0:87 offset1:88
	ds_load_2addr_b32 v[128:129], v2 offset0:89 offset1:90
	s_waitcnt lgkmcnt(3)
	v_fmac_f32_e32 v165, v130, v122
	v_fmac_f32_e32 v165, v131, v123
	ds_load_2addr_b32 v[122:123], v2 offset0:91 offset1:92
	s_waitcnt lgkmcnt(3)
	v_fmac_f32_e32 v165, v132, v124
	s_waitcnt vmcnt(8)
	s_delay_alu instid0(VALU_DEP_1) | instskip(SKIP_3) | instid1(VALU_DEP_1)
	v_fmac_f32_e32 v165, v133, v125
	ds_load_2addr_b32 v[124:125], v2 offset0:93 offset1:94
	s_waitcnt lgkmcnt(3)
	v_fmac_f32_e32 v165, v134, v126
	v_fmac_f32_e32 v165, v135, v127
	s_waitcnt lgkmcnt(2)
	s_delay_alu instid0(VALU_DEP_1) | instskip(SKIP_1) | instid1(VALU_DEP_1)
	v_fmac_f32_e32 v165, v136, v128
	s_waitcnt vmcnt(7)
	v_fmac_f32_e32 v165, v137, v129
	ds_load_2addr_b32 v[126:127], v2 offset0:95 offset1:96
	ds_load_2addr_b32 v[128:129], v2 offset0:97 offset1:98
	s_waitcnt lgkmcnt(3)
	v_fmac_f32_e32 v165, v138, v122
	s_delay_alu instid0(VALU_DEP_1) | instskip(SKIP_4) | instid1(VALU_DEP_1)
	v_fmac_f32_e32 v165, v139, v123
	ds_load_2addr_b32 v[122:123], v2 offset0:99 offset1:100
	s_waitcnt lgkmcnt(3)
	v_fmac_f32_e32 v165, v140, v124
	s_waitcnt vmcnt(6)
	v_fmac_f32_e32 v165, v141, v125
	ds_load_2addr_b32 v[124:125], v2 offset0:101 offset1:102
	s_waitcnt lgkmcnt(3)
	v_fmac_f32_e32 v165, v142, v126
	s_delay_alu instid0(VALU_DEP_1) | instskip(SKIP_1) | instid1(VALU_DEP_1)
	v_fmac_f32_e32 v165, v143, v127
	s_waitcnt lgkmcnt(2)
	v_fmac_f32_e32 v165, v144, v128
	s_waitcnt vmcnt(5)
	s_delay_alu instid0(VALU_DEP_1) | instskip(SKIP_4) | instid1(VALU_DEP_1)
	v_fmac_f32_e32 v165, v145, v129
	ds_load_2addr_b32 v[126:127], v2 offset0:103 offset1:104
	ds_load_2addr_b32 v[128:129], v2 offset0:105 offset1:106
	s_waitcnt lgkmcnt(3)
	v_fmac_f32_e32 v165, v146, v122
	v_fmac_f32_e32 v165, v147, v123
	ds_load_2addr_b32 v[122:123], v2 offset0:107 offset1:108
	s_waitcnt lgkmcnt(3)
	v_fmac_f32_e32 v165, v148, v124
	s_waitcnt vmcnt(4)
	s_delay_alu instid0(VALU_DEP_1) | instskip(SKIP_3) | instid1(VALU_DEP_1)
	v_fmac_f32_e32 v165, v149, v125
	ds_load_2addr_b32 v[124:125], v2 offset0:109 offset1:110
	s_waitcnt lgkmcnt(3)
	v_fmac_f32_e32 v165, v150, v126
	v_fmac_f32_e32 v165, v151, v127
	s_waitcnt lgkmcnt(2)
	s_delay_alu instid0(VALU_DEP_1) | instskip(SKIP_1) | instid1(VALU_DEP_1)
	v_fmac_f32_e32 v165, v152, v128
	s_waitcnt vmcnt(3)
	v_fmac_f32_e32 v165, v153, v129
	ds_load_2addr_b32 v[126:127], v2 offset0:111 offset1:112
	ds_load_2addr_b32 v[128:129], v2 offset0:113 offset1:114
	s_waitcnt lgkmcnt(3)
	v_fmac_f32_e32 v165, v154, v122
	s_delay_alu instid0(VALU_DEP_1) | instskip(SKIP_4) | instid1(VALU_DEP_1)
	v_fmac_f32_e32 v165, v155, v123
	ds_load_2addr_b32 v[122:123], v2 offset0:115 offset1:116
	s_waitcnt lgkmcnt(3)
	v_fmac_f32_e32 v165, v156, v124
	s_waitcnt vmcnt(2)
	v_fmac_f32_e32 v165, v157, v125
	ds_load_2addr_b32 v[124:125], v2 offset0:117 offset1:118
	s_waitcnt lgkmcnt(3)
	v_fmac_f32_e32 v165, v158, v126
	s_delay_alu instid0(VALU_DEP_1) | instskip(SKIP_1) | instid1(VALU_DEP_1)
	v_fmac_f32_e32 v165, v159, v127
	s_waitcnt lgkmcnt(2)
	v_fmac_f32_e32 v165, v160, v128
	s_waitcnt vmcnt(1)
	s_delay_alu instid0(VALU_DEP_1) | instskip(SKIP_1) | instid1(VALU_DEP_1)
	v_fmac_f32_e32 v165, v161, v129
	s_waitcnt lgkmcnt(1)
	v_fmac_f32_e32 v165, v162, v122
	s_delay_alu instid0(VALU_DEP_1) | instskip(SKIP_1) | instid1(VALU_DEP_1)
	v_fmac_f32_e32 v165, v163, v123
	s_waitcnt lgkmcnt(0)
	v_fmac_f32_e32 v165, v164, v124
	s_waitcnt vmcnt(0)
	s_delay_alu instid0(VALU_DEP_1) | instskip(NEXT) | instid1(VALU_DEP_1)
	v_fmac_f32_e32 v165, v173, v125
	v_sub_f32_e32 v2, v121, v165
	scratch_store_b32 off, v2, off offset:56
	v_cmpx_lt_u32_e32 13, v0
	s_cbranch_execz .LBB58_335
; %bb.334:
	scratch_load_b32 v2, off, off offset:52
	v_mov_b32_e32 v121, 0
	scratch_store_b32 off, v121, off offset:52
	s_waitcnt vmcnt(0)
	ds_store_b32 v1, v2
.LBB58_335:
	s_or_b32 exec_lo, exec_lo, s0
	s_waitcnt lgkmcnt(0)
	s_waitcnt_vscnt null, 0x0
	s_barrier
	buffer_gl0_inv
	s_clause 0xb
	scratch_load_b128 v[121:124], off, off offset:52
	scratch_load_b128 v[125:128], off, off offset:68
	;; [unrolled: 1-line block ×11, first 2 shown]
	scratch_load_b64 v[173:174], off, off offset:228
	v_mov_b32_e32 v2, 0
	ds_load_2addr_b64 v[165:168], v2 offset0:37 offset1:38
	ds_load_2addr_b64 v[169:172], v2 offset0:39 offset1:40
	s_mov_b32 s0, exec_lo
	s_waitcnt vmcnt(11) lgkmcnt(1)
	v_fma_f32 v165, v122, v165, 0
	s_delay_alu instid0(VALU_DEP_1) | instskip(NEXT) | instid1(VALU_DEP_1)
	v_fmac_f32_e32 v165, v123, v166
	v_fmac_f32_e32 v165, v124, v167
	s_waitcnt vmcnt(10)
	s_delay_alu instid0(VALU_DEP_1) | instskip(SKIP_3) | instid1(VALU_DEP_1)
	v_fmac_f32_e32 v165, v125, v168
	ds_load_2addr_b64 v[122:125], v2 offset0:41 offset1:42
	s_waitcnt lgkmcnt(1)
	v_fmac_f32_e32 v165, v126, v169
	v_fmac_f32_e32 v165, v127, v170
	s_delay_alu instid0(VALU_DEP_1) | instskip(SKIP_1) | instid1(VALU_DEP_1)
	v_fmac_f32_e32 v165, v128, v171
	s_waitcnt vmcnt(9)
	v_fmac_f32_e32 v165, v129, v172
	ds_load_2addr_b64 v[126:129], v2 offset0:43 offset1:44
	s_waitcnt lgkmcnt(1)
	v_fmac_f32_e32 v165, v130, v122
	s_delay_alu instid0(VALU_DEP_1) | instskip(NEXT) | instid1(VALU_DEP_1)
	v_fmac_f32_e32 v165, v131, v123
	v_fmac_f32_e32 v165, v132, v124
	s_waitcnt vmcnt(8)
	s_delay_alu instid0(VALU_DEP_1) | instskip(SKIP_3) | instid1(VALU_DEP_1)
	v_fmac_f32_e32 v165, v133, v125
	ds_load_2addr_b64 v[122:125], v2 offset0:45 offset1:46
	s_waitcnt lgkmcnt(1)
	v_fmac_f32_e32 v165, v134, v126
	v_fmac_f32_e32 v165, v135, v127
	s_delay_alu instid0(VALU_DEP_1) | instskip(SKIP_1) | instid1(VALU_DEP_1)
	v_fmac_f32_e32 v165, v136, v128
	s_waitcnt vmcnt(7)
	v_fmac_f32_e32 v165, v137, v129
	ds_load_2addr_b64 v[126:129], v2 offset0:47 offset1:48
	s_waitcnt lgkmcnt(1)
	v_fmac_f32_e32 v165, v138, v122
	;; [unrolled: 17-line block ×4, first 2 shown]
	s_delay_alu instid0(VALU_DEP_1) | instskip(NEXT) | instid1(VALU_DEP_1)
	v_fmac_f32_e32 v165, v155, v123
	v_fmac_f32_e32 v165, v156, v124
	s_waitcnt vmcnt(2)
	s_delay_alu instid0(VALU_DEP_1)
	v_fmac_f32_e32 v165, v157, v125
	ds_load_2addr_b64 v[122:125], v2 offset0:57 offset1:58
	s_waitcnt lgkmcnt(1)
	v_fmac_f32_e32 v165, v158, v126
	ds_load_b32 v126, v2 offset:472
	v_fmac_f32_e32 v165, v159, v127
	s_delay_alu instid0(VALU_DEP_1) | instskip(SKIP_1) | instid1(VALU_DEP_1)
	v_fmac_f32_e32 v165, v160, v128
	s_waitcnt vmcnt(1)
	v_fmac_f32_e32 v165, v161, v129
	s_waitcnt lgkmcnt(1)
	s_delay_alu instid0(VALU_DEP_1) | instskip(NEXT) | instid1(VALU_DEP_1)
	v_fmac_f32_e32 v165, v162, v122
	v_fmac_f32_e32 v165, v163, v123
	s_delay_alu instid0(VALU_DEP_1) | instskip(SKIP_1) | instid1(VALU_DEP_1)
	v_fmac_f32_e32 v165, v164, v124
	s_waitcnt vmcnt(0)
	v_fmac_f32_e32 v165, v173, v125
	s_waitcnt lgkmcnt(0)
	s_delay_alu instid0(VALU_DEP_1) | instskip(NEXT) | instid1(VALU_DEP_1)
	v_fmac_f32_e32 v165, v174, v126
	v_sub_f32_e32 v121, v121, v165
	scratch_store_b32 off, v121, off offset:52
	v_cmpx_lt_u32_e32 12, v0
	s_cbranch_execz .LBB58_337
; %bb.336:
	scratch_load_b32 v121, off, off offset:48
	scratch_store_b32 off, v2, off offset:48
	s_waitcnt vmcnt(0)
	ds_store_b32 v1, v121
.LBB58_337:
	s_or_b32 exec_lo, exec_lo, s0
	s_waitcnt lgkmcnt(0)
	s_waitcnt_vscnt null, 0x0
	s_barrier
	buffer_gl0_inv
	s_clause 0xb
	scratch_load_b128 v[121:124], off, off offset:48
	scratch_load_b128 v[125:128], off, off offset:64
	scratch_load_b128 v[129:132], off, off offset:80
	scratch_load_b128 v[133:136], off, off offset:96
	scratch_load_b128 v[137:140], off, off offset:112
	scratch_load_b128 v[141:144], off, off offset:128
	scratch_load_b128 v[145:148], off, off offset:144
	scratch_load_b128 v[149:152], off, off offset:160
	scratch_load_b128 v[153:156], off, off offset:176
	scratch_load_b128 v[157:160], off, off offset:192
	scratch_load_b128 v[161:164], off, off offset:208
	scratch_load_b96 v[165:167], off, off offset:224
	ds_load_2addr_b32 v[168:169], v2 offset0:73 offset1:74
	ds_load_2addr_b32 v[170:171], v2 offset0:75 offset1:76
	;; [unrolled: 1-line block ×4, first 2 shown]
	s_mov_b32 s0, exec_lo
	s_waitcnt vmcnt(11) lgkmcnt(3)
	v_fma_f32 v168, v122, v168, 0
	s_delay_alu instid0(VALU_DEP_1) | instskip(SKIP_4) | instid1(VALU_DEP_1)
	v_fmac_f32_e32 v168, v123, v169
	ds_load_2addr_b32 v[122:123], v2 offset0:81 offset1:82
	s_waitcnt lgkmcnt(3)
	v_fmac_f32_e32 v168, v124, v170
	s_waitcnt vmcnt(10)
	v_fmac_f32_e32 v168, v125, v171
	ds_load_2addr_b32 v[124:125], v2 offset0:83 offset1:84
	s_waitcnt lgkmcnt(3)
	v_fmac_f32_e32 v168, v126, v172
	s_delay_alu instid0(VALU_DEP_1) | instskip(SKIP_1) | instid1(VALU_DEP_1)
	v_fmac_f32_e32 v168, v127, v173
	s_waitcnt lgkmcnt(2)
	v_fmac_f32_e32 v168, v128, v174
	s_waitcnt vmcnt(9)
	s_delay_alu instid0(VALU_DEP_1) | instskip(SKIP_4) | instid1(VALU_DEP_1)
	v_fmac_f32_e32 v168, v129, v175
	ds_load_2addr_b32 v[126:127], v2 offset0:85 offset1:86
	ds_load_2addr_b32 v[128:129], v2 offset0:87 offset1:88
	s_waitcnt lgkmcnt(3)
	v_fmac_f32_e32 v168, v130, v122
	v_fmac_f32_e32 v168, v131, v123
	ds_load_2addr_b32 v[122:123], v2 offset0:89 offset1:90
	s_waitcnt lgkmcnt(3)
	v_fmac_f32_e32 v168, v132, v124
	s_waitcnt vmcnt(8)
	s_delay_alu instid0(VALU_DEP_1) | instskip(SKIP_3) | instid1(VALU_DEP_1)
	v_fmac_f32_e32 v168, v133, v125
	ds_load_2addr_b32 v[124:125], v2 offset0:91 offset1:92
	s_waitcnt lgkmcnt(3)
	v_fmac_f32_e32 v168, v134, v126
	v_fmac_f32_e32 v168, v135, v127
	s_waitcnt lgkmcnt(2)
	s_delay_alu instid0(VALU_DEP_1) | instskip(SKIP_1) | instid1(VALU_DEP_1)
	v_fmac_f32_e32 v168, v136, v128
	s_waitcnt vmcnt(7)
	v_fmac_f32_e32 v168, v137, v129
	ds_load_2addr_b32 v[126:127], v2 offset0:93 offset1:94
	ds_load_2addr_b32 v[128:129], v2 offset0:95 offset1:96
	s_waitcnt lgkmcnt(3)
	v_fmac_f32_e32 v168, v138, v122
	s_delay_alu instid0(VALU_DEP_1) | instskip(SKIP_4) | instid1(VALU_DEP_1)
	v_fmac_f32_e32 v168, v139, v123
	ds_load_2addr_b32 v[122:123], v2 offset0:97 offset1:98
	s_waitcnt lgkmcnt(3)
	v_fmac_f32_e32 v168, v140, v124
	s_waitcnt vmcnt(6)
	v_fmac_f32_e32 v168, v141, v125
	ds_load_2addr_b32 v[124:125], v2 offset0:99 offset1:100
	s_waitcnt lgkmcnt(3)
	v_fmac_f32_e32 v168, v142, v126
	s_delay_alu instid0(VALU_DEP_1) | instskip(SKIP_1) | instid1(VALU_DEP_1)
	v_fmac_f32_e32 v168, v143, v127
	s_waitcnt lgkmcnt(2)
	v_fmac_f32_e32 v168, v144, v128
	s_waitcnt vmcnt(5)
	s_delay_alu instid0(VALU_DEP_1) | instskip(SKIP_4) | instid1(VALU_DEP_1)
	v_fmac_f32_e32 v168, v145, v129
	ds_load_2addr_b32 v[126:127], v2 offset0:101 offset1:102
	ds_load_2addr_b32 v[128:129], v2 offset0:103 offset1:104
	s_waitcnt lgkmcnt(3)
	v_fmac_f32_e32 v168, v146, v122
	v_fmac_f32_e32 v168, v147, v123
	ds_load_2addr_b32 v[122:123], v2 offset0:105 offset1:106
	s_waitcnt lgkmcnt(3)
	v_fmac_f32_e32 v168, v148, v124
	s_waitcnt vmcnt(4)
	s_delay_alu instid0(VALU_DEP_1) | instskip(SKIP_3) | instid1(VALU_DEP_1)
	v_fmac_f32_e32 v168, v149, v125
	ds_load_2addr_b32 v[124:125], v2 offset0:107 offset1:108
	s_waitcnt lgkmcnt(3)
	v_fmac_f32_e32 v168, v150, v126
	v_fmac_f32_e32 v168, v151, v127
	s_waitcnt lgkmcnt(2)
	s_delay_alu instid0(VALU_DEP_1) | instskip(SKIP_1) | instid1(VALU_DEP_1)
	v_fmac_f32_e32 v168, v152, v128
	s_waitcnt vmcnt(3)
	v_fmac_f32_e32 v168, v153, v129
	ds_load_2addr_b32 v[126:127], v2 offset0:109 offset1:110
	ds_load_2addr_b32 v[128:129], v2 offset0:111 offset1:112
	s_waitcnt lgkmcnt(3)
	v_fmac_f32_e32 v168, v154, v122
	s_delay_alu instid0(VALU_DEP_1) | instskip(SKIP_4) | instid1(VALU_DEP_1)
	v_fmac_f32_e32 v168, v155, v123
	ds_load_2addr_b32 v[122:123], v2 offset0:113 offset1:114
	s_waitcnt lgkmcnt(3)
	v_fmac_f32_e32 v168, v156, v124
	s_waitcnt vmcnt(2)
	v_fmac_f32_e32 v168, v157, v125
	ds_load_2addr_b32 v[124:125], v2 offset0:115 offset1:116
	s_waitcnt lgkmcnt(3)
	v_fmac_f32_e32 v168, v158, v126
	s_delay_alu instid0(VALU_DEP_1) | instskip(SKIP_4) | instid1(VALU_DEP_1)
	v_fmac_f32_e32 v168, v159, v127
	ds_load_2addr_b32 v[126:127], v2 offset0:117 offset1:118
	s_waitcnt lgkmcnt(3)
	v_fmac_f32_e32 v168, v160, v128
	s_waitcnt vmcnt(1)
	v_fmac_f32_e32 v168, v161, v129
	s_waitcnt lgkmcnt(2)
	s_delay_alu instid0(VALU_DEP_1) | instskip(NEXT) | instid1(VALU_DEP_1)
	v_fmac_f32_e32 v168, v162, v122
	v_fmac_f32_e32 v168, v163, v123
	s_waitcnt lgkmcnt(1)
	s_delay_alu instid0(VALU_DEP_1) | instskip(SKIP_1) | instid1(VALU_DEP_1)
	v_fmac_f32_e32 v168, v164, v124
	s_waitcnt vmcnt(0)
	v_fmac_f32_e32 v168, v165, v125
	s_waitcnt lgkmcnt(0)
	s_delay_alu instid0(VALU_DEP_1) | instskip(NEXT) | instid1(VALU_DEP_1)
	v_fmac_f32_e32 v168, v166, v126
	v_fmac_f32_e32 v168, v167, v127
	s_delay_alu instid0(VALU_DEP_1)
	v_sub_f32_e32 v2, v121, v168
	scratch_store_b32 off, v2, off offset:48
	v_cmpx_lt_u32_e32 11, v0
	s_cbranch_execz .LBB58_339
; %bb.338:
	scratch_load_b32 v2, off, off offset:44
	v_mov_b32_e32 v121, 0
	scratch_store_b32 off, v121, off offset:44
	s_waitcnt vmcnt(0)
	ds_store_b32 v1, v2
.LBB58_339:
	s_or_b32 exec_lo, exec_lo, s0
	s_waitcnt lgkmcnt(0)
	s_waitcnt_vscnt null, 0x0
	s_barrier
	buffer_gl0_inv
	s_clause 0xb
	scratch_load_b128 v[121:124], off, off offset:44
	scratch_load_b128 v[125:128], off, off offset:60
	;; [unrolled: 1-line block ×12, first 2 shown]
	v_mov_b32_e32 v2, 0
	ds_load_b128 v[169:172], v2 offset:288
	ds_load_b128 v[173:176], v2 offset:304
	s_mov_b32 s0, exec_lo
	s_waitcnt vmcnt(11) lgkmcnt(1)
	v_fma_f32 v169, v122, v169, 0
	s_delay_alu instid0(VALU_DEP_1) | instskip(NEXT) | instid1(VALU_DEP_1)
	v_fmac_f32_e32 v169, v123, v170
	v_fmac_f32_e32 v169, v124, v171
	s_waitcnt vmcnt(10)
	s_delay_alu instid0(VALU_DEP_1) | instskip(SKIP_3) | instid1(VALU_DEP_1)
	v_fmac_f32_e32 v169, v125, v172
	ds_load_b128 v[122:125], v2 offset:320
	s_waitcnt lgkmcnt(1)
	v_fmac_f32_e32 v169, v126, v173
	v_fmac_f32_e32 v169, v127, v174
	s_delay_alu instid0(VALU_DEP_1) | instskip(SKIP_1) | instid1(VALU_DEP_1)
	v_fmac_f32_e32 v169, v128, v175
	s_waitcnt vmcnt(9)
	v_fmac_f32_e32 v169, v129, v176
	ds_load_b128 v[126:129], v2 offset:336
	s_waitcnt lgkmcnt(1)
	v_fmac_f32_e32 v169, v130, v122
	s_delay_alu instid0(VALU_DEP_1) | instskip(NEXT) | instid1(VALU_DEP_1)
	v_fmac_f32_e32 v169, v131, v123
	v_fmac_f32_e32 v169, v132, v124
	s_waitcnt vmcnt(8)
	s_delay_alu instid0(VALU_DEP_1) | instskip(SKIP_3) | instid1(VALU_DEP_1)
	v_fmac_f32_e32 v169, v133, v125
	ds_load_b128 v[122:125], v2 offset:352
	s_waitcnt lgkmcnt(1)
	v_fmac_f32_e32 v169, v134, v126
	v_fmac_f32_e32 v169, v135, v127
	s_delay_alu instid0(VALU_DEP_1) | instskip(SKIP_1) | instid1(VALU_DEP_1)
	v_fmac_f32_e32 v169, v136, v128
	s_waitcnt vmcnt(7)
	v_fmac_f32_e32 v169, v137, v129
	ds_load_b128 v[126:129], v2 offset:368
	s_waitcnt lgkmcnt(1)
	v_fmac_f32_e32 v169, v138, v122
	;; [unrolled: 17-line block ×4, first 2 shown]
	s_delay_alu instid0(VALU_DEP_1) | instskip(NEXT) | instid1(VALU_DEP_1)
	v_fmac_f32_e32 v169, v155, v123
	v_fmac_f32_e32 v169, v156, v124
	s_waitcnt vmcnt(2)
	s_delay_alu instid0(VALU_DEP_1) | instskip(SKIP_3) | instid1(VALU_DEP_1)
	v_fmac_f32_e32 v169, v157, v125
	ds_load_b128 v[122:125], v2 offset:448
	s_waitcnt lgkmcnt(1)
	v_fmac_f32_e32 v169, v158, v126
	v_fmac_f32_e32 v169, v159, v127
	s_delay_alu instid0(VALU_DEP_1) | instskip(SKIP_4) | instid1(VALU_DEP_1)
	v_fmac_f32_e32 v169, v160, v128
	ds_load_b96 v[126:128], v2 offset:464
	s_waitcnt vmcnt(1)
	v_fmac_f32_e32 v169, v161, v129
	s_waitcnt lgkmcnt(1)
	v_fmac_f32_e32 v169, v162, v122
	s_delay_alu instid0(VALU_DEP_1) | instskip(NEXT) | instid1(VALU_DEP_1)
	v_fmac_f32_e32 v169, v163, v123
	v_fmac_f32_e32 v169, v164, v124
	s_waitcnt vmcnt(0)
	s_delay_alu instid0(VALU_DEP_1) | instskip(SKIP_1) | instid1(VALU_DEP_1)
	v_fmac_f32_e32 v169, v165, v125
	s_waitcnt lgkmcnt(0)
	v_fmac_f32_e32 v169, v166, v126
	s_delay_alu instid0(VALU_DEP_1) | instskip(NEXT) | instid1(VALU_DEP_1)
	v_fmac_f32_e32 v169, v167, v127
	v_fmac_f32_e32 v169, v168, v128
	s_delay_alu instid0(VALU_DEP_1)
	v_sub_f32_e32 v121, v121, v169
	scratch_store_b32 off, v121, off offset:44
	v_cmpx_lt_u32_e32 10, v0
	s_cbranch_execz .LBB58_341
; %bb.340:
	scratch_load_b32 v121, off, off offset:40
	scratch_store_b32 off, v2, off offset:40
	s_waitcnt vmcnt(0)
	ds_store_b32 v1, v121
.LBB58_341:
	s_or_b32 exec_lo, exec_lo, s0
	s_waitcnt lgkmcnt(0)
	s_waitcnt_vscnt null, 0x0
	s_barrier
	buffer_gl0_inv
	s_clause 0xc
	scratch_load_b128 v[121:124], off, off offset:40
	scratch_load_b128 v[125:128], off, off offset:56
	;; [unrolled: 1-line block ×12, first 2 shown]
	scratch_load_b32 v177, off, off offset:232
	ds_load_2addr_b32 v[169:170], v2 offset0:71 offset1:72
	ds_load_2addr_b32 v[171:172], v2 offset0:73 offset1:74
	;; [unrolled: 1-line block ×4, first 2 shown]
	s_mov_b32 s0, exec_lo
	s_waitcnt vmcnt(12) lgkmcnt(3)
	v_fma_f32 v169, v122, v169, 0
	s_delay_alu instid0(VALU_DEP_1) | instskip(SKIP_4) | instid1(VALU_DEP_1)
	v_fmac_f32_e32 v169, v123, v170
	ds_load_2addr_b32 v[122:123], v2 offset0:79 offset1:80
	s_waitcnt lgkmcnt(3)
	v_fmac_f32_e32 v169, v124, v171
	s_waitcnt vmcnt(11)
	v_fmac_f32_e32 v169, v125, v172
	ds_load_2addr_b32 v[124:125], v2 offset0:81 offset1:82
	s_waitcnt lgkmcnt(3)
	v_fmac_f32_e32 v169, v126, v173
	s_delay_alu instid0(VALU_DEP_1) | instskip(SKIP_1) | instid1(VALU_DEP_1)
	v_fmac_f32_e32 v169, v127, v174
	s_waitcnt lgkmcnt(2)
	v_fmac_f32_e32 v169, v128, v175
	s_waitcnt vmcnt(10)
	s_delay_alu instid0(VALU_DEP_1) | instskip(SKIP_4) | instid1(VALU_DEP_1)
	v_fmac_f32_e32 v169, v129, v176
	ds_load_2addr_b32 v[126:127], v2 offset0:83 offset1:84
	ds_load_2addr_b32 v[128:129], v2 offset0:85 offset1:86
	s_waitcnt lgkmcnt(3)
	v_fmac_f32_e32 v169, v130, v122
	v_fmac_f32_e32 v169, v131, v123
	ds_load_2addr_b32 v[122:123], v2 offset0:87 offset1:88
	s_waitcnt lgkmcnt(3)
	v_fmac_f32_e32 v169, v132, v124
	s_waitcnt vmcnt(9)
	s_delay_alu instid0(VALU_DEP_1) | instskip(SKIP_3) | instid1(VALU_DEP_1)
	v_fmac_f32_e32 v169, v133, v125
	ds_load_2addr_b32 v[124:125], v2 offset0:89 offset1:90
	s_waitcnt lgkmcnt(3)
	v_fmac_f32_e32 v169, v134, v126
	v_fmac_f32_e32 v169, v135, v127
	s_waitcnt lgkmcnt(2)
	s_delay_alu instid0(VALU_DEP_1) | instskip(SKIP_1) | instid1(VALU_DEP_1)
	v_fmac_f32_e32 v169, v136, v128
	s_waitcnt vmcnt(8)
	v_fmac_f32_e32 v169, v137, v129
	ds_load_2addr_b32 v[126:127], v2 offset0:91 offset1:92
	ds_load_2addr_b32 v[128:129], v2 offset0:93 offset1:94
	s_waitcnt lgkmcnt(3)
	v_fmac_f32_e32 v169, v138, v122
	s_delay_alu instid0(VALU_DEP_1) | instskip(SKIP_4) | instid1(VALU_DEP_1)
	v_fmac_f32_e32 v169, v139, v123
	ds_load_2addr_b32 v[122:123], v2 offset0:95 offset1:96
	s_waitcnt lgkmcnt(3)
	v_fmac_f32_e32 v169, v140, v124
	s_waitcnt vmcnt(7)
	v_fmac_f32_e32 v169, v141, v125
	ds_load_2addr_b32 v[124:125], v2 offset0:97 offset1:98
	s_waitcnt lgkmcnt(3)
	v_fmac_f32_e32 v169, v142, v126
	s_delay_alu instid0(VALU_DEP_1) | instskip(SKIP_1) | instid1(VALU_DEP_1)
	v_fmac_f32_e32 v169, v143, v127
	s_waitcnt lgkmcnt(2)
	v_fmac_f32_e32 v169, v144, v128
	s_waitcnt vmcnt(6)
	s_delay_alu instid0(VALU_DEP_1) | instskip(SKIP_4) | instid1(VALU_DEP_1)
	v_fmac_f32_e32 v169, v145, v129
	ds_load_2addr_b32 v[126:127], v2 offset0:99 offset1:100
	ds_load_2addr_b32 v[128:129], v2 offset0:101 offset1:102
	s_waitcnt lgkmcnt(3)
	v_fmac_f32_e32 v169, v146, v122
	v_fmac_f32_e32 v169, v147, v123
	ds_load_2addr_b32 v[122:123], v2 offset0:103 offset1:104
	s_waitcnt lgkmcnt(3)
	v_fmac_f32_e32 v169, v148, v124
	s_waitcnt vmcnt(5)
	s_delay_alu instid0(VALU_DEP_1) | instskip(SKIP_3) | instid1(VALU_DEP_1)
	v_fmac_f32_e32 v169, v149, v125
	ds_load_2addr_b32 v[124:125], v2 offset0:105 offset1:106
	s_waitcnt lgkmcnt(3)
	v_fmac_f32_e32 v169, v150, v126
	v_fmac_f32_e32 v169, v151, v127
	s_waitcnt lgkmcnt(2)
	s_delay_alu instid0(VALU_DEP_1) | instskip(SKIP_1) | instid1(VALU_DEP_1)
	v_fmac_f32_e32 v169, v152, v128
	s_waitcnt vmcnt(4)
	v_fmac_f32_e32 v169, v153, v129
	ds_load_2addr_b32 v[126:127], v2 offset0:107 offset1:108
	ds_load_2addr_b32 v[128:129], v2 offset0:109 offset1:110
	s_waitcnt lgkmcnt(3)
	v_fmac_f32_e32 v169, v154, v122
	s_delay_alu instid0(VALU_DEP_1) | instskip(SKIP_4) | instid1(VALU_DEP_1)
	v_fmac_f32_e32 v169, v155, v123
	ds_load_2addr_b32 v[122:123], v2 offset0:111 offset1:112
	s_waitcnt lgkmcnt(3)
	v_fmac_f32_e32 v169, v156, v124
	s_waitcnt vmcnt(3)
	v_fmac_f32_e32 v169, v157, v125
	ds_load_2addr_b32 v[124:125], v2 offset0:113 offset1:114
	s_waitcnt lgkmcnt(3)
	v_fmac_f32_e32 v169, v158, v126
	s_delay_alu instid0(VALU_DEP_1) | instskip(SKIP_1) | instid1(VALU_DEP_1)
	v_fmac_f32_e32 v169, v159, v127
	s_waitcnt lgkmcnt(2)
	v_fmac_f32_e32 v169, v160, v128
	s_waitcnt vmcnt(2)
	s_delay_alu instid0(VALU_DEP_1) | instskip(SKIP_4) | instid1(VALU_DEP_1)
	v_fmac_f32_e32 v169, v161, v129
	ds_load_2addr_b32 v[126:127], v2 offset0:115 offset1:116
	ds_load_2addr_b32 v[128:129], v2 offset0:117 offset1:118
	s_waitcnt lgkmcnt(3)
	v_fmac_f32_e32 v169, v162, v122
	v_fmac_f32_e32 v169, v163, v123
	s_waitcnt lgkmcnt(2)
	s_delay_alu instid0(VALU_DEP_1) | instskip(SKIP_1) | instid1(VALU_DEP_1)
	v_fmac_f32_e32 v169, v164, v124
	s_waitcnt vmcnt(1)
	v_fmac_f32_e32 v169, v165, v125
	s_waitcnt lgkmcnt(1)
	s_delay_alu instid0(VALU_DEP_1) | instskip(NEXT) | instid1(VALU_DEP_1)
	v_fmac_f32_e32 v169, v166, v126
	v_fmac_f32_e32 v169, v167, v127
	s_waitcnt lgkmcnt(0)
	s_delay_alu instid0(VALU_DEP_1) | instskip(SKIP_1) | instid1(VALU_DEP_1)
	v_fmac_f32_e32 v169, v168, v128
	s_waitcnt vmcnt(0)
	v_fmac_f32_e32 v169, v177, v129
	s_delay_alu instid0(VALU_DEP_1)
	v_sub_f32_e32 v2, v121, v169
	scratch_store_b32 off, v2, off offset:40
	v_cmpx_lt_u32_e32 9, v0
	s_cbranch_execz .LBB58_343
; %bb.342:
	scratch_load_b32 v2, off, off offset:36
	v_mov_b32_e32 v121, 0
	scratch_store_b32 off, v121, off offset:36
	s_waitcnt vmcnt(0)
	ds_store_b32 v1, v2
.LBB58_343:
	s_or_b32 exec_lo, exec_lo, s0
	s_waitcnt lgkmcnt(0)
	s_waitcnt_vscnt null, 0x0
	s_barrier
	buffer_gl0_inv
	s_clause 0xc
	scratch_load_b128 v[121:124], off, off offset:36
	scratch_load_b128 v[125:128], off, off offset:52
	;; [unrolled: 1-line block ×12, first 2 shown]
	scratch_load_b64 v[177:178], off, off offset:228
	v_mov_b32_e32 v2, 0
	ds_load_2addr_b64 v[169:172], v2 offset0:35 offset1:36
	ds_load_2addr_b64 v[173:176], v2 offset0:37 offset1:38
	s_mov_b32 s0, exec_lo
	s_waitcnt vmcnt(12) lgkmcnt(1)
	v_fma_f32 v169, v122, v169, 0
	s_delay_alu instid0(VALU_DEP_1) | instskip(NEXT) | instid1(VALU_DEP_1)
	v_fmac_f32_e32 v169, v123, v170
	v_fmac_f32_e32 v169, v124, v171
	s_waitcnt vmcnt(11)
	s_delay_alu instid0(VALU_DEP_1) | instskip(SKIP_3) | instid1(VALU_DEP_1)
	v_fmac_f32_e32 v169, v125, v172
	ds_load_2addr_b64 v[122:125], v2 offset0:39 offset1:40
	s_waitcnt lgkmcnt(1)
	v_fmac_f32_e32 v169, v126, v173
	v_fmac_f32_e32 v169, v127, v174
	s_delay_alu instid0(VALU_DEP_1) | instskip(SKIP_1) | instid1(VALU_DEP_1)
	v_fmac_f32_e32 v169, v128, v175
	s_waitcnt vmcnt(10)
	v_fmac_f32_e32 v169, v129, v176
	ds_load_2addr_b64 v[126:129], v2 offset0:41 offset1:42
	s_waitcnt lgkmcnt(1)
	v_fmac_f32_e32 v169, v130, v122
	s_delay_alu instid0(VALU_DEP_1) | instskip(NEXT) | instid1(VALU_DEP_1)
	v_fmac_f32_e32 v169, v131, v123
	v_fmac_f32_e32 v169, v132, v124
	s_waitcnt vmcnt(9)
	s_delay_alu instid0(VALU_DEP_1) | instskip(SKIP_3) | instid1(VALU_DEP_1)
	v_fmac_f32_e32 v169, v133, v125
	ds_load_2addr_b64 v[122:125], v2 offset0:43 offset1:44
	s_waitcnt lgkmcnt(1)
	v_fmac_f32_e32 v169, v134, v126
	v_fmac_f32_e32 v169, v135, v127
	s_delay_alu instid0(VALU_DEP_1) | instskip(SKIP_1) | instid1(VALU_DEP_1)
	v_fmac_f32_e32 v169, v136, v128
	s_waitcnt vmcnt(8)
	v_fmac_f32_e32 v169, v137, v129
	ds_load_2addr_b64 v[126:129], v2 offset0:45 offset1:46
	s_waitcnt lgkmcnt(1)
	v_fmac_f32_e32 v169, v138, v122
	;; [unrolled: 17-line block ×5, first 2 shown]
	ds_load_b32 v122, v2 offset:472
	v_fmac_f32_e32 v169, v163, v123
	s_delay_alu instid0(VALU_DEP_1) | instskip(SKIP_1) | instid1(VALU_DEP_1)
	v_fmac_f32_e32 v169, v164, v124
	s_waitcnt vmcnt(1)
	v_fmac_f32_e32 v169, v165, v125
	s_waitcnt lgkmcnt(1)
	s_delay_alu instid0(VALU_DEP_1) | instskip(NEXT) | instid1(VALU_DEP_1)
	v_fmac_f32_e32 v169, v166, v126
	v_fmac_f32_e32 v169, v167, v127
	s_delay_alu instid0(VALU_DEP_1) | instskip(SKIP_1) | instid1(VALU_DEP_1)
	v_fmac_f32_e32 v169, v168, v128
	s_waitcnt vmcnt(0)
	v_fmac_f32_e32 v169, v177, v129
	s_waitcnt lgkmcnt(0)
	s_delay_alu instid0(VALU_DEP_1) | instskip(NEXT) | instid1(VALU_DEP_1)
	v_fmac_f32_e32 v169, v178, v122
	v_sub_f32_e32 v121, v121, v169
	scratch_store_b32 off, v121, off offset:36
	v_cmpx_lt_u32_e32 8, v0
	s_cbranch_execz .LBB58_345
; %bb.344:
	scratch_load_b32 v121, off, off offset:32
	scratch_store_b32 off, v2, off offset:32
	s_waitcnt vmcnt(0)
	ds_store_b32 v1, v121
.LBB58_345:
	s_or_b32 exec_lo, exec_lo, s0
	s_waitcnt lgkmcnt(0)
	s_waitcnt_vscnt null, 0x0
	s_barrier
	buffer_gl0_inv
	s_clause 0xc
	scratch_load_b128 v[121:124], off, off offset:32
	scratch_load_b128 v[125:128], off, off offset:48
	;; [unrolled: 1-line block ×12, first 2 shown]
	scratch_load_b96 v[169:171], off, off offset:224
	ds_load_2addr_b32 v[172:173], v2 offset0:69 offset1:70
	ds_load_2addr_b32 v[174:175], v2 offset0:71 offset1:72
	;; [unrolled: 1-line block ×4, first 2 shown]
	s_mov_b32 s0, exec_lo
	s_waitcnt vmcnt(12) lgkmcnt(3)
	v_fma_f32 v172, v122, v172, 0
	s_delay_alu instid0(VALU_DEP_1) | instskip(SKIP_4) | instid1(VALU_DEP_1)
	v_fmac_f32_e32 v172, v123, v173
	ds_load_2addr_b32 v[122:123], v2 offset0:77 offset1:78
	s_waitcnt lgkmcnt(3)
	v_fmac_f32_e32 v172, v124, v174
	s_waitcnt vmcnt(11)
	v_fmac_f32_e32 v172, v125, v175
	ds_load_2addr_b32 v[124:125], v2 offset0:79 offset1:80
	s_waitcnt lgkmcnt(3)
	v_fmac_f32_e32 v172, v126, v176
	s_delay_alu instid0(VALU_DEP_1) | instskip(SKIP_1) | instid1(VALU_DEP_1)
	v_fmac_f32_e32 v172, v127, v177
	s_waitcnt lgkmcnt(2)
	v_fmac_f32_e32 v172, v128, v178
	s_waitcnt vmcnt(10)
	s_delay_alu instid0(VALU_DEP_1) | instskip(SKIP_4) | instid1(VALU_DEP_1)
	v_fmac_f32_e32 v172, v129, v179
	ds_load_2addr_b32 v[126:127], v2 offset0:81 offset1:82
	ds_load_2addr_b32 v[128:129], v2 offset0:83 offset1:84
	s_waitcnt lgkmcnt(3)
	v_fmac_f32_e32 v172, v130, v122
	v_fmac_f32_e32 v172, v131, v123
	ds_load_2addr_b32 v[122:123], v2 offset0:85 offset1:86
	s_waitcnt lgkmcnt(3)
	v_fmac_f32_e32 v172, v132, v124
	s_waitcnt vmcnt(9)
	s_delay_alu instid0(VALU_DEP_1) | instskip(SKIP_3) | instid1(VALU_DEP_1)
	v_fmac_f32_e32 v172, v133, v125
	ds_load_2addr_b32 v[124:125], v2 offset0:87 offset1:88
	s_waitcnt lgkmcnt(3)
	v_fmac_f32_e32 v172, v134, v126
	v_fmac_f32_e32 v172, v135, v127
	s_waitcnt lgkmcnt(2)
	s_delay_alu instid0(VALU_DEP_1) | instskip(SKIP_1) | instid1(VALU_DEP_1)
	v_fmac_f32_e32 v172, v136, v128
	s_waitcnt vmcnt(8)
	v_fmac_f32_e32 v172, v137, v129
	ds_load_2addr_b32 v[126:127], v2 offset0:89 offset1:90
	ds_load_2addr_b32 v[128:129], v2 offset0:91 offset1:92
	s_waitcnt lgkmcnt(3)
	v_fmac_f32_e32 v172, v138, v122
	s_delay_alu instid0(VALU_DEP_1) | instskip(SKIP_4) | instid1(VALU_DEP_1)
	v_fmac_f32_e32 v172, v139, v123
	ds_load_2addr_b32 v[122:123], v2 offset0:93 offset1:94
	s_waitcnt lgkmcnt(3)
	v_fmac_f32_e32 v172, v140, v124
	s_waitcnt vmcnt(7)
	v_fmac_f32_e32 v172, v141, v125
	ds_load_2addr_b32 v[124:125], v2 offset0:95 offset1:96
	s_waitcnt lgkmcnt(3)
	v_fmac_f32_e32 v172, v142, v126
	s_delay_alu instid0(VALU_DEP_1) | instskip(SKIP_1) | instid1(VALU_DEP_1)
	v_fmac_f32_e32 v172, v143, v127
	s_waitcnt lgkmcnt(2)
	v_fmac_f32_e32 v172, v144, v128
	s_waitcnt vmcnt(6)
	s_delay_alu instid0(VALU_DEP_1) | instskip(SKIP_4) | instid1(VALU_DEP_1)
	v_fmac_f32_e32 v172, v145, v129
	ds_load_2addr_b32 v[126:127], v2 offset0:97 offset1:98
	ds_load_2addr_b32 v[128:129], v2 offset0:99 offset1:100
	s_waitcnt lgkmcnt(3)
	v_fmac_f32_e32 v172, v146, v122
	v_fmac_f32_e32 v172, v147, v123
	ds_load_2addr_b32 v[122:123], v2 offset0:101 offset1:102
	s_waitcnt lgkmcnt(3)
	v_fmac_f32_e32 v172, v148, v124
	s_waitcnt vmcnt(5)
	s_delay_alu instid0(VALU_DEP_1) | instskip(SKIP_3) | instid1(VALU_DEP_1)
	v_fmac_f32_e32 v172, v149, v125
	ds_load_2addr_b32 v[124:125], v2 offset0:103 offset1:104
	s_waitcnt lgkmcnt(3)
	v_fmac_f32_e32 v172, v150, v126
	v_fmac_f32_e32 v172, v151, v127
	s_waitcnt lgkmcnt(2)
	s_delay_alu instid0(VALU_DEP_1) | instskip(SKIP_1) | instid1(VALU_DEP_1)
	v_fmac_f32_e32 v172, v152, v128
	s_waitcnt vmcnt(4)
	v_fmac_f32_e32 v172, v153, v129
	ds_load_2addr_b32 v[126:127], v2 offset0:105 offset1:106
	ds_load_2addr_b32 v[128:129], v2 offset0:107 offset1:108
	s_waitcnt lgkmcnt(3)
	v_fmac_f32_e32 v172, v154, v122
	s_delay_alu instid0(VALU_DEP_1) | instskip(SKIP_4) | instid1(VALU_DEP_1)
	v_fmac_f32_e32 v172, v155, v123
	ds_load_2addr_b32 v[122:123], v2 offset0:109 offset1:110
	s_waitcnt lgkmcnt(3)
	v_fmac_f32_e32 v172, v156, v124
	s_waitcnt vmcnt(3)
	v_fmac_f32_e32 v172, v157, v125
	ds_load_2addr_b32 v[124:125], v2 offset0:111 offset1:112
	s_waitcnt lgkmcnt(3)
	v_fmac_f32_e32 v172, v158, v126
	s_delay_alu instid0(VALU_DEP_1) | instskip(SKIP_1) | instid1(VALU_DEP_1)
	v_fmac_f32_e32 v172, v159, v127
	s_waitcnt lgkmcnt(2)
	v_fmac_f32_e32 v172, v160, v128
	s_waitcnt vmcnt(2)
	s_delay_alu instid0(VALU_DEP_1) | instskip(SKIP_4) | instid1(VALU_DEP_1)
	v_fmac_f32_e32 v172, v161, v129
	ds_load_2addr_b32 v[126:127], v2 offset0:113 offset1:114
	ds_load_2addr_b32 v[128:129], v2 offset0:115 offset1:116
	s_waitcnt lgkmcnt(3)
	v_fmac_f32_e32 v172, v162, v122
	v_fmac_f32_e32 v172, v163, v123
	ds_load_2addr_b32 v[122:123], v2 offset0:117 offset1:118
	s_waitcnt lgkmcnt(3)
	v_fmac_f32_e32 v172, v164, v124
	s_waitcnt vmcnt(1)
	s_delay_alu instid0(VALU_DEP_1) | instskip(SKIP_1) | instid1(VALU_DEP_1)
	v_fmac_f32_e32 v172, v165, v125
	s_waitcnt lgkmcnt(2)
	v_fmac_f32_e32 v172, v166, v126
	s_delay_alu instid0(VALU_DEP_1) | instskip(SKIP_1) | instid1(VALU_DEP_1)
	v_fmac_f32_e32 v172, v167, v127
	s_waitcnt lgkmcnt(1)
	v_fmac_f32_e32 v172, v168, v128
	s_waitcnt vmcnt(0)
	s_delay_alu instid0(VALU_DEP_1) | instskip(SKIP_1) | instid1(VALU_DEP_1)
	v_fmac_f32_e32 v172, v169, v129
	s_waitcnt lgkmcnt(0)
	v_fmac_f32_e32 v172, v170, v122
	s_delay_alu instid0(VALU_DEP_1) | instskip(NEXT) | instid1(VALU_DEP_1)
	v_fmac_f32_e32 v172, v171, v123
	v_sub_f32_e32 v2, v121, v172
	scratch_store_b32 off, v2, off offset:32
	v_cmpx_lt_u32_e32 7, v0
	s_cbranch_execz .LBB58_347
; %bb.346:
	scratch_load_b32 v2, off, off offset:28
	v_mov_b32_e32 v121, 0
	scratch_store_b32 off, v121, off offset:28
	s_waitcnt vmcnt(0)
	ds_store_b32 v1, v2
.LBB58_347:
	s_or_b32 exec_lo, exec_lo, s0
	s_waitcnt lgkmcnt(0)
	s_waitcnt_vscnt null, 0x0
	s_barrier
	buffer_gl0_inv
	s_clause 0xc
	scratch_load_b128 v[121:124], off, off offset:28
	scratch_load_b128 v[125:128], off, off offset:44
	scratch_load_b128 v[129:132], off, off offset:60
	scratch_load_b128 v[133:136], off, off offset:76
	scratch_load_b128 v[137:140], off, off offset:92
	scratch_load_b128 v[141:144], off, off offset:108
	scratch_load_b128 v[145:148], off, off offset:124
	scratch_load_b128 v[149:152], off, off offset:140
	scratch_load_b128 v[153:156], off, off offset:156
	scratch_load_b128 v[157:160], off, off offset:172
	scratch_load_b128 v[161:164], off, off offset:188
	scratch_load_b128 v[165:168], off, off offset:204
	scratch_load_b128 v[169:172], off, off offset:220
	v_mov_b32_e32 v2, 0
	ds_load_b128 v[173:176], v2 offset:272
	ds_load_b128 v[177:180], v2 offset:288
	s_mov_b32 s0, exec_lo
	s_waitcnt vmcnt(12) lgkmcnt(1)
	v_fma_f32 v173, v122, v173, 0
	s_delay_alu instid0(VALU_DEP_1) | instskip(NEXT) | instid1(VALU_DEP_1)
	v_fmac_f32_e32 v173, v123, v174
	v_fmac_f32_e32 v173, v124, v175
	s_waitcnt vmcnt(11)
	s_delay_alu instid0(VALU_DEP_1) | instskip(SKIP_3) | instid1(VALU_DEP_1)
	v_fmac_f32_e32 v173, v125, v176
	ds_load_b128 v[122:125], v2 offset:304
	s_waitcnt lgkmcnt(1)
	v_fmac_f32_e32 v173, v126, v177
	v_fmac_f32_e32 v173, v127, v178
	s_delay_alu instid0(VALU_DEP_1) | instskip(SKIP_1) | instid1(VALU_DEP_1)
	v_fmac_f32_e32 v173, v128, v179
	s_waitcnt vmcnt(10)
	v_fmac_f32_e32 v173, v129, v180
	ds_load_b128 v[126:129], v2 offset:320
	s_waitcnt lgkmcnt(1)
	v_fmac_f32_e32 v173, v130, v122
	s_delay_alu instid0(VALU_DEP_1) | instskip(NEXT) | instid1(VALU_DEP_1)
	v_fmac_f32_e32 v173, v131, v123
	v_fmac_f32_e32 v173, v132, v124
	s_waitcnt vmcnt(9)
	s_delay_alu instid0(VALU_DEP_1) | instskip(SKIP_3) | instid1(VALU_DEP_1)
	v_fmac_f32_e32 v173, v133, v125
	ds_load_b128 v[122:125], v2 offset:336
	s_waitcnt lgkmcnt(1)
	v_fmac_f32_e32 v173, v134, v126
	v_fmac_f32_e32 v173, v135, v127
	s_delay_alu instid0(VALU_DEP_1) | instskip(SKIP_1) | instid1(VALU_DEP_1)
	v_fmac_f32_e32 v173, v136, v128
	s_waitcnt vmcnt(8)
	v_fmac_f32_e32 v173, v137, v129
	ds_load_b128 v[126:129], v2 offset:352
	s_waitcnt lgkmcnt(1)
	v_fmac_f32_e32 v173, v138, v122
	;; [unrolled: 17-line block ×5, first 2 shown]
	s_delay_alu instid0(VALU_DEP_1) | instskip(NEXT) | instid1(VALU_DEP_1)
	v_fmac_f32_e32 v173, v163, v123
	v_fmac_f32_e32 v173, v164, v124
	ds_load_b96 v[122:124], v2 offset:464
	s_waitcnt vmcnt(1)
	v_fmac_f32_e32 v173, v165, v125
	s_waitcnt lgkmcnt(1)
	s_delay_alu instid0(VALU_DEP_1) | instskip(NEXT) | instid1(VALU_DEP_1)
	v_fmac_f32_e32 v173, v166, v126
	v_fmac_f32_e32 v173, v167, v127
	s_delay_alu instid0(VALU_DEP_1) | instskip(SKIP_1) | instid1(VALU_DEP_1)
	v_fmac_f32_e32 v173, v168, v128
	s_waitcnt vmcnt(0)
	v_fmac_f32_e32 v173, v169, v129
	s_waitcnt lgkmcnt(0)
	s_delay_alu instid0(VALU_DEP_1) | instskip(NEXT) | instid1(VALU_DEP_1)
	v_fmac_f32_e32 v173, v170, v122
	v_fmac_f32_e32 v173, v171, v123
	s_delay_alu instid0(VALU_DEP_1) | instskip(NEXT) | instid1(VALU_DEP_1)
	v_fmac_f32_e32 v173, v172, v124
	v_sub_f32_e32 v121, v121, v173
	scratch_store_b32 off, v121, off offset:28
	v_cmpx_lt_u32_e32 6, v0
	s_cbranch_execz .LBB58_349
; %bb.348:
	scratch_load_b32 v121, off, off offset:24
	scratch_store_b32 off, v2, off offset:24
	s_waitcnt vmcnt(0)
	ds_store_b32 v1, v121
.LBB58_349:
	s_or_b32 exec_lo, exec_lo, s0
	s_waitcnt lgkmcnt(0)
	s_waitcnt_vscnt null, 0x0
	s_barrier
	buffer_gl0_inv
	s_clause 0xd
	scratch_load_b128 v[121:124], off, off offset:24
	scratch_load_b128 v[125:128], off, off offset:40
	;; [unrolled: 1-line block ×13, first 2 shown]
	scratch_load_b32 v181, off, off offset:232
	ds_load_2addr_b32 v[173:174], v2 offset0:67 offset1:68
	ds_load_2addr_b32 v[175:176], v2 offset0:69 offset1:70
	;; [unrolled: 1-line block ×4, first 2 shown]
	s_mov_b32 s0, exec_lo
	s_waitcnt vmcnt(13) lgkmcnt(3)
	v_fma_f32 v173, v122, v173, 0
	s_delay_alu instid0(VALU_DEP_1) | instskip(SKIP_4) | instid1(VALU_DEP_1)
	v_fmac_f32_e32 v173, v123, v174
	ds_load_2addr_b32 v[122:123], v2 offset0:75 offset1:76
	s_waitcnt lgkmcnt(3)
	v_fmac_f32_e32 v173, v124, v175
	s_waitcnt vmcnt(12)
	v_fmac_f32_e32 v173, v125, v176
	ds_load_2addr_b32 v[124:125], v2 offset0:77 offset1:78
	s_waitcnt lgkmcnt(3)
	v_fmac_f32_e32 v173, v126, v177
	s_delay_alu instid0(VALU_DEP_1) | instskip(SKIP_1) | instid1(VALU_DEP_1)
	v_fmac_f32_e32 v173, v127, v178
	s_waitcnt lgkmcnt(2)
	v_fmac_f32_e32 v173, v128, v179
	s_waitcnt vmcnt(11)
	s_delay_alu instid0(VALU_DEP_1) | instskip(SKIP_4) | instid1(VALU_DEP_1)
	v_fmac_f32_e32 v173, v129, v180
	ds_load_2addr_b32 v[126:127], v2 offset0:79 offset1:80
	ds_load_2addr_b32 v[128:129], v2 offset0:81 offset1:82
	s_waitcnt lgkmcnt(3)
	v_fmac_f32_e32 v173, v130, v122
	v_fmac_f32_e32 v173, v131, v123
	ds_load_2addr_b32 v[122:123], v2 offset0:83 offset1:84
	s_waitcnt lgkmcnt(3)
	v_fmac_f32_e32 v173, v132, v124
	s_waitcnt vmcnt(10)
	s_delay_alu instid0(VALU_DEP_1) | instskip(SKIP_3) | instid1(VALU_DEP_1)
	v_fmac_f32_e32 v173, v133, v125
	ds_load_2addr_b32 v[124:125], v2 offset0:85 offset1:86
	s_waitcnt lgkmcnt(3)
	v_fmac_f32_e32 v173, v134, v126
	v_fmac_f32_e32 v173, v135, v127
	s_waitcnt lgkmcnt(2)
	s_delay_alu instid0(VALU_DEP_1) | instskip(SKIP_1) | instid1(VALU_DEP_1)
	v_fmac_f32_e32 v173, v136, v128
	s_waitcnt vmcnt(9)
	v_fmac_f32_e32 v173, v137, v129
	ds_load_2addr_b32 v[126:127], v2 offset0:87 offset1:88
	ds_load_2addr_b32 v[128:129], v2 offset0:89 offset1:90
	s_waitcnt lgkmcnt(3)
	v_fmac_f32_e32 v173, v138, v122
	s_delay_alu instid0(VALU_DEP_1) | instskip(SKIP_4) | instid1(VALU_DEP_1)
	v_fmac_f32_e32 v173, v139, v123
	ds_load_2addr_b32 v[122:123], v2 offset0:91 offset1:92
	s_waitcnt lgkmcnt(3)
	v_fmac_f32_e32 v173, v140, v124
	s_waitcnt vmcnt(8)
	v_fmac_f32_e32 v173, v141, v125
	ds_load_2addr_b32 v[124:125], v2 offset0:93 offset1:94
	s_waitcnt lgkmcnt(3)
	v_fmac_f32_e32 v173, v142, v126
	s_delay_alu instid0(VALU_DEP_1) | instskip(SKIP_1) | instid1(VALU_DEP_1)
	v_fmac_f32_e32 v173, v143, v127
	s_waitcnt lgkmcnt(2)
	v_fmac_f32_e32 v173, v144, v128
	s_waitcnt vmcnt(7)
	s_delay_alu instid0(VALU_DEP_1) | instskip(SKIP_4) | instid1(VALU_DEP_1)
	v_fmac_f32_e32 v173, v145, v129
	ds_load_2addr_b32 v[126:127], v2 offset0:95 offset1:96
	ds_load_2addr_b32 v[128:129], v2 offset0:97 offset1:98
	s_waitcnt lgkmcnt(3)
	v_fmac_f32_e32 v173, v146, v122
	v_fmac_f32_e32 v173, v147, v123
	ds_load_2addr_b32 v[122:123], v2 offset0:99 offset1:100
	s_waitcnt lgkmcnt(3)
	v_fmac_f32_e32 v173, v148, v124
	s_waitcnt vmcnt(6)
	s_delay_alu instid0(VALU_DEP_1) | instskip(SKIP_3) | instid1(VALU_DEP_1)
	v_fmac_f32_e32 v173, v149, v125
	ds_load_2addr_b32 v[124:125], v2 offset0:101 offset1:102
	s_waitcnt lgkmcnt(3)
	v_fmac_f32_e32 v173, v150, v126
	v_fmac_f32_e32 v173, v151, v127
	s_waitcnt lgkmcnt(2)
	s_delay_alu instid0(VALU_DEP_1) | instskip(SKIP_1) | instid1(VALU_DEP_1)
	v_fmac_f32_e32 v173, v152, v128
	s_waitcnt vmcnt(5)
	v_fmac_f32_e32 v173, v153, v129
	ds_load_2addr_b32 v[126:127], v2 offset0:103 offset1:104
	ds_load_2addr_b32 v[128:129], v2 offset0:105 offset1:106
	s_waitcnt lgkmcnt(3)
	v_fmac_f32_e32 v173, v154, v122
	s_delay_alu instid0(VALU_DEP_1) | instskip(SKIP_4) | instid1(VALU_DEP_1)
	v_fmac_f32_e32 v173, v155, v123
	ds_load_2addr_b32 v[122:123], v2 offset0:107 offset1:108
	s_waitcnt lgkmcnt(3)
	v_fmac_f32_e32 v173, v156, v124
	s_waitcnt vmcnt(4)
	v_fmac_f32_e32 v173, v157, v125
	ds_load_2addr_b32 v[124:125], v2 offset0:109 offset1:110
	s_waitcnt lgkmcnt(3)
	v_fmac_f32_e32 v173, v158, v126
	s_delay_alu instid0(VALU_DEP_1) | instskip(SKIP_1) | instid1(VALU_DEP_1)
	v_fmac_f32_e32 v173, v159, v127
	s_waitcnt lgkmcnt(2)
	v_fmac_f32_e32 v173, v160, v128
	s_waitcnt vmcnt(3)
	s_delay_alu instid0(VALU_DEP_1) | instskip(SKIP_4) | instid1(VALU_DEP_1)
	v_fmac_f32_e32 v173, v161, v129
	ds_load_2addr_b32 v[126:127], v2 offset0:111 offset1:112
	ds_load_2addr_b32 v[128:129], v2 offset0:113 offset1:114
	s_waitcnt lgkmcnt(3)
	v_fmac_f32_e32 v173, v162, v122
	v_fmac_f32_e32 v173, v163, v123
	ds_load_2addr_b32 v[122:123], v2 offset0:115 offset1:116
	s_waitcnt lgkmcnt(3)
	v_fmac_f32_e32 v173, v164, v124
	s_waitcnt vmcnt(2)
	s_delay_alu instid0(VALU_DEP_1) | instskip(SKIP_3) | instid1(VALU_DEP_1)
	v_fmac_f32_e32 v173, v165, v125
	ds_load_2addr_b32 v[124:125], v2 offset0:117 offset1:118
	s_waitcnt lgkmcnt(3)
	v_fmac_f32_e32 v173, v166, v126
	v_fmac_f32_e32 v173, v167, v127
	s_waitcnt lgkmcnt(2)
	s_delay_alu instid0(VALU_DEP_1) | instskip(SKIP_1) | instid1(VALU_DEP_1)
	v_fmac_f32_e32 v173, v168, v128
	s_waitcnt vmcnt(1)
	v_fmac_f32_e32 v173, v169, v129
	s_waitcnt lgkmcnt(1)
	s_delay_alu instid0(VALU_DEP_1) | instskip(NEXT) | instid1(VALU_DEP_1)
	v_fmac_f32_e32 v173, v170, v122
	v_fmac_f32_e32 v173, v171, v123
	s_waitcnt lgkmcnt(0)
	s_delay_alu instid0(VALU_DEP_1) | instskip(SKIP_1) | instid1(VALU_DEP_1)
	v_fmac_f32_e32 v173, v172, v124
	s_waitcnt vmcnt(0)
	v_fmac_f32_e32 v173, v181, v125
	s_delay_alu instid0(VALU_DEP_1)
	v_sub_f32_e32 v2, v121, v173
	scratch_store_b32 off, v2, off offset:24
	v_cmpx_lt_u32_e32 5, v0
	s_cbranch_execz .LBB58_351
; %bb.350:
	scratch_load_b32 v2, off, off offset:20
	v_mov_b32_e32 v121, 0
	scratch_store_b32 off, v121, off offset:20
	s_waitcnt vmcnt(0)
	ds_store_b32 v1, v2
.LBB58_351:
	s_or_b32 exec_lo, exec_lo, s0
	s_waitcnt lgkmcnt(0)
	s_waitcnt_vscnt null, 0x0
	s_barrier
	buffer_gl0_inv
	s_clause 0xd
	scratch_load_b128 v[121:124], off, off offset:20
	scratch_load_b128 v[125:128], off, off offset:36
	;; [unrolled: 1-line block ×13, first 2 shown]
	scratch_load_b64 v[181:182], off, off offset:228
	v_mov_b32_e32 v2, 0
	ds_load_2addr_b64 v[173:176], v2 offset0:33 offset1:34
	ds_load_2addr_b64 v[177:180], v2 offset0:35 offset1:36
	s_mov_b32 s0, exec_lo
	s_waitcnt vmcnt(13) lgkmcnt(1)
	v_fma_f32 v173, v122, v173, 0
	s_delay_alu instid0(VALU_DEP_1) | instskip(NEXT) | instid1(VALU_DEP_1)
	v_fmac_f32_e32 v173, v123, v174
	v_fmac_f32_e32 v173, v124, v175
	s_waitcnt vmcnt(12)
	s_delay_alu instid0(VALU_DEP_1) | instskip(SKIP_3) | instid1(VALU_DEP_1)
	v_fmac_f32_e32 v173, v125, v176
	ds_load_2addr_b64 v[122:125], v2 offset0:37 offset1:38
	s_waitcnt lgkmcnt(1)
	v_fmac_f32_e32 v173, v126, v177
	v_fmac_f32_e32 v173, v127, v178
	s_delay_alu instid0(VALU_DEP_1) | instskip(SKIP_1) | instid1(VALU_DEP_1)
	v_fmac_f32_e32 v173, v128, v179
	s_waitcnt vmcnt(11)
	v_fmac_f32_e32 v173, v129, v180
	ds_load_2addr_b64 v[126:129], v2 offset0:39 offset1:40
	s_waitcnt lgkmcnt(1)
	v_fmac_f32_e32 v173, v130, v122
	s_delay_alu instid0(VALU_DEP_1) | instskip(NEXT) | instid1(VALU_DEP_1)
	v_fmac_f32_e32 v173, v131, v123
	v_fmac_f32_e32 v173, v132, v124
	s_waitcnt vmcnt(10)
	s_delay_alu instid0(VALU_DEP_1) | instskip(SKIP_3) | instid1(VALU_DEP_1)
	v_fmac_f32_e32 v173, v133, v125
	ds_load_2addr_b64 v[122:125], v2 offset0:41 offset1:42
	s_waitcnt lgkmcnt(1)
	v_fmac_f32_e32 v173, v134, v126
	v_fmac_f32_e32 v173, v135, v127
	s_delay_alu instid0(VALU_DEP_1) | instskip(SKIP_1) | instid1(VALU_DEP_1)
	v_fmac_f32_e32 v173, v136, v128
	s_waitcnt vmcnt(9)
	v_fmac_f32_e32 v173, v137, v129
	ds_load_2addr_b64 v[126:129], v2 offset0:43 offset1:44
	s_waitcnt lgkmcnt(1)
	v_fmac_f32_e32 v173, v138, v122
	;; [unrolled: 17-line block ×5, first 2 shown]
	s_delay_alu instid0(VALU_DEP_1) | instskip(NEXT) | instid1(VALU_DEP_1)
	v_fmac_f32_e32 v173, v163, v123
	v_fmac_f32_e32 v173, v164, v124
	s_waitcnt vmcnt(2)
	s_delay_alu instid0(VALU_DEP_1)
	v_fmac_f32_e32 v173, v165, v125
	ds_load_2addr_b64 v[122:125], v2 offset0:57 offset1:58
	s_waitcnt lgkmcnt(1)
	v_fmac_f32_e32 v173, v166, v126
	ds_load_b32 v126, v2 offset:472
	v_fmac_f32_e32 v173, v167, v127
	s_delay_alu instid0(VALU_DEP_1) | instskip(SKIP_1) | instid1(VALU_DEP_1)
	v_fmac_f32_e32 v173, v168, v128
	s_waitcnt vmcnt(1)
	v_fmac_f32_e32 v173, v169, v129
	s_waitcnt lgkmcnt(1)
	s_delay_alu instid0(VALU_DEP_1) | instskip(NEXT) | instid1(VALU_DEP_1)
	v_fmac_f32_e32 v173, v170, v122
	v_fmac_f32_e32 v173, v171, v123
	s_delay_alu instid0(VALU_DEP_1) | instskip(SKIP_1) | instid1(VALU_DEP_1)
	v_fmac_f32_e32 v173, v172, v124
	s_waitcnt vmcnt(0)
	v_fmac_f32_e32 v173, v181, v125
	s_waitcnt lgkmcnt(0)
	s_delay_alu instid0(VALU_DEP_1) | instskip(NEXT) | instid1(VALU_DEP_1)
	v_fmac_f32_e32 v173, v182, v126
	v_sub_f32_e32 v121, v121, v173
	scratch_store_b32 off, v121, off offset:20
	v_cmpx_lt_u32_e32 4, v0
	s_cbranch_execz .LBB58_353
; %bb.352:
	scratch_load_b32 v121, off, off offset:16
	scratch_store_b32 off, v2, off offset:16
	s_waitcnt vmcnt(0)
	ds_store_b32 v1, v121
.LBB58_353:
	s_or_b32 exec_lo, exec_lo, s0
	s_waitcnt lgkmcnt(0)
	s_waitcnt_vscnt null, 0x0
	s_barrier
	buffer_gl0_inv
	s_clause 0xd
	scratch_load_b128 v[121:124], off, off offset:16
	scratch_load_b128 v[125:128], off, off offset:32
	;; [unrolled: 1-line block ×13, first 2 shown]
	scratch_load_b96 v[173:175], off, off offset:224
	ds_load_2addr_b32 v[176:177], v2 offset0:65 offset1:66
	ds_load_2addr_b32 v[178:179], v2 offset0:67 offset1:68
	;; [unrolled: 1-line block ×4, first 2 shown]
	s_mov_b32 s0, exec_lo
	s_waitcnt vmcnt(13) lgkmcnt(3)
	v_fma_f32 v176, v122, v176, 0
	s_delay_alu instid0(VALU_DEP_1) | instskip(SKIP_4) | instid1(VALU_DEP_1)
	v_fmac_f32_e32 v176, v123, v177
	ds_load_2addr_b32 v[122:123], v2 offset0:73 offset1:74
	s_waitcnt lgkmcnt(3)
	v_fmac_f32_e32 v176, v124, v178
	s_waitcnt vmcnt(12)
	v_fmac_f32_e32 v176, v125, v179
	ds_load_2addr_b32 v[124:125], v2 offset0:75 offset1:76
	s_waitcnt lgkmcnt(3)
	v_fmac_f32_e32 v176, v126, v180
	s_delay_alu instid0(VALU_DEP_1) | instskip(SKIP_1) | instid1(VALU_DEP_1)
	v_fmac_f32_e32 v176, v127, v181
	s_waitcnt lgkmcnt(2)
	v_fmac_f32_e32 v176, v128, v182
	s_waitcnt vmcnt(11)
	s_delay_alu instid0(VALU_DEP_1) | instskip(SKIP_4) | instid1(VALU_DEP_1)
	v_fmac_f32_e32 v176, v129, v183
	ds_load_2addr_b32 v[126:127], v2 offset0:77 offset1:78
	ds_load_2addr_b32 v[128:129], v2 offset0:79 offset1:80
	s_waitcnt lgkmcnt(3)
	v_fmac_f32_e32 v176, v130, v122
	v_fmac_f32_e32 v176, v131, v123
	ds_load_2addr_b32 v[122:123], v2 offset0:81 offset1:82
	s_waitcnt lgkmcnt(3)
	v_fmac_f32_e32 v176, v132, v124
	s_waitcnt vmcnt(10)
	s_delay_alu instid0(VALU_DEP_1) | instskip(SKIP_3) | instid1(VALU_DEP_1)
	v_fmac_f32_e32 v176, v133, v125
	ds_load_2addr_b32 v[124:125], v2 offset0:83 offset1:84
	s_waitcnt lgkmcnt(3)
	v_fmac_f32_e32 v176, v134, v126
	v_fmac_f32_e32 v176, v135, v127
	s_waitcnt lgkmcnt(2)
	s_delay_alu instid0(VALU_DEP_1) | instskip(SKIP_1) | instid1(VALU_DEP_1)
	v_fmac_f32_e32 v176, v136, v128
	s_waitcnt vmcnt(9)
	v_fmac_f32_e32 v176, v137, v129
	ds_load_2addr_b32 v[126:127], v2 offset0:85 offset1:86
	ds_load_2addr_b32 v[128:129], v2 offset0:87 offset1:88
	s_waitcnt lgkmcnt(3)
	v_fmac_f32_e32 v176, v138, v122
	s_delay_alu instid0(VALU_DEP_1) | instskip(SKIP_4) | instid1(VALU_DEP_1)
	v_fmac_f32_e32 v176, v139, v123
	ds_load_2addr_b32 v[122:123], v2 offset0:89 offset1:90
	s_waitcnt lgkmcnt(3)
	v_fmac_f32_e32 v176, v140, v124
	s_waitcnt vmcnt(8)
	v_fmac_f32_e32 v176, v141, v125
	ds_load_2addr_b32 v[124:125], v2 offset0:91 offset1:92
	s_waitcnt lgkmcnt(3)
	v_fmac_f32_e32 v176, v142, v126
	s_delay_alu instid0(VALU_DEP_1) | instskip(SKIP_1) | instid1(VALU_DEP_1)
	v_fmac_f32_e32 v176, v143, v127
	s_waitcnt lgkmcnt(2)
	v_fmac_f32_e32 v176, v144, v128
	s_waitcnt vmcnt(7)
	s_delay_alu instid0(VALU_DEP_1) | instskip(SKIP_4) | instid1(VALU_DEP_1)
	v_fmac_f32_e32 v176, v145, v129
	ds_load_2addr_b32 v[126:127], v2 offset0:93 offset1:94
	ds_load_2addr_b32 v[128:129], v2 offset0:95 offset1:96
	s_waitcnt lgkmcnt(3)
	v_fmac_f32_e32 v176, v146, v122
	v_fmac_f32_e32 v176, v147, v123
	ds_load_2addr_b32 v[122:123], v2 offset0:97 offset1:98
	s_waitcnt lgkmcnt(3)
	v_fmac_f32_e32 v176, v148, v124
	s_waitcnt vmcnt(6)
	s_delay_alu instid0(VALU_DEP_1) | instskip(SKIP_3) | instid1(VALU_DEP_1)
	v_fmac_f32_e32 v176, v149, v125
	ds_load_2addr_b32 v[124:125], v2 offset0:99 offset1:100
	s_waitcnt lgkmcnt(3)
	v_fmac_f32_e32 v176, v150, v126
	v_fmac_f32_e32 v176, v151, v127
	s_waitcnt lgkmcnt(2)
	s_delay_alu instid0(VALU_DEP_1) | instskip(SKIP_1) | instid1(VALU_DEP_1)
	v_fmac_f32_e32 v176, v152, v128
	s_waitcnt vmcnt(5)
	v_fmac_f32_e32 v176, v153, v129
	ds_load_2addr_b32 v[126:127], v2 offset0:101 offset1:102
	ds_load_2addr_b32 v[128:129], v2 offset0:103 offset1:104
	s_waitcnt lgkmcnt(3)
	v_fmac_f32_e32 v176, v154, v122
	s_delay_alu instid0(VALU_DEP_1) | instskip(SKIP_4) | instid1(VALU_DEP_1)
	v_fmac_f32_e32 v176, v155, v123
	ds_load_2addr_b32 v[122:123], v2 offset0:105 offset1:106
	s_waitcnt lgkmcnt(3)
	v_fmac_f32_e32 v176, v156, v124
	s_waitcnt vmcnt(4)
	v_fmac_f32_e32 v176, v157, v125
	ds_load_2addr_b32 v[124:125], v2 offset0:107 offset1:108
	s_waitcnt lgkmcnt(3)
	v_fmac_f32_e32 v176, v158, v126
	s_delay_alu instid0(VALU_DEP_1) | instskip(SKIP_1) | instid1(VALU_DEP_1)
	v_fmac_f32_e32 v176, v159, v127
	s_waitcnt lgkmcnt(2)
	v_fmac_f32_e32 v176, v160, v128
	s_waitcnt vmcnt(3)
	s_delay_alu instid0(VALU_DEP_1) | instskip(SKIP_4) | instid1(VALU_DEP_1)
	v_fmac_f32_e32 v176, v161, v129
	ds_load_2addr_b32 v[126:127], v2 offset0:109 offset1:110
	ds_load_2addr_b32 v[128:129], v2 offset0:111 offset1:112
	s_waitcnt lgkmcnt(3)
	v_fmac_f32_e32 v176, v162, v122
	v_fmac_f32_e32 v176, v163, v123
	ds_load_2addr_b32 v[122:123], v2 offset0:113 offset1:114
	s_waitcnt lgkmcnt(3)
	v_fmac_f32_e32 v176, v164, v124
	s_waitcnt vmcnt(2)
	s_delay_alu instid0(VALU_DEP_1) | instskip(SKIP_3) | instid1(VALU_DEP_1)
	v_fmac_f32_e32 v176, v165, v125
	ds_load_2addr_b32 v[124:125], v2 offset0:115 offset1:116
	s_waitcnt lgkmcnt(3)
	v_fmac_f32_e32 v176, v166, v126
	v_fmac_f32_e32 v176, v167, v127
	ds_load_2addr_b32 v[126:127], v2 offset0:117 offset1:118
	s_waitcnt lgkmcnt(3)
	v_fmac_f32_e32 v176, v168, v128
	s_waitcnt vmcnt(1)
	s_delay_alu instid0(VALU_DEP_1) | instskip(SKIP_1) | instid1(VALU_DEP_1)
	v_fmac_f32_e32 v176, v169, v129
	s_waitcnt lgkmcnt(2)
	v_fmac_f32_e32 v176, v170, v122
	s_delay_alu instid0(VALU_DEP_1) | instskip(SKIP_1) | instid1(VALU_DEP_1)
	v_fmac_f32_e32 v176, v171, v123
	s_waitcnt lgkmcnt(1)
	v_fmac_f32_e32 v176, v172, v124
	s_waitcnt vmcnt(0)
	s_delay_alu instid0(VALU_DEP_1) | instskip(SKIP_1) | instid1(VALU_DEP_1)
	v_fmac_f32_e32 v176, v173, v125
	s_waitcnt lgkmcnt(0)
	v_fmac_f32_e32 v176, v174, v126
	s_delay_alu instid0(VALU_DEP_1) | instskip(NEXT) | instid1(VALU_DEP_1)
	v_fmac_f32_e32 v176, v175, v127
	v_sub_f32_e32 v2, v121, v176
	scratch_store_b32 off, v2, off offset:16
	v_cmpx_lt_u32_e32 3, v0
	s_cbranch_execz .LBB58_355
; %bb.354:
	scratch_load_b32 v2, off, off offset:12
	v_mov_b32_e32 v121, 0
	scratch_store_b32 off, v121, off offset:12
	s_waitcnt vmcnt(0)
	ds_store_b32 v1, v2
.LBB58_355:
	s_or_b32 exec_lo, exec_lo, s0
	s_waitcnt lgkmcnt(0)
	s_waitcnt_vscnt null, 0x0
	s_barrier
	buffer_gl0_inv
	s_clause 0xd
	scratch_load_b128 v[121:124], off, off offset:12
	scratch_load_b128 v[125:128], off, off offset:28
	;; [unrolled: 1-line block ×14, first 2 shown]
	v_mov_b32_e32 v2, 0
	ds_load_b128 v[177:180], v2 offset:256
	ds_load_b128 v[181:184], v2 offset:272
	s_mov_b32 s0, exec_lo
	s_waitcnt vmcnt(13) lgkmcnt(1)
	v_fma_f32 v177, v122, v177, 0
	s_delay_alu instid0(VALU_DEP_1) | instskip(NEXT) | instid1(VALU_DEP_1)
	v_fmac_f32_e32 v177, v123, v178
	v_fmac_f32_e32 v177, v124, v179
	s_waitcnt vmcnt(12)
	s_delay_alu instid0(VALU_DEP_1) | instskip(SKIP_3) | instid1(VALU_DEP_1)
	v_fmac_f32_e32 v177, v125, v180
	ds_load_b128 v[122:125], v2 offset:288
	s_waitcnt lgkmcnt(1)
	v_fmac_f32_e32 v177, v126, v181
	v_fmac_f32_e32 v177, v127, v182
	s_delay_alu instid0(VALU_DEP_1) | instskip(SKIP_1) | instid1(VALU_DEP_1)
	v_fmac_f32_e32 v177, v128, v183
	s_waitcnt vmcnt(11)
	v_fmac_f32_e32 v177, v129, v184
	ds_load_b128 v[126:129], v2 offset:304
	s_waitcnt lgkmcnt(1)
	v_fmac_f32_e32 v177, v130, v122
	s_delay_alu instid0(VALU_DEP_1) | instskip(NEXT) | instid1(VALU_DEP_1)
	v_fmac_f32_e32 v177, v131, v123
	v_fmac_f32_e32 v177, v132, v124
	s_waitcnt vmcnt(10)
	s_delay_alu instid0(VALU_DEP_1) | instskip(SKIP_3) | instid1(VALU_DEP_1)
	v_fmac_f32_e32 v177, v133, v125
	ds_load_b128 v[122:125], v2 offset:320
	s_waitcnt lgkmcnt(1)
	v_fmac_f32_e32 v177, v134, v126
	v_fmac_f32_e32 v177, v135, v127
	s_delay_alu instid0(VALU_DEP_1) | instskip(SKIP_1) | instid1(VALU_DEP_1)
	v_fmac_f32_e32 v177, v136, v128
	s_waitcnt vmcnt(9)
	v_fmac_f32_e32 v177, v137, v129
	ds_load_b128 v[126:129], v2 offset:336
	s_waitcnt lgkmcnt(1)
	v_fmac_f32_e32 v177, v138, v122
	;; [unrolled: 17-line block ×5, first 2 shown]
	s_delay_alu instid0(VALU_DEP_1) | instskip(NEXT) | instid1(VALU_DEP_1)
	v_fmac_f32_e32 v177, v163, v123
	v_fmac_f32_e32 v177, v164, v124
	s_waitcnt vmcnt(2)
	s_delay_alu instid0(VALU_DEP_1) | instskip(SKIP_3) | instid1(VALU_DEP_1)
	v_fmac_f32_e32 v177, v165, v125
	ds_load_b128 v[122:125], v2 offset:448
	s_waitcnt lgkmcnt(1)
	v_fmac_f32_e32 v177, v166, v126
	v_fmac_f32_e32 v177, v167, v127
	s_delay_alu instid0(VALU_DEP_1) | instskip(SKIP_4) | instid1(VALU_DEP_1)
	v_fmac_f32_e32 v177, v168, v128
	ds_load_b96 v[126:128], v2 offset:464
	s_waitcnt vmcnt(1)
	v_fmac_f32_e32 v177, v169, v129
	s_waitcnt lgkmcnt(1)
	v_fmac_f32_e32 v177, v170, v122
	s_delay_alu instid0(VALU_DEP_1) | instskip(NEXT) | instid1(VALU_DEP_1)
	v_fmac_f32_e32 v177, v171, v123
	v_fmac_f32_e32 v177, v172, v124
	s_waitcnt vmcnt(0)
	s_delay_alu instid0(VALU_DEP_1) | instskip(SKIP_1) | instid1(VALU_DEP_1)
	v_fmac_f32_e32 v177, v173, v125
	s_waitcnt lgkmcnt(0)
	v_fmac_f32_e32 v177, v174, v126
	s_delay_alu instid0(VALU_DEP_1) | instskip(NEXT) | instid1(VALU_DEP_1)
	v_fmac_f32_e32 v177, v175, v127
	v_fmac_f32_e32 v177, v176, v128
	s_delay_alu instid0(VALU_DEP_1)
	v_sub_f32_e32 v121, v121, v177
	scratch_store_b32 off, v121, off offset:12
	v_cmpx_lt_u32_e32 2, v0
	s_cbranch_execz .LBB58_357
; %bb.356:
	scratch_load_b32 v121, off, off offset:8
	scratch_store_b32 off, v2, off offset:8
	s_waitcnt vmcnt(0)
	ds_store_b32 v1, v121
.LBB58_357:
	s_or_b32 exec_lo, exec_lo, s0
	s_waitcnt lgkmcnt(0)
	s_waitcnt_vscnt null, 0x0
	s_barrier
	buffer_gl0_inv
	s_clause 0xe
	scratch_load_b128 v[121:124], off, off offset:8
	scratch_load_b128 v[125:128], off, off offset:24
	;; [unrolled: 1-line block ×14, first 2 shown]
	scratch_load_b32 v185, off, off offset:232
	ds_load_2addr_b32 v[177:178], v2 offset0:63 offset1:64
	ds_load_2addr_b32 v[179:180], v2 offset0:65 offset1:66
	;; [unrolled: 1-line block ×4, first 2 shown]
	s_mov_b32 s0, exec_lo
	s_waitcnt vmcnt(14) lgkmcnt(3)
	v_fma_f32 v177, v122, v177, 0
	s_delay_alu instid0(VALU_DEP_1) | instskip(SKIP_4) | instid1(VALU_DEP_1)
	v_fmac_f32_e32 v177, v123, v178
	ds_load_2addr_b32 v[122:123], v2 offset0:71 offset1:72
	s_waitcnt lgkmcnt(3)
	v_fmac_f32_e32 v177, v124, v179
	s_waitcnt vmcnt(13)
	v_fmac_f32_e32 v177, v125, v180
	ds_load_2addr_b32 v[124:125], v2 offset0:73 offset1:74
	s_waitcnt lgkmcnt(3)
	v_fmac_f32_e32 v177, v126, v181
	s_delay_alu instid0(VALU_DEP_1) | instskip(SKIP_1) | instid1(VALU_DEP_1)
	v_fmac_f32_e32 v177, v127, v182
	s_waitcnt lgkmcnt(2)
	v_fmac_f32_e32 v177, v128, v183
	s_waitcnt vmcnt(12)
	s_delay_alu instid0(VALU_DEP_1) | instskip(SKIP_4) | instid1(VALU_DEP_1)
	v_fmac_f32_e32 v177, v129, v184
	ds_load_2addr_b32 v[126:127], v2 offset0:75 offset1:76
	ds_load_2addr_b32 v[128:129], v2 offset0:77 offset1:78
	s_waitcnt lgkmcnt(3)
	v_fmac_f32_e32 v177, v130, v122
	v_fmac_f32_e32 v177, v131, v123
	ds_load_2addr_b32 v[122:123], v2 offset0:79 offset1:80
	s_waitcnt lgkmcnt(3)
	v_fmac_f32_e32 v177, v132, v124
	s_waitcnt vmcnt(11)
	s_delay_alu instid0(VALU_DEP_1) | instskip(SKIP_3) | instid1(VALU_DEP_1)
	v_fmac_f32_e32 v177, v133, v125
	ds_load_2addr_b32 v[124:125], v2 offset0:81 offset1:82
	s_waitcnt lgkmcnt(3)
	v_fmac_f32_e32 v177, v134, v126
	v_fmac_f32_e32 v177, v135, v127
	s_waitcnt lgkmcnt(2)
	s_delay_alu instid0(VALU_DEP_1) | instskip(SKIP_1) | instid1(VALU_DEP_1)
	v_fmac_f32_e32 v177, v136, v128
	s_waitcnt vmcnt(10)
	v_fmac_f32_e32 v177, v137, v129
	ds_load_2addr_b32 v[126:127], v2 offset0:83 offset1:84
	ds_load_2addr_b32 v[128:129], v2 offset0:85 offset1:86
	s_waitcnt lgkmcnt(3)
	v_fmac_f32_e32 v177, v138, v122
	s_delay_alu instid0(VALU_DEP_1) | instskip(SKIP_4) | instid1(VALU_DEP_1)
	v_fmac_f32_e32 v177, v139, v123
	ds_load_2addr_b32 v[122:123], v2 offset0:87 offset1:88
	s_waitcnt lgkmcnt(3)
	v_fmac_f32_e32 v177, v140, v124
	s_waitcnt vmcnt(9)
	v_fmac_f32_e32 v177, v141, v125
	ds_load_2addr_b32 v[124:125], v2 offset0:89 offset1:90
	s_waitcnt lgkmcnt(3)
	v_fmac_f32_e32 v177, v142, v126
	s_delay_alu instid0(VALU_DEP_1) | instskip(SKIP_1) | instid1(VALU_DEP_1)
	v_fmac_f32_e32 v177, v143, v127
	s_waitcnt lgkmcnt(2)
	v_fmac_f32_e32 v177, v144, v128
	s_waitcnt vmcnt(8)
	s_delay_alu instid0(VALU_DEP_1) | instskip(SKIP_4) | instid1(VALU_DEP_1)
	v_fmac_f32_e32 v177, v145, v129
	ds_load_2addr_b32 v[126:127], v2 offset0:91 offset1:92
	ds_load_2addr_b32 v[128:129], v2 offset0:93 offset1:94
	s_waitcnt lgkmcnt(3)
	v_fmac_f32_e32 v177, v146, v122
	v_fmac_f32_e32 v177, v147, v123
	ds_load_2addr_b32 v[122:123], v2 offset0:95 offset1:96
	s_waitcnt lgkmcnt(3)
	v_fmac_f32_e32 v177, v148, v124
	s_waitcnt vmcnt(7)
	s_delay_alu instid0(VALU_DEP_1) | instskip(SKIP_3) | instid1(VALU_DEP_1)
	v_fmac_f32_e32 v177, v149, v125
	ds_load_2addr_b32 v[124:125], v2 offset0:97 offset1:98
	s_waitcnt lgkmcnt(3)
	v_fmac_f32_e32 v177, v150, v126
	v_fmac_f32_e32 v177, v151, v127
	s_waitcnt lgkmcnt(2)
	s_delay_alu instid0(VALU_DEP_1) | instskip(SKIP_1) | instid1(VALU_DEP_1)
	v_fmac_f32_e32 v177, v152, v128
	s_waitcnt vmcnt(6)
	v_fmac_f32_e32 v177, v153, v129
	ds_load_2addr_b32 v[126:127], v2 offset0:99 offset1:100
	ds_load_2addr_b32 v[128:129], v2 offset0:101 offset1:102
	s_waitcnt lgkmcnt(3)
	v_fmac_f32_e32 v177, v154, v122
	;; [unrolled: 41-line block ×3, first 2 shown]
	s_delay_alu instid0(VALU_DEP_1) | instskip(SKIP_1) | instid1(VALU_DEP_1)
	v_fmac_f32_e32 v177, v171, v123
	s_waitcnt lgkmcnt(2)
	v_fmac_f32_e32 v177, v172, v124
	s_waitcnt vmcnt(1)
	s_delay_alu instid0(VALU_DEP_1) | instskip(SKIP_1) | instid1(VALU_DEP_1)
	v_fmac_f32_e32 v177, v173, v125
	s_waitcnt lgkmcnt(1)
	v_fmac_f32_e32 v177, v174, v126
	s_delay_alu instid0(VALU_DEP_1) | instskip(SKIP_1) | instid1(VALU_DEP_1)
	v_fmac_f32_e32 v177, v175, v127
	s_waitcnt lgkmcnt(0)
	v_fmac_f32_e32 v177, v176, v128
	s_waitcnt vmcnt(0)
	s_delay_alu instid0(VALU_DEP_1) | instskip(NEXT) | instid1(VALU_DEP_1)
	v_fmac_f32_e32 v177, v185, v129
	v_sub_f32_e32 v2, v121, v177
	scratch_store_b32 off, v2, off offset:8
	v_cmpx_lt_u32_e32 1, v0
	s_cbranch_execz .LBB58_359
; %bb.358:
	scratch_load_b32 v2, off, off offset:4
	v_mov_b32_e32 v121, 0
	scratch_store_b32 off, v121, off offset:4
	s_waitcnt vmcnt(0)
	ds_store_b32 v1, v2
.LBB58_359:
	s_or_b32 exec_lo, exec_lo, s0
	s_waitcnt lgkmcnt(0)
	s_waitcnt_vscnt null, 0x0
	s_barrier
	buffer_gl0_inv
	s_clause 0xe
	scratch_load_b128 v[122:125], off, off offset:4
	scratch_load_b128 v[126:129], off, off offset:20
	;; [unrolled: 1-line block ×14, first 2 shown]
	scratch_load_b64 v[186:187], off, off offset:228
	v_mov_b32_e32 v121, 0
	ds_load_2addr_b64 v[178:181], v121 offset0:31 offset1:32
	ds_load_2addr_b64 v[182:185], v121 offset0:33 offset1:34
	s_mov_b32 s0, exec_lo
	s_waitcnt vmcnt(14) lgkmcnt(1)
	v_fma_f32 v2, v123, v178, 0
	s_delay_alu instid0(VALU_DEP_1) | instskip(NEXT) | instid1(VALU_DEP_1)
	v_fmac_f32_e32 v2, v124, v179
	v_fmac_f32_e32 v2, v125, v180
	s_waitcnt vmcnt(13)
	s_delay_alu instid0(VALU_DEP_1) | instskip(SKIP_3) | instid1(VALU_DEP_1)
	v_fmac_f32_e32 v2, v126, v181
	ds_load_2addr_b64 v[123:126], v121 offset0:35 offset1:36
	s_waitcnt lgkmcnt(1)
	v_fmac_f32_e32 v2, v127, v182
	v_fmac_f32_e32 v2, v128, v183
	s_delay_alu instid0(VALU_DEP_1) | instskip(SKIP_1) | instid1(VALU_DEP_1)
	v_fmac_f32_e32 v2, v129, v184
	s_waitcnt vmcnt(12)
	v_fmac_f32_e32 v2, v130, v185
	ds_load_2addr_b64 v[127:130], v121 offset0:37 offset1:38
	s_waitcnt lgkmcnt(1)
	v_fmac_f32_e32 v2, v131, v123
	s_delay_alu instid0(VALU_DEP_1) | instskip(NEXT) | instid1(VALU_DEP_1)
	v_fmac_f32_e32 v2, v132, v124
	v_fmac_f32_e32 v2, v133, v125
	s_waitcnt vmcnt(11)
	s_delay_alu instid0(VALU_DEP_1) | instskip(SKIP_3) | instid1(VALU_DEP_1)
	v_fmac_f32_e32 v2, v134, v126
	ds_load_2addr_b64 v[123:126], v121 offset0:39 offset1:40
	s_waitcnt lgkmcnt(1)
	v_fmac_f32_e32 v2, v135, v127
	v_fmac_f32_e32 v2, v136, v128
	s_delay_alu instid0(VALU_DEP_1) | instskip(SKIP_1) | instid1(VALU_DEP_1)
	v_fmac_f32_e32 v2, v137, v129
	s_waitcnt vmcnt(10)
	v_fmac_f32_e32 v2, v138, v130
	ds_load_2addr_b64 v[127:130], v121 offset0:41 offset1:42
	s_waitcnt lgkmcnt(1)
	v_fmac_f32_e32 v2, v139, v123
	s_delay_alu instid0(VALU_DEP_1) | instskip(NEXT) | instid1(VALU_DEP_1)
	v_fmac_f32_e32 v2, v140, v124
	v_fmac_f32_e32 v2, v141, v125
	s_waitcnt vmcnt(9)
	s_delay_alu instid0(VALU_DEP_1) | instskip(SKIP_3) | instid1(VALU_DEP_1)
	v_fmac_f32_e32 v2, v142, v126
	ds_load_2addr_b64 v[123:126], v121 offset0:43 offset1:44
	s_waitcnt lgkmcnt(1)
	v_fmac_f32_e32 v2, v143, v127
	v_fmac_f32_e32 v2, v144, v128
	s_delay_alu instid0(VALU_DEP_1) | instskip(SKIP_1) | instid1(VALU_DEP_1)
	v_fmac_f32_e32 v2, v145, v129
	s_waitcnt vmcnt(8)
	v_fmac_f32_e32 v2, v146, v130
	ds_load_2addr_b64 v[127:130], v121 offset0:45 offset1:46
	s_waitcnt lgkmcnt(1)
	v_fmac_f32_e32 v2, v147, v123
	s_delay_alu instid0(VALU_DEP_1) | instskip(NEXT) | instid1(VALU_DEP_1)
	v_fmac_f32_e32 v2, v148, v124
	v_fmac_f32_e32 v2, v149, v125
	s_waitcnt vmcnt(7)
	s_delay_alu instid0(VALU_DEP_1) | instskip(SKIP_3) | instid1(VALU_DEP_1)
	v_fmac_f32_e32 v2, v150, v126
	ds_load_2addr_b64 v[123:126], v121 offset0:47 offset1:48
	s_waitcnt lgkmcnt(1)
	v_fmac_f32_e32 v2, v151, v127
	v_fmac_f32_e32 v2, v152, v128
	s_delay_alu instid0(VALU_DEP_1) | instskip(SKIP_1) | instid1(VALU_DEP_1)
	v_fmac_f32_e32 v2, v153, v129
	s_waitcnt vmcnt(6)
	v_fmac_f32_e32 v2, v154, v130
	ds_load_2addr_b64 v[127:130], v121 offset0:49 offset1:50
	s_waitcnt lgkmcnt(1)
	v_fmac_f32_e32 v2, v155, v123
	s_delay_alu instid0(VALU_DEP_1) | instskip(NEXT) | instid1(VALU_DEP_1)
	v_fmac_f32_e32 v2, v156, v124
	v_fmac_f32_e32 v2, v157, v125
	s_waitcnt vmcnt(5)
	s_delay_alu instid0(VALU_DEP_1) | instskip(SKIP_3) | instid1(VALU_DEP_1)
	v_fmac_f32_e32 v2, v158, v126
	ds_load_2addr_b64 v[123:126], v121 offset0:51 offset1:52
	s_waitcnt lgkmcnt(1)
	v_fmac_f32_e32 v2, v159, v127
	v_fmac_f32_e32 v2, v160, v128
	s_delay_alu instid0(VALU_DEP_1) | instskip(SKIP_1) | instid1(VALU_DEP_1)
	v_fmac_f32_e32 v2, v161, v129
	s_waitcnt vmcnt(4)
	v_fmac_f32_e32 v2, v162, v130
	ds_load_2addr_b64 v[127:130], v121 offset0:53 offset1:54
	s_waitcnt lgkmcnt(1)
	v_fmac_f32_e32 v2, v163, v123
	s_delay_alu instid0(VALU_DEP_1) | instskip(NEXT) | instid1(VALU_DEP_1)
	v_fmac_f32_e32 v2, v164, v124
	v_fmac_f32_e32 v2, v165, v125
	s_waitcnt vmcnt(3)
	s_delay_alu instid0(VALU_DEP_1) | instskip(SKIP_3) | instid1(VALU_DEP_1)
	v_fmac_f32_e32 v2, v166, v126
	ds_load_2addr_b64 v[123:126], v121 offset0:55 offset1:56
	s_waitcnt lgkmcnt(1)
	v_fmac_f32_e32 v2, v167, v127
	v_fmac_f32_e32 v2, v168, v128
	s_delay_alu instid0(VALU_DEP_1) | instskip(SKIP_1) | instid1(VALU_DEP_1)
	v_fmac_f32_e32 v2, v169, v129
	s_waitcnt vmcnt(2)
	v_fmac_f32_e32 v2, v170, v130
	ds_load_2addr_b64 v[127:130], v121 offset0:57 offset1:58
	s_waitcnt lgkmcnt(1)
	v_fmac_f32_e32 v2, v171, v123
	ds_load_b32 v123, v121 offset:472
	v_fmac_f32_e32 v2, v172, v124
	s_delay_alu instid0(VALU_DEP_1) | instskip(SKIP_1) | instid1(VALU_DEP_1)
	v_fmac_f32_e32 v2, v173, v125
	s_waitcnt vmcnt(1)
	v_fmac_f32_e32 v2, v174, v126
	s_waitcnt lgkmcnt(1)
	s_delay_alu instid0(VALU_DEP_1) | instskip(NEXT) | instid1(VALU_DEP_1)
	v_fmac_f32_e32 v2, v175, v127
	v_fmac_f32_e32 v2, v176, v128
	s_delay_alu instid0(VALU_DEP_1) | instskip(SKIP_1) | instid1(VALU_DEP_1)
	v_fmac_f32_e32 v2, v177, v129
	s_waitcnt vmcnt(0)
	v_fmac_f32_e32 v2, v186, v130
	s_waitcnt lgkmcnt(0)
	s_delay_alu instid0(VALU_DEP_1) | instskip(NEXT) | instid1(VALU_DEP_1)
	v_fmac_f32_e32 v2, v187, v123
	v_sub_f32_e32 v2, v122, v2
	scratch_store_b32 off, v2, off offset:4
	v_cmpx_ne_u32_e32 0, v0
	s_cbranch_execz .LBB58_361
; %bb.360:
	scratch_load_b32 v0, off, off
	scratch_store_b32 off, v121, off
	s_waitcnt vmcnt(0)
	ds_store_b32 v1, v0
.LBB58_361:
	s_or_b32 exec_lo, exec_lo, s0
	s_waitcnt lgkmcnt(0)
	s_waitcnt_vscnt null, 0x0
	s_barrier
	buffer_gl0_inv
	s_clause 0xe
	scratch_load_b128 v[122:125], off, off
	scratch_load_b128 v[126:129], off, off offset:16
	scratch_load_b128 v[130:133], off, off offset:32
	;; [unrolled: 1-line block ×13, first 2 shown]
	scratch_load_b96 v[0:2], off, off offset:224
	ds_load_2addr_b32 v[178:179], v121 offset0:61 offset1:62
	ds_load_2addr_b32 v[180:181], v121 offset0:63 offset1:64
	;; [unrolled: 1-line block ×4, first 2 shown]
	s_and_b32 vcc_lo, exec_lo, s16
	s_waitcnt vmcnt(14) lgkmcnt(3)
	v_fma_f32 v178, v123, v178, 0
	s_delay_alu instid0(VALU_DEP_1) | instskip(SKIP_4) | instid1(VALU_DEP_1)
	v_fmac_f32_e32 v178, v124, v179
	ds_load_2addr_b32 v[123:124], v121 offset0:69 offset1:70
	s_waitcnt lgkmcnt(3)
	v_fmac_f32_e32 v178, v125, v180
	s_waitcnt vmcnt(13)
	v_fmac_f32_e32 v178, v126, v181
	ds_load_2addr_b32 v[125:126], v121 offset0:71 offset1:72
	s_waitcnt lgkmcnt(3)
	v_fmac_f32_e32 v178, v127, v182
	s_delay_alu instid0(VALU_DEP_1) | instskip(SKIP_1) | instid1(VALU_DEP_1)
	v_fmac_f32_e32 v178, v128, v183
	s_waitcnt lgkmcnt(2)
	v_fmac_f32_e32 v178, v129, v184
	s_waitcnt vmcnt(12)
	s_delay_alu instid0(VALU_DEP_1) | instskip(SKIP_4) | instid1(VALU_DEP_1)
	v_fmac_f32_e32 v178, v130, v185
	ds_load_2addr_b32 v[127:128], v121 offset0:73 offset1:74
	ds_load_2addr_b32 v[129:130], v121 offset0:75 offset1:76
	s_waitcnt lgkmcnt(3)
	v_fmac_f32_e32 v178, v131, v123
	v_fmac_f32_e32 v178, v132, v124
	ds_load_2addr_b32 v[123:124], v121 offset0:77 offset1:78
	s_waitcnt lgkmcnt(3)
	v_fmac_f32_e32 v178, v133, v125
	s_waitcnt vmcnt(11)
	s_delay_alu instid0(VALU_DEP_1) | instskip(SKIP_3) | instid1(VALU_DEP_1)
	v_fmac_f32_e32 v178, v134, v126
	ds_load_2addr_b32 v[125:126], v121 offset0:79 offset1:80
	s_waitcnt lgkmcnt(3)
	v_fmac_f32_e32 v178, v135, v127
	v_fmac_f32_e32 v178, v136, v128
	s_waitcnt lgkmcnt(2)
	s_delay_alu instid0(VALU_DEP_1) | instskip(SKIP_1) | instid1(VALU_DEP_1)
	v_fmac_f32_e32 v178, v137, v129
	s_waitcnt vmcnt(10)
	v_fmac_f32_e32 v178, v138, v130
	ds_load_2addr_b32 v[127:128], v121 offset0:81 offset1:82
	ds_load_2addr_b32 v[129:130], v121 offset0:83 offset1:84
	s_waitcnt lgkmcnt(3)
	v_fmac_f32_e32 v178, v139, v123
	s_delay_alu instid0(VALU_DEP_1) | instskip(SKIP_4) | instid1(VALU_DEP_1)
	v_fmac_f32_e32 v178, v140, v124
	ds_load_2addr_b32 v[123:124], v121 offset0:85 offset1:86
	s_waitcnt lgkmcnt(3)
	v_fmac_f32_e32 v178, v141, v125
	s_waitcnt vmcnt(9)
	v_fmac_f32_e32 v178, v142, v126
	ds_load_2addr_b32 v[125:126], v121 offset0:87 offset1:88
	s_waitcnt lgkmcnt(3)
	v_fmac_f32_e32 v178, v143, v127
	s_delay_alu instid0(VALU_DEP_1) | instskip(SKIP_1) | instid1(VALU_DEP_1)
	v_fmac_f32_e32 v178, v144, v128
	s_waitcnt lgkmcnt(2)
	v_fmac_f32_e32 v178, v145, v129
	s_waitcnt vmcnt(8)
	s_delay_alu instid0(VALU_DEP_1) | instskip(SKIP_4) | instid1(VALU_DEP_1)
	v_fmac_f32_e32 v178, v146, v130
	ds_load_2addr_b32 v[127:128], v121 offset0:89 offset1:90
	ds_load_2addr_b32 v[129:130], v121 offset0:91 offset1:92
	s_waitcnt lgkmcnt(3)
	v_fmac_f32_e32 v178, v147, v123
	v_fmac_f32_e32 v178, v148, v124
	ds_load_2addr_b32 v[123:124], v121 offset0:93 offset1:94
	s_waitcnt lgkmcnt(3)
	v_fmac_f32_e32 v178, v149, v125
	s_waitcnt vmcnt(7)
	s_delay_alu instid0(VALU_DEP_1) | instskip(SKIP_3) | instid1(VALU_DEP_1)
	v_fmac_f32_e32 v178, v150, v126
	ds_load_2addr_b32 v[125:126], v121 offset0:95 offset1:96
	s_waitcnt lgkmcnt(3)
	v_fmac_f32_e32 v178, v151, v127
	v_fmac_f32_e32 v178, v152, v128
	s_waitcnt lgkmcnt(2)
	s_delay_alu instid0(VALU_DEP_1) | instskip(SKIP_1) | instid1(VALU_DEP_1)
	v_fmac_f32_e32 v178, v153, v129
	s_waitcnt vmcnt(6)
	v_fmac_f32_e32 v178, v154, v130
	ds_load_2addr_b32 v[127:128], v121 offset0:97 offset1:98
	ds_load_2addr_b32 v[129:130], v121 offset0:99 offset1:100
	s_waitcnt lgkmcnt(3)
	v_fmac_f32_e32 v178, v155, v123
	;; [unrolled: 41-line block ×3, first 2 shown]
	s_delay_alu instid0(VALU_DEP_1) | instskip(SKIP_4) | instid1(VALU_DEP_1)
	v_fmac_f32_e32 v178, v172, v124
	ds_load_2addr_b32 v[123:124], v121 offset0:117 offset1:118
	s_waitcnt lgkmcnt(3)
	v_fmac_f32_e32 v178, v173, v125
	s_waitcnt vmcnt(1)
	v_fmac_f32_e32 v178, v174, v126
	s_waitcnt lgkmcnt(2)
	s_delay_alu instid0(VALU_DEP_1) | instskip(NEXT) | instid1(VALU_DEP_1)
	v_fmac_f32_e32 v178, v175, v127
	v_fmac_f32_e32 v178, v176, v128
	s_waitcnt lgkmcnt(1)
	s_delay_alu instid0(VALU_DEP_1) | instskip(SKIP_1) | instid1(VALU_DEP_1)
	v_fmac_f32_e32 v178, v177, v129
	s_waitcnt vmcnt(0)
	v_fmac_f32_e32 v178, v0, v130
	s_waitcnt lgkmcnt(0)
	s_delay_alu instid0(VALU_DEP_1) | instskip(NEXT) | instid1(VALU_DEP_1)
	v_fmac_f32_e32 v178, v1, v123
	v_fmac_f32_e32 v178, v2, v124
	s_delay_alu instid0(VALU_DEP_1)
	v_sub_f32_e32 v0, v122, v178
	scratch_store_b32 off, v0, off
	s_cbranch_vccz .LBB58_479
; %bb.362:
	v_dual_mov_b32 v122, s13 :: v_dual_mov_b32 v121, s12
	s_mov_b32 s0, exec_lo
	flat_load_b32 v0, v[121:122] offset:228
	s_waitcnt vmcnt(0) lgkmcnt(0)
	v_cmpx_ne_u32_e32 58, v0
	s_cbranch_execz .LBB58_364
; %bb.363:
	v_lshl_add_u32 v0, v0, 2, 0
	scratch_load_b32 v2, v0, off offset:-4
	s_waitcnt vmcnt(0)
	scratch_store_b32 off, v2, off offset:228
	scratch_store_b32 v0, v1, off offset:-4
.LBB58_364:
	s_or_b32 exec_lo, exec_lo, s0
	v_dual_mov_b32 v0, s12 :: v_dual_mov_b32 v1, s13
	s_mov_b32 s0, exec_lo
	flat_load_b32 v0, v[0:1] offset:224
	s_waitcnt vmcnt(0) lgkmcnt(0)
	v_cmpx_ne_u32_e32 57, v0
	s_cbranch_execz .LBB58_366
; %bb.365:
	v_lshl_add_u32 v0, v0, 2, 0
	scratch_load_b32 v1, v0, off offset:-4
	scratch_load_b32 v2, off, off offset:224
	s_waitcnt vmcnt(1)
	scratch_store_b32 off, v1, off offset:224
	s_waitcnt vmcnt(0)
	scratch_store_b32 v0, v2, off offset:-4
.LBB58_366:
	s_or_b32 exec_lo, exec_lo, s0
	v_dual_mov_b32 v0, s12 :: v_dual_mov_b32 v1, s13
	s_mov_b32 s0, exec_lo
	flat_load_b32 v0, v[0:1] offset:220
	s_waitcnt vmcnt(0) lgkmcnt(0)
	v_cmpx_ne_u32_e32 56, v0
	s_cbranch_execz .LBB58_368
; %bb.367:
	v_lshl_add_u32 v0, v0, 2, 0
	scratch_load_b32 v1, v0, off offset:-4
	scratch_load_b32 v2, off, off offset:220
	s_waitcnt vmcnt(1)
	scratch_store_b32 off, v1, off offset:220
	s_waitcnt vmcnt(0)
	scratch_store_b32 v0, v2, off offset:-4
.LBB58_368:
	;; [unrolled: 16-line block ×56, first 2 shown]
	s_or_b32 exec_lo, exec_lo, s0
	v_dual_mov_b32 v0, s12 :: v_dual_mov_b32 v1, s13
	s_mov_b32 s0, exec_lo
	flat_load_b32 v1, v[0:1]
	scratch_load_b32 v0, off, off
	s_waitcnt vmcnt(1) lgkmcnt(0)
	v_cmpx_ne_u32_e32 1, v1
	s_cbranch_execz .LBB58_478
; %bb.477:
	v_lshl_add_u32 v1, v1, 2, 0
	scratch_load_b32 v2, v1, off offset:-4
	s_waitcnt vmcnt(0)
	scratch_store_b32 off, v2, off
	scratch_store_b32 v1, v0, off offset:-4
	scratch_load_b32 v0, off, off
.LBB58_478:
	s_or_b32 exec_lo, exec_lo, s0
.LBB58_479:
	s_clause 0xe
	scratch_load_b128 v[121:124], off, off offset:4
	scratch_load_b128 v[125:128], off, off offset:20
	;; [unrolled: 1-line block ×14, first 2 shown]
	scratch_load_b64 v[1:2], off, off offset:228
	s_waitcnt vmcnt(15)
	global_store_b32 v[3:4], v0, off
	s_waitcnt vmcnt(14)
	s_clause 0x3
	global_store_b32 v[5:6], v121, off
	global_store_b32 v[7:8], v122, off
	global_store_b32 v[9:10], v123, off
	global_store_b32 v[11:12], v124, off
	s_waitcnt vmcnt(13)
	s_clause 0x3
	global_store_b32 v[13:14], v125, off
	global_store_b32 v[15:16], v126, off
	global_store_b32 v[17:18], v127, off
	;; [unrolled: 6-line block ×14, first 2 shown]
	global_store_b32 v[117:118], v176, off
	s_waitcnt vmcnt(0)
	s_clause 0x1
	global_store_b32 v[119:120], v1, off
	global_store_b32 v[65:66], v2, off
	s_endpgm
	.section	.rodata,"a",@progbits
	.p2align	6, 0x0
	.amdhsa_kernel _ZN9rocsolver6v33100L18getri_kernel_smallILi59EfPfEEvT1_iilPiilS4_bb
		.amdhsa_group_segment_fixed_size 476
		.amdhsa_private_segment_fixed_size 240
		.amdhsa_kernarg_size 60
		.amdhsa_user_sgpr_count 15
		.amdhsa_user_sgpr_dispatch_ptr 0
		.amdhsa_user_sgpr_queue_ptr 0
		.amdhsa_user_sgpr_kernarg_segment_ptr 1
		.amdhsa_user_sgpr_dispatch_id 0
		.amdhsa_user_sgpr_private_segment_size 0
		.amdhsa_wavefront_size32 1
		.amdhsa_uses_dynamic_stack 0
		.amdhsa_enable_private_segment 1
		.amdhsa_system_sgpr_workgroup_id_x 1
		.amdhsa_system_sgpr_workgroup_id_y 0
		.amdhsa_system_sgpr_workgroup_id_z 0
		.amdhsa_system_sgpr_workgroup_info 0
		.amdhsa_system_vgpr_workitem_id 0
		.amdhsa_next_free_vgpr 188
		.amdhsa_next_free_sgpr 18
		.amdhsa_reserve_vcc 1
		.amdhsa_float_round_mode_32 0
		.amdhsa_float_round_mode_16_64 0
		.amdhsa_float_denorm_mode_32 3
		.amdhsa_float_denorm_mode_16_64 3
		.amdhsa_dx10_clamp 1
		.amdhsa_ieee_mode 1
		.amdhsa_fp16_overflow 0
		.amdhsa_workgroup_processor_mode 1
		.amdhsa_memory_ordered 1
		.amdhsa_forward_progress 0
		.amdhsa_shared_vgpr_count 0
		.amdhsa_exception_fp_ieee_invalid_op 0
		.amdhsa_exception_fp_denorm_src 0
		.amdhsa_exception_fp_ieee_div_zero 0
		.amdhsa_exception_fp_ieee_overflow 0
		.amdhsa_exception_fp_ieee_underflow 0
		.amdhsa_exception_fp_ieee_inexact 0
		.amdhsa_exception_int_div_zero 0
	.end_amdhsa_kernel
	.section	.text._ZN9rocsolver6v33100L18getri_kernel_smallILi59EfPfEEvT1_iilPiilS4_bb,"axG",@progbits,_ZN9rocsolver6v33100L18getri_kernel_smallILi59EfPfEEvT1_iilPiilS4_bb,comdat
.Lfunc_end58:
	.size	_ZN9rocsolver6v33100L18getri_kernel_smallILi59EfPfEEvT1_iilPiilS4_bb, .Lfunc_end58-_ZN9rocsolver6v33100L18getri_kernel_smallILi59EfPfEEvT1_iilPiilS4_bb
                                        ; -- End function
	.section	.AMDGPU.csdata,"",@progbits
; Kernel info:
; codeLenInByte = 46924
; NumSgprs: 20
; NumVgprs: 188
; ScratchSize: 240
; MemoryBound: 0
; FloatMode: 240
; IeeeMode: 1
; LDSByteSize: 476 bytes/workgroup (compile time only)
; SGPRBlocks: 2
; VGPRBlocks: 23
; NumSGPRsForWavesPerEU: 20
; NumVGPRsForWavesPerEU: 188
; Occupancy: 8
; WaveLimiterHint : 1
; COMPUTE_PGM_RSRC2:SCRATCH_EN: 1
; COMPUTE_PGM_RSRC2:USER_SGPR: 15
; COMPUTE_PGM_RSRC2:TRAP_HANDLER: 0
; COMPUTE_PGM_RSRC2:TGID_X_EN: 1
; COMPUTE_PGM_RSRC2:TGID_Y_EN: 0
; COMPUTE_PGM_RSRC2:TGID_Z_EN: 0
; COMPUTE_PGM_RSRC2:TIDIG_COMP_CNT: 0
	.section	.text._ZN9rocsolver6v33100L18getri_kernel_smallILi60EfPfEEvT1_iilPiilS4_bb,"axG",@progbits,_ZN9rocsolver6v33100L18getri_kernel_smallILi60EfPfEEvT1_iilPiilS4_bb,comdat
	.globl	_ZN9rocsolver6v33100L18getri_kernel_smallILi60EfPfEEvT1_iilPiilS4_bb ; -- Begin function _ZN9rocsolver6v33100L18getri_kernel_smallILi60EfPfEEvT1_iilPiilS4_bb
	.p2align	8
	.type	_ZN9rocsolver6v33100L18getri_kernel_smallILi60EfPfEEvT1_iilPiilS4_bb,@function
_ZN9rocsolver6v33100L18getri_kernel_smallILi60EfPfEEvT1_iilPiilS4_bb: ; @_ZN9rocsolver6v33100L18getri_kernel_smallILi60EfPfEEvT1_iilPiilS4_bb
; %bb.0:
	s_mov_b32 s2, exec_lo
	v_cmpx_gt_u32_e32 60, v0
	s_cbranch_execz .LBB59_248
; %bb.1:
	s_clause 0x2
	s_load_b32 s17, s[0:1], 0x38
	s_load_b128 s[8:11], s[0:1], 0x10
	s_load_b128 s[4:7], s[0:1], 0x28
	s_mov_b32 s14, s15
                                        ; implicit-def: $sgpr12_sgpr13
	s_waitcnt lgkmcnt(0)
	s_bitcmp1_b32 s17, 8
	s_cselect_b32 s16, -1, 0
	s_bfe_u32 s2, s17, 0x10008
	s_ashr_i32 s15, s15, 31
	s_cmp_eq_u32 s2, 0
	s_cbranch_scc1 .LBB59_3
; %bb.2:
	s_load_b32 s2, s[0:1], 0x20
	s_mul_i32 s3, s14, s5
	s_mul_hi_u32 s5, s14, s4
	s_mul_i32 s12, s15, s4
	s_add_i32 s3, s5, s3
	s_mul_i32 s4, s14, s4
	s_add_i32 s5, s3, s12
	s_delay_alu instid0(SALU_CYCLE_1)
	s_lshl_b64 s[4:5], s[4:5], 2
	s_waitcnt lgkmcnt(0)
	s_ashr_i32 s3, s2, 31
	s_add_u32 s4, s10, s4
	s_addc_u32 s5, s11, s5
	s_lshl_b64 s[2:3], s[2:3], 2
	s_delay_alu instid0(SALU_CYCLE_1)
	s_add_u32 s12, s4, s2
	s_addc_u32 s13, s5, s3
.LBB59_3:
	s_load_b128 s[0:3], s[0:1], 0x0
	s_mul_i32 s4, s14, s9
	s_mul_hi_u32 s5, s14, s8
	s_mul_i32 s9, s15, s8
	s_add_i32 s5, s5, s4
	s_mul_i32 s4, s14, s8
	s_add_i32 s5, s5, s9
	v_lshlrev_b32_e32 v3, 2, v0
	s_lshl_b64 s[4:5], s[4:5], 2
	s_waitcnt lgkmcnt(0)
	v_add3_u32 v1, s3, s3, v0
	s_ashr_i32 s9, s2, 31
	s_mov_b32 s8, s2
	s_add_u32 s2, s0, s4
	s_addc_u32 s4, s1, s5
	v_add_nc_u32_e32 v8, s3, v1
	s_lshl_b64 s[0:1], s[8:9], 2
	v_ashrrev_i32_e32 v2, 31, v1
	s_add_u32 s0, s2, s0
	s_addc_u32 s1, s4, s1
	v_add_nc_u32_e32 v10, s3, v8
	v_add_co_u32 v4, s2, s0, v3
	s_mov_b32 s10, s3
	s_ashr_i32 s11, s3, 31
	s_delay_alu instid0(VALU_DEP_2) | instskip(SKIP_3) | instid1(VALU_DEP_4)
	v_add_nc_u32_e32 v12, s3, v10
	v_add_co_ci_u32_e64 v5, null, s1, 0, s2
	v_ashrrev_i32_e32 v9, 31, v8
	v_lshlrev_b64 v[1:2], 2, v[1:2]
	v_add_nc_u32_e32 v14, s3, v12
	s_lshl_b64 s[4:5], s[10:11], 2
	v_ashrrev_i32_e32 v11, 31, v10
	v_add_co_u32 v6, vcc_lo, v4, s4
	s_delay_alu instid0(VALU_DEP_3) | instskip(SKIP_3) | instid1(VALU_DEP_4)
	v_add_nc_u32_e32 v16, s3, v14
	v_add_co_ci_u32_e32 v7, vcc_lo, s5, v5, vcc_lo
	v_lshlrev_b64 v[53:54], 2, v[8:9]
	v_add_co_u32 v8, vcc_lo, s0, v1
	v_add_nc_u32_e32 v18, s3, v16
	v_add_co_ci_u32_e32 v9, vcc_lo, s1, v2, vcc_lo
	v_lshlrev_b64 v[1:2], 2, v[10:11]
	v_ashrrev_i32_e32 v13, 31, v12
	s_delay_alu instid0(VALU_DEP_4) | instskip(SKIP_3) | instid1(VALU_DEP_4)
	v_add_nc_u32_e32 v20, s3, v18
	v_add_co_u32 v10, vcc_lo, s0, v53
	v_ashrrev_i32_e32 v15, 31, v14
	v_add_co_ci_u32_e32 v11, vcc_lo, s1, v54, vcc_lo
	v_add_nc_u32_e32 v22, s3, v20
	v_lshlrev_b64 v[53:54], 2, v[12:13]
	v_add_co_u32 v12, vcc_lo, s0, v1
	v_add_co_ci_u32_e32 v13, vcc_lo, s1, v2, vcc_lo
	s_delay_alu instid0(VALU_DEP_4) | instskip(SKIP_3) | instid1(VALU_DEP_4)
	v_add_nc_u32_e32 v24, s3, v22
	v_lshlrev_b64 v[1:2], 2, v[14:15]
	v_ashrrev_i32_e32 v17, 31, v16
	v_add_co_u32 v14, vcc_lo, s0, v53
	v_add_nc_u32_e32 v26, s3, v24
	v_ashrrev_i32_e32 v19, 31, v18
	v_add_co_ci_u32_e32 v15, vcc_lo, s1, v54, vcc_lo
	v_lshlrev_b64 v[53:54], 2, v[16:17]
	s_delay_alu instid0(VALU_DEP_4) | instskip(SKIP_2) | instid1(VALU_DEP_3)
	v_add_nc_u32_e32 v28, s3, v26
	v_add_co_u32 v16, vcc_lo, s0, v1
	v_add_co_ci_u32_e32 v17, vcc_lo, s1, v2, vcc_lo
	v_add_nc_u32_e32 v30, s3, v28
	v_lshlrev_b64 v[1:2], 2, v[18:19]
	v_ashrrev_i32_e32 v21, 31, v20
	v_add_co_u32 v18, vcc_lo, s0, v53
	s_delay_alu instid0(VALU_DEP_4) | instskip(SKIP_3) | instid1(VALU_DEP_4)
	v_add_nc_u32_e32 v32, s3, v30
	v_ashrrev_i32_e32 v23, 31, v22
	v_add_co_ci_u32_e32 v19, vcc_lo, s1, v54, vcc_lo
	v_lshlrev_b64 v[53:54], 2, v[20:21]
	v_add_nc_u32_e32 v34, s3, v32
	v_add_co_u32 v20, vcc_lo, s0, v1
	v_add_co_ci_u32_e32 v21, vcc_lo, s1, v2, vcc_lo
	s_delay_alu instid0(VALU_DEP_3) | instskip(SKIP_3) | instid1(VALU_DEP_4)
	v_add_nc_u32_e32 v36, s3, v34
	v_lshlrev_b64 v[1:2], 2, v[22:23]
	v_ashrrev_i32_e32 v25, 31, v24
	v_add_co_u32 v22, vcc_lo, s0, v53
	v_add_nc_u32_e32 v38, s3, v36
	v_ashrrev_i32_e32 v27, 31, v26
	v_add_co_ci_u32_e32 v23, vcc_lo, s1, v54, vcc_lo
	v_lshlrev_b64 v[53:54], 2, v[24:25]
	s_delay_alu instid0(VALU_DEP_4) | instskip(SKIP_2) | instid1(VALU_DEP_3)
	v_add_nc_u32_e32 v40, s3, v38
	v_add_co_u32 v24, vcc_lo, s0, v1
	v_add_co_ci_u32_e32 v25, vcc_lo, s1, v2, vcc_lo
	v_add_nc_u32_e32 v42, s3, v40
	v_lshlrev_b64 v[1:2], 2, v[26:27]
	v_ashrrev_i32_e32 v29, 31, v28
	v_add_co_u32 v26, vcc_lo, s0, v53
	s_delay_alu instid0(VALU_DEP_4) | instskip(SKIP_3) | instid1(VALU_DEP_4)
	v_add_nc_u32_e32 v44, s3, v42
	v_ashrrev_i32_e32 v31, 31, v30
	v_add_co_ci_u32_e32 v27, vcc_lo, s1, v54, vcc_lo
	v_lshlrev_b64 v[53:54], 2, v[28:29]
	v_add_nc_u32_e32 v46, s3, v44
	v_add_co_u32 v28, vcc_lo, s0, v1
	v_add_co_ci_u32_e32 v29, vcc_lo, s1, v2, vcc_lo
	s_delay_alu instid0(VALU_DEP_3) | instskip(SKIP_3) | instid1(VALU_DEP_4)
	;; [unrolled: 25-line block ×5, first 2 shown]
	v_add_nc_u32_e32 v88, s3, v84
	v_lshlrev_b64 v[1:2], 2, v[55:56]
	v_ashrrev_i32_e32 v58, 31, v57
	v_add_co_u32 v54, vcc_lo, s0, v70
	v_add_nc_u32_e32 v90, s3, v88
	v_ashrrev_i32_e32 v60, 31, v59
	v_add_co_ci_u32_e32 v55, vcc_lo, s1, v71, vcc_lo
	v_lshlrev_b64 v[70:71], 2, v[57:58]
	s_delay_alu instid0(VALU_DEP_4) | instskip(SKIP_2) | instid1(VALU_DEP_3)
	v_add_nc_u32_e32 v92, s3, v90
	v_add_co_u32 v56, vcc_lo, s0, v1
	v_add_co_ci_u32_e32 v57, vcc_lo, s1, v2, vcc_lo
	v_add_nc_u32_e32 v94, s3, v92
	v_lshlrev_b64 v[1:2], 2, v[59:60]
	v_ashrrev_i32_e32 v62, 31, v61
	v_add_co_u32 v58, vcc_lo, s0, v70
	s_delay_alu instid0(VALU_DEP_4) | instskip(SKIP_3) | instid1(VALU_DEP_4)
	v_add_nc_u32_e32 v96, s3, v94
	v_ashrrev_i32_e32 v64, 31, v63
	v_add_co_ci_u32_e32 v59, vcc_lo, s1, v71, vcc_lo
	v_lshlrev_b64 v[70:71], 2, v[61:62]
	v_add_nc_u32_e32 v98, s3, v96
	v_add_co_u32 v60, vcc_lo, s0, v1
	v_ashrrev_i32_e32 v66, 31, v65
	v_add_co_ci_u32_e32 v61, vcc_lo, s1, v2, vcc_lo
	s_delay_alu instid0(VALU_DEP_4) | instskip(SKIP_3) | instid1(VALU_DEP_4)
	v_add_nc_u32_e32 v100, s3, v98
	v_lshlrev_b64 v[1:2], 2, v[63:64]
	v_add_co_u32 v62, vcc_lo, s0, v70
	v_lshlrev_b64 v[85:86], 2, v[65:66]
	v_add_nc_u32_e32 v102, s3, v100
	v_add_co_ci_u32_e32 v63, vcc_lo, s1, v71, vcc_lo
	v_add_co_u32 v64, vcc_lo, s0, v1
	s_delay_alu instid0(VALU_DEP_3) | instskip(SKIP_3) | instid1(VALU_DEP_4)
	v_add_nc_u32_e32 v104, s3, v102
	v_ashrrev_i32_e32 v68, 31, v67
	v_add_co_ci_u32_e32 v65, vcc_lo, s1, v2, vcc_lo
	v_add_co_u32 v66, vcc_lo, s0, v85
	v_add_nc_u32_e32 v106, s3, v104
	v_ashrrev_i32_e32 v70, 31, v69
	v_lshlrev_b64 v[1:2], 2, v[67:68]
	v_add_co_ci_u32_e32 v67, vcc_lo, s1, v86, vcc_lo
	s_delay_alu instid0(VALU_DEP_4) | instskip(NEXT) | instid1(VALU_DEP_4)
	v_add_nc_u32_e32 v108, s3, v106
	v_lshlrev_b64 v[68:69], 2, v[69:70]
	v_ashrrev_i32_e32 v73, 31, v72
	v_add_co_u32 v70, vcc_lo, s0, v1
	s_delay_alu instid0(VALU_DEP_4) | instskip(SKIP_1) | instid1(VALU_DEP_4)
	v_add_nc_u32_e32 v110, s3, v108
	v_add_co_ci_u32_e32 v71, vcc_lo, s1, v2, vcc_lo
	v_lshlrev_b64 v[1:2], 2, v[72:73]
	v_ashrrev_i32_e32 v75, 31, v74
	s_delay_alu instid0(VALU_DEP_4) | instskip(SKIP_2) | instid1(VALU_DEP_3)
	v_add_nc_u32_e32 v112, s3, v110
	v_add_co_u32 v72, vcc_lo, s0, v68
	v_add_co_ci_u32_e32 v73, vcc_lo, s1, v69, vcc_lo
	v_add_nc_u32_e32 v114, s3, v112
	v_ashrrev_i32_e32 v77, 31, v76
	v_lshlrev_b64 v[157:158], 2, v[74:75]
	v_ashrrev_i32_e32 v79, 31, v78
	v_ashrrev_i32_e32 v81, 31, v80
	v_add_nc_u32_e32 v116, s3, v114
	v_ashrrev_i32_e32 v83, 31, v82
	v_ashrrev_i32_e32 v89, 31, v88
	;; [unrolled: 1-line block ×4, first 2 shown]
	v_add_nc_u32_e32 v118, s3, v116
	v_ashrrev_i32_e32 v95, 31, v94
	v_ashrrev_i32_e32 v97, 31, v96
	v_lshlrev_b64 v[90:91], 2, v[90:91]
	v_ashrrev_i32_e32 v99, 31, v98
	v_add_nc_u32_e32 v120, s3, v118
	v_lshlrev_b64 v[94:95], 2, v[94:95]
	v_ashrrev_i32_e32 v101, 31, v100
	v_ashrrev_i32_e32 v103, 31, v102
	v_lshlrev_b64 v[98:99], 2, v[98:99]
	v_add_nc_u32_e32 v122, s3, v120
	v_ashrrev_i32_e32 v105, 31, v104
	v_ashrrev_i32_e32 v107, 31, v106
	v_lshlrev_b64 v[102:103], 2, v[102:103]
	v_ashrrev_i32_e32 v109, 31, v108
	v_add_nc_u32_e32 v85, s3, v122
	v_ashrrev_i32_e32 v111, 31, v110
	v_lshlrev_b64 v[106:107], 2, v[106:107]
	v_ashrrev_i32_e32 v113, 31, v112
	v_ashrrev_i32_e32 v115, 31, v114
	v_ashrrev_i32_e32 v86, 31, v85
	v_lshlrev_b64 v[110:111], 2, v[110:111]
	v_ashrrev_i32_e32 v117, 31, v116
	v_ashrrev_i32_e32 v119, 31, v118
	v_lshlrev_b64 v[114:115], 2, v[114:115]
	v_lshlrev_b64 v[85:86], 2, v[85:86]
	v_ashrrev_i32_e32 v121, 31, v120
	v_ashrrev_i32_e32 v123, 31, v122
	v_lshlrev_b64 v[118:119], 2, v[118:119]
	s_clause 0x8
	global_load_b32 v124, v3, s[0:1]
	global_load_b32 v125, v[6:7], off
	global_load_b32 v126, v[8:9], off
	;; [unrolled: 1-line block ×8, first 2 shown]
	v_add_co_u32 v68, vcc_lo, s0, v85
	v_add_co_ci_u32_e32 v69, vcc_lo, s1, v86, vcc_lo
	v_add_co_u32 v74, vcc_lo, s0, v1
	v_add_co_ci_u32_e32 v75, vcc_lo, s1, v2, vcc_lo
	v_lshlrev_b64 v[1:2], 2, v[76:77]
	v_add_co_u32 v76, vcc_lo, s0, v157
	v_add_co_ci_u32_e32 v77, vcc_lo, s1, v158, vcc_lo
	v_lshlrev_b64 v[85:86], 2, v[78:79]
	s_delay_alu instid0(VALU_DEP_4) | instskip(SKIP_2) | instid1(VALU_DEP_4)
	v_add_co_u32 v78, vcc_lo, s0, v1
	v_add_co_ci_u32_e32 v79, vcc_lo, s1, v2, vcc_lo
	v_lshlrev_b64 v[1:2], 2, v[80:81]
	v_add_co_u32 v80, vcc_lo, s0, v85
	v_ashrrev_i32_e32 v85, 31, v84
	v_add_co_ci_u32_e32 v81, vcc_lo, s1, v86, vcc_lo
	v_lshlrev_b64 v[86:87], 2, v[82:83]
	v_add_co_u32 v82, vcc_lo, s0, v1
	v_add_co_ci_u32_e32 v83, vcc_lo, s1, v2, vcc_lo
	v_lshlrev_b64 v[1:2], 2, v[84:85]
	s_delay_alu instid0(VALU_DEP_4) | instskip(SKIP_2) | instid1(VALU_DEP_4)
	v_add_co_u32 v84, vcc_lo, s0, v86
	v_add_co_ci_u32_e32 v85, vcc_lo, s1, v87, vcc_lo
	v_lshlrev_b64 v[122:123], 2, v[122:123]
	v_add_co_u32 v86, vcc_lo, s0, v1
	v_add_co_ci_u32_e32 v87, vcc_lo, s1, v2, vcc_lo
	v_lshlrev_b64 v[1:2], 2, v[88:89]
	s_clause 0x1f
	global_load_b32 v133, v[22:23], off
	global_load_b32 v134, v[24:25], off
	;; [unrolled: 1-line block ×32, first 2 shown]
	s_bitcmp0_b32 s17, 0
	v_add_co_u32 v88, vcc_lo, s0, v1
	v_add_co_ci_u32_e32 v89, vcc_lo, s1, v2, vcc_lo
	v_lshlrev_b64 v[1:2], 2, v[92:93]
	v_add_co_u32 v90, vcc_lo, s0, v90
	v_add_co_ci_u32_e32 v91, vcc_lo, s1, v91, vcc_lo
	s_delay_alu instid0(VALU_DEP_3) | instskip(NEXT) | instid1(VALU_DEP_4)
	v_add_co_u32 v92, vcc_lo, s0, v1
	v_add_co_ci_u32_e32 v93, vcc_lo, s1, v2, vcc_lo
	v_lshlrev_b64 v[1:2], 2, v[96:97]
	v_add_co_u32 v94, vcc_lo, s0, v94
	v_add_co_ci_u32_e32 v95, vcc_lo, s1, v95, vcc_lo
	s_delay_alu instid0(VALU_DEP_3) | instskip(NEXT) | instid1(VALU_DEP_4)
	;; [unrolled: 6-line block ×3, first 2 shown]
	v_add_co_u32 v100, vcc_lo, s0, v1
	v_add_co_ci_u32_e32 v101, vcc_lo, s1, v2, vcc_lo
	v_lshlrev_b64 v[1:2], 2, v[104:105]
	v_add_co_u32 v102, vcc_lo, s0, v102
	v_add_co_ci_u32_e32 v103, vcc_lo, s1, v103, vcc_lo
	s_clause 0x7
	global_load_b32 v165, v[88:89], off
	global_load_b32 v166, v[90:91], off
	;; [unrolled: 1-line block ×8, first 2 shown]
	v_add_co_u32 v104, vcc_lo, s0, v1
	v_add_co_ci_u32_e32 v105, vcc_lo, s1, v2, vcc_lo
	v_lshlrev_b64 v[1:2], 2, v[108:109]
	v_add_co_u32 v106, vcc_lo, s0, v106
	v_add_co_ci_u32_e32 v107, vcc_lo, s1, v107, vcc_lo
	s_delay_alu instid0(VALU_DEP_3) | instskip(NEXT) | instid1(VALU_DEP_4)
	v_add_co_u32 v108, vcc_lo, s0, v1
	v_add_co_ci_u32_e32 v109, vcc_lo, s1, v2, vcc_lo
	v_lshlrev_b64 v[1:2], 2, v[112:113]
	v_add_co_u32 v110, vcc_lo, s0, v110
	v_add_co_ci_u32_e32 v111, vcc_lo, s1, v111, vcc_lo
	s_delay_alu instid0(VALU_DEP_3) | instskip(NEXT) | instid1(VALU_DEP_4)
	;; [unrolled: 6-line block ×4, first 2 shown]
	v_add_co_u32 v120, vcc_lo, s0, v1
	v_add_co_ci_u32_e32 v121, vcc_lo, s1, v2, vcc_lo
	v_add_co_u32 v122, vcc_lo, s0, v122
	v_add_co_ci_u32_e32 v123, vcc_lo, s1, v123, vcc_lo
	s_clause 0xa
	global_load_b32 v173, v[104:105], off
	global_load_b32 v174, v[106:107], off
	;; [unrolled: 1-line block ×11, first 2 shown]
	s_mov_b32 s1, -1
	s_waitcnt vmcnt(56)
	scratch_store_b128 off, v[124:127], off
	s_waitcnt vmcnt(52)
	scratch_store_b128 off, v[128:131], off offset:16
	s_waitcnt vmcnt(48)
	scratch_store_b128 off, v[132:135], off offset:32
	;; [unrolled: 2-line block ×14, first 2 shown]
	s_cbranch_scc1 .LBB59_246
; %bb.4:
	v_cmp_eq_u32_e64 s0, 0, v0
	s_delay_alu instid0(VALU_DEP_1)
	s_and_saveexec_b32 s1, s0
	s_cbranch_execz .LBB59_6
; %bb.5:
	v_mov_b32_e32 v1, 0
	ds_store_b32 v1, v1 offset:480
.LBB59_6:
	s_or_b32 exec_lo, exec_lo, s1
	s_waitcnt lgkmcnt(0)
	s_waitcnt_vscnt null, 0x0
	s_barrier
	buffer_gl0_inv
	scratch_load_b32 v1, v3, off
	s_mov_b32 s2, exec_lo
	s_waitcnt vmcnt(0)
	v_cmpx_eq_f32_e32 0, v1
	s_cbranch_execz .LBB59_10
; %bb.7:
	v_mov_b32_e32 v1, 0
	s_mov_b32 s3, 0
	ds_load_b32 v2, v1 offset:480
	s_waitcnt lgkmcnt(0)
	v_readfirstlane_b32 s1, v2
	v_add_nc_u32_e32 v2, 1, v0
	s_delay_alu instid0(VALU_DEP_2) | instskip(NEXT) | instid1(VALU_DEP_1)
	s_cmp_eq_u32 s1, 0
	v_cmp_gt_i32_e32 vcc_lo, s1, v2
	s_cselect_b32 s4, -1, 0
	s_delay_alu instid0(SALU_CYCLE_1) | instskip(NEXT) | instid1(SALU_CYCLE_1)
	s_or_b32 s4, s4, vcc_lo
	s_and_b32 exec_lo, exec_lo, s4
	s_cbranch_execz .LBB59_10
; %bb.8:
	v_mov_b32_e32 v124, s1
.LBB59_9:                               ; =>This Inner Loop Header: Depth=1
	ds_cmpstore_rtn_b32 v124, v1, v2, v124 offset:480
	s_waitcnt lgkmcnt(0)
	v_cmp_ne_u32_e32 vcc_lo, 0, v124
	v_cmp_le_i32_e64 s1, v124, v2
	s_delay_alu instid0(VALU_DEP_1) | instskip(NEXT) | instid1(SALU_CYCLE_1)
	s_and_b32 s1, vcc_lo, s1
	s_and_b32 s1, exec_lo, s1
	s_delay_alu instid0(SALU_CYCLE_1) | instskip(NEXT) | instid1(SALU_CYCLE_1)
	s_or_b32 s3, s1, s3
	s_and_not1_b32 exec_lo, exec_lo, s3
	s_cbranch_execnz .LBB59_9
.LBB59_10:
	s_or_b32 exec_lo, exec_lo, s2
	v_mov_b32_e32 v1, 0
	s_barrier
	buffer_gl0_inv
	ds_load_b32 v2, v1 offset:480
	s_and_saveexec_b32 s1, s0
	s_cbranch_execz .LBB59_12
; %bb.11:
	s_lshl_b64 s[2:3], s[14:15], 2
	s_delay_alu instid0(SALU_CYCLE_1)
	s_add_u32 s2, s6, s2
	s_addc_u32 s3, s7, s3
	s_waitcnt lgkmcnt(0)
	global_store_b32 v1, v2, s[2:3]
.LBB59_12:
	s_or_b32 exec_lo, exec_lo, s1
	s_waitcnt lgkmcnt(0)
	v_cmp_ne_u32_e32 vcc_lo, 0, v2
	s_mov_b32 s1, 0
	s_cbranch_vccnz .LBB59_246
; %bb.13:
	v_add_nc_u32_e32 v1, 0, v3
	scratch_load_b32 v2, v1, off
	s_waitcnt vmcnt(0)
	v_div_scale_f32 v124, null, v2, v2, 1.0
	v_div_scale_f32 v127, vcc_lo, 1.0, v2, 1.0
	s_delay_alu instid0(VALU_DEP_2) | instskip(SKIP_2) | instid1(VALU_DEP_1)
	v_rcp_f32_e32 v125, v124
	s_waitcnt_depctr 0xfff
	v_fma_f32 v126, -v124, v125, 1.0
	v_fmac_f32_e32 v125, v126, v125
	s_delay_alu instid0(VALU_DEP_1) | instskip(NEXT) | instid1(VALU_DEP_1)
	v_mul_f32_e32 v126, v127, v125
	v_fma_f32 v128, -v124, v126, v127
	s_delay_alu instid0(VALU_DEP_1) | instskip(NEXT) | instid1(VALU_DEP_1)
	v_fmac_f32_e32 v126, v128, v125
	v_fma_f32 v124, -v124, v126, v127
	s_delay_alu instid0(VALU_DEP_1) | instskip(NEXT) | instid1(VALU_DEP_1)
	v_div_fmas_f32 v124, v124, v125, v126
	v_div_fixup_f32 v2, v124, v2, 1.0
	scratch_store_b32 v1, v2, off
	scratch_load_b32 v124, off, off offset:4
	v_xor_b32_e32 v125, 0x80000000, v2
	v_add_nc_u32_e32 v2, 0xf0, v3
	s_waitcnt vmcnt(0)
	ds_store_2addr_b32 v3, v125, v124 offset1:60
	s_waitcnt lgkmcnt(0)
	s_waitcnt_vscnt null, 0x0
	s_barrier
	buffer_gl0_inv
	s_and_saveexec_b32 s1, s0
	s_cbranch_execz .LBB59_15
; %bb.14:
	scratch_load_b32 v124, v1, off
	ds_load_b32 v125, v2
	v_mov_b32_e32 v126, 0
	ds_load_b32 v126, v126 offset:4
	s_waitcnt vmcnt(0) lgkmcnt(1)
	v_fma_f32 v124, v124, v125, 0
	s_waitcnt lgkmcnt(0)
	s_delay_alu instid0(VALU_DEP_1)
	v_mul_f32_e32 v124, v124, v126
	scratch_store_b32 off, v124, off offset:4
.LBB59_15:
	s_or_b32 exec_lo, exec_lo, s1
	s_waitcnt_vscnt null, 0x0
	s_barrier
	buffer_gl0_inv
	scratch_load_b32 v124, off, off offset:8
	s_mov_b32 s1, exec_lo
	s_waitcnt vmcnt(0)
	ds_store_b32 v2, v124
	s_waitcnt lgkmcnt(0)
	s_barrier
	buffer_gl0_inv
	v_cmpx_gt_u32_e32 2, v0
	s_cbranch_execz .LBB59_17
; %bb.16:
	scratch_load_b32 v126, v1, off
	scratch_load_b32 v127, off, off offset:4
	ds_load_b32 v128, v2
	v_mov_b32_e32 v124, 0
	ds_load_2addr_b32 v[124:125], v124 offset0:2 offset1:61
	s_waitcnt vmcnt(1) lgkmcnt(1)
	v_fma_f32 v126, v126, v128, 0
	s_waitcnt vmcnt(0) lgkmcnt(0)
	s_delay_alu instid0(VALU_DEP_1) | instskip(NEXT) | instid1(VALU_DEP_1)
	v_fma_f32 v125, v127, v125, v126
	v_cndmask_b32_e64 v125, v126, v125, s0
	s_delay_alu instid0(VALU_DEP_1)
	v_mul_f32_e32 v124, v125, v124
	scratch_store_b32 off, v124, off offset:8
.LBB59_17:
	s_or_b32 exec_lo, exec_lo, s1
	s_waitcnt_vscnt null, 0x0
	s_barrier
	buffer_gl0_inv
	scratch_load_b32 v125, off, off offset:12
	v_add_nc_u32_e32 v124, -1, v0
	s_mov_b32 s0, exec_lo
	s_waitcnt vmcnt(0)
	ds_store_b32 v2, v125
	s_waitcnt lgkmcnt(0)
	s_barrier
	buffer_gl0_inv
	v_cmpx_gt_u32_e32 3, v0
	s_cbranch_execz .LBB59_21
; %bb.18:
	v_dual_mov_b32 v125, 0 :: v_dual_add_nc_u32 v126, -1, v0
	v_add_nc_u32_e32 v127, 0xf0, v3
	v_add_nc_u32_e32 v128, 0, v3
	s_mov_b32 s1, 0
.LBB59_19:                              ; =>This Inner Loop Header: Depth=1
	scratch_load_b32 v129, v128, off
	ds_load_b32 v130, v127
	v_add_nc_u32_e32 v126, 1, v126
	v_add_nc_u32_e32 v127, 4, v127
	v_add_nc_u32_e32 v128, 4, v128
	s_delay_alu instid0(VALU_DEP_3)
	v_cmp_lt_u32_e32 vcc_lo, 1, v126
	s_or_b32 s1, vcc_lo, s1
	s_waitcnt vmcnt(0) lgkmcnt(0)
	v_fmac_f32_e32 v125, v129, v130
	s_and_not1_b32 exec_lo, exec_lo, s1
	s_cbranch_execnz .LBB59_19
; %bb.20:
	s_or_b32 exec_lo, exec_lo, s1
	v_mov_b32_e32 v126, 0
	ds_load_b32 v126, v126 offset:12
	s_waitcnt lgkmcnt(0)
	v_mul_f32_e32 v125, v125, v126
	scratch_store_b32 off, v125, off offset:12
.LBB59_21:
	s_or_b32 exec_lo, exec_lo, s0
	s_waitcnt_vscnt null, 0x0
	s_barrier
	buffer_gl0_inv
	scratch_load_b32 v125, off, off offset:16
	s_mov_b32 s0, exec_lo
	s_waitcnt vmcnt(0)
	ds_store_b32 v2, v125
	s_waitcnt lgkmcnt(0)
	s_barrier
	buffer_gl0_inv
	v_cmpx_gt_u32_e32 4, v0
	s_cbranch_execz .LBB59_25
; %bb.22:
	v_dual_mov_b32 v125, 0 :: v_dual_add_nc_u32 v126, -1, v0
	v_add_nc_u32_e32 v127, 0xf0, v3
	v_add_nc_u32_e32 v128, 0, v3
	s_mov_b32 s1, 0
.LBB59_23:                              ; =>This Inner Loop Header: Depth=1
	scratch_load_b32 v129, v128, off
	ds_load_b32 v130, v127
	v_add_nc_u32_e32 v126, 1, v126
	v_add_nc_u32_e32 v127, 4, v127
	v_add_nc_u32_e32 v128, 4, v128
	s_delay_alu instid0(VALU_DEP_3)
	v_cmp_lt_u32_e32 vcc_lo, 2, v126
	s_or_b32 s1, vcc_lo, s1
	s_waitcnt vmcnt(0) lgkmcnt(0)
	v_fmac_f32_e32 v125, v129, v130
	s_and_not1_b32 exec_lo, exec_lo, s1
	s_cbranch_execnz .LBB59_23
; %bb.24:
	s_or_b32 exec_lo, exec_lo, s1
	v_mov_b32_e32 v126, 0
	ds_load_b32 v126, v126 offset:16
	s_waitcnt lgkmcnt(0)
	v_mul_f32_e32 v125, v125, v126
	scratch_store_b32 off, v125, off offset:16
.LBB59_25:
	s_or_b32 exec_lo, exec_lo, s0
	s_waitcnt_vscnt null, 0x0
	s_barrier
	buffer_gl0_inv
	scratch_load_b32 v125, off, off offset:20
	;; [unrolled: 39-line block ×21, first 2 shown]
	s_mov_b32 s0, exec_lo
	s_waitcnt vmcnt(0)
	ds_store_b32 v2, v125
	s_waitcnt lgkmcnt(0)
	s_barrier
	buffer_gl0_inv
	v_cmpx_gt_u32_e32 24, v0
	s_cbranch_execz .LBB59_105
; %bb.102:
	v_dual_mov_b32 v125, 0 :: v_dual_add_nc_u32 v126, -1, v0
	v_add_nc_u32_e32 v127, 0xf0, v3
	v_add_nc_u32_e32 v128, 0, v3
	s_mov_b32 s1, 0
.LBB59_103:                             ; =>This Inner Loop Header: Depth=1
	scratch_load_b32 v129, v128, off
	ds_load_b32 v130, v127
	v_add_nc_u32_e32 v126, 1, v126
	v_add_nc_u32_e32 v127, 4, v127
	v_add_nc_u32_e32 v128, 4, v128
	s_delay_alu instid0(VALU_DEP_3)
	v_cmp_lt_u32_e32 vcc_lo, 22, v126
	s_or_b32 s1, vcc_lo, s1
	s_waitcnt vmcnt(0) lgkmcnt(0)
	v_fmac_f32_e32 v125, v129, v130
	s_and_not1_b32 exec_lo, exec_lo, s1
	s_cbranch_execnz .LBB59_103
; %bb.104:
	s_or_b32 exec_lo, exec_lo, s1
	v_mov_b32_e32 v126, 0
	ds_load_b32 v126, v126 offset:96
	s_waitcnt lgkmcnt(0)
	v_mul_f32_e32 v125, v125, v126
	scratch_store_b32 off, v125, off offset:96
.LBB59_105:
	s_or_b32 exec_lo, exec_lo, s0
	s_waitcnt_vscnt null, 0x0
	s_barrier
	buffer_gl0_inv
	scratch_load_b32 v125, off, off offset:100
	s_mov_b32 s0, exec_lo
	s_waitcnt vmcnt(0)
	ds_store_b32 v2, v125
	s_waitcnt lgkmcnt(0)
	s_barrier
	buffer_gl0_inv
	v_cmpx_gt_u32_e32 25, v0
	s_cbranch_execz .LBB59_109
; %bb.106:
	v_dual_mov_b32 v125, 0 :: v_dual_add_nc_u32 v126, -1, v0
	v_add_nc_u32_e32 v127, 0xf0, v3
	v_add_nc_u32_e32 v128, 0, v3
	s_mov_b32 s1, 0
.LBB59_107:                             ; =>This Inner Loop Header: Depth=1
	scratch_load_b32 v129, v128, off
	ds_load_b32 v130, v127
	v_add_nc_u32_e32 v126, 1, v126
	v_add_nc_u32_e32 v127, 4, v127
	v_add_nc_u32_e32 v128, 4, v128
	s_delay_alu instid0(VALU_DEP_3)
	v_cmp_lt_u32_e32 vcc_lo, 23, v126
	s_or_b32 s1, vcc_lo, s1
	s_waitcnt vmcnt(0) lgkmcnt(0)
	v_fmac_f32_e32 v125, v129, v130
	s_and_not1_b32 exec_lo, exec_lo, s1
	s_cbranch_execnz .LBB59_107
; %bb.108:
	s_or_b32 exec_lo, exec_lo, s1
	v_mov_b32_e32 v126, 0
	ds_load_b32 v126, v126 offset:100
	s_waitcnt lgkmcnt(0)
	v_mul_f32_e32 v125, v125, v126
	scratch_store_b32 off, v125, off offset:100
.LBB59_109:
	s_or_b32 exec_lo, exec_lo, s0
	s_waitcnt_vscnt null, 0x0
	s_barrier
	buffer_gl0_inv
	scratch_load_b32 v125, off, off offset:104
	;; [unrolled: 39-line block ×34, first 2 shown]
	s_mov_b32 s0, exec_lo
	s_waitcnt vmcnt(0)
	ds_store_b32 v2, v125
	s_waitcnt lgkmcnt(0)
	s_barrier
	buffer_gl0_inv
	v_cmpx_gt_u32_e32 58, v0
	s_cbranch_execz .LBB59_241
; %bb.238:
	v_add_nc_u32_e32 v125, -1, v0
	v_add_nc_u32_e32 v126, 0xf0, v3
	v_add_nc_u32_e32 v127, 0, v3
	v_mov_b32_e32 v3, 0
	s_mov_b32 s1, 0
.LBB59_239:                             ; =>This Inner Loop Header: Depth=1
	scratch_load_b32 v128, v127, off
	ds_load_b32 v129, v126
	v_add_nc_u32_e32 v125, 1, v125
	v_add_nc_u32_e32 v126, 4, v126
	;; [unrolled: 1-line block ×3, first 2 shown]
	s_delay_alu instid0(VALU_DEP_3)
	v_cmp_lt_u32_e32 vcc_lo, 56, v125
	s_or_b32 s1, vcc_lo, s1
	s_waitcnt vmcnt(0) lgkmcnt(0)
	v_fmac_f32_e32 v3, v128, v129
	s_and_not1_b32 exec_lo, exec_lo, s1
	s_cbranch_execnz .LBB59_239
; %bb.240:
	s_or_b32 exec_lo, exec_lo, s1
	v_mov_b32_e32 v125, 0
	ds_load_b32 v125, v125 offset:232
	s_waitcnt lgkmcnt(0)
	v_mul_f32_e32 v3, v3, v125
	scratch_store_b32 off, v3, off offset:232
.LBB59_241:
	s_or_b32 exec_lo, exec_lo, s0
	s_waitcnt_vscnt null, 0x0
	s_barrier
	buffer_gl0_inv
	scratch_load_b32 v3, off, off offset:236
	s_mov_b32 s0, exec_lo
	s_waitcnt vmcnt(0)
	ds_store_b32 v2, v3
	s_waitcnt lgkmcnt(0)
	s_barrier
	buffer_gl0_inv
	v_cmpx_ne_u32_e32 59, v0
	s_cbranch_execz .LBB59_245
; %bb.242:
	v_mov_b32_e32 v3, 0
	s_mov_b32 s1, 0
.LBB59_243:                             ; =>This Inner Loop Header: Depth=1
	scratch_load_b32 v125, v1, off
	ds_load_b32 v126, v2
	v_add_nc_u32_e32 v124, 1, v124
	v_add_nc_u32_e32 v2, 4, v2
	;; [unrolled: 1-line block ×3, first 2 shown]
	s_waitcnt vmcnt(0) lgkmcnt(0)
	v_fmac_f32_e32 v3, v125, v126
	v_cmp_lt_u32_e32 vcc_lo, 57, v124
	s_or_b32 s1, vcc_lo, s1
	s_delay_alu instid0(SALU_CYCLE_1)
	s_and_not1_b32 exec_lo, exec_lo, s1
	s_cbranch_execnz .LBB59_243
; %bb.244:
	s_or_b32 exec_lo, exec_lo, s1
	v_mov_b32_e32 v1, 0
	ds_load_b32 v1, v1 offset:236
	s_waitcnt lgkmcnt(0)
	v_mul_f32_e32 v1, v3, v1
	scratch_store_b32 off, v1, off offset:236
.LBB59_245:
	s_or_b32 exec_lo, exec_lo, s0
	s_mov_b32 s1, -1
	s_waitcnt_vscnt null, 0x0
	s_barrier
	buffer_gl0_inv
.LBB59_246:
	s_and_b32 vcc_lo, exec_lo, s1
	s_cbranch_vccz .LBB59_248
; %bb.247:
	s_lshl_b64 s[0:1], s[14:15], 2
	v_mov_b32_e32 v1, 0
	s_add_u32 s0, s6, s0
	s_addc_u32 s1, s7, s1
	global_load_b32 v1, v1, s[0:1]
	s_waitcnt vmcnt(0)
	v_cmp_ne_u32_e32 vcc_lo, 0, v1
	s_cbranch_vccz .LBB59_249
.LBB59_248:
	s_endpgm
.LBB59_249:
	v_lshl_add_u32 v1, v0, 2, 0xf0
	s_mov_b32 s0, exec_lo
	v_cmpx_eq_u32_e32 59, v0
	s_cbranch_execz .LBB59_251
; %bb.250:
	scratch_load_b32 v2, off, off offset:232
	v_mov_b32_e32 v3, 0
	scratch_store_b32 off, v3, off offset:232
	s_waitcnt vmcnt(0)
	ds_store_b32 v1, v2
.LBB59_251:
	s_or_b32 exec_lo, exec_lo, s0
	s_waitcnt lgkmcnt(0)
	s_waitcnt_vscnt null, 0x0
	s_barrier
	buffer_gl0_inv
	scratch_load_b64 v[124:125], off, off offset:232
	v_mov_b32_e32 v2, 0
	s_mov_b32 s0, exec_lo
	ds_load_b32 v3, v2 offset:476
	s_waitcnt vmcnt(0) lgkmcnt(0)
	v_fma_f32 v3, v125, v3, 0
	s_delay_alu instid0(VALU_DEP_1)
	v_sub_f32_e32 v3, v124, v3
	scratch_store_b32 off, v3, off offset:232
	v_cmpx_lt_u32_e32 57, v0
	s_cbranch_execz .LBB59_253
; %bb.252:
	scratch_load_b32 v3, off, off offset:228
	scratch_store_b32 off, v2, off offset:228
	s_waitcnt vmcnt(0)
	ds_store_b32 v1, v3
.LBB59_253:
	s_or_b32 exec_lo, exec_lo, s0
	s_waitcnt lgkmcnt(0)
	s_waitcnt_vscnt null, 0x0
	s_barrier
	buffer_gl0_inv
	scratch_load_b96 v[124:126], off, off offset:228
	ds_load_b64 v[2:3], v2 offset:472
	s_mov_b32 s0, exec_lo
	s_waitcnt vmcnt(0) lgkmcnt(0)
	v_fma_f32 v2, v125, v2, 0
	s_delay_alu instid0(VALU_DEP_1) | instskip(NEXT) | instid1(VALU_DEP_1)
	v_fmac_f32_e32 v2, v126, v3
	v_sub_f32_e32 v2, v124, v2
	scratch_store_b32 off, v2, off offset:228
	v_cmpx_lt_u32_e32 56, v0
	s_cbranch_execz .LBB59_255
; %bb.254:
	scratch_load_b32 v2, off, off offset:224
	v_mov_b32_e32 v3, 0
	scratch_store_b32 off, v3, off offset:224
	s_waitcnt vmcnt(0)
	ds_store_b32 v1, v2
.LBB59_255:
	s_or_b32 exec_lo, exec_lo, s0
	s_waitcnt lgkmcnt(0)
	s_waitcnt_vscnt null, 0x0
	s_barrier
	buffer_gl0_inv
	scratch_load_b128 v[124:127], off, off offset:224
	v_mov_b32_e32 v2, 0
	ds_load_2addr_b32 v[128:129], v2 offset0:117 offset1:118
	ds_load_b32 v3, v2 offset:476
	s_mov_b32 s0, exec_lo
	s_waitcnt vmcnt(0) lgkmcnt(1)
	v_fma_f32 v125, v125, v128, 0
	s_delay_alu instid0(VALU_DEP_1) | instskip(SKIP_1) | instid1(VALU_DEP_1)
	v_fmac_f32_e32 v125, v126, v129
	s_waitcnt lgkmcnt(0)
	v_fmac_f32_e32 v125, v127, v3
	s_delay_alu instid0(VALU_DEP_1)
	v_sub_f32_e32 v3, v124, v125
	scratch_store_b32 off, v3, off offset:224
	v_cmpx_lt_u32_e32 55, v0
	s_cbranch_execz .LBB59_257
; %bb.256:
	scratch_load_b32 v3, off, off offset:220
	scratch_store_b32 off, v2, off offset:220
	s_waitcnt vmcnt(0)
	ds_store_b32 v1, v3
.LBB59_257:
	s_or_b32 exec_lo, exec_lo, s0
	s_waitcnt lgkmcnt(0)
	s_waitcnt_vscnt null, 0x0
	s_barrier
	buffer_gl0_inv
	s_clause 0x1
	scratch_load_b128 v[124:127], off, off offset:220
	scratch_load_b32 v3, off, off offset:236
	ds_load_b128 v[128:131], v2 offset:464
	s_mov_b32 s0, exec_lo
	s_waitcnt vmcnt(1) lgkmcnt(0)
	v_fma_f32 v2, v125, v128, 0
	s_delay_alu instid0(VALU_DEP_1) | instskip(NEXT) | instid1(VALU_DEP_1)
	v_fmac_f32_e32 v2, v126, v129
	v_fmac_f32_e32 v2, v127, v130
	s_waitcnt vmcnt(0)
	s_delay_alu instid0(VALU_DEP_1) | instskip(NEXT) | instid1(VALU_DEP_1)
	v_fmac_f32_e32 v2, v3, v131
	v_sub_f32_e32 v2, v124, v2
	scratch_store_b32 off, v2, off offset:220
	v_cmpx_lt_u32_e32 54, v0
	s_cbranch_execz .LBB59_259
; %bb.258:
	scratch_load_b32 v2, off, off offset:216
	v_mov_b32_e32 v3, 0
	scratch_store_b32 off, v3, off offset:216
	s_waitcnt vmcnt(0)
	ds_store_b32 v1, v2
.LBB59_259:
	s_or_b32 exec_lo, exec_lo, s0
	s_waitcnt lgkmcnt(0)
	s_waitcnt_vscnt null, 0x0
	s_barrier
	buffer_gl0_inv
	s_clause 0x1
	scratch_load_b128 v[124:127], off, off offset:216
	scratch_load_b64 v[128:129], off, off offset:232
	v_mov_b32_e32 v2, 0
	ds_load_2addr_b32 v[130:131], v2 offset0:115 offset1:116
	ds_load_2addr_b32 v[132:133], v2 offset0:117 offset1:118
	ds_load_b32 v3, v2 offset:476
	s_mov_b32 s0, exec_lo
	s_waitcnt vmcnt(1) lgkmcnt(2)
	v_fma_f32 v125, v125, v130, 0
	s_delay_alu instid0(VALU_DEP_1) | instskip(SKIP_1) | instid1(VALU_DEP_1)
	v_fmac_f32_e32 v125, v126, v131
	s_waitcnt lgkmcnt(1)
	v_fmac_f32_e32 v125, v127, v132
	s_waitcnt vmcnt(0)
	s_delay_alu instid0(VALU_DEP_1) | instskip(SKIP_1) | instid1(VALU_DEP_1)
	v_fmac_f32_e32 v125, v128, v133
	s_waitcnt lgkmcnt(0)
	v_fmac_f32_e32 v125, v129, v3
	s_delay_alu instid0(VALU_DEP_1)
	v_sub_f32_e32 v3, v124, v125
	scratch_store_b32 off, v3, off offset:216
	v_cmpx_lt_u32_e32 53, v0
	s_cbranch_execz .LBB59_261
; %bb.260:
	scratch_load_b32 v3, off, off offset:212
	scratch_store_b32 off, v2, off offset:212
	s_waitcnt vmcnt(0)
	ds_store_b32 v1, v3
.LBB59_261:
	s_or_b32 exec_lo, exec_lo, s0
	s_waitcnt lgkmcnt(0)
	s_waitcnt_vscnt null, 0x0
	s_barrier
	buffer_gl0_inv
	s_clause 0x1
	scratch_load_b128 v[124:127], off, off offset:212
	scratch_load_b96 v[132:134], off, off offset:228
	ds_load_2addr_b64 v[128:131], v2 offset0:57 offset1:58
	ds_load_b64 v[2:3], v2 offset:472
	s_mov_b32 s0, exec_lo
	s_waitcnt vmcnt(1) lgkmcnt(1)
	v_fma_f32 v125, v125, v128, 0
	s_delay_alu instid0(VALU_DEP_1) | instskip(NEXT) | instid1(VALU_DEP_1)
	v_fmac_f32_e32 v125, v126, v129
	v_fmac_f32_e32 v125, v127, v130
	s_waitcnt vmcnt(0)
	s_delay_alu instid0(VALU_DEP_1) | instskip(SKIP_1) | instid1(VALU_DEP_1)
	v_fmac_f32_e32 v125, v132, v131
	s_waitcnt lgkmcnt(0)
	v_fmac_f32_e32 v125, v133, v2
	s_delay_alu instid0(VALU_DEP_1) | instskip(NEXT) | instid1(VALU_DEP_1)
	v_fmac_f32_e32 v125, v134, v3
	v_sub_f32_e32 v2, v124, v125
	scratch_store_b32 off, v2, off offset:212
	v_cmpx_lt_u32_e32 52, v0
	s_cbranch_execz .LBB59_263
; %bb.262:
	scratch_load_b32 v2, off, off offset:208
	v_mov_b32_e32 v3, 0
	scratch_store_b32 off, v3, off offset:208
	s_waitcnt vmcnt(0)
	ds_store_b32 v1, v2
.LBB59_263:
	s_or_b32 exec_lo, exec_lo, s0
	s_waitcnt lgkmcnt(0)
	s_waitcnt_vscnt null, 0x0
	s_barrier
	buffer_gl0_inv
	s_clause 0x1
	scratch_load_b128 v[124:127], off, off offset:208
	scratch_load_b128 v[128:131], off, off offset:224
	v_mov_b32_e32 v2, 0
	ds_load_2addr_b32 v[132:133], v2 offset0:113 offset1:114
	ds_load_2addr_b32 v[134:135], v2 offset0:115 offset1:116
	;; [unrolled: 1-line block ×3, first 2 shown]
	ds_load_b32 v3, v2 offset:476
	s_mov_b32 s0, exec_lo
	s_waitcnt vmcnt(1) lgkmcnt(3)
	v_fma_f32 v125, v125, v132, 0
	s_delay_alu instid0(VALU_DEP_1) | instskip(SKIP_1) | instid1(VALU_DEP_1)
	v_fmac_f32_e32 v125, v126, v133
	s_waitcnt lgkmcnt(2)
	v_fmac_f32_e32 v125, v127, v134
	s_waitcnt vmcnt(0)
	s_delay_alu instid0(VALU_DEP_1) | instskip(SKIP_1) | instid1(VALU_DEP_1)
	v_fmac_f32_e32 v125, v128, v135
	s_waitcnt lgkmcnt(1)
	v_fmac_f32_e32 v125, v129, v136
	s_delay_alu instid0(VALU_DEP_1) | instskip(SKIP_1) | instid1(VALU_DEP_1)
	v_fmac_f32_e32 v125, v130, v137
	s_waitcnt lgkmcnt(0)
	v_fmac_f32_e32 v125, v131, v3
	s_delay_alu instid0(VALU_DEP_1)
	v_sub_f32_e32 v3, v124, v125
	scratch_store_b32 off, v3, off offset:208
	v_cmpx_lt_u32_e32 51, v0
	s_cbranch_execz .LBB59_265
; %bb.264:
	scratch_load_b32 v3, off, off offset:204
	scratch_store_b32 off, v2, off offset:204
	s_waitcnt vmcnt(0)
	ds_store_b32 v1, v3
.LBB59_265:
	s_or_b32 exec_lo, exec_lo, s0
	s_waitcnt lgkmcnt(0)
	s_waitcnt_vscnt null, 0x0
	s_barrier
	buffer_gl0_inv
	s_clause 0x2
	scratch_load_b128 v[124:127], off, off offset:204
	scratch_load_b128 v[128:131], off, off offset:220
	scratch_load_b32 v3, off, off offset:236
	ds_load_b128 v[132:135], v2 offset:448
	ds_load_b128 v[136:139], v2 offset:464
	s_mov_b32 s0, exec_lo
	s_waitcnt vmcnt(2) lgkmcnt(1)
	v_fma_f32 v2, v125, v132, 0
	s_delay_alu instid0(VALU_DEP_1) | instskip(NEXT) | instid1(VALU_DEP_1)
	v_fmac_f32_e32 v2, v126, v133
	v_fmac_f32_e32 v2, v127, v134
	s_waitcnt vmcnt(1)
	s_delay_alu instid0(VALU_DEP_1) | instskip(SKIP_1) | instid1(VALU_DEP_1)
	v_fmac_f32_e32 v2, v128, v135
	s_waitcnt lgkmcnt(0)
	v_fmac_f32_e32 v2, v129, v136
	s_delay_alu instid0(VALU_DEP_1) | instskip(NEXT) | instid1(VALU_DEP_1)
	v_fmac_f32_e32 v2, v130, v137
	v_fmac_f32_e32 v2, v131, v138
	s_waitcnt vmcnt(0)
	s_delay_alu instid0(VALU_DEP_1) | instskip(NEXT) | instid1(VALU_DEP_1)
	v_fmac_f32_e32 v2, v3, v139
	v_sub_f32_e32 v2, v124, v2
	scratch_store_b32 off, v2, off offset:204
	v_cmpx_lt_u32_e32 50, v0
	s_cbranch_execz .LBB59_267
; %bb.266:
	scratch_load_b32 v2, off, off offset:200
	v_mov_b32_e32 v3, 0
	scratch_store_b32 off, v3, off offset:200
	s_waitcnt vmcnt(0)
	ds_store_b32 v1, v2
.LBB59_267:
	s_or_b32 exec_lo, exec_lo, s0
	s_waitcnt lgkmcnt(0)
	s_waitcnt_vscnt null, 0x0
	s_barrier
	buffer_gl0_inv
	s_clause 0x2
	scratch_load_b128 v[124:127], off, off offset:200
	scratch_load_b128 v[128:131], off, off offset:216
	scratch_load_b64 v[132:133], off, off offset:232
	v_mov_b32_e32 v2, 0
	ds_load_2addr_b32 v[134:135], v2 offset0:111 offset1:112
	ds_load_2addr_b32 v[136:137], v2 offset0:113 offset1:114
	;; [unrolled: 1-line block ×4, first 2 shown]
	s_mov_b32 s0, exec_lo
	s_waitcnt vmcnt(2) lgkmcnt(3)
	v_fma_f32 v3, v125, v134, 0
	s_delay_alu instid0(VALU_DEP_1) | instskip(SKIP_4) | instid1(VALU_DEP_1)
	v_fmac_f32_e32 v3, v126, v135
	ds_load_b32 v125, v2 offset:476
	s_waitcnt lgkmcnt(3)
	v_fmac_f32_e32 v3, v127, v136
	s_waitcnt vmcnt(1)
	v_fmac_f32_e32 v3, v128, v137
	s_waitcnt lgkmcnt(2)
	s_delay_alu instid0(VALU_DEP_1) | instskip(NEXT) | instid1(VALU_DEP_1)
	v_fmac_f32_e32 v3, v129, v138
	v_fmac_f32_e32 v3, v130, v139
	s_waitcnt lgkmcnt(1)
	s_delay_alu instid0(VALU_DEP_1) | instskip(SKIP_1) | instid1(VALU_DEP_1)
	v_fmac_f32_e32 v3, v131, v140
	s_waitcnt vmcnt(0)
	v_fmac_f32_e32 v3, v132, v141
	s_waitcnt lgkmcnt(0)
	s_delay_alu instid0(VALU_DEP_1) | instskip(NEXT) | instid1(VALU_DEP_1)
	v_fmac_f32_e32 v3, v133, v125
	v_sub_f32_e32 v3, v124, v3
	scratch_store_b32 off, v3, off offset:200
	v_cmpx_lt_u32_e32 49, v0
	s_cbranch_execz .LBB59_269
; %bb.268:
	scratch_load_b32 v3, off, off offset:196
	scratch_store_b32 off, v2, off offset:196
	s_waitcnt vmcnt(0)
	ds_store_b32 v1, v3
.LBB59_269:
	s_or_b32 exec_lo, exec_lo, s0
	s_waitcnt lgkmcnt(0)
	s_waitcnt_vscnt null, 0x0
	s_barrier
	buffer_gl0_inv
	s_clause 0x2
	scratch_load_b128 v[124:127], off, off offset:196
	scratch_load_b128 v[128:131], off, off offset:212
	scratch_load_b96 v[140:142], off, off offset:228
	ds_load_2addr_b64 v[132:135], v2 offset0:55 offset1:56
	ds_load_2addr_b64 v[136:139], v2 offset0:57 offset1:58
	ds_load_b64 v[2:3], v2 offset:472
	s_mov_b32 s0, exec_lo
	s_waitcnt vmcnt(2) lgkmcnt(2)
	v_fma_f32 v125, v125, v132, 0
	s_delay_alu instid0(VALU_DEP_1) | instskip(NEXT) | instid1(VALU_DEP_1)
	v_fmac_f32_e32 v125, v126, v133
	v_fmac_f32_e32 v125, v127, v134
	s_waitcnt vmcnt(1)
	s_delay_alu instid0(VALU_DEP_1) | instskip(SKIP_1) | instid1(VALU_DEP_1)
	v_fmac_f32_e32 v125, v128, v135
	s_waitcnt lgkmcnt(1)
	v_fmac_f32_e32 v125, v129, v136
	s_delay_alu instid0(VALU_DEP_1) | instskip(NEXT) | instid1(VALU_DEP_1)
	v_fmac_f32_e32 v125, v130, v137
	v_fmac_f32_e32 v125, v131, v138
	s_waitcnt vmcnt(0)
	s_delay_alu instid0(VALU_DEP_1) | instskip(SKIP_1) | instid1(VALU_DEP_1)
	v_fmac_f32_e32 v125, v140, v139
	s_waitcnt lgkmcnt(0)
	v_fmac_f32_e32 v125, v141, v2
	s_delay_alu instid0(VALU_DEP_1) | instskip(NEXT) | instid1(VALU_DEP_1)
	v_fmac_f32_e32 v125, v142, v3
	v_sub_f32_e32 v2, v124, v125
	scratch_store_b32 off, v2, off offset:196
	v_cmpx_lt_u32_e32 48, v0
	s_cbranch_execz .LBB59_271
; %bb.270:
	scratch_load_b32 v2, off, off offset:192
	v_mov_b32_e32 v3, 0
	scratch_store_b32 off, v3, off offset:192
	s_waitcnt vmcnt(0)
	ds_store_b32 v1, v2
.LBB59_271:
	s_or_b32 exec_lo, exec_lo, s0
	s_waitcnt lgkmcnt(0)
	s_waitcnt_vscnt null, 0x0
	s_barrier
	buffer_gl0_inv
	s_clause 0x2
	scratch_load_b128 v[124:127], off, off offset:192
	scratch_load_b128 v[128:131], off, off offset:208
	;; [unrolled: 1-line block ×3, first 2 shown]
	v_mov_b32_e32 v2, 0
	ds_load_2addr_b32 v[136:137], v2 offset0:109 offset1:110
	ds_load_2addr_b32 v[138:139], v2 offset0:111 offset1:112
	;; [unrolled: 1-line block ×4, first 2 shown]
	s_mov_b32 s0, exec_lo
	s_waitcnt vmcnt(2) lgkmcnt(3)
	v_fma_f32 v3, v125, v136, 0
	s_delay_alu instid0(VALU_DEP_1)
	v_fmac_f32_e32 v3, v126, v137
	ds_load_2addr_b32 v[125:126], v2 offset0:117 offset1:118
	s_waitcnt lgkmcnt(3)
	v_fmac_f32_e32 v3, v127, v138
	ds_load_b32 v127, v2 offset:476
	s_waitcnt vmcnt(1)
	v_fmac_f32_e32 v3, v128, v139
	s_waitcnt lgkmcnt(3)
	s_delay_alu instid0(VALU_DEP_1) | instskip(NEXT) | instid1(VALU_DEP_1)
	v_fmac_f32_e32 v3, v129, v140
	v_fmac_f32_e32 v3, v130, v141
	s_waitcnt lgkmcnt(2)
	s_delay_alu instid0(VALU_DEP_1) | instskip(SKIP_1) | instid1(VALU_DEP_1)
	v_fmac_f32_e32 v3, v131, v142
	s_waitcnt vmcnt(0)
	v_fmac_f32_e32 v3, v132, v143
	s_waitcnt lgkmcnt(1)
	s_delay_alu instid0(VALU_DEP_1) | instskip(NEXT) | instid1(VALU_DEP_1)
	v_fmac_f32_e32 v3, v133, v125
	v_fmac_f32_e32 v3, v134, v126
	s_waitcnt lgkmcnt(0)
	s_delay_alu instid0(VALU_DEP_1) | instskip(NEXT) | instid1(VALU_DEP_1)
	v_fmac_f32_e32 v3, v135, v127
	v_sub_f32_e32 v3, v124, v3
	scratch_store_b32 off, v3, off offset:192
	v_cmpx_lt_u32_e32 47, v0
	s_cbranch_execz .LBB59_273
; %bb.272:
	scratch_load_b32 v3, off, off offset:188
	scratch_store_b32 off, v2, off offset:188
	s_waitcnt vmcnt(0)
	ds_store_b32 v1, v3
.LBB59_273:
	s_or_b32 exec_lo, exec_lo, s0
	s_waitcnt lgkmcnt(0)
	s_waitcnt_vscnt null, 0x0
	s_barrier
	buffer_gl0_inv
	s_clause 0x3
	scratch_load_b128 v[124:127], off, off offset:188
	scratch_load_b128 v[128:131], off, off offset:204
	;; [unrolled: 1-line block ×3, first 2 shown]
	scratch_load_b32 v3, off, off offset:236
	ds_load_b128 v[136:139], v2 offset:432
	ds_load_b128 v[140:143], v2 offset:448
	s_mov_b32 s0, exec_lo
	s_waitcnt vmcnt(3) lgkmcnt(1)
	v_fma_f32 v136, v125, v136, 0
	s_delay_alu instid0(VALU_DEP_1) | instskip(NEXT) | instid1(VALU_DEP_1)
	v_fmac_f32_e32 v136, v126, v137
	v_fmac_f32_e32 v136, v127, v138
	s_waitcnt vmcnt(2)
	s_delay_alu instid0(VALU_DEP_1) | instskip(SKIP_3) | instid1(VALU_DEP_1)
	v_fmac_f32_e32 v136, v128, v139
	ds_load_b128 v[125:128], v2 offset:464
	s_waitcnt lgkmcnt(1)
	v_fmac_f32_e32 v136, v129, v140
	v_fmac_f32_e32 v136, v130, v141
	s_delay_alu instid0(VALU_DEP_1) | instskip(SKIP_1) | instid1(VALU_DEP_1)
	v_fmac_f32_e32 v136, v131, v142
	s_waitcnt vmcnt(1)
	v_fmac_f32_e32 v136, v132, v143
	s_waitcnt lgkmcnt(0)
	s_delay_alu instid0(VALU_DEP_1) | instskip(NEXT) | instid1(VALU_DEP_1)
	v_fmac_f32_e32 v136, v133, v125
	v_fmac_f32_e32 v136, v134, v126
	s_delay_alu instid0(VALU_DEP_1) | instskip(SKIP_1) | instid1(VALU_DEP_1)
	v_fmac_f32_e32 v136, v135, v127
	s_waitcnt vmcnt(0)
	v_fmac_f32_e32 v136, v3, v128
	s_delay_alu instid0(VALU_DEP_1)
	v_sub_f32_e32 v2, v124, v136
	scratch_store_b32 off, v2, off offset:188
	v_cmpx_lt_u32_e32 46, v0
	s_cbranch_execz .LBB59_275
; %bb.274:
	scratch_load_b32 v2, off, off offset:184
	v_mov_b32_e32 v3, 0
	scratch_store_b32 off, v3, off offset:184
	s_waitcnt vmcnt(0)
	ds_store_b32 v1, v2
.LBB59_275:
	s_or_b32 exec_lo, exec_lo, s0
	s_waitcnt lgkmcnt(0)
	s_waitcnt_vscnt null, 0x0
	s_barrier
	buffer_gl0_inv
	s_clause 0x3
	scratch_load_b128 v[124:127], off, off offset:184
	scratch_load_b128 v[128:131], off, off offset:200
	scratch_load_b128 v[132:135], off, off offset:216
	scratch_load_b64 v[136:137], off, off offset:232
	v_mov_b32_e32 v2, 0
	ds_load_2addr_b32 v[138:139], v2 offset0:107 offset1:108
	ds_load_2addr_b32 v[140:141], v2 offset0:109 offset1:110
	;; [unrolled: 1-line block ×4, first 2 shown]
	s_mov_b32 s0, exec_lo
	s_waitcnt vmcnt(3) lgkmcnt(3)
	v_fma_f32 v3, v125, v138, 0
	s_delay_alu instid0(VALU_DEP_1) | instskip(SKIP_4) | instid1(VALU_DEP_1)
	v_fmac_f32_e32 v3, v126, v139
	ds_load_2addr_b32 v[125:126], v2 offset0:115 offset1:116
	s_waitcnt lgkmcnt(3)
	v_fmac_f32_e32 v3, v127, v140
	s_waitcnt vmcnt(2)
	v_fmac_f32_e32 v3, v128, v141
	ds_load_2addr_b32 v[127:128], v2 offset0:117 offset1:118
	s_waitcnt lgkmcnt(3)
	v_fmac_f32_e32 v3, v129, v142
	ds_load_b32 v129, v2 offset:476
	v_fmac_f32_e32 v3, v130, v143
	s_waitcnt lgkmcnt(3)
	s_delay_alu instid0(VALU_DEP_1) | instskip(SKIP_1) | instid1(VALU_DEP_1)
	v_fmac_f32_e32 v3, v131, v144
	s_waitcnt vmcnt(1)
	v_fmac_f32_e32 v3, v132, v145
	s_waitcnt lgkmcnt(2)
	s_delay_alu instid0(VALU_DEP_1) | instskip(NEXT) | instid1(VALU_DEP_1)
	v_fmac_f32_e32 v3, v133, v125
	v_fmac_f32_e32 v3, v134, v126
	s_waitcnt lgkmcnt(1)
	s_delay_alu instid0(VALU_DEP_1) | instskip(SKIP_1) | instid1(VALU_DEP_1)
	v_fmac_f32_e32 v3, v135, v127
	s_waitcnt vmcnt(0)
	v_fmac_f32_e32 v3, v136, v128
	s_waitcnt lgkmcnt(0)
	s_delay_alu instid0(VALU_DEP_1) | instskip(NEXT) | instid1(VALU_DEP_1)
	v_fmac_f32_e32 v3, v137, v129
	v_sub_f32_e32 v3, v124, v3
	scratch_store_b32 off, v3, off offset:184
	v_cmpx_lt_u32_e32 45, v0
	s_cbranch_execz .LBB59_277
; %bb.276:
	scratch_load_b32 v3, off, off offset:180
	scratch_store_b32 off, v2, off offset:180
	s_waitcnt vmcnt(0)
	ds_store_b32 v1, v3
.LBB59_277:
	s_or_b32 exec_lo, exec_lo, s0
	s_waitcnt lgkmcnt(0)
	s_waitcnt_vscnt null, 0x0
	s_barrier
	buffer_gl0_inv
	s_clause 0x3
	scratch_load_b128 v[124:127], off, off offset:180
	scratch_load_b128 v[128:131], off, off offset:196
	;; [unrolled: 1-line block ×3, first 2 shown]
	scratch_load_b96 v[144:146], off, off offset:228
	ds_load_2addr_b64 v[136:139], v2 offset0:53 offset1:54
	ds_load_2addr_b64 v[140:143], v2 offset0:55 offset1:56
	s_mov_b32 s0, exec_lo
	s_waitcnt vmcnt(3) lgkmcnt(1)
	v_fma_f32 v136, v125, v136, 0
	s_delay_alu instid0(VALU_DEP_1) | instskip(NEXT) | instid1(VALU_DEP_1)
	v_fmac_f32_e32 v136, v126, v137
	v_fmac_f32_e32 v136, v127, v138
	s_waitcnt vmcnt(2)
	s_delay_alu instid0(VALU_DEP_1) | instskip(SKIP_4) | instid1(VALU_DEP_1)
	v_fmac_f32_e32 v136, v128, v139
	ds_load_2addr_b64 v[125:128], v2 offset0:57 offset1:58
	ds_load_b64 v[2:3], v2 offset:472
	s_waitcnt lgkmcnt(2)
	v_fmac_f32_e32 v136, v129, v140
	v_fmac_f32_e32 v136, v130, v141
	s_delay_alu instid0(VALU_DEP_1) | instskip(SKIP_1) | instid1(VALU_DEP_1)
	v_fmac_f32_e32 v136, v131, v142
	s_waitcnt vmcnt(1)
	v_fmac_f32_e32 v136, v132, v143
	s_waitcnt lgkmcnt(1)
	s_delay_alu instid0(VALU_DEP_1) | instskip(NEXT) | instid1(VALU_DEP_1)
	v_fmac_f32_e32 v136, v133, v125
	v_fmac_f32_e32 v136, v134, v126
	s_delay_alu instid0(VALU_DEP_1) | instskip(SKIP_1) | instid1(VALU_DEP_1)
	v_fmac_f32_e32 v136, v135, v127
	s_waitcnt vmcnt(0)
	v_fmac_f32_e32 v136, v144, v128
	s_waitcnt lgkmcnt(0)
	s_delay_alu instid0(VALU_DEP_1) | instskip(NEXT) | instid1(VALU_DEP_1)
	v_fmac_f32_e32 v136, v145, v2
	v_fmac_f32_e32 v136, v146, v3
	s_delay_alu instid0(VALU_DEP_1)
	v_sub_f32_e32 v2, v124, v136
	scratch_store_b32 off, v2, off offset:180
	v_cmpx_lt_u32_e32 44, v0
	s_cbranch_execz .LBB59_279
; %bb.278:
	scratch_load_b32 v2, off, off offset:176
	v_mov_b32_e32 v3, 0
	scratch_store_b32 off, v3, off offset:176
	s_waitcnt vmcnt(0)
	ds_store_b32 v1, v2
.LBB59_279:
	s_or_b32 exec_lo, exec_lo, s0
	s_waitcnt lgkmcnt(0)
	s_waitcnt_vscnt null, 0x0
	s_barrier
	buffer_gl0_inv
	s_clause 0x3
	scratch_load_b128 v[124:127], off, off offset:176
	scratch_load_b128 v[128:131], off, off offset:192
	;; [unrolled: 1-line block ×4, first 2 shown]
	v_mov_b32_e32 v2, 0
	ds_load_2addr_b32 v[140:141], v2 offset0:105 offset1:106
	ds_load_2addr_b32 v[142:143], v2 offset0:107 offset1:108
	;; [unrolled: 1-line block ×4, first 2 shown]
	s_mov_b32 s0, exec_lo
	s_waitcnt vmcnt(3) lgkmcnt(3)
	v_fma_f32 v3, v125, v140, 0
	s_delay_alu instid0(VALU_DEP_1) | instskip(SKIP_4) | instid1(VALU_DEP_1)
	v_fmac_f32_e32 v3, v126, v141
	ds_load_2addr_b32 v[125:126], v2 offset0:113 offset1:114
	s_waitcnt lgkmcnt(3)
	v_fmac_f32_e32 v3, v127, v142
	s_waitcnt vmcnt(2)
	v_fmac_f32_e32 v3, v128, v143
	ds_load_2addr_b32 v[127:128], v2 offset0:115 offset1:116
	s_waitcnt lgkmcnt(3)
	v_fmac_f32_e32 v3, v129, v144
	s_delay_alu instid0(VALU_DEP_1) | instskip(SKIP_1) | instid1(VALU_DEP_1)
	v_fmac_f32_e32 v3, v130, v145
	s_waitcnt lgkmcnt(2)
	v_fmac_f32_e32 v3, v131, v146
	ds_load_2addr_b32 v[129:130], v2 offset0:117 offset1:118
	ds_load_b32 v131, v2 offset:476
	s_waitcnt vmcnt(1)
	v_fmac_f32_e32 v3, v132, v147
	s_waitcnt lgkmcnt(3)
	s_delay_alu instid0(VALU_DEP_1) | instskip(NEXT) | instid1(VALU_DEP_1)
	v_fmac_f32_e32 v3, v133, v125
	v_fmac_f32_e32 v3, v134, v126
	s_waitcnt lgkmcnt(2)
	s_delay_alu instid0(VALU_DEP_1) | instskip(SKIP_1) | instid1(VALU_DEP_1)
	v_fmac_f32_e32 v3, v135, v127
	s_waitcnt vmcnt(0)
	v_fmac_f32_e32 v3, v136, v128
	s_waitcnt lgkmcnt(1)
	s_delay_alu instid0(VALU_DEP_1) | instskip(NEXT) | instid1(VALU_DEP_1)
	v_fmac_f32_e32 v3, v137, v129
	v_fmac_f32_e32 v3, v138, v130
	s_waitcnt lgkmcnt(0)
	s_delay_alu instid0(VALU_DEP_1) | instskip(NEXT) | instid1(VALU_DEP_1)
	v_fmac_f32_e32 v3, v139, v131
	v_sub_f32_e32 v3, v124, v3
	scratch_store_b32 off, v3, off offset:176
	v_cmpx_lt_u32_e32 43, v0
	s_cbranch_execz .LBB59_281
; %bb.280:
	scratch_load_b32 v3, off, off offset:172
	scratch_store_b32 off, v2, off offset:172
	s_waitcnt vmcnt(0)
	ds_store_b32 v1, v3
.LBB59_281:
	s_or_b32 exec_lo, exec_lo, s0
	s_waitcnt lgkmcnt(0)
	s_waitcnt_vscnt null, 0x0
	s_barrier
	buffer_gl0_inv
	s_clause 0x4
	scratch_load_b128 v[124:127], off, off offset:172
	scratch_load_b128 v[128:131], off, off offset:188
	;; [unrolled: 1-line block ×4, first 2 shown]
	scratch_load_b32 v3, off, off offset:236
	ds_load_b128 v[140:143], v2 offset:416
	ds_load_b128 v[144:147], v2 offset:432
	s_mov_b32 s0, exec_lo
	s_waitcnt vmcnt(4) lgkmcnt(1)
	v_fma_f32 v140, v125, v140, 0
	s_delay_alu instid0(VALU_DEP_1) | instskip(NEXT) | instid1(VALU_DEP_1)
	v_fmac_f32_e32 v140, v126, v141
	v_fmac_f32_e32 v140, v127, v142
	s_waitcnt vmcnt(3)
	s_delay_alu instid0(VALU_DEP_1) | instskip(SKIP_3) | instid1(VALU_DEP_1)
	v_fmac_f32_e32 v140, v128, v143
	ds_load_b128 v[125:128], v2 offset:448
	s_waitcnt lgkmcnt(1)
	v_fmac_f32_e32 v140, v129, v144
	v_fmac_f32_e32 v140, v130, v145
	s_delay_alu instid0(VALU_DEP_1) | instskip(SKIP_1) | instid1(VALU_DEP_1)
	v_fmac_f32_e32 v140, v131, v146
	s_waitcnt vmcnt(2)
	v_fmac_f32_e32 v140, v132, v147
	ds_load_b128 v[129:132], v2 offset:464
	s_waitcnt lgkmcnt(1)
	v_fmac_f32_e32 v140, v133, v125
	s_delay_alu instid0(VALU_DEP_1) | instskip(NEXT) | instid1(VALU_DEP_1)
	v_fmac_f32_e32 v140, v134, v126
	v_fmac_f32_e32 v140, v135, v127
	s_waitcnt vmcnt(1)
	s_delay_alu instid0(VALU_DEP_1) | instskip(SKIP_1) | instid1(VALU_DEP_1)
	v_fmac_f32_e32 v140, v136, v128
	s_waitcnt lgkmcnt(0)
	v_fmac_f32_e32 v140, v137, v129
	s_delay_alu instid0(VALU_DEP_1) | instskip(NEXT) | instid1(VALU_DEP_1)
	v_fmac_f32_e32 v140, v138, v130
	v_fmac_f32_e32 v140, v139, v131
	s_waitcnt vmcnt(0)
	s_delay_alu instid0(VALU_DEP_1) | instskip(NEXT) | instid1(VALU_DEP_1)
	v_fmac_f32_e32 v140, v3, v132
	v_sub_f32_e32 v2, v124, v140
	scratch_store_b32 off, v2, off offset:172
	v_cmpx_lt_u32_e32 42, v0
	s_cbranch_execz .LBB59_283
; %bb.282:
	scratch_load_b32 v2, off, off offset:168
	v_mov_b32_e32 v3, 0
	scratch_store_b32 off, v3, off offset:168
	s_waitcnt vmcnt(0)
	ds_store_b32 v1, v2
.LBB59_283:
	s_or_b32 exec_lo, exec_lo, s0
	s_waitcnt lgkmcnt(0)
	s_waitcnt_vscnt null, 0x0
	s_barrier
	buffer_gl0_inv
	s_clause 0x4
	scratch_load_b128 v[124:127], off, off offset:168
	scratch_load_b128 v[128:131], off, off offset:184
	;; [unrolled: 1-line block ×4, first 2 shown]
	scratch_load_b64 v[140:141], off, off offset:232
	v_mov_b32_e32 v2, 0
	ds_load_2addr_b32 v[142:143], v2 offset0:103 offset1:104
	ds_load_2addr_b32 v[144:145], v2 offset0:105 offset1:106
	;; [unrolled: 1-line block ×4, first 2 shown]
	s_mov_b32 s0, exec_lo
	s_waitcnt vmcnt(4) lgkmcnt(3)
	v_fma_f32 v3, v125, v142, 0
	s_delay_alu instid0(VALU_DEP_1) | instskip(SKIP_4) | instid1(VALU_DEP_1)
	v_fmac_f32_e32 v3, v126, v143
	ds_load_2addr_b32 v[125:126], v2 offset0:111 offset1:112
	s_waitcnt lgkmcnt(3)
	v_fmac_f32_e32 v3, v127, v144
	s_waitcnt vmcnt(3)
	v_fmac_f32_e32 v3, v128, v145
	ds_load_2addr_b32 v[127:128], v2 offset0:113 offset1:114
	s_waitcnt lgkmcnt(3)
	v_fmac_f32_e32 v3, v129, v146
	s_delay_alu instid0(VALU_DEP_1) | instskip(SKIP_1) | instid1(VALU_DEP_1)
	v_fmac_f32_e32 v3, v130, v147
	s_waitcnt lgkmcnt(2)
	v_fmac_f32_e32 v3, v131, v148
	s_waitcnt vmcnt(2)
	s_delay_alu instid0(VALU_DEP_1)
	v_fmac_f32_e32 v3, v132, v149
	ds_load_2addr_b32 v[129:130], v2 offset0:115 offset1:116
	ds_load_2addr_b32 v[131:132], v2 offset0:117 offset1:118
	s_waitcnt lgkmcnt(3)
	v_fmac_f32_e32 v3, v133, v125
	ds_load_b32 v125, v2 offset:476
	v_fmac_f32_e32 v3, v134, v126
	s_waitcnt lgkmcnt(3)
	s_delay_alu instid0(VALU_DEP_1) | instskip(SKIP_1) | instid1(VALU_DEP_1)
	v_fmac_f32_e32 v3, v135, v127
	s_waitcnt vmcnt(1)
	v_fmac_f32_e32 v3, v136, v128
	s_waitcnt lgkmcnt(2)
	s_delay_alu instid0(VALU_DEP_1) | instskip(NEXT) | instid1(VALU_DEP_1)
	v_fmac_f32_e32 v3, v137, v129
	v_fmac_f32_e32 v3, v138, v130
	s_waitcnt lgkmcnt(1)
	s_delay_alu instid0(VALU_DEP_1) | instskip(SKIP_1) | instid1(VALU_DEP_1)
	v_fmac_f32_e32 v3, v139, v131
	s_waitcnt vmcnt(0)
	v_fmac_f32_e32 v3, v140, v132
	s_waitcnt lgkmcnt(0)
	s_delay_alu instid0(VALU_DEP_1) | instskip(NEXT) | instid1(VALU_DEP_1)
	v_fmac_f32_e32 v3, v141, v125
	v_sub_f32_e32 v3, v124, v3
	scratch_store_b32 off, v3, off offset:168
	v_cmpx_lt_u32_e32 41, v0
	s_cbranch_execz .LBB59_285
; %bb.284:
	scratch_load_b32 v3, off, off offset:164
	scratch_store_b32 off, v2, off offset:164
	s_waitcnt vmcnt(0)
	ds_store_b32 v1, v3
.LBB59_285:
	s_or_b32 exec_lo, exec_lo, s0
	s_waitcnt lgkmcnt(0)
	s_waitcnt_vscnt null, 0x0
	s_barrier
	buffer_gl0_inv
	s_clause 0x4
	scratch_load_b128 v[124:127], off, off offset:164
	scratch_load_b128 v[128:131], off, off offset:180
	;; [unrolled: 1-line block ×4, first 2 shown]
	scratch_load_b96 v[148:150], off, off offset:228
	ds_load_2addr_b64 v[140:143], v2 offset0:51 offset1:52
	ds_load_2addr_b64 v[144:147], v2 offset0:53 offset1:54
	s_mov_b32 s0, exec_lo
	s_waitcnt vmcnt(4) lgkmcnt(1)
	v_fma_f32 v140, v125, v140, 0
	s_delay_alu instid0(VALU_DEP_1) | instskip(NEXT) | instid1(VALU_DEP_1)
	v_fmac_f32_e32 v140, v126, v141
	v_fmac_f32_e32 v140, v127, v142
	s_waitcnt vmcnt(3)
	s_delay_alu instid0(VALU_DEP_1) | instskip(SKIP_3) | instid1(VALU_DEP_1)
	v_fmac_f32_e32 v140, v128, v143
	ds_load_2addr_b64 v[125:128], v2 offset0:55 offset1:56
	s_waitcnt lgkmcnt(1)
	v_fmac_f32_e32 v140, v129, v144
	v_fmac_f32_e32 v140, v130, v145
	s_delay_alu instid0(VALU_DEP_1) | instskip(SKIP_1) | instid1(VALU_DEP_1)
	v_fmac_f32_e32 v140, v131, v146
	s_waitcnt vmcnt(2)
	v_fmac_f32_e32 v140, v132, v147
	ds_load_2addr_b64 v[129:132], v2 offset0:57 offset1:58
	ds_load_b64 v[2:3], v2 offset:472
	s_waitcnt lgkmcnt(2)
	v_fmac_f32_e32 v140, v133, v125
	s_delay_alu instid0(VALU_DEP_1) | instskip(NEXT) | instid1(VALU_DEP_1)
	v_fmac_f32_e32 v140, v134, v126
	v_fmac_f32_e32 v140, v135, v127
	s_waitcnt vmcnt(1)
	s_delay_alu instid0(VALU_DEP_1) | instskip(SKIP_1) | instid1(VALU_DEP_1)
	v_fmac_f32_e32 v140, v136, v128
	s_waitcnt lgkmcnt(1)
	v_fmac_f32_e32 v140, v137, v129
	s_delay_alu instid0(VALU_DEP_1) | instskip(NEXT) | instid1(VALU_DEP_1)
	v_fmac_f32_e32 v140, v138, v130
	v_fmac_f32_e32 v140, v139, v131
	s_waitcnt vmcnt(0)
	s_delay_alu instid0(VALU_DEP_1) | instskip(SKIP_1) | instid1(VALU_DEP_1)
	v_fmac_f32_e32 v140, v148, v132
	s_waitcnt lgkmcnt(0)
	v_fmac_f32_e32 v140, v149, v2
	s_delay_alu instid0(VALU_DEP_1) | instskip(NEXT) | instid1(VALU_DEP_1)
	v_fmac_f32_e32 v140, v150, v3
	v_sub_f32_e32 v2, v124, v140
	scratch_store_b32 off, v2, off offset:164
	v_cmpx_lt_u32_e32 40, v0
	s_cbranch_execz .LBB59_287
; %bb.286:
	scratch_load_b32 v2, off, off offset:160
	v_mov_b32_e32 v3, 0
	scratch_store_b32 off, v3, off offset:160
	s_waitcnt vmcnt(0)
	ds_store_b32 v1, v2
.LBB59_287:
	s_or_b32 exec_lo, exec_lo, s0
	s_waitcnt lgkmcnt(0)
	s_waitcnt_vscnt null, 0x0
	s_barrier
	buffer_gl0_inv
	s_clause 0x4
	scratch_load_b128 v[124:127], off, off offset:160
	scratch_load_b128 v[128:131], off, off offset:176
	;; [unrolled: 1-line block ×5, first 2 shown]
	v_mov_b32_e32 v2, 0
	ds_load_2addr_b32 v[144:145], v2 offset0:101 offset1:102
	ds_load_2addr_b32 v[146:147], v2 offset0:103 offset1:104
	;; [unrolled: 1-line block ×4, first 2 shown]
	s_mov_b32 s0, exec_lo
	s_waitcnt vmcnt(4) lgkmcnt(3)
	v_fma_f32 v3, v125, v144, 0
	s_delay_alu instid0(VALU_DEP_1) | instskip(SKIP_4) | instid1(VALU_DEP_1)
	v_fmac_f32_e32 v3, v126, v145
	ds_load_2addr_b32 v[125:126], v2 offset0:109 offset1:110
	s_waitcnt lgkmcnt(3)
	v_fmac_f32_e32 v3, v127, v146
	s_waitcnt vmcnt(3)
	v_fmac_f32_e32 v3, v128, v147
	ds_load_2addr_b32 v[127:128], v2 offset0:111 offset1:112
	s_waitcnt lgkmcnt(3)
	v_fmac_f32_e32 v3, v129, v148
	s_delay_alu instid0(VALU_DEP_1) | instskip(SKIP_1) | instid1(VALU_DEP_1)
	v_fmac_f32_e32 v3, v130, v149
	s_waitcnt lgkmcnt(2)
	v_fmac_f32_e32 v3, v131, v150
	s_waitcnt vmcnt(2)
	s_delay_alu instid0(VALU_DEP_1) | instskip(SKIP_4) | instid1(VALU_DEP_1)
	v_fmac_f32_e32 v3, v132, v151
	ds_load_2addr_b32 v[129:130], v2 offset0:113 offset1:114
	ds_load_2addr_b32 v[131:132], v2 offset0:115 offset1:116
	s_waitcnt lgkmcnt(3)
	v_fmac_f32_e32 v3, v133, v125
	v_fmac_f32_e32 v3, v134, v126
	ds_load_2addr_b32 v[125:126], v2 offset0:117 offset1:118
	s_waitcnt lgkmcnt(3)
	v_fmac_f32_e32 v3, v135, v127
	ds_load_b32 v127, v2 offset:476
	s_waitcnt vmcnt(1)
	v_fmac_f32_e32 v3, v136, v128
	s_waitcnt lgkmcnt(3)
	s_delay_alu instid0(VALU_DEP_1) | instskip(NEXT) | instid1(VALU_DEP_1)
	v_fmac_f32_e32 v3, v137, v129
	v_fmac_f32_e32 v3, v138, v130
	s_waitcnt lgkmcnt(2)
	s_delay_alu instid0(VALU_DEP_1) | instskip(SKIP_1) | instid1(VALU_DEP_1)
	v_fmac_f32_e32 v3, v139, v131
	s_waitcnt vmcnt(0)
	v_fmac_f32_e32 v3, v140, v132
	s_waitcnt lgkmcnt(1)
	s_delay_alu instid0(VALU_DEP_1) | instskip(NEXT) | instid1(VALU_DEP_1)
	v_fmac_f32_e32 v3, v141, v125
	v_fmac_f32_e32 v3, v142, v126
	s_waitcnt lgkmcnt(0)
	s_delay_alu instid0(VALU_DEP_1) | instskip(NEXT) | instid1(VALU_DEP_1)
	v_fmac_f32_e32 v3, v143, v127
	v_sub_f32_e32 v3, v124, v3
	scratch_store_b32 off, v3, off offset:160
	v_cmpx_lt_u32_e32 39, v0
	s_cbranch_execz .LBB59_289
; %bb.288:
	scratch_load_b32 v3, off, off offset:156
	scratch_store_b32 off, v2, off offset:156
	s_waitcnt vmcnt(0)
	ds_store_b32 v1, v3
.LBB59_289:
	s_or_b32 exec_lo, exec_lo, s0
	s_waitcnt lgkmcnt(0)
	s_waitcnt_vscnt null, 0x0
	s_barrier
	buffer_gl0_inv
	s_clause 0x5
	scratch_load_b128 v[124:127], off, off offset:156
	scratch_load_b128 v[128:131], off, off offset:172
	;; [unrolled: 1-line block ×5, first 2 shown]
	scratch_load_b32 v3, off, off offset:236
	ds_load_b128 v[144:147], v2 offset:400
	ds_load_b128 v[148:151], v2 offset:416
	s_mov_b32 s0, exec_lo
	s_waitcnt vmcnt(5) lgkmcnt(1)
	v_fma_f32 v144, v125, v144, 0
	s_delay_alu instid0(VALU_DEP_1) | instskip(NEXT) | instid1(VALU_DEP_1)
	v_fmac_f32_e32 v144, v126, v145
	v_fmac_f32_e32 v144, v127, v146
	s_waitcnt vmcnt(4)
	s_delay_alu instid0(VALU_DEP_1) | instskip(SKIP_3) | instid1(VALU_DEP_1)
	v_fmac_f32_e32 v144, v128, v147
	ds_load_b128 v[125:128], v2 offset:432
	s_waitcnt lgkmcnt(1)
	v_fmac_f32_e32 v144, v129, v148
	v_fmac_f32_e32 v144, v130, v149
	s_delay_alu instid0(VALU_DEP_1) | instskip(SKIP_1) | instid1(VALU_DEP_1)
	v_fmac_f32_e32 v144, v131, v150
	s_waitcnt vmcnt(3)
	v_fmac_f32_e32 v144, v132, v151
	ds_load_b128 v[129:132], v2 offset:448
	s_waitcnt lgkmcnt(1)
	v_fmac_f32_e32 v144, v133, v125
	s_delay_alu instid0(VALU_DEP_1) | instskip(NEXT) | instid1(VALU_DEP_1)
	v_fmac_f32_e32 v144, v134, v126
	v_fmac_f32_e32 v144, v135, v127
	s_waitcnt vmcnt(2)
	s_delay_alu instid0(VALU_DEP_1) | instskip(SKIP_3) | instid1(VALU_DEP_1)
	v_fmac_f32_e32 v144, v136, v128
	ds_load_b128 v[125:128], v2 offset:464
	s_waitcnt lgkmcnt(1)
	v_fmac_f32_e32 v144, v137, v129
	v_fmac_f32_e32 v144, v138, v130
	s_delay_alu instid0(VALU_DEP_1) | instskip(SKIP_1) | instid1(VALU_DEP_1)
	v_fmac_f32_e32 v144, v139, v131
	s_waitcnt vmcnt(1)
	v_fmac_f32_e32 v144, v140, v132
	s_waitcnt lgkmcnt(0)
	s_delay_alu instid0(VALU_DEP_1) | instskip(NEXT) | instid1(VALU_DEP_1)
	v_fmac_f32_e32 v144, v141, v125
	v_fmac_f32_e32 v144, v142, v126
	s_delay_alu instid0(VALU_DEP_1) | instskip(SKIP_1) | instid1(VALU_DEP_1)
	v_fmac_f32_e32 v144, v143, v127
	s_waitcnt vmcnt(0)
	v_fmac_f32_e32 v144, v3, v128
	s_delay_alu instid0(VALU_DEP_1)
	v_sub_f32_e32 v2, v124, v144
	scratch_store_b32 off, v2, off offset:156
	v_cmpx_lt_u32_e32 38, v0
	s_cbranch_execz .LBB59_291
; %bb.290:
	scratch_load_b32 v2, off, off offset:152
	v_mov_b32_e32 v3, 0
	scratch_store_b32 off, v3, off offset:152
	s_waitcnt vmcnt(0)
	ds_store_b32 v1, v2
.LBB59_291:
	s_or_b32 exec_lo, exec_lo, s0
	s_waitcnt lgkmcnt(0)
	s_waitcnt_vscnt null, 0x0
	s_barrier
	buffer_gl0_inv
	s_clause 0x5
	scratch_load_b128 v[124:127], off, off offset:152
	scratch_load_b128 v[128:131], off, off offset:168
	;; [unrolled: 1-line block ×5, first 2 shown]
	scratch_load_b64 v[144:145], off, off offset:232
	v_mov_b32_e32 v2, 0
	ds_load_2addr_b32 v[146:147], v2 offset0:99 offset1:100
	ds_load_2addr_b32 v[148:149], v2 offset0:101 offset1:102
	;; [unrolled: 1-line block ×4, first 2 shown]
	s_mov_b32 s0, exec_lo
	s_waitcnt vmcnt(5) lgkmcnt(3)
	v_fma_f32 v3, v125, v146, 0
	s_delay_alu instid0(VALU_DEP_1) | instskip(SKIP_4) | instid1(VALU_DEP_1)
	v_fmac_f32_e32 v3, v126, v147
	ds_load_2addr_b32 v[125:126], v2 offset0:107 offset1:108
	s_waitcnt lgkmcnt(3)
	v_fmac_f32_e32 v3, v127, v148
	s_waitcnt vmcnt(4)
	v_fmac_f32_e32 v3, v128, v149
	ds_load_2addr_b32 v[127:128], v2 offset0:109 offset1:110
	s_waitcnt lgkmcnt(3)
	v_fmac_f32_e32 v3, v129, v150
	s_delay_alu instid0(VALU_DEP_1) | instskip(SKIP_1) | instid1(VALU_DEP_1)
	v_fmac_f32_e32 v3, v130, v151
	s_waitcnt lgkmcnt(2)
	v_fmac_f32_e32 v3, v131, v152
	s_waitcnt vmcnt(3)
	s_delay_alu instid0(VALU_DEP_1) | instskip(SKIP_4) | instid1(VALU_DEP_1)
	v_fmac_f32_e32 v3, v132, v153
	ds_load_2addr_b32 v[129:130], v2 offset0:111 offset1:112
	ds_load_2addr_b32 v[131:132], v2 offset0:113 offset1:114
	s_waitcnt lgkmcnt(3)
	v_fmac_f32_e32 v3, v133, v125
	v_fmac_f32_e32 v3, v134, v126
	ds_load_2addr_b32 v[125:126], v2 offset0:115 offset1:116
	s_waitcnt lgkmcnt(3)
	v_fmac_f32_e32 v3, v135, v127
	s_waitcnt vmcnt(2)
	s_delay_alu instid0(VALU_DEP_1)
	v_fmac_f32_e32 v3, v136, v128
	ds_load_2addr_b32 v[127:128], v2 offset0:117 offset1:118
	s_waitcnt lgkmcnt(3)
	v_fmac_f32_e32 v3, v137, v129
	ds_load_b32 v129, v2 offset:476
	v_fmac_f32_e32 v3, v138, v130
	s_waitcnt lgkmcnt(3)
	s_delay_alu instid0(VALU_DEP_1) | instskip(SKIP_1) | instid1(VALU_DEP_1)
	v_fmac_f32_e32 v3, v139, v131
	s_waitcnt vmcnt(1)
	v_fmac_f32_e32 v3, v140, v132
	s_waitcnt lgkmcnt(2)
	s_delay_alu instid0(VALU_DEP_1) | instskip(NEXT) | instid1(VALU_DEP_1)
	v_fmac_f32_e32 v3, v141, v125
	v_fmac_f32_e32 v3, v142, v126
	s_waitcnt lgkmcnt(1)
	s_delay_alu instid0(VALU_DEP_1) | instskip(SKIP_1) | instid1(VALU_DEP_1)
	v_fmac_f32_e32 v3, v143, v127
	s_waitcnt vmcnt(0)
	v_fmac_f32_e32 v3, v144, v128
	s_waitcnt lgkmcnt(0)
	s_delay_alu instid0(VALU_DEP_1) | instskip(NEXT) | instid1(VALU_DEP_1)
	v_fmac_f32_e32 v3, v145, v129
	v_sub_f32_e32 v3, v124, v3
	scratch_store_b32 off, v3, off offset:152
	v_cmpx_lt_u32_e32 37, v0
	s_cbranch_execz .LBB59_293
; %bb.292:
	scratch_load_b32 v3, off, off offset:148
	scratch_store_b32 off, v2, off offset:148
	s_waitcnt vmcnt(0)
	ds_store_b32 v1, v3
.LBB59_293:
	s_or_b32 exec_lo, exec_lo, s0
	s_waitcnt lgkmcnt(0)
	s_waitcnt_vscnt null, 0x0
	s_barrier
	buffer_gl0_inv
	s_clause 0x5
	scratch_load_b128 v[124:127], off, off offset:148
	scratch_load_b128 v[128:131], off, off offset:164
	;; [unrolled: 1-line block ×5, first 2 shown]
	scratch_load_b96 v[152:154], off, off offset:228
	ds_load_2addr_b64 v[144:147], v2 offset0:49 offset1:50
	ds_load_2addr_b64 v[148:151], v2 offset0:51 offset1:52
	s_mov_b32 s0, exec_lo
	s_waitcnt vmcnt(5) lgkmcnt(1)
	v_fma_f32 v144, v125, v144, 0
	s_delay_alu instid0(VALU_DEP_1) | instskip(NEXT) | instid1(VALU_DEP_1)
	v_fmac_f32_e32 v144, v126, v145
	v_fmac_f32_e32 v144, v127, v146
	s_waitcnt vmcnt(4)
	s_delay_alu instid0(VALU_DEP_1) | instskip(SKIP_3) | instid1(VALU_DEP_1)
	v_fmac_f32_e32 v144, v128, v147
	ds_load_2addr_b64 v[125:128], v2 offset0:53 offset1:54
	s_waitcnt lgkmcnt(1)
	v_fmac_f32_e32 v144, v129, v148
	v_fmac_f32_e32 v144, v130, v149
	s_delay_alu instid0(VALU_DEP_1) | instskip(SKIP_1) | instid1(VALU_DEP_1)
	v_fmac_f32_e32 v144, v131, v150
	s_waitcnt vmcnt(3)
	v_fmac_f32_e32 v144, v132, v151
	ds_load_2addr_b64 v[129:132], v2 offset0:55 offset1:56
	s_waitcnt lgkmcnt(1)
	v_fmac_f32_e32 v144, v133, v125
	s_delay_alu instid0(VALU_DEP_1) | instskip(NEXT) | instid1(VALU_DEP_1)
	v_fmac_f32_e32 v144, v134, v126
	v_fmac_f32_e32 v144, v135, v127
	s_waitcnt vmcnt(2)
	s_delay_alu instid0(VALU_DEP_1) | instskip(SKIP_4) | instid1(VALU_DEP_1)
	v_fmac_f32_e32 v144, v136, v128
	ds_load_2addr_b64 v[125:128], v2 offset0:57 offset1:58
	ds_load_b64 v[2:3], v2 offset:472
	s_waitcnt lgkmcnt(2)
	v_fmac_f32_e32 v144, v137, v129
	v_fmac_f32_e32 v144, v138, v130
	s_delay_alu instid0(VALU_DEP_1) | instskip(SKIP_1) | instid1(VALU_DEP_1)
	v_fmac_f32_e32 v144, v139, v131
	s_waitcnt vmcnt(1)
	v_fmac_f32_e32 v144, v140, v132
	s_waitcnt lgkmcnt(1)
	s_delay_alu instid0(VALU_DEP_1) | instskip(NEXT) | instid1(VALU_DEP_1)
	v_fmac_f32_e32 v144, v141, v125
	v_fmac_f32_e32 v144, v142, v126
	s_delay_alu instid0(VALU_DEP_1) | instskip(SKIP_1) | instid1(VALU_DEP_1)
	v_fmac_f32_e32 v144, v143, v127
	s_waitcnt vmcnt(0)
	v_fmac_f32_e32 v144, v152, v128
	s_waitcnt lgkmcnt(0)
	s_delay_alu instid0(VALU_DEP_1) | instskip(NEXT) | instid1(VALU_DEP_1)
	v_fmac_f32_e32 v144, v153, v2
	v_fmac_f32_e32 v144, v154, v3
	s_delay_alu instid0(VALU_DEP_1)
	v_sub_f32_e32 v2, v124, v144
	scratch_store_b32 off, v2, off offset:148
	v_cmpx_lt_u32_e32 36, v0
	s_cbranch_execz .LBB59_295
; %bb.294:
	scratch_load_b32 v2, off, off offset:144
	v_mov_b32_e32 v3, 0
	scratch_store_b32 off, v3, off offset:144
	s_waitcnt vmcnt(0)
	ds_store_b32 v1, v2
.LBB59_295:
	s_or_b32 exec_lo, exec_lo, s0
	s_waitcnt lgkmcnt(0)
	s_waitcnt_vscnt null, 0x0
	s_barrier
	buffer_gl0_inv
	s_clause 0x5
	scratch_load_b128 v[124:127], off, off offset:144
	scratch_load_b128 v[128:131], off, off offset:160
	;; [unrolled: 1-line block ×6, first 2 shown]
	v_mov_b32_e32 v2, 0
	ds_load_2addr_b32 v[148:149], v2 offset0:97 offset1:98
	ds_load_2addr_b32 v[150:151], v2 offset0:99 offset1:100
	;; [unrolled: 1-line block ×4, first 2 shown]
	s_mov_b32 s0, exec_lo
	s_waitcnt vmcnt(5) lgkmcnt(3)
	v_fma_f32 v3, v125, v148, 0
	s_delay_alu instid0(VALU_DEP_1) | instskip(SKIP_4) | instid1(VALU_DEP_1)
	v_fmac_f32_e32 v3, v126, v149
	ds_load_2addr_b32 v[125:126], v2 offset0:105 offset1:106
	s_waitcnt lgkmcnt(3)
	v_fmac_f32_e32 v3, v127, v150
	s_waitcnt vmcnt(4)
	v_fmac_f32_e32 v3, v128, v151
	ds_load_2addr_b32 v[127:128], v2 offset0:107 offset1:108
	s_waitcnt lgkmcnt(3)
	v_fmac_f32_e32 v3, v129, v152
	s_delay_alu instid0(VALU_DEP_1) | instskip(SKIP_1) | instid1(VALU_DEP_1)
	v_fmac_f32_e32 v3, v130, v153
	s_waitcnt lgkmcnt(2)
	v_fmac_f32_e32 v3, v131, v154
	s_waitcnt vmcnt(3)
	s_delay_alu instid0(VALU_DEP_1) | instskip(SKIP_4) | instid1(VALU_DEP_1)
	v_fmac_f32_e32 v3, v132, v155
	ds_load_2addr_b32 v[129:130], v2 offset0:109 offset1:110
	ds_load_2addr_b32 v[131:132], v2 offset0:111 offset1:112
	s_waitcnt lgkmcnt(3)
	v_fmac_f32_e32 v3, v133, v125
	v_fmac_f32_e32 v3, v134, v126
	ds_load_2addr_b32 v[125:126], v2 offset0:113 offset1:114
	s_waitcnt lgkmcnt(3)
	v_fmac_f32_e32 v3, v135, v127
	s_waitcnt vmcnt(2)
	s_delay_alu instid0(VALU_DEP_1) | instskip(SKIP_3) | instid1(VALU_DEP_1)
	v_fmac_f32_e32 v3, v136, v128
	ds_load_2addr_b32 v[127:128], v2 offset0:115 offset1:116
	s_waitcnt lgkmcnt(3)
	v_fmac_f32_e32 v3, v137, v129
	v_fmac_f32_e32 v3, v138, v130
	s_waitcnt lgkmcnt(2)
	s_delay_alu instid0(VALU_DEP_1)
	v_fmac_f32_e32 v3, v139, v131
	ds_load_2addr_b32 v[129:130], v2 offset0:117 offset1:118
	ds_load_b32 v131, v2 offset:476
	s_waitcnt vmcnt(1)
	v_fmac_f32_e32 v3, v140, v132
	s_waitcnt lgkmcnt(3)
	s_delay_alu instid0(VALU_DEP_1) | instskip(NEXT) | instid1(VALU_DEP_1)
	v_fmac_f32_e32 v3, v141, v125
	v_fmac_f32_e32 v3, v142, v126
	s_waitcnt lgkmcnt(2)
	s_delay_alu instid0(VALU_DEP_1) | instskip(SKIP_1) | instid1(VALU_DEP_1)
	v_fmac_f32_e32 v3, v143, v127
	s_waitcnt vmcnt(0)
	v_fmac_f32_e32 v3, v144, v128
	s_waitcnt lgkmcnt(1)
	s_delay_alu instid0(VALU_DEP_1) | instskip(NEXT) | instid1(VALU_DEP_1)
	v_fmac_f32_e32 v3, v145, v129
	v_fmac_f32_e32 v3, v146, v130
	s_waitcnt lgkmcnt(0)
	s_delay_alu instid0(VALU_DEP_1) | instskip(NEXT) | instid1(VALU_DEP_1)
	v_fmac_f32_e32 v3, v147, v131
	v_sub_f32_e32 v3, v124, v3
	scratch_store_b32 off, v3, off offset:144
	v_cmpx_lt_u32_e32 35, v0
	s_cbranch_execz .LBB59_297
; %bb.296:
	scratch_load_b32 v3, off, off offset:140
	scratch_store_b32 off, v2, off offset:140
	s_waitcnt vmcnt(0)
	ds_store_b32 v1, v3
.LBB59_297:
	s_or_b32 exec_lo, exec_lo, s0
	s_waitcnt lgkmcnt(0)
	s_waitcnt_vscnt null, 0x0
	s_barrier
	buffer_gl0_inv
	s_clause 0x6
	scratch_load_b128 v[124:127], off, off offset:140
	scratch_load_b128 v[128:131], off, off offset:156
	;; [unrolled: 1-line block ×6, first 2 shown]
	scratch_load_b32 v3, off, off offset:236
	ds_load_b128 v[148:151], v2 offset:384
	ds_load_b128 v[152:155], v2 offset:400
	s_mov_b32 s0, exec_lo
	s_waitcnt vmcnt(6) lgkmcnt(1)
	v_fma_f32 v148, v125, v148, 0
	s_delay_alu instid0(VALU_DEP_1) | instskip(NEXT) | instid1(VALU_DEP_1)
	v_fmac_f32_e32 v148, v126, v149
	v_fmac_f32_e32 v148, v127, v150
	s_waitcnt vmcnt(5)
	s_delay_alu instid0(VALU_DEP_1) | instskip(SKIP_3) | instid1(VALU_DEP_1)
	v_fmac_f32_e32 v148, v128, v151
	ds_load_b128 v[125:128], v2 offset:416
	s_waitcnt lgkmcnt(1)
	v_fmac_f32_e32 v148, v129, v152
	v_fmac_f32_e32 v148, v130, v153
	s_delay_alu instid0(VALU_DEP_1) | instskip(SKIP_1) | instid1(VALU_DEP_1)
	v_fmac_f32_e32 v148, v131, v154
	s_waitcnt vmcnt(4)
	v_fmac_f32_e32 v148, v132, v155
	ds_load_b128 v[129:132], v2 offset:432
	s_waitcnt lgkmcnt(1)
	v_fmac_f32_e32 v148, v133, v125
	s_delay_alu instid0(VALU_DEP_1) | instskip(NEXT) | instid1(VALU_DEP_1)
	v_fmac_f32_e32 v148, v134, v126
	v_fmac_f32_e32 v148, v135, v127
	s_waitcnt vmcnt(3)
	s_delay_alu instid0(VALU_DEP_1) | instskip(SKIP_3) | instid1(VALU_DEP_1)
	v_fmac_f32_e32 v148, v136, v128
	ds_load_b128 v[125:128], v2 offset:448
	s_waitcnt lgkmcnt(1)
	v_fmac_f32_e32 v148, v137, v129
	v_fmac_f32_e32 v148, v138, v130
	s_delay_alu instid0(VALU_DEP_1) | instskip(SKIP_1) | instid1(VALU_DEP_1)
	v_fmac_f32_e32 v148, v139, v131
	s_waitcnt vmcnt(2)
	v_fmac_f32_e32 v148, v140, v132
	ds_load_b128 v[129:132], v2 offset:464
	s_waitcnt lgkmcnt(1)
	v_fmac_f32_e32 v148, v141, v125
	s_delay_alu instid0(VALU_DEP_1) | instskip(NEXT) | instid1(VALU_DEP_1)
	v_fmac_f32_e32 v148, v142, v126
	v_fmac_f32_e32 v148, v143, v127
	s_waitcnt vmcnt(1)
	s_delay_alu instid0(VALU_DEP_1) | instskip(SKIP_1) | instid1(VALU_DEP_1)
	v_fmac_f32_e32 v148, v144, v128
	s_waitcnt lgkmcnt(0)
	v_fmac_f32_e32 v148, v145, v129
	s_delay_alu instid0(VALU_DEP_1) | instskip(NEXT) | instid1(VALU_DEP_1)
	v_fmac_f32_e32 v148, v146, v130
	v_fmac_f32_e32 v148, v147, v131
	s_waitcnt vmcnt(0)
	s_delay_alu instid0(VALU_DEP_1) | instskip(NEXT) | instid1(VALU_DEP_1)
	v_fmac_f32_e32 v148, v3, v132
	v_sub_f32_e32 v2, v124, v148
	scratch_store_b32 off, v2, off offset:140
	v_cmpx_lt_u32_e32 34, v0
	s_cbranch_execz .LBB59_299
; %bb.298:
	scratch_load_b32 v2, off, off offset:136
	v_mov_b32_e32 v3, 0
	scratch_store_b32 off, v3, off offset:136
	s_waitcnt vmcnt(0)
	ds_store_b32 v1, v2
.LBB59_299:
	s_or_b32 exec_lo, exec_lo, s0
	s_waitcnt lgkmcnt(0)
	s_waitcnt_vscnt null, 0x0
	s_barrier
	buffer_gl0_inv
	s_clause 0x6
	scratch_load_b128 v[124:127], off, off offset:136
	scratch_load_b128 v[128:131], off, off offset:152
	;; [unrolled: 1-line block ×6, first 2 shown]
	scratch_load_b64 v[148:149], off, off offset:232
	v_mov_b32_e32 v2, 0
	ds_load_2addr_b32 v[150:151], v2 offset0:95 offset1:96
	ds_load_2addr_b32 v[152:153], v2 offset0:97 offset1:98
	;; [unrolled: 1-line block ×4, first 2 shown]
	s_mov_b32 s0, exec_lo
	s_waitcnt vmcnt(6) lgkmcnt(3)
	v_fma_f32 v3, v125, v150, 0
	s_delay_alu instid0(VALU_DEP_1) | instskip(SKIP_4) | instid1(VALU_DEP_1)
	v_fmac_f32_e32 v3, v126, v151
	ds_load_2addr_b32 v[125:126], v2 offset0:103 offset1:104
	s_waitcnt lgkmcnt(3)
	v_fmac_f32_e32 v3, v127, v152
	s_waitcnt vmcnt(5)
	v_fmac_f32_e32 v3, v128, v153
	ds_load_2addr_b32 v[127:128], v2 offset0:105 offset1:106
	s_waitcnt lgkmcnt(3)
	v_fmac_f32_e32 v3, v129, v154
	s_delay_alu instid0(VALU_DEP_1) | instskip(SKIP_1) | instid1(VALU_DEP_1)
	v_fmac_f32_e32 v3, v130, v155
	s_waitcnt lgkmcnt(2)
	v_fmac_f32_e32 v3, v131, v156
	s_waitcnt vmcnt(4)
	s_delay_alu instid0(VALU_DEP_1) | instskip(SKIP_4) | instid1(VALU_DEP_1)
	v_fmac_f32_e32 v3, v132, v157
	ds_load_2addr_b32 v[129:130], v2 offset0:107 offset1:108
	ds_load_2addr_b32 v[131:132], v2 offset0:109 offset1:110
	s_waitcnt lgkmcnt(3)
	v_fmac_f32_e32 v3, v133, v125
	v_fmac_f32_e32 v3, v134, v126
	ds_load_2addr_b32 v[125:126], v2 offset0:111 offset1:112
	s_waitcnt lgkmcnt(3)
	v_fmac_f32_e32 v3, v135, v127
	s_waitcnt vmcnt(3)
	s_delay_alu instid0(VALU_DEP_1) | instskip(SKIP_3) | instid1(VALU_DEP_1)
	v_fmac_f32_e32 v3, v136, v128
	ds_load_2addr_b32 v[127:128], v2 offset0:113 offset1:114
	s_waitcnt lgkmcnt(3)
	v_fmac_f32_e32 v3, v137, v129
	v_fmac_f32_e32 v3, v138, v130
	s_waitcnt lgkmcnt(2)
	s_delay_alu instid0(VALU_DEP_1) | instskip(SKIP_1) | instid1(VALU_DEP_1)
	v_fmac_f32_e32 v3, v139, v131
	s_waitcnt vmcnt(2)
	v_fmac_f32_e32 v3, v140, v132
	ds_load_2addr_b32 v[129:130], v2 offset0:115 offset1:116
	ds_load_2addr_b32 v[131:132], v2 offset0:117 offset1:118
	s_waitcnt lgkmcnt(3)
	v_fmac_f32_e32 v3, v141, v125
	ds_load_b32 v125, v2 offset:476
	v_fmac_f32_e32 v3, v142, v126
	s_waitcnt lgkmcnt(3)
	s_delay_alu instid0(VALU_DEP_1) | instskip(SKIP_1) | instid1(VALU_DEP_1)
	v_fmac_f32_e32 v3, v143, v127
	s_waitcnt vmcnt(1)
	v_fmac_f32_e32 v3, v144, v128
	s_waitcnt lgkmcnt(2)
	s_delay_alu instid0(VALU_DEP_1) | instskip(NEXT) | instid1(VALU_DEP_1)
	v_fmac_f32_e32 v3, v145, v129
	v_fmac_f32_e32 v3, v146, v130
	s_waitcnt lgkmcnt(1)
	s_delay_alu instid0(VALU_DEP_1) | instskip(SKIP_1) | instid1(VALU_DEP_1)
	v_fmac_f32_e32 v3, v147, v131
	s_waitcnt vmcnt(0)
	v_fmac_f32_e32 v3, v148, v132
	s_waitcnt lgkmcnt(0)
	s_delay_alu instid0(VALU_DEP_1) | instskip(NEXT) | instid1(VALU_DEP_1)
	v_fmac_f32_e32 v3, v149, v125
	v_sub_f32_e32 v3, v124, v3
	scratch_store_b32 off, v3, off offset:136
	v_cmpx_lt_u32_e32 33, v0
	s_cbranch_execz .LBB59_301
; %bb.300:
	scratch_load_b32 v3, off, off offset:132
	scratch_store_b32 off, v2, off offset:132
	s_waitcnt vmcnt(0)
	ds_store_b32 v1, v3
.LBB59_301:
	s_or_b32 exec_lo, exec_lo, s0
	s_waitcnt lgkmcnt(0)
	s_waitcnt_vscnt null, 0x0
	s_barrier
	buffer_gl0_inv
	s_clause 0x6
	scratch_load_b128 v[124:127], off, off offset:132
	scratch_load_b128 v[128:131], off, off offset:148
	;; [unrolled: 1-line block ×6, first 2 shown]
	scratch_load_b96 v[156:158], off, off offset:228
	ds_load_2addr_b64 v[148:151], v2 offset0:47 offset1:48
	ds_load_2addr_b64 v[152:155], v2 offset0:49 offset1:50
	s_mov_b32 s0, exec_lo
	s_waitcnt vmcnt(6) lgkmcnt(1)
	v_fma_f32 v148, v125, v148, 0
	s_delay_alu instid0(VALU_DEP_1) | instskip(NEXT) | instid1(VALU_DEP_1)
	v_fmac_f32_e32 v148, v126, v149
	v_fmac_f32_e32 v148, v127, v150
	s_waitcnt vmcnt(5)
	s_delay_alu instid0(VALU_DEP_1) | instskip(SKIP_3) | instid1(VALU_DEP_1)
	v_fmac_f32_e32 v148, v128, v151
	ds_load_2addr_b64 v[125:128], v2 offset0:51 offset1:52
	s_waitcnt lgkmcnt(1)
	v_fmac_f32_e32 v148, v129, v152
	v_fmac_f32_e32 v148, v130, v153
	s_delay_alu instid0(VALU_DEP_1) | instskip(SKIP_1) | instid1(VALU_DEP_1)
	v_fmac_f32_e32 v148, v131, v154
	s_waitcnt vmcnt(4)
	v_fmac_f32_e32 v148, v132, v155
	ds_load_2addr_b64 v[129:132], v2 offset0:53 offset1:54
	s_waitcnt lgkmcnt(1)
	v_fmac_f32_e32 v148, v133, v125
	s_delay_alu instid0(VALU_DEP_1) | instskip(NEXT) | instid1(VALU_DEP_1)
	v_fmac_f32_e32 v148, v134, v126
	v_fmac_f32_e32 v148, v135, v127
	s_waitcnt vmcnt(3)
	s_delay_alu instid0(VALU_DEP_1) | instskip(SKIP_3) | instid1(VALU_DEP_1)
	v_fmac_f32_e32 v148, v136, v128
	ds_load_2addr_b64 v[125:128], v2 offset0:55 offset1:56
	s_waitcnt lgkmcnt(1)
	v_fmac_f32_e32 v148, v137, v129
	v_fmac_f32_e32 v148, v138, v130
	s_delay_alu instid0(VALU_DEP_1) | instskip(SKIP_1) | instid1(VALU_DEP_1)
	v_fmac_f32_e32 v148, v139, v131
	s_waitcnt vmcnt(2)
	v_fmac_f32_e32 v148, v140, v132
	ds_load_2addr_b64 v[129:132], v2 offset0:57 offset1:58
	ds_load_b64 v[2:3], v2 offset:472
	s_waitcnt lgkmcnt(2)
	v_fmac_f32_e32 v148, v141, v125
	s_delay_alu instid0(VALU_DEP_1) | instskip(NEXT) | instid1(VALU_DEP_1)
	v_fmac_f32_e32 v148, v142, v126
	v_fmac_f32_e32 v148, v143, v127
	s_waitcnt vmcnt(1)
	s_delay_alu instid0(VALU_DEP_1) | instskip(SKIP_1) | instid1(VALU_DEP_1)
	v_fmac_f32_e32 v148, v144, v128
	s_waitcnt lgkmcnt(1)
	v_fmac_f32_e32 v148, v145, v129
	s_delay_alu instid0(VALU_DEP_1) | instskip(NEXT) | instid1(VALU_DEP_1)
	v_fmac_f32_e32 v148, v146, v130
	v_fmac_f32_e32 v148, v147, v131
	s_waitcnt vmcnt(0)
	s_delay_alu instid0(VALU_DEP_1) | instskip(SKIP_1) | instid1(VALU_DEP_1)
	v_fmac_f32_e32 v148, v156, v132
	s_waitcnt lgkmcnt(0)
	v_fmac_f32_e32 v148, v157, v2
	s_delay_alu instid0(VALU_DEP_1) | instskip(NEXT) | instid1(VALU_DEP_1)
	v_fmac_f32_e32 v148, v158, v3
	v_sub_f32_e32 v2, v124, v148
	scratch_store_b32 off, v2, off offset:132
	v_cmpx_lt_u32_e32 32, v0
	s_cbranch_execz .LBB59_303
; %bb.302:
	scratch_load_b32 v2, off, off offset:128
	v_mov_b32_e32 v3, 0
	scratch_store_b32 off, v3, off offset:128
	s_waitcnt vmcnt(0)
	ds_store_b32 v1, v2
.LBB59_303:
	s_or_b32 exec_lo, exec_lo, s0
	s_waitcnt lgkmcnt(0)
	s_waitcnt_vscnt null, 0x0
	s_barrier
	buffer_gl0_inv
	s_clause 0x6
	scratch_load_b128 v[124:127], off, off offset:128
	scratch_load_b128 v[128:131], off, off offset:144
	;; [unrolled: 1-line block ×7, first 2 shown]
	v_mov_b32_e32 v2, 0
	ds_load_2addr_b32 v[152:153], v2 offset0:93 offset1:94
	ds_load_2addr_b32 v[154:155], v2 offset0:95 offset1:96
	;; [unrolled: 1-line block ×4, first 2 shown]
	s_mov_b32 s0, exec_lo
	s_waitcnt vmcnt(6) lgkmcnt(3)
	v_fma_f32 v3, v125, v152, 0
	s_delay_alu instid0(VALU_DEP_1) | instskip(SKIP_4) | instid1(VALU_DEP_1)
	v_fmac_f32_e32 v3, v126, v153
	ds_load_2addr_b32 v[125:126], v2 offset0:101 offset1:102
	s_waitcnt lgkmcnt(3)
	v_fmac_f32_e32 v3, v127, v154
	s_waitcnt vmcnt(5)
	v_fmac_f32_e32 v3, v128, v155
	ds_load_2addr_b32 v[127:128], v2 offset0:103 offset1:104
	s_waitcnt lgkmcnt(3)
	v_fmac_f32_e32 v3, v129, v156
	s_delay_alu instid0(VALU_DEP_1) | instskip(SKIP_1) | instid1(VALU_DEP_1)
	v_fmac_f32_e32 v3, v130, v157
	s_waitcnt lgkmcnt(2)
	v_fmac_f32_e32 v3, v131, v158
	s_waitcnt vmcnt(4)
	s_delay_alu instid0(VALU_DEP_1) | instskip(SKIP_4) | instid1(VALU_DEP_1)
	v_fmac_f32_e32 v3, v132, v159
	ds_load_2addr_b32 v[129:130], v2 offset0:105 offset1:106
	ds_load_2addr_b32 v[131:132], v2 offset0:107 offset1:108
	s_waitcnt lgkmcnt(3)
	v_fmac_f32_e32 v3, v133, v125
	v_fmac_f32_e32 v3, v134, v126
	ds_load_2addr_b32 v[125:126], v2 offset0:109 offset1:110
	s_waitcnt lgkmcnt(3)
	v_fmac_f32_e32 v3, v135, v127
	s_waitcnt vmcnt(3)
	s_delay_alu instid0(VALU_DEP_1) | instskip(SKIP_3) | instid1(VALU_DEP_1)
	v_fmac_f32_e32 v3, v136, v128
	ds_load_2addr_b32 v[127:128], v2 offset0:111 offset1:112
	s_waitcnt lgkmcnt(3)
	v_fmac_f32_e32 v3, v137, v129
	v_fmac_f32_e32 v3, v138, v130
	s_waitcnt lgkmcnt(2)
	s_delay_alu instid0(VALU_DEP_1) | instskip(SKIP_1) | instid1(VALU_DEP_1)
	v_fmac_f32_e32 v3, v139, v131
	s_waitcnt vmcnt(2)
	v_fmac_f32_e32 v3, v140, v132
	ds_load_2addr_b32 v[129:130], v2 offset0:113 offset1:114
	ds_load_2addr_b32 v[131:132], v2 offset0:115 offset1:116
	s_waitcnt lgkmcnt(3)
	v_fmac_f32_e32 v3, v141, v125
	s_delay_alu instid0(VALU_DEP_1)
	v_fmac_f32_e32 v3, v142, v126
	ds_load_2addr_b32 v[125:126], v2 offset0:117 offset1:118
	s_waitcnt lgkmcnt(3)
	v_fmac_f32_e32 v3, v143, v127
	ds_load_b32 v127, v2 offset:476
	s_waitcnt vmcnt(1)
	v_fmac_f32_e32 v3, v144, v128
	s_waitcnt lgkmcnt(3)
	s_delay_alu instid0(VALU_DEP_1) | instskip(NEXT) | instid1(VALU_DEP_1)
	v_fmac_f32_e32 v3, v145, v129
	v_fmac_f32_e32 v3, v146, v130
	s_waitcnt lgkmcnt(2)
	s_delay_alu instid0(VALU_DEP_1) | instskip(SKIP_1) | instid1(VALU_DEP_1)
	v_fmac_f32_e32 v3, v147, v131
	s_waitcnt vmcnt(0)
	v_fmac_f32_e32 v3, v148, v132
	s_waitcnt lgkmcnt(1)
	s_delay_alu instid0(VALU_DEP_1) | instskip(NEXT) | instid1(VALU_DEP_1)
	v_fmac_f32_e32 v3, v149, v125
	v_fmac_f32_e32 v3, v150, v126
	s_waitcnt lgkmcnt(0)
	s_delay_alu instid0(VALU_DEP_1) | instskip(NEXT) | instid1(VALU_DEP_1)
	v_fmac_f32_e32 v3, v151, v127
	v_sub_f32_e32 v3, v124, v3
	scratch_store_b32 off, v3, off offset:128
	v_cmpx_lt_u32_e32 31, v0
	s_cbranch_execz .LBB59_305
; %bb.304:
	scratch_load_b32 v3, off, off offset:124
	scratch_store_b32 off, v2, off offset:124
	s_waitcnt vmcnt(0)
	ds_store_b32 v1, v3
.LBB59_305:
	s_or_b32 exec_lo, exec_lo, s0
	s_waitcnt lgkmcnt(0)
	s_waitcnt_vscnt null, 0x0
	s_barrier
	buffer_gl0_inv
	s_clause 0x7
	scratch_load_b128 v[124:127], off, off offset:124
	scratch_load_b128 v[128:131], off, off offset:140
	;; [unrolled: 1-line block ×7, first 2 shown]
	scratch_load_b32 v3, off, off offset:236
	ds_load_b128 v[152:155], v2 offset:368
	ds_load_b128 v[156:159], v2 offset:384
	s_mov_b32 s0, exec_lo
	s_waitcnt vmcnt(7) lgkmcnt(1)
	v_fma_f32 v152, v125, v152, 0
	s_delay_alu instid0(VALU_DEP_1) | instskip(NEXT) | instid1(VALU_DEP_1)
	v_fmac_f32_e32 v152, v126, v153
	v_fmac_f32_e32 v152, v127, v154
	s_waitcnt vmcnt(6)
	s_delay_alu instid0(VALU_DEP_1) | instskip(SKIP_3) | instid1(VALU_DEP_1)
	v_fmac_f32_e32 v152, v128, v155
	ds_load_b128 v[125:128], v2 offset:400
	s_waitcnt lgkmcnt(1)
	v_fmac_f32_e32 v152, v129, v156
	v_fmac_f32_e32 v152, v130, v157
	s_delay_alu instid0(VALU_DEP_1) | instskip(SKIP_1) | instid1(VALU_DEP_1)
	v_fmac_f32_e32 v152, v131, v158
	s_waitcnt vmcnt(5)
	v_fmac_f32_e32 v152, v132, v159
	ds_load_b128 v[129:132], v2 offset:416
	s_waitcnt lgkmcnt(1)
	v_fmac_f32_e32 v152, v133, v125
	s_delay_alu instid0(VALU_DEP_1) | instskip(NEXT) | instid1(VALU_DEP_1)
	v_fmac_f32_e32 v152, v134, v126
	v_fmac_f32_e32 v152, v135, v127
	s_waitcnt vmcnt(4)
	s_delay_alu instid0(VALU_DEP_1) | instskip(SKIP_3) | instid1(VALU_DEP_1)
	v_fmac_f32_e32 v152, v136, v128
	ds_load_b128 v[125:128], v2 offset:432
	s_waitcnt lgkmcnt(1)
	v_fmac_f32_e32 v152, v137, v129
	v_fmac_f32_e32 v152, v138, v130
	s_delay_alu instid0(VALU_DEP_1) | instskip(SKIP_1) | instid1(VALU_DEP_1)
	v_fmac_f32_e32 v152, v139, v131
	s_waitcnt vmcnt(3)
	v_fmac_f32_e32 v152, v140, v132
	ds_load_b128 v[129:132], v2 offset:448
	s_waitcnt lgkmcnt(1)
	v_fmac_f32_e32 v152, v141, v125
	s_delay_alu instid0(VALU_DEP_1) | instskip(NEXT) | instid1(VALU_DEP_1)
	v_fmac_f32_e32 v152, v142, v126
	v_fmac_f32_e32 v152, v143, v127
	s_waitcnt vmcnt(2)
	s_delay_alu instid0(VALU_DEP_1) | instskip(SKIP_3) | instid1(VALU_DEP_1)
	v_fmac_f32_e32 v152, v144, v128
	ds_load_b128 v[125:128], v2 offset:464
	s_waitcnt lgkmcnt(1)
	v_fmac_f32_e32 v152, v145, v129
	v_fmac_f32_e32 v152, v146, v130
	s_delay_alu instid0(VALU_DEP_1) | instskip(SKIP_1) | instid1(VALU_DEP_1)
	v_fmac_f32_e32 v152, v147, v131
	s_waitcnt vmcnt(1)
	v_fmac_f32_e32 v152, v148, v132
	s_waitcnt lgkmcnt(0)
	s_delay_alu instid0(VALU_DEP_1) | instskip(NEXT) | instid1(VALU_DEP_1)
	v_fmac_f32_e32 v152, v149, v125
	v_fmac_f32_e32 v152, v150, v126
	s_delay_alu instid0(VALU_DEP_1) | instskip(SKIP_1) | instid1(VALU_DEP_1)
	v_fmac_f32_e32 v152, v151, v127
	s_waitcnt vmcnt(0)
	v_fmac_f32_e32 v152, v3, v128
	s_delay_alu instid0(VALU_DEP_1)
	v_sub_f32_e32 v2, v124, v152
	scratch_store_b32 off, v2, off offset:124
	v_cmpx_lt_u32_e32 30, v0
	s_cbranch_execz .LBB59_307
; %bb.306:
	scratch_load_b32 v2, off, off offset:120
	v_mov_b32_e32 v3, 0
	scratch_store_b32 off, v3, off offset:120
	s_waitcnt vmcnt(0)
	ds_store_b32 v1, v2
.LBB59_307:
	s_or_b32 exec_lo, exec_lo, s0
	s_waitcnt lgkmcnt(0)
	s_waitcnt_vscnt null, 0x0
	s_barrier
	buffer_gl0_inv
	s_clause 0x7
	scratch_load_b128 v[124:127], off, off offset:120
	scratch_load_b128 v[128:131], off, off offset:136
	;; [unrolled: 1-line block ×7, first 2 shown]
	scratch_load_b64 v[152:153], off, off offset:232
	v_mov_b32_e32 v2, 0
	ds_load_2addr_b32 v[154:155], v2 offset0:91 offset1:92
	ds_load_2addr_b32 v[156:157], v2 offset0:93 offset1:94
	;; [unrolled: 1-line block ×4, first 2 shown]
	s_mov_b32 s0, exec_lo
	s_waitcnt vmcnt(7) lgkmcnt(3)
	v_fma_f32 v3, v125, v154, 0
	s_delay_alu instid0(VALU_DEP_1) | instskip(SKIP_4) | instid1(VALU_DEP_1)
	v_fmac_f32_e32 v3, v126, v155
	ds_load_2addr_b32 v[125:126], v2 offset0:99 offset1:100
	s_waitcnt lgkmcnt(3)
	v_fmac_f32_e32 v3, v127, v156
	s_waitcnt vmcnt(6)
	v_fmac_f32_e32 v3, v128, v157
	ds_load_2addr_b32 v[127:128], v2 offset0:101 offset1:102
	s_waitcnt lgkmcnt(3)
	v_fmac_f32_e32 v3, v129, v158
	s_delay_alu instid0(VALU_DEP_1) | instskip(SKIP_1) | instid1(VALU_DEP_1)
	v_fmac_f32_e32 v3, v130, v159
	s_waitcnt lgkmcnt(2)
	v_fmac_f32_e32 v3, v131, v160
	s_waitcnt vmcnt(5)
	s_delay_alu instid0(VALU_DEP_1) | instskip(SKIP_4) | instid1(VALU_DEP_1)
	v_fmac_f32_e32 v3, v132, v161
	ds_load_2addr_b32 v[129:130], v2 offset0:103 offset1:104
	ds_load_2addr_b32 v[131:132], v2 offset0:105 offset1:106
	s_waitcnt lgkmcnt(3)
	v_fmac_f32_e32 v3, v133, v125
	v_fmac_f32_e32 v3, v134, v126
	ds_load_2addr_b32 v[125:126], v2 offset0:107 offset1:108
	s_waitcnt lgkmcnt(3)
	v_fmac_f32_e32 v3, v135, v127
	s_waitcnt vmcnt(4)
	s_delay_alu instid0(VALU_DEP_1) | instskip(SKIP_3) | instid1(VALU_DEP_1)
	v_fmac_f32_e32 v3, v136, v128
	ds_load_2addr_b32 v[127:128], v2 offset0:109 offset1:110
	s_waitcnt lgkmcnt(3)
	v_fmac_f32_e32 v3, v137, v129
	v_fmac_f32_e32 v3, v138, v130
	s_waitcnt lgkmcnt(2)
	s_delay_alu instid0(VALU_DEP_1) | instskip(SKIP_1) | instid1(VALU_DEP_1)
	v_fmac_f32_e32 v3, v139, v131
	s_waitcnt vmcnt(3)
	v_fmac_f32_e32 v3, v140, v132
	ds_load_2addr_b32 v[129:130], v2 offset0:111 offset1:112
	ds_load_2addr_b32 v[131:132], v2 offset0:113 offset1:114
	s_waitcnt lgkmcnt(3)
	v_fmac_f32_e32 v3, v141, v125
	s_delay_alu instid0(VALU_DEP_1) | instskip(SKIP_4) | instid1(VALU_DEP_1)
	v_fmac_f32_e32 v3, v142, v126
	ds_load_2addr_b32 v[125:126], v2 offset0:115 offset1:116
	s_waitcnt lgkmcnt(3)
	v_fmac_f32_e32 v3, v143, v127
	s_waitcnt vmcnt(2)
	v_fmac_f32_e32 v3, v144, v128
	ds_load_2addr_b32 v[127:128], v2 offset0:117 offset1:118
	s_waitcnt lgkmcnt(3)
	v_fmac_f32_e32 v3, v145, v129
	ds_load_b32 v129, v2 offset:476
	v_fmac_f32_e32 v3, v146, v130
	s_waitcnt lgkmcnt(3)
	s_delay_alu instid0(VALU_DEP_1) | instskip(SKIP_1) | instid1(VALU_DEP_1)
	v_fmac_f32_e32 v3, v147, v131
	s_waitcnt vmcnt(1)
	v_fmac_f32_e32 v3, v148, v132
	s_waitcnt lgkmcnt(2)
	s_delay_alu instid0(VALU_DEP_1) | instskip(NEXT) | instid1(VALU_DEP_1)
	v_fmac_f32_e32 v3, v149, v125
	v_fmac_f32_e32 v3, v150, v126
	s_waitcnt lgkmcnt(1)
	s_delay_alu instid0(VALU_DEP_1) | instskip(SKIP_1) | instid1(VALU_DEP_1)
	v_fmac_f32_e32 v3, v151, v127
	s_waitcnt vmcnt(0)
	v_fmac_f32_e32 v3, v152, v128
	s_waitcnt lgkmcnt(0)
	s_delay_alu instid0(VALU_DEP_1) | instskip(NEXT) | instid1(VALU_DEP_1)
	v_fmac_f32_e32 v3, v153, v129
	v_sub_f32_e32 v3, v124, v3
	scratch_store_b32 off, v3, off offset:120
	v_cmpx_lt_u32_e32 29, v0
	s_cbranch_execz .LBB59_309
; %bb.308:
	scratch_load_b32 v3, off, off offset:116
	scratch_store_b32 off, v2, off offset:116
	s_waitcnt vmcnt(0)
	ds_store_b32 v1, v3
.LBB59_309:
	s_or_b32 exec_lo, exec_lo, s0
	s_waitcnt lgkmcnt(0)
	s_waitcnt_vscnt null, 0x0
	s_barrier
	buffer_gl0_inv
	s_clause 0x7
	scratch_load_b128 v[124:127], off, off offset:116
	scratch_load_b128 v[128:131], off, off offset:132
	;; [unrolled: 1-line block ×7, first 2 shown]
	scratch_load_b96 v[160:162], off, off offset:228
	ds_load_2addr_b64 v[152:155], v2 offset0:45 offset1:46
	ds_load_2addr_b64 v[156:159], v2 offset0:47 offset1:48
	s_mov_b32 s0, exec_lo
	s_waitcnt vmcnt(7) lgkmcnt(1)
	v_fma_f32 v152, v125, v152, 0
	s_delay_alu instid0(VALU_DEP_1) | instskip(NEXT) | instid1(VALU_DEP_1)
	v_fmac_f32_e32 v152, v126, v153
	v_fmac_f32_e32 v152, v127, v154
	s_waitcnt vmcnt(6)
	s_delay_alu instid0(VALU_DEP_1) | instskip(SKIP_3) | instid1(VALU_DEP_1)
	v_fmac_f32_e32 v152, v128, v155
	ds_load_2addr_b64 v[125:128], v2 offset0:49 offset1:50
	s_waitcnt lgkmcnt(1)
	v_fmac_f32_e32 v152, v129, v156
	v_fmac_f32_e32 v152, v130, v157
	s_delay_alu instid0(VALU_DEP_1) | instskip(SKIP_1) | instid1(VALU_DEP_1)
	v_fmac_f32_e32 v152, v131, v158
	s_waitcnt vmcnt(5)
	v_fmac_f32_e32 v152, v132, v159
	ds_load_2addr_b64 v[129:132], v2 offset0:51 offset1:52
	s_waitcnt lgkmcnt(1)
	v_fmac_f32_e32 v152, v133, v125
	s_delay_alu instid0(VALU_DEP_1) | instskip(NEXT) | instid1(VALU_DEP_1)
	v_fmac_f32_e32 v152, v134, v126
	v_fmac_f32_e32 v152, v135, v127
	s_waitcnt vmcnt(4)
	s_delay_alu instid0(VALU_DEP_1) | instskip(SKIP_3) | instid1(VALU_DEP_1)
	v_fmac_f32_e32 v152, v136, v128
	ds_load_2addr_b64 v[125:128], v2 offset0:53 offset1:54
	s_waitcnt lgkmcnt(1)
	v_fmac_f32_e32 v152, v137, v129
	v_fmac_f32_e32 v152, v138, v130
	s_delay_alu instid0(VALU_DEP_1) | instskip(SKIP_1) | instid1(VALU_DEP_1)
	v_fmac_f32_e32 v152, v139, v131
	s_waitcnt vmcnt(3)
	v_fmac_f32_e32 v152, v140, v132
	ds_load_2addr_b64 v[129:132], v2 offset0:55 offset1:56
	s_waitcnt lgkmcnt(1)
	v_fmac_f32_e32 v152, v141, v125
	s_delay_alu instid0(VALU_DEP_1) | instskip(NEXT) | instid1(VALU_DEP_1)
	v_fmac_f32_e32 v152, v142, v126
	v_fmac_f32_e32 v152, v143, v127
	s_waitcnt vmcnt(2)
	s_delay_alu instid0(VALU_DEP_1) | instskip(SKIP_4) | instid1(VALU_DEP_1)
	v_fmac_f32_e32 v152, v144, v128
	ds_load_2addr_b64 v[125:128], v2 offset0:57 offset1:58
	ds_load_b64 v[2:3], v2 offset:472
	s_waitcnt lgkmcnt(2)
	v_fmac_f32_e32 v152, v145, v129
	v_fmac_f32_e32 v152, v146, v130
	s_delay_alu instid0(VALU_DEP_1) | instskip(SKIP_1) | instid1(VALU_DEP_1)
	v_fmac_f32_e32 v152, v147, v131
	s_waitcnt vmcnt(1)
	v_fmac_f32_e32 v152, v148, v132
	s_waitcnt lgkmcnt(1)
	s_delay_alu instid0(VALU_DEP_1) | instskip(NEXT) | instid1(VALU_DEP_1)
	v_fmac_f32_e32 v152, v149, v125
	v_fmac_f32_e32 v152, v150, v126
	s_delay_alu instid0(VALU_DEP_1) | instskip(SKIP_1) | instid1(VALU_DEP_1)
	v_fmac_f32_e32 v152, v151, v127
	s_waitcnt vmcnt(0)
	v_fmac_f32_e32 v152, v160, v128
	s_waitcnt lgkmcnt(0)
	s_delay_alu instid0(VALU_DEP_1) | instskip(NEXT) | instid1(VALU_DEP_1)
	v_fmac_f32_e32 v152, v161, v2
	v_fmac_f32_e32 v152, v162, v3
	s_delay_alu instid0(VALU_DEP_1)
	v_sub_f32_e32 v2, v124, v152
	scratch_store_b32 off, v2, off offset:116
	v_cmpx_lt_u32_e32 28, v0
	s_cbranch_execz .LBB59_311
; %bb.310:
	scratch_load_b32 v2, off, off offset:112
	v_mov_b32_e32 v3, 0
	scratch_store_b32 off, v3, off offset:112
	s_waitcnt vmcnt(0)
	ds_store_b32 v1, v2
.LBB59_311:
	s_or_b32 exec_lo, exec_lo, s0
	s_waitcnt lgkmcnt(0)
	s_waitcnt_vscnt null, 0x0
	s_barrier
	buffer_gl0_inv
	s_clause 0x7
	scratch_load_b128 v[124:127], off, off offset:112
	scratch_load_b128 v[128:131], off, off offset:128
	scratch_load_b128 v[132:135], off, off offset:144
	scratch_load_b128 v[136:139], off, off offset:160
	scratch_load_b128 v[140:143], off, off offset:176
	scratch_load_b128 v[144:147], off, off offset:192
	scratch_load_b128 v[148:151], off, off offset:208
	scratch_load_b128 v[152:155], off, off offset:224
	v_mov_b32_e32 v2, 0
	ds_load_2addr_b32 v[156:157], v2 offset0:89 offset1:90
	ds_load_2addr_b32 v[158:159], v2 offset0:91 offset1:92
	;; [unrolled: 1-line block ×4, first 2 shown]
	s_mov_b32 s0, exec_lo
	s_waitcnt vmcnt(7) lgkmcnt(3)
	v_fma_f32 v3, v125, v156, 0
	s_delay_alu instid0(VALU_DEP_1) | instskip(SKIP_4) | instid1(VALU_DEP_1)
	v_fmac_f32_e32 v3, v126, v157
	ds_load_2addr_b32 v[125:126], v2 offset0:97 offset1:98
	s_waitcnt lgkmcnt(3)
	v_fmac_f32_e32 v3, v127, v158
	s_waitcnt vmcnt(6)
	v_fmac_f32_e32 v3, v128, v159
	ds_load_2addr_b32 v[127:128], v2 offset0:99 offset1:100
	s_waitcnt lgkmcnt(3)
	v_fmac_f32_e32 v3, v129, v160
	s_delay_alu instid0(VALU_DEP_1) | instskip(SKIP_1) | instid1(VALU_DEP_1)
	v_fmac_f32_e32 v3, v130, v161
	s_waitcnt lgkmcnt(2)
	v_fmac_f32_e32 v3, v131, v162
	s_waitcnt vmcnt(5)
	s_delay_alu instid0(VALU_DEP_1) | instskip(SKIP_4) | instid1(VALU_DEP_1)
	v_fmac_f32_e32 v3, v132, v163
	ds_load_2addr_b32 v[129:130], v2 offset0:101 offset1:102
	ds_load_2addr_b32 v[131:132], v2 offset0:103 offset1:104
	s_waitcnt lgkmcnt(3)
	v_fmac_f32_e32 v3, v133, v125
	v_fmac_f32_e32 v3, v134, v126
	ds_load_2addr_b32 v[125:126], v2 offset0:105 offset1:106
	s_waitcnt lgkmcnt(3)
	v_fmac_f32_e32 v3, v135, v127
	s_waitcnt vmcnt(4)
	s_delay_alu instid0(VALU_DEP_1) | instskip(SKIP_3) | instid1(VALU_DEP_1)
	v_fmac_f32_e32 v3, v136, v128
	ds_load_2addr_b32 v[127:128], v2 offset0:107 offset1:108
	s_waitcnt lgkmcnt(3)
	v_fmac_f32_e32 v3, v137, v129
	v_fmac_f32_e32 v3, v138, v130
	s_waitcnt lgkmcnt(2)
	s_delay_alu instid0(VALU_DEP_1) | instskip(SKIP_1) | instid1(VALU_DEP_1)
	v_fmac_f32_e32 v3, v139, v131
	s_waitcnt vmcnt(3)
	v_fmac_f32_e32 v3, v140, v132
	ds_load_2addr_b32 v[129:130], v2 offset0:109 offset1:110
	ds_load_2addr_b32 v[131:132], v2 offset0:111 offset1:112
	s_waitcnt lgkmcnt(3)
	v_fmac_f32_e32 v3, v141, v125
	s_delay_alu instid0(VALU_DEP_1) | instskip(SKIP_4) | instid1(VALU_DEP_1)
	v_fmac_f32_e32 v3, v142, v126
	ds_load_2addr_b32 v[125:126], v2 offset0:113 offset1:114
	s_waitcnt lgkmcnt(3)
	v_fmac_f32_e32 v3, v143, v127
	s_waitcnt vmcnt(2)
	v_fmac_f32_e32 v3, v144, v128
	ds_load_2addr_b32 v[127:128], v2 offset0:115 offset1:116
	s_waitcnt lgkmcnt(3)
	v_fmac_f32_e32 v3, v145, v129
	s_delay_alu instid0(VALU_DEP_1) | instskip(SKIP_1) | instid1(VALU_DEP_1)
	v_fmac_f32_e32 v3, v146, v130
	s_waitcnt lgkmcnt(2)
	v_fmac_f32_e32 v3, v147, v131
	ds_load_2addr_b32 v[129:130], v2 offset0:117 offset1:118
	ds_load_b32 v131, v2 offset:476
	s_waitcnt vmcnt(1)
	v_fmac_f32_e32 v3, v148, v132
	s_waitcnt lgkmcnt(3)
	s_delay_alu instid0(VALU_DEP_1) | instskip(NEXT) | instid1(VALU_DEP_1)
	v_fmac_f32_e32 v3, v149, v125
	v_fmac_f32_e32 v3, v150, v126
	s_waitcnt lgkmcnt(2)
	s_delay_alu instid0(VALU_DEP_1) | instskip(SKIP_1) | instid1(VALU_DEP_1)
	v_fmac_f32_e32 v3, v151, v127
	s_waitcnt vmcnt(0)
	v_fmac_f32_e32 v3, v152, v128
	s_waitcnt lgkmcnt(1)
	s_delay_alu instid0(VALU_DEP_1) | instskip(NEXT) | instid1(VALU_DEP_1)
	v_fmac_f32_e32 v3, v153, v129
	v_fmac_f32_e32 v3, v154, v130
	s_waitcnt lgkmcnt(0)
	s_delay_alu instid0(VALU_DEP_1) | instskip(NEXT) | instid1(VALU_DEP_1)
	v_fmac_f32_e32 v3, v155, v131
	v_sub_f32_e32 v3, v124, v3
	scratch_store_b32 off, v3, off offset:112
	v_cmpx_lt_u32_e32 27, v0
	s_cbranch_execz .LBB59_313
; %bb.312:
	scratch_load_b32 v3, off, off offset:108
	scratch_store_b32 off, v2, off offset:108
	s_waitcnt vmcnt(0)
	ds_store_b32 v1, v3
.LBB59_313:
	s_or_b32 exec_lo, exec_lo, s0
	s_waitcnt lgkmcnt(0)
	s_waitcnt_vscnt null, 0x0
	s_barrier
	buffer_gl0_inv
	s_clause 0x8
	scratch_load_b128 v[124:127], off, off offset:108
	scratch_load_b128 v[128:131], off, off offset:124
	;; [unrolled: 1-line block ×8, first 2 shown]
	scratch_load_b32 v3, off, off offset:236
	ds_load_b128 v[156:159], v2 offset:352
	ds_load_b128 v[160:163], v2 offset:368
	s_mov_b32 s0, exec_lo
	s_waitcnt vmcnt(8) lgkmcnt(1)
	v_fma_f32 v156, v125, v156, 0
	s_delay_alu instid0(VALU_DEP_1) | instskip(NEXT) | instid1(VALU_DEP_1)
	v_fmac_f32_e32 v156, v126, v157
	v_fmac_f32_e32 v156, v127, v158
	s_waitcnt vmcnt(7)
	s_delay_alu instid0(VALU_DEP_1) | instskip(SKIP_3) | instid1(VALU_DEP_1)
	v_fmac_f32_e32 v156, v128, v159
	ds_load_b128 v[125:128], v2 offset:384
	s_waitcnt lgkmcnt(1)
	v_fmac_f32_e32 v156, v129, v160
	v_fmac_f32_e32 v156, v130, v161
	s_delay_alu instid0(VALU_DEP_1) | instskip(SKIP_1) | instid1(VALU_DEP_1)
	v_fmac_f32_e32 v156, v131, v162
	s_waitcnt vmcnt(6)
	v_fmac_f32_e32 v156, v132, v163
	ds_load_b128 v[129:132], v2 offset:400
	s_waitcnt lgkmcnt(1)
	v_fmac_f32_e32 v156, v133, v125
	s_delay_alu instid0(VALU_DEP_1) | instskip(NEXT) | instid1(VALU_DEP_1)
	v_fmac_f32_e32 v156, v134, v126
	v_fmac_f32_e32 v156, v135, v127
	s_waitcnt vmcnt(5)
	s_delay_alu instid0(VALU_DEP_1) | instskip(SKIP_3) | instid1(VALU_DEP_1)
	v_fmac_f32_e32 v156, v136, v128
	ds_load_b128 v[125:128], v2 offset:416
	s_waitcnt lgkmcnt(1)
	v_fmac_f32_e32 v156, v137, v129
	v_fmac_f32_e32 v156, v138, v130
	s_delay_alu instid0(VALU_DEP_1) | instskip(SKIP_1) | instid1(VALU_DEP_1)
	v_fmac_f32_e32 v156, v139, v131
	s_waitcnt vmcnt(4)
	v_fmac_f32_e32 v156, v140, v132
	ds_load_b128 v[129:132], v2 offset:432
	s_waitcnt lgkmcnt(1)
	v_fmac_f32_e32 v156, v141, v125
	;; [unrolled: 17-line block ×3, first 2 shown]
	s_delay_alu instid0(VALU_DEP_1) | instskip(NEXT) | instid1(VALU_DEP_1)
	v_fmac_f32_e32 v156, v150, v126
	v_fmac_f32_e32 v156, v151, v127
	s_waitcnt vmcnt(1)
	s_delay_alu instid0(VALU_DEP_1) | instskip(SKIP_1) | instid1(VALU_DEP_1)
	v_fmac_f32_e32 v156, v152, v128
	s_waitcnt lgkmcnt(0)
	v_fmac_f32_e32 v156, v153, v129
	s_delay_alu instid0(VALU_DEP_1) | instskip(NEXT) | instid1(VALU_DEP_1)
	v_fmac_f32_e32 v156, v154, v130
	v_fmac_f32_e32 v156, v155, v131
	s_waitcnt vmcnt(0)
	s_delay_alu instid0(VALU_DEP_1) | instskip(NEXT) | instid1(VALU_DEP_1)
	v_fmac_f32_e32 v156, v3, v132
	v_sub_f32_e32 v2, v124, v156
	scratch_store_b32 off, v2, off offset:108
	v_cmpx_lt_u32_e32 26, v0
	s_cbranch_execz .LBB59_315
; %bb.314:
	scratch_load_b32 v2, off, off offset:104
	v_mov_b32_e32 v3, 0
	scratch_store_b32 off, v3, off offset:104
	s_waitcnt vmcnt(0)
	ds_store_b32 v1, v2
.LBB59_315:
	s_or_b32 exec_lo, exec_lo, s0
	s_waitcnt lgkmcnt(0)
	s_waitcnt_vscnt null, 0x0
	s_barrier
	buffer_gl0_inv
	s_clause 0x8
	scratch_load_b128 v[124:127], off, off offset:104
	scratch_load_b128 v[128:131], off, off offset:120
	;; [unrolled: 1-line block ×8, first 2 shown]
	scratch_load_b64 v[156:157], off, off offset:232
	v_mov_b32_e32 v2, 0
	ds_load_2addr_b32 v[158:159], v2 offset0:87 offset1:88
	ds_load_2addr_b32 v[160:161], v2 offset0:89 offset1:90
	;; [unrolled: 1-line block ×4, first 2 shown]
	s_mov_b32 s0, exec_lo
	s_waitcnt vmcnt(8) lgkmcnt(3)
	v_fma_f32 v3, v125, v158, 0
	s_delay_alu instid0(VALU_DEP_1) | instskip(SKIP_4) | instid1(VALU_DEP_1)
	v_fmac_f32_e32 v3, v126, v159
	ds_load_2addr_b32 v[125:126], v2 offset0:95 offset1:96
	s_waitcnt lgkmcnt(3)
	v_fmac_f32_e32 v3, v127, v160
	s_waitcnt vmcnt(7)
	v_fmac_f32_e32 v3, v128, v161
	ds_load_2addr_b32 v[127:128], v2 offset0:97 offset1:98
	s_waitcnt lgkmcnt(3)
	v_fmac_f32_e32 v3, v129, v162
	s_delay_alu instid0(VALU_DEP_1) | instskip(SKIP_1) | instid1(VALU_DEP_1)
	v_fmac_f32_e32 v3, v130, v163
	s_waitcnt lgkmcnt(2)
	v_fmac_f32_e32 v3, v131, v164
	s_waitcnt vmcnt(6)
	s_delay_alu instid0(VALU_DEP_1) | instskip(SKIP_4) | instid1(VALU_DEP_1)
	v_fmac_f32_e32 v3, v132, v165
	ds_load_2addr_b32 v[129:130], v2 offset0:99 offset1:100
	ds_load_2addr_b32 v[131:132], v2 offset0:101 offset1:102
	s_waitcnt lgkmcnt(3)
	v_fmac_f32_e32 v3, v133, v125
	v_fmac_f32_e32 v3, v134, v126
	ds_load_2addr_b32 v[125:126], v2 offset0:103 offset1:104
	s_waitcnt lgkmcnt(3)
	v_fmac_f32_e32 v3, v135, v127
	s_waitcnt vmcnt(5)
	s_delay_alu instid0(VALU_DEP_1) | instskip(SKIP_3) | instid1(VALU_DEP_1)
	v_fmac_f32_e32 v3, v136, v128
	ds_load_2addr_b32 v[127:128], v2 offset0:105 offset1:106
	s_waitcnt lgkmcnt(3)
	v_fmac_f32_e32 v3, v137, v129
	v_fmac_f32_e32 v3, v138, v130
	s_waitcnt lgkmcnt(2)
	s_delay_alu instid0(VALU_DEP_1) | instskip(SKIP_1) | instid1(VALU_DEP_1)
	v_fmac_f32_e32 v3, v139, v131
	s_waitcnt vmcnt(4)
	v_fmac_f32_e32 v3, v140, v132
	ds_load_2addr_b32 v[129:130], v2 offset0:107 offset1:108
	ds_load_2addr_b32 v[131:132], v2 offset0:109 offset1:110
	s_waitcnt lgkmcnt(3)
	v_fmac_f32_e32 v3, v141, v125
	s_delay_alu instid0(VALU_DEP_1) | instskip(SKIP_4) | instid1(VALU_DEP_1)
	v_fmac_f32_e32 v3, v142, v126
	ds_load_2addr_b32 v[125:126], v2 offset0:111 offset1:112
	s_waitcnt lgkmcnt(3)
	v_fmac_f32_e32 v3, v143, v127
	s_waitcnt vmcnt(3)
	v_fmac_f32_e32 v3, v144, v128
	ds_load_2addr_b32 v[127:128], v2 offset0:113 offset1:114
	s_waitcnt lgkmcnt(3)
	v_fmac_f32_e32 v3, v145, v129
	s_delay_alu instid0(VALU_DEP_1) | instskip(SKIP_1) | instid1(VALU_DEP_1)
	v_fmac_f32_e32 v3, v146, v130
	s_waitcnt lgkmcnt(2)
	v_fmac_f32_e32 v3, v147, v131
	s_waitcnt vmcnt(2)
	s_delay_alu instid0(VALU_DEP_1)
	v_fmac_f32_e32 v3, v148, v132
	ds_load_2addr_b32 v[129:130], v2 offset0:115 offset1:116
	ds_load_2addr_b32 v[131:132], v2 offset0:117 offset1:118
	s_waitcnt lgkmcnt(3)
	v_fmac_f32_e32 v3, v149, v125
	ds_load_b32 v125, v2 offset:476
	v_fmac_f32_e32 v3, v150, v126
	s_waitcnt lgkmcnt(3)
	s_delay_alu instid0(VALU_DEP_1) | instskip(SKIP_1) | instid1(VALU_DEP_1)
	v_fmac_f32_e32 v3, v151, v127
	s_waitcnt vmcnt(1)
	v_fmac_f32_e32 v3, v152, v128
	s_waitcnt lgkmcnt(2)
	s_delay_alu instid0(VALU_DEP_1) | instskip(NEXT) | instid1(VALU_DEP_1)
	v_fmac_f32_e32 v3, v153, v129
	v_fmac_f32_e32 v3, v154, v130
	s_waitcnt lgkmcnt(1)
	s_delay_alu instid0(VALU_DEP_1) | instskip(SKIP_1) | instid1(VALU_DEP_1)
	v_fmac_f32_e32 v3, v155, v131
	s_waitcnt vmcnt(0)
	v_fmac_f32_e32 v3, v156, v132
	s_waitcnt lgkmcnt(0)
	s_delay_alu instid0(VALU_DEP_1) | instskip(NEXT) | instid1(VALU_DEP_1)
	v_fmac_f32_e32 v3, v157, v125
	v_sub_f32_e32 v3, v124, v3
	scratch_store_b32 off, v3, off offset:104
	v_cmpx_lt_u32_e32 25, v0
	s_cbranch_execz .LBB59_317
; %bb.316:
	scratch_load_b32 v3, off, off offset:100
	scratch_store_b32 off, v2, off offset:100
	s_waitcnt vmcnt(0)
	ds_store_b32 v1, v3
.LBB59_317:
	s_or_b32 exec_lo, exec_lo, s0
	s_waitcnt lgkmcnt(0)
	s_waitcnt_vscnt null, 0x0
	s_barrier
	buffer_gl0_inv
	s_clause 0x8
	scratch_load_b128 v[124:127], off, off offset:100
	scratch_load_b128 v[128:131], off, off offset:116
	;; [unrolled: 1-line block ×8, first 2 shown]
	scratch_load_b96 v[164:166], off, off offset:228
	ds_load_2addr_b64 v[156:159], v2 offset0:43 offset1:44
	ds_load_2addr_b64 v[160:163], v2 offset0:45 offset1:46
	s_mov_b32 s0, exec_lo
	s_waitcnt vmcnt(8) lgkmcnt(1)
	v_fma_f32 v156, v125, v156, 0
	s_delay_alu instid0(VALU_DEP_1) | instskip(NEXT) | instid1(VALU_DEP_1)
	v_fmac_f32_e32 v156, v126, v157
	v_fmac_f32_e32 v156, v127, v158
	s_waitcnt vmcnt(7)
	s_delay_alu instid0(VALU_DEP_1) | instskip(SKIP_3) | instid1(VALU_DEP_1)
	v_fmac_f32_e32 v156, v128, v159
	ds_load_2addr_b64 v[125:128], v2 offset0:47 offset1:48
	s_waitcnt lgkmcnt(1)
	v_fmac_f32_e32 v156, v129, v160
	v_fmac_f32_e32 v156, v130, v161
	s_delay_alu instid0(VALU_DEP_1) | instskip(SKIP_1) | instid1(VALU_DEP_1)
	v_fmac_f32_e32 v156, v131, v162
	s_waitcnt vmcnt(6)
	v_fmac_f32_e32 v156, v132, v163
	ds_load_2addr_b64 v[129:132], v2 offset0:49 offset1:50
	s_waitcnt lgkmcnt(1)
	v_fmac_f32_e32 v156, v133, v125
	s_delay_alu instid0(VALU_DEP_1) | instskip(NEXT) | instid1(VALU_DEP_1)
	v_fmac_f32_e32 v156, v134, v126
	v_fmac_f32_e32 v156, v135, v127
	s_waitcnt vmcnt(5)
	s_delay_alu instid0(VALU_DEP_1) | instskip(SKIP_3) | instid1(VALU_DEP_1)
	v_fmac_f32_e32 v156, v136, v128
	ds_load_2addr_b64 v[125:128], v2 offset0:51 offset1:52
	s_waitcnt lgkmcnt(1)
	v_fmac_f32_e32 v156, v137, v129
	v_fmac_f32_e32 v156, v138, v130
	s_delay_alu instid0(VALU_DEP_1) | instskip(SKIP_1) | instid1(VALU_DEP_1)
	v_fmac_f32_e32 v156, v139, v131
	s_waitcnt vmcnt(4)
	v_fmac_f32_e32 v156, v140, v132
	ds_load_2addr_b64 v[129:132], v2 offset0:53 offset1:54
	s_waitcnt lgkmcnt(1)
	v_fmac_f32_e32 v156, v141, v125
	s_delay_alu instid0(VALU_DEP_1) | instskip(NEXT) | instid1(VALU_DEP_1)
	v_fmac_f32_e32 v156, v142, v126
	v_fmac_f32_e32 v156, v143, v127
	s_waitcnt vmcnt(3)
	s_delay_alu instid0(VALU_DEP_1) | instskip(SKIP_3) | instid1(VALU_DEP_1)
	v_fmac_f32_e32 v156, v144, v128
	ds_load_2addr_b64 v[125:128], v2 offset0:55 offset1:56
	s_waitcnt lgkmcnt(1)
	v_fmac_f32_e32 v156, v145, v129
	v_fmac_f32_e32 v156, v146, v130
	s_delay_alu instid0(VALU_DEP_1) | instskip(SKIP_1) | instid1(VALU_DEP_1)
	v_fmac_f32_e32 v156, v147, v131
	s_waitcnt vmcnt(2)
	v_fmac_f32_e32 v156, v148, v132
	ds_load_2addr_b64 v[129:132], v2 offset0:57 offset1:58
	ds_load_b64 v[2:3], v2 offset:472
	s_waitcnt lgkmcnt(2)
	v_fmac_f32_e32 v156, v149, v125
	s_delay_alu instid0(VALU_DEP_1) | instskip(NEXT) | instid1(VALU_DEP_1)
	v_fmac_f32_e32 v156, v150, v126
	v_fmac_f32_e32 v156, v151, v127
	s_waitcnt vmcnt(1)
	s_delay_alu instid0(VALU_DEP_1) | instskip(SKIP_1) | instid1(VALU_DEP_1)
	v_fmac_f32_e32 v156, v152, v128
	s_waitcnt lgkmcnt(1)
	v_fmac_f32_e32 v156, v153, v129
	s_delay_alu instid0(VALU_DEP_1) | instskip(NEXT) | instid1(VALU_DEP_1)
	v_fmac_f32_e32 v156, v154, v130
	v_fmac_f32_e32 v156, v155, v131
	s_waitcnt vmcnt(0)
	s_delay_alu instid0(VALU_DEP_1) | instskip(SKIP_1) | instid1(VALU_DEP_1)
	v_fmac_f32_e32 v156, v164, v132
	s_waitcnt lgkmcnt(0)
	v_fmac_f32_e32 v156, v165, v2
	s_delay_alu instid0(VALU_DEP_1) | instskip(NEXT) | instid1(VALU_DEP_1)
	v_fmac_f32_e32 v156, v166, v3
	v_sub_f32_e32 v2, v124, v156
	scratch_store_b32 off, v2, off offset:100
	v_cmpx_lt_u32_e32 24, v0
	s_cbranch_execz .LBB59_319
; %bb.318:
	scratch_load_b32 v2, off, off offset:96
	v_mov_b32_e32 v3, 0
	scratch_store_b32 off, v3, off offset:96
	s_waitcnt vmcnt(0)
	ds_store_b32 v1, v2
.LBB59_319:
	s_or_b32 exec_lo, exec_lo, s0
	s_waitcnt lgkmcnt(0)
	s_waitcnt_vscnt null, 0x0
	s_barrier
	buffer_gl0_inv
	s_clause 0x8
	scratch_load_b128 v[124:127], off, off offset:96
	scratch_load_b128 v[128:131], off, off offset:112
	scratch_load_b128 v[132:135], off, off offset:128
	scratch_load_b128 v[136:139], off, off offset:144
	scratch_load_b128 v[140:143], off, off offset:160
	scratch_load_b128 v[144:147], off, off offset:176
	scratch_load_b128 v[148:151], off, off offset:192
	scratch_load_b128 v[152:155], off, off offset:208
	scratch_load_b128 v[156:159], off, off offset:224
	v_mov_b32_e32 v2, 0
	ds_load_2addr_b32 v[160:161], v2 offset0:85 offset1:86
	ds_load_2addr_b32 v[162:163], v2 offset0:87 offset1:88
	ds_load_2addr_b32 v[164:165], v2 offset0:89 offset1:90
	ds_load_2addr_b32 v[166:167], v2 offset0:91 offset1:92
	s_mov_b32 s0, exec_lo
	s_waitcnt vmcnt(8) lgkmcnt(3)
	v_fma_f32 v3, v125, v160, 0
	s_delay_alu instid0(VALU_DEP_1) | instskip(SKIP_4) | instid1(VALU_DEP_1)
	v_fmac_f32_e32 v3, v126, v161
	ds_load_2addr_b32 v[125:126], v2 offset0:93 offset1:94
	s_waitcnt lgkmcnt(3)
	v_fmac_f32_e32 v3, v127, v162
	s_waitcnt vmcnt(7)
	v_fmac_f32_e32 v3, v128, v163
	ds_load_2addr_b32 v[127:128], v2 offset0:95 offset1:96
	s_waitcnt lgkmcnt(3)
	v_fmac_f32_e32 v3, v129, v164
	s_delay_alu instid0(VALU_DEP_1) | instskip(SKIP_1) | instid1(VALU_DEP_1)
	v_fmac_f32_e32 v3, v130, v165
	s_waitcnt lgkmcnt(2)
	v_fmac_f32_e32 v3, v131, v166
	s_waitcnt vmcnt(6)
	s_delay_alu instid0(VALU_DEP_1) | instskip(SKIP_4) | instid1(VALU_DEP_1)
	v_fmac_f32_e32 v3, v132, v167
	ds_load_2addr_b32 v[129:130], v2 offset0:97 offset1:98
	ds_load_2addr_b32 v[131:132], v2 offset0:99 offset1:100
	s_waitcnt lgkmcnt(3)
	v_fmac_f32_e32 v3, v133, v125
	v_fmac_f32_e32 v3, v134, v126
	ds_load_2addr_b32 v[125:126], v2 offset0:101 offset1:102
	s_waitcnt lgkmcnt(3)
	v_fmac_f32_e32 v3, v135, v127
	s_waitcnt vmcnt(5)
	s_delay_alu instid0(VALU_DEP_1) | instskip(SKIP_3) | instid1(VALU_DEP_1)
	v_fmac_f32_e32 v3, v136, v128
	ds_load_2addr_b32 v[127:128], v2 offset0:103 offset1:104
	s_waitcnt lgkmcnt(3)
	v_fmac_f32_e32 v3, v137, v129
	v_fmac_f32_e32 v3, v138, v130
	s_waitcnt lgkmcnt(2)
	s_delay_alu instid0(VALU_DEP_1) | instskip(SKIP_1) | instid1(VALU_DEP_1)
	v_fmac_f32_e32 v3, v139, v131
	s_waitcnt vmcnt(4)
	v_fmac_f32_e32 v3, v140, v132
	ds_load_2addr_b32 v[129:130], v2 offset0:105 offset1:106
	ds_load_2addr_b32 v[131:132], v2 offset0:107 offset1:108
	s_waitcnt lgkmcnt(3)
	v_fmac_f32_e32 v3, v141, v125
	s_delay_alu instid0(VALU_DEP_1) | instskip(SKIP_4) | instid1(VALU_DEP_1)
	v_fmac_f32_e32 v3, v142, v126
	ds_load_2addr_b32 v[125:126], v2 offset0:109 offset1:110
	s_waitcnt lgkmcnt(3)
	v_fmac_f32_e32 v3, v143, v127
	s_waitcnt vmcnt(3)
	v_fmac_f32_e32 v3, v144, v128
	ds_load_2addr_b32 v[127:128], v2 offset0:111 offset1:112
	s_waitcnt lgkmcnt(3)
	v_fmac_f32_e32 v3, v145, v129
	s_delay_alu instid0(VALU_DEP_1) | instskip(SKIP_1) | instid1(VALU_DEP_1)
	v_fmac_f32_e32 v3, v146, v130
	s_waitcnt lgkmcnt(2)
	v_fmac_f32_e32 v3, v147, v131
	s_waitcnt vmcnt(2)
	s_delay_alu instid0(VALU_DEP_1) | instskip(SKIP_4) | instid1(VALU_DEP_1)
	v_fmac_f32_e32 v3, v148, v132
	ds_load_2addr_b32 v[129:130], v2 offset0:113 offset1:114
	ds_load_2addr_b32 v[131:132], v2 offset0:115 offset1:116
	s_waitcnt lgkmcnt(3)
	v_fmac_f32_e32 v3, v149, v125
	v_fmac_f32_e32 v3, v150, v126
	ds_load_2addr_b32 v[125:126], v2 offset0:117 offset1:118
	s_waitcnt lgkmcnt(3)
	v_fmac_f32_e32 v3, v151, v127
	ds_load_b32 v127, v2 offset:476
	s_waitcnt vmcnt(1)
	v_fmac_f32_e32 v3, v152, v128
	s_waitcnt lgkmcnt(3)
	s_delay_alu instid0(VALU_DEP_1) | instskip(NEXT) | instid1(VALU_DEP_1)
	v_fmac_f32_e32 v3, v153, v129
	v_fmac_f32_e32 v3, v154, v130
	s_waitcnt lgkmcnt(2)
	s_delay_alu instid0(VALU_DEP_1) | instskip(SKIP_1) | instid1(VALU_DEP_1)
	v_fmac_f32_e32 v3, v155, v131
	s_waitcnt vmcnt(0)
	v_fmac_f32_e32 v3, v156, v132
	s_waitcnt lgkmcnt(1)
	s_delay_alu instid0(VALU_DEP_1) | instskip(NEXT) | instid1(VALU_DEP_1)
	v_fmac_f32_e32 v3, v157, v125
	v_fmac_f32_e32 v3, v158, v126
	s_waitcnt lgkmcnt(0)
	s_delay_alu instid0(VALU_DEP_1) | instskip(NEXT) | instid1(VALU_DEP_1)
	v_fmac_f32_e32 v3, v159, v127
	v_sub_f32_e32 v3, v124, v3
	scratch_store_b32 off, v3, off offset:96
	v_cmpx_lt_u32_e32 23, v0
	s_cbranch_execz .LBB59_321
; %bb.320:
	scratch_load_b32 v3, off, off offset:92
	scratch_store_b32 off, v2, off offset:92
	s_waitcnt vmcnt(0)
	ds_store_b32 v1, v3
.LBB59_321:
	s_or_b32 exec_lo, exec_lo, s0
	s_waitcnt lgkmcnt(0)
	s_waitcnt_vscnt null, 0x0
	s_barrier
	buffer_gl0_inv
	s_clause 0x9
	scratch_load_b128 v[124:127], off, off offset:92
	scratch_load_b128 v[128:131], off, off offset:108
	;; [unrolled: 1-line block ×9, first 2 shown]
	scratch_load_b32 v3, off, off offset:236
	ds_load_b128 v[160:163], v2 offset:336
	ds_load_b128 v[164:167], v2 offset:352
	s_mov_b32 s0, exec_lo
	s_waitcnt vmcnt(9) lgkmcnt(1)
	v_fma_f32 v160, v125, v160, 0
	s_delay_alu instid0(VALU_DEP_1) | instskip(NEXT) | instid1(VALU_DEP_1)
	v_fmac_f32_e32 v160, v126, v161
	v_fmac_f32_e32 v160, v127, v162
	s_waitcnt vmcnt(8)
	s_delay_alu instid0(VALU_DEP_1) | instskip(SKIP_3) | instid1(VALU_DEP_1)
	v_fmac_f32_e32 v160, v128, v163
	ds_load_b128 v[125:128], v2 offset:368
	s_waitcnt lgkmcnt(1)
	v_fmac_f32_e32 v160, v129, v164
	v_fmac_f32_e32 v160, v130, v165
	s_delay_alu instid0(VALU_DEP_1) | instskip(SKIP_1) | instid1(VALU_DEP_1)
	v_fmac_f32_e32 v160, v131, v166
	s_waitcnt vmcnt(7)
	v_fmac_f32_e32 v160, v132, v167
	ds_load_b128 v[129:132], v2 offset:384
	s_waitcnt lgkmcnt(1)
	v_fmac_f32_e32 v160, v133, v125
	s_delay_alu instid0(VALU_DEP_1) | instskip(NEXT) | instid1(VALU_DEP_1)
	v_fmac_f32_e32 v160, v134, v126
	v_fmac_f32_e32 v160, v135, v127
	s_waitcnt vmcnt(6)
	s_delay_alu instid0(VALU_DEP_1) | instskip(SKIP_3) | instid1(VALU_DEP_1)
	v_fmac_f32_e32 v160, v136, v128
	ds_load_b128 v[125:128], v2 offset:400
	s_waitcnt lgkmcnt(1)
	v_fmac_f32_e32 v160, v137, v129
	v_fmac_f32_e32 v160, v138, v130
	s_delay_alu instid0(VALU_DEP_1) | instskip(SKIP_1) | instid1(VALU_DEP_1)
	v_fmac_f32_e32 v160, v139, v131
	s_waitcnt vmcnt(5)
	v_fmac_f32_e32 v160, v140, v132
	ds_load_b128 v[129:132], v2 offset:416
	s_waitcnt lgkmcnt(1)
	v_fmac_f32_e32 v160, v141, v125
	s_delay_alu instid0(VALU_DEP_1) | instskip(NEXT) | instid1(VALU_DEP_1)
	v_fmac_f32_e32 v160, v142, v126
	v_fmac_f32_e32 v160, v143, v127
	s_waitcnt vmcnt(4)
	s_delay_alu instid0(VALU_DEP_1) | instskip(SKIP_3) | instid1(VALU_DEP_1)
	v_fmac_f32_e32 v160, v144, v128
	ds_load_b128 v[125:128], v2 offset:432
	s_waitcnt lgkmcnt(1)
	v_fmac_f32_e32 v160, v145, v129
	v_fmac_f32_e32 v160, v146, v130
	s_delay_alu instid0(VALU_DEP_1) | instskip(SKIP_1) | instid1(VALU_DEP_1)
	v_fmac_f32_e32 v160, v147, v131
	s_waitcnt vmcnt(3)
	v_fmac_f32_e32 v160, v148, v132
	ds_load_b128 v[129:132], v2 offset:448
	s_waitcnt lgkmcnt(1)
	v_fmac_f32_e32 v160, v149, v125
	s_delay_alu instid0(VALU_DEP_1) | instskip(NEXT) | instid1(VALU_DEP_1)
	v_fmac_f32_e32 v160, v150, v126
	v_fmac_f32_e32 v160, v151, v127
	s_waitcnt vmcnt(2)
	s_delay_alu instid0(VALU_DEP_1) | instskip(SKIP_3) | instid1(VALU_DEP_1)
	v_fmac_f32_e32 v160, v152, v128
	ds_load_b128 v[125:128], v2 offset:464
	s_waitcnt lgkmcnt(1)
	v_fmac_f32_e32 v160, v153, v129
	v_fmac_f32_e32 v160, v154, v130
	s_delay_alu instid0(VALU_DEP_1) | instskip(SKIP_1) | instid1(VALU_DEP_1)
	v_fmac_f32_e32 v160, v155, v131
	s_waitcnt vmcnt(1)
	v_fmac_f32_e32 v160, v156, v132
	s_waitcnt lgkmcnt(0)
	s_delay_alu instid0(VALU_DEP_1) | instskip(NEXT) | instid1(VALU_DEP_1)
	v_fmac_f32_e32 v160, v157, v125
	v_fmac_f32_e32 v160, v158, v126
	s_delay_alu instid0(VALU_DEP_1) | instskip(SKIP_1) | instid1(VALU_DEP_1)
	v_fmac_f32_e32 v160, v159, v127
	s_waitcnt vmcnt(0)
	v_fmac_f32_e32 v160, v3, v128
	s_delay_alu instid0(VALU_DEP_1)
	v_sub_f32_e32 v2, v124, v160
	scratch_store_b32 off, v2, off offset:92
	v_cmpx_lt_u32_e32 22, v0
	s_cbranch_execz .LBB59_323
; %bb.322:
	scratch_load_b32 v2, off, off offset:88
	v_mov_b32_e32 v3, 0
	scratch_store_b32 off, v3, off offset:88
	s_waitcnt vmcnt(0)
	ds_store_b32 v1, v2
.LBB59_323:
	s_or_b32 exec_lo, exec_lo, s0
	s_waitcnt lgkmcnt(0)
	s_waitcnt_vscnt null, 0x0
	s_barrier
	buffer_gl0_inv
	s_clause 0x9
	scratch_load_b128 v[124:127], off, off offset:88
	scratch_load_b128 v[128:131], off, off offset:104
	;; [unrolled: 1-line block ×9, first 2 shown]
	scratch_load_b64 v[160:161], off, off offset:232
	v_mov_b32_e32 v2, 0
	ds_load_2addr_b32 v[162:163], v2 offset0:83 offset1:84
	ds_load_2addr_b32 v[164:165], v2 offset0:85 offset1:86
	;; [unrolled: 1-line block ×4, first 2 shown]
	s_mov_b32 s0, exec_lo
	s_waitcnt vmcnt(9) lgkmcnt(3)
	v_fma_f32 v3, v125, v162, 0
	s_delay_alu instid0(VALU_DEP_1) | instskip(SKIP_4) | instid1(VALU_DEP_1)
	v_fmac_f32_e32 v3, v126, v163
	ds_load_2addr_b32 v[125:126], v2 offset0:91 offset1:92
	s_waitcnt lgkmcnt(3)
	v_fmac_f32_e32 v3, v127, v164
	s_waitcnt vmcnt(8)
	v_fmac_f32_e32 v3, v128, v165
	ds_load_2addr_b32 v[127:128], v2 offset0:93 offset1:94
	s_waitcnt lgkmcnt(3)
	v_fmac_f32_e32 v3, v129, v166
	s_delay_alu instid0(VALU_DEP_1) | instskip(SKIP_1) | instid1(VALU_DEP_1)
	v_fmac_f32_e32 v3, v130, v167
	s_waitcnt lgkmcnt(2)
	v_fmac_f32_e32 v3, v131, v168
	s_waitcnt vmcnt(7)
	s_delay_alu instid0(VALU_DEP_1) | instskip(SKIP_4) | instid1(VALU_DEP_1)
	v_fmac_f32_e32 v3, v132, v169
	ds_load_2addr_b32 v[129:130], v2 offset0:95 offset1:96
	ds_load_2addr_b32 v[131:132], v2 offset0:97 offset1:98
	s_waitcnt lgkmcnt(3)
	v_fmac_f32_e32 v3, v133, v125
	v_fmac_f32_e32 v3, v134, v126
	ds_load_2addr_b32 v[125:126], v2 offset0:99 offset1:100
	s_waitcnt lgkmcnt(3)
	v_fmac_f32_e32 v3, v135, v127
	s_waitcnt vmcnt(6)
	s_delay_alu instid0(VALU_DEP_1) | instskip(SKIP_3) | instid1(VALU_DEP_1)
	v_fmac_f32_e32 v3, v136, v128
	ds_load_2addr_b32 v[127:128], v2 offset0:101 offset1:102
	s_waitcnt lgkmcnt(3)
	v_fmac_f32_e32 v3, v137, v129
	v_fmac_f32_e32 v3, v138, v130
	s_waitcnt lgkmcnt(2)
	s_delay_alu instid0(VALU_DEP_1) | instskip(SKIP_1) | instid1(VALU_DEP_1)
	v_fmac_f32_e32 v3, v139, v131
	s_waitcnt vmcnt(5)
	v_fmac_f32_e32 v3, v140, v132
	ds_load_2addr_b32 v[129:130], v2 offset0:103 offset1:104
	ds_load_2addr_b32 v[131:132], v2 offset0:105 offset1:106
	s_waitcnt lgkmcnt(3)
	v_fmac_f32_e32 v3, v141, v125
	s_delay_alu instid0(VALU_DEP_1) | instskip(SKIP_4) | instid1(VALU_DEP_1)
	v_fmac_f32_e32 v3, v142, v126
	ds_load_2addr_b32 v[125:126], v2 offset0:107 offset1:108
	s_waitcnt lgkmcnt(3)
	v_fmac_f32_e32 v3, v143, v127
	s_waitcnt vmcnt(4)
	v_fmac_f32_e32 v3, v144, v128
	ds_load_2addr_b32 v[127:128], v2 offset0:109 offset1:110
	s_waitcnt lgkmcnt(3)
	v_fmac_f32_e32 v3, v145, v129
	s_delay_alu instid0(VALU_DEP_1) | instskip(SKIP_1) | instid1(VALU_DEP_1)
	v_fmac_f32_e32 v3, v146, v130
	s_waitcnt lgkmcnt(2)
	v_fmac_f32_e32 v3, v147, v131
	s_waitcnt vmcnt(3)
	s_delay_alu instid0(VALU_DEP_1) | instskip(SKIP_4) | instid1(VALU_DEP_1)
	v_fmac_f32_e32 v3, v148, v132
	ds_load_2addr_b32 v[129:130], v2 offset0:111 offset1:112
	ds_load_2addr_b32 v[131:132], v2 offset0:113 offset1:114
	s_waitcnt lgkmcnt(3)
	v_fmac_f32_e32 v3, v149, v125
	v_fmac_f32_e32 v3, v150, v126
	ds_load_2addr_b32 v[125:126], v2 offset0:115 offset1:116
	s_waitcnt lgkmcnt(3)
	v_fmac_f32_e32 v3, v151, v127
	s_waitcnt vmcnt(2)
	s_delay_alu instid0(VALU_DEP_1)
	v_fmac_f32_e32 v3, v152, v128
	ds_load_2addr_b32 v[127:128], v2 offset0:117 offset1:118
	s_waitcnt lgkmcnt(3)
	v_fmac_f32_e32 v3, v153, v129
	ds_load_b32 v129, v2 offset:476
	v_fmac_f32_e32 v3, v154, v130
	s_waitcnt lgkmcnt(3)
	s_delay_alu instid0(VALU_DEP_1) | instskip(SKIP_1) | instid1(VALU_DEP_1)
	v_fmac_f32_e32 v3, v155, v131
	s_waitcnt vmcnt(1)
	v_fmac_f32_e32 v3, v156, v132
	s_waitcnt lgkmcnt(2)
	s_delay_alu instid0(VALU_DEP_1) | instskip(NEXT) | instid1(VALU_DEP_1)
	v_fmac_f32_e32 v3, v157, v125
	v_fmac_f32_e32 v3, v158, v126
	s_waitcnt lgkmcnt(1)
	s_delay_alu instid0(VALU_DEP_1) | instskip(SKIP_1) | instid1(VALU_DEP_1)
	v_fmac_f32_e32 v3, v159, v127
	s_waitcnt vmcnt(0)
	v_fmac_f32_e32 v3, v160, v128
	s_waitcnt lgkmcnt(0)
	s_delay_alu instid0(VALU_DEP_1) | instskip(NEXT) | instid1(VALU_DEP_1)
	v_fmac_f32_e32 v3, v161, v129
	v_sub_f32_e32 v3, v124, v3
	scratch_store_b32 off, v3, off offset:88
	v_cmpx_lt_u32_e32 21, v0
	s_cbranch_execz .LBB59_325
; %bb.324:
	scratch_load_b32 v3, off, off offset:84
	scratch_store_b32 off, v2, off offset:84
	s_waitcnt vmcnt(0)
	ds_store_b32 v1, v3
.LBB59_325:
	s_or_b32 exec_lo, exec_lo, s0
	s_waitcnt lgkmcnt(0)
	s_waitcnt_vscnt null, 0x0
	s_barrier
	buffer_gl0_inv
	s_clause 0x9
	scratch_load_b128 v[124:127], off, off offset:84
	scratch_load_b128 v[128:131], off, off offset:100
	;; [unrolled: 1-line block ×9, first 2 shown]
	scratch_load_b96 v[168:170], off, off offset:228
	ds_load_2addr_b64 v[160:163], v2 offset0:41 offset1:42
	ds_load_2addr_b64 v[164:167], v2 offset0:43 offset1:44
	s_mov_b32 s0, exec_lo
	s_waitcnt vmcnt(9) lgkmcnt(1)
	v_fma_f32 v160, v125, v160, 0
	s_delay_alu instid0(VALU_DEP_1) | instskip(NEXT) | instid1(VALU_DEP_1)
	v_fmac_f32_e32 v160, v126, v161
	v_fmac_f32_e32 v160, v127, v162
	s_waitcnt vmcnt(8)
	s_delay_alu instid0(VALU_DEP_1) | instskip(SKIP_3) | instid1(VALU_DEP_1)
	v_fmac_f32_e32 v160, v128, v163
	ds_load_2addr_b64 v[125:128], v2 offset0:45 offset1:46
	s_waitcnt lgkmcnt(1)
	v_fmac_f32_e32 v160, v129, v164
	v_fmac_f32_e32 v160, v130, v165
	s_delay_alu instid0(VALU_DEP_1) | instskip(SKIP_1) | instid1(VALU_DEP_1)
	v_fmac_f32_e32 v160, v131, v166
	s_waitcnt vmcnt(7)
	v_fmac_f32_e32 v160, v132, v167
	ds_load_2addr_b64 v[129:132], v2 offset0:47 offset1:48
	s_waitcnt lgkmcnt(1)
	v_fmac_f32_e32 v160, v133, v125
	s_delay_alu instid0(VALU_DEP_1) | instskip(NEXT) | instid1(VALU_DEP_1)
	v_fmac_f32_e32 v160, v134, v126
	v_fmac_f32_e32 v160, v135, v127
	s_waitcnt vmcnt(6)
	s_delay_alu instid0(VALU_DEP_1) | instskip(SKIP_3) | instid1(VALU_DEP_1)
	v_fmac_f32_e32 v160, v136, v128
	ds_load_2addr_b64 v[125:128], v2 offset0:49 offset1:50
	s_waitcnt lgkmcnt(1)
	v_fmac_f32_e32 v160, v137, v129
	v_fmac_f32_e32 v160, v138, v130
	s_delay_alu instid0(VALU_DEP_1) | instskip(SKIP_1) | instid1(VALU_DEP_1)
	v_fmac_f32_e32 v160, v139, v131
	s_waitcnt vmcnt(5)
	v_fmac_f32_e32 v160, v140, v132
	ds_load_2addr_b64 v[129:132], v2 offset0:51 offset1:52
	s_waitcnt lgkmcnt(1)
	v_fmac_f32_e32 v160, v141, v125
	;; [unrolled: 17-line block ×3, first 2 shown]
	s_delay_alu instid0(VALU_DEP_1) | instskip(NEXT) | instid1(VALU_DEP_1)
	v_fmac_f32_e32 v160, v150, v126
	v_fmac_f32_e32 v160, v151, v127
	s_waitcnt vmcnt(2)
	s_delay_alu instid0(VALU_DEP_1) | instskip(SKIP_4) | instid1(VALU_DEP_1)
	v_fmac_f32_e32 v160, v152, v128
	ds_load_2addr_b64 v[125:128], v2 offset0:57 offset1:58
	ds_load_b64 v[2:3], v2 offset:472
	s_waitcnt lgkmcnt(2)
	v_fmac_f32_e32 v160, v153, v129
	v_fmac_f32_e32 v160, v154, v130
	s_delay_alu instid0(VALU_DEP_1) | instskip(SKIP_1) | instid1(VALU_DEP_1)
	v_fmac_f32_e32 v160, v155, v131
	s_waitcnt vmcnt(1)
	v_fmac_f32_e32 v160, v156, v132
	s_waitcnt lgkmcnt(1)
	s_delay_alu instid0(VALU_DEP_1) | instskip(NEXT) | instid1(VALU_DEP_1)
	v_fmac_f32_e32 v160, v157, v125
	v_fmac_f32_e32 v160, v158, v126
	s_delay_alu instid0(VALU_DEP_1) | instskip(SKIP_1) | instid1(VALU_DEP_1)
	v_fmac_f32_e32 v160, v159, v127
	s_waitcnt vmcnt(0)
	v_fmac_f32_e32 v160, v168, v128
	s_waitcnt lgkmcnt(0)
	s_delay_alu instid0(VALU_DEP_1) | instskip(NEXT) | instid1(VALU_DEP_1)
	v_fmac_f32_e32 v160, v169, v2
	v_fmac_f32_e32 v160, v170, v3
	s_delay_alu instid0(VALU_DEP_1)
	v_sub_f32_e32 v2, v124, v160
	scratch_store_b32 off, v2, off offset:84
	v_cmpx_lt_u32_e32 20, v0
	s_cbranch_execz .LBB59_327
; %bb.326:
	scratch_load_b32 v2, off, off offset:80
	v_mov_b32_e32 v3, 0
	scratch_store_b32 off, v3, off offset:80
	s_waitcnt vmcnt(0)
	ds_store_b32 v1, v2
.LBB59_327:
	s_or_b32 exec_lo, exec_lo, s0
	s_waitcnt lgkmcnt(0)
	s_waitcnt_vscnt null, 0x0
	s_barrier
	buffer_gl0_inv
	s_clause 0x9
	scratch_load_b128 v[124:127], off, off offset:80
	scratch_load_b128 v[128:131], off, off offset:96
	;; [unrolled: 1-line block ×10, first 2 shown]
	v_mov_b32_e32 v2, 0
	ds_load_2addr_b32 v[164:165], v2 offset0:81 offset1:82
	ds_load_2addr_b32 v[166:167], v2 offset0:83 offset1:84
	;; [unrolled: 1-line block ×4, first 2 shown]
	s_mov_b32 s0, exec_lo
	s_waitcnt vmcnt(9) lgkmcnt(3)
	v_fma_f32 v3, v125, v164, 0
	s_delay_alu instid0(VALU_DEP_1) | instskip(SKIP_4) | instid1(VALU_DEP_1)
	v_fmac_f32_e32 v3, v126, v165
	ds_load_2addr_b32 v[125:126], v2 offset0:89 offset1:90
	s_waitcnt lgkmcnt(3)
	v_fmac_f32_e32 v3, v127, v166
	s_waitcnt vmcnt(8)
	v_fmac_f32_e32 v3, v128, v167
	ds_load_2addr_b32 v[127:128], v2 offset0:91 offset1:92
	s_waitcnt lgkmcnt(3)
	v_fmac_f32_e32 v3, v129, v168
	s_delay_alu instid0(VALU_DEP_1) | instskip(SKIP_1) | instid1(VALU_DEP_1)
	v_fmac_f32_e32 v3, v130, v169
	s_waitcnt lgkmcnt(2)
	v_fmac_f32_e32 v3, v131, v170
	s_waitcnt vmcnt(7)
	s_delay_alu instid0(VALU_DEP_1) | instskip(SKIP_4) | instid1(VALU_DEP_1)
	v_fmac_f32_e32 v3, v132, v171
	ds_load_2addr_b32 v[129:130], v2 offset0:93 offset1:94
	ds_load_2addr_b32 v[131:132], v2 offset0:95 offset1:96
	s_waitcnt lgkmcnt(3)
	v_fmac_f32_e32 v3, v133, v125
	v_fmac_f32_e32 v3, v134, v126
	ds_load_2addr_b32 v[125:126], v2 offset0:97 offset1:98
	s_waitcnt lgkmcnt(3)
	v_fmac_f32_e32 v3, v135, v127
	s_waitcnt vmcnt(6)
	s_delay_alu instid0(VALU_DEP_1) | instskip(SKIP_3) | instid1(VALU_DEP_1)
	v_fmac_f32_e32 v3, v136, v128
	ds_load_2addr_b32 v[127:128], v2 offset0:99 offset1:100
	s_waitcnt lgkmcnt(3)
	v_fmac_f32_e32 v3, v137, v129
	v_fmac_f32_e32 v3, v138, v130
	s_waitcnt lgkmcnt(2)
	s_delay_alu instid0(VALU_DEP_1) | instskip(SKIP_1) | instid1(VALU_DEP_1)
	v_fmac_f32_e32 v3, v139, v131
	s_waitcnt vmcnt(5)
	v_fmac_f32_e32 v3, v140, v132
	ds_load_2addr_b32 v[129:130], v2 offset0:101 offset1:102
	ds_load_2addr_b32 v[131:132], v2 offset0:103 offset1:104
	s_waitcnt lgkmcnt(3)
	v_fmac_f32_e32 v3, v141, v125
	s_delay_alu instid0(VALU_DEP_1) | instskip(SKIP_4) | instid1(VALU_DEP_1)
	v_fmac_f32_e32 v3, v142, v126
	ds_load_2addr_b32 v[125:126], v2 offset0:105 offset1:106
	s_waitcnt lgkmcnt(3)
	v_fmac_f32_e32 v3, v143, v127
	s_waitcnt vmcnt(4)
	v_fmac_f32_e32 v3, v144, v128
	ds_load_2addr_b32 v[127:128], v2 offset0:107 offset1:108
	s_waitcnt lgkmcnt(3)
	v_fmac_f32_e32 v3, v145, v129
	s_delay_alu instid0(VALU_DEP_1) | instskip(SKIP_1) | instid1(VALU_DEP_1)
	v_fmac_f32_e32 v3, v146, v130
	s_waitcnt lgkmcnt(2)
	v_fmac_f32_e32 v3, v147, v131
	s_waitcnt vmcnt(3)
	s_delay_alu instid0(VALU_DEP_1) | instskip(SKIP_4) | instid1(VALU_DEP_1)
	v_fmac_f32_e32 v3, v148, v132
	ds_load_2addr_b32 v[129:130], v2 offset0:109 offset1:110
	ds_load_2addr_b32 v[131:132], v2 offset0:111 offset1:112
	s_waitcnt lgkmcnt(3)
	v_fmac_f32_e32 v3, v149, v125
	v_fmac_f32_e32 v3, v150, v126
	ds_load_2addr_b32 v[125:126], v2 offset0:113 offset1:114
	s_waitcnt lgkmcnt(3)
	v_fmac_f32_e32 v3, v151, v127
	s_waitcnt vmcnt(2)
	s_delay_alu instid0(VALU_DEP_1) | instskip(SKIP_3) | instid1(VALU_DEP_1)
	v_fmac_f32_e32 v3, v152, v128
	ds_load_2addr_b32 v[127:128], v2 offset0:115 offset1:116
	s_waitcnt lgkmcnt(3)
	v_fmac_f32_e32 v3, v153, v129
	v_fmac_f32_e32 v3, v154, v130
	s_waitcnt lgkmcnt(2)
	s_delay_alu instid0(VALU_DEP_1)
	v_fmac_f32_e32 v3, v155, v131
	ds_load_2addr_b32 v[129:130], v2 offset0:117 offset1:118
	ds_load_b32 v131, v2 offset:476
	s_waitcnt vmcnt(1)
	v_fmac_f32_e32 v3, v156, v132
	s_waitcnt lgkmcnt(3)
	s_delay_alu instid0(VALU_DEP_1) | instskip(NEXT) | instid1(VALU_DEP_1)
	v_fmac_f32_e32 v3, v157, v125
	v_fmac_f32_e32 v3, v158, v126
	s_waitcnt lgkmcnt(2)
	s_delay_alu instid0(VALU_DEP_1) | instskip(SKIP_1) | instid1(VALU_DEP_1)
	v_fmac_f32_e32 v3, v159, v127
	s_waitcnt vmcnt(0)
	v_fmac_f32_e32 v3, v160, v128
	s_waitcnt lgkmcnt(1)
	s_delay_alu instid0(VALU_DEP_1) | instskip(NEXT) | instid1(VALU_DEP_1)
	v_fmac_f32_e32 v3, v161, v129
	v_fmac_f32_e32 v3, v162, v130
	s_waitcnt lgkmcnt(0)
	s_delay_alu instid0(VALU_DEP_1) | instskip(NEXT) | instid1(VALU_DEP_1)
	v_fmac_f32_e32 v3, v163, v131
	v_sub_f32_e32 v3, v124, v3
	scratch_store_b32 off, v3, off offset:80
	v_cmpx_lt_u32_e32 19, v0
	s_cbranch_execz .LBB59_329
; %bb.328:
	scratch_load_b32 v3, off, off offset:76
	scratch_store_b32 off, v2, off offset:76
	s_waitcnt vmcnt(0)
	ds_store_b32 v1, v3
.LBB59_329:
	s_or_b32 exec_lo, exec_lo, s0
	s_waitcnt lgkmcnt(0)
	s_waitcnt_vscnt null, 0x0
	s_barrier
	buffer_gl0_inv
	s_clause 0xa
	scratch_load_b128 v[124:127], off, off offset:76
	scratch_load_b128 v[128:131], off, off offset:92
	;; [unrolled: 1-line block ×10, first 2 shown]
	scratch_load_b32 v3, off, off offset:236
	ds_load_b128 v[164:167], v2 offset:320
	ds_load_b128 v[168:171], v2 offset:336
	s_mov_b32 s0, exec_lo
	s_waitcnt vmcnt(10) lgkmcnt(1)
	v_fma_f32 v164, v125, v164, 0
	s_delay_alu instid0(VALU_DEP_1) | instskip(NEXT) | instid1(VALU_DEP_1)
	v_fmac_f32_e32 v164, v126, v165
	v_fmac_f32_e32 v164, v127, v166
	s_waitcnt vmcnt(9)
	s_delay_alu instid0(VALU_DEP_1) | instskip(SKIP_3) | instid1(VALU_DEP_1)
	v_fmac_f32_e32 v164, v128, v167
	ds_load_b128 v[125:128], v2 offset:352
	s_waitcnt lgkmcnt(1)
	v_fmac_f32_e32 v164, v129, v168
	v_fmac_f32_e32 v164, v130, v169
	s_delay_alu instid0(VALU_DEP_1) | instskip(SKIP_1) | instid1(VALU_DEP_1)
	v_fmac_f32_e32 v164, v131, v170
	s_waitcnt vmcnt(8)
	v_fmac_f32_e32 v164, v132, v171
	ds_load_b128 v[129:132], v2 offset:368
	s_waitcnt lgkmcnt(1)
	v_fmac_f32_e32 v164, v133, v125
	s_delay_alu instid0(VALU_DEP_1) | instskip(NEXT) | instid1(VALU_DEP_1)
	v_fmac_f32_e32 v164, v134, v126
	v_fmac_f32_e32 v164, v135, v127
	s_waitcnt vmcnt(7)
	s_delay_alu instid0(VALU_DEP_1) | instskip(SKIP_3) | instid1(VALU_DEP_1)
	v_fmac_f32_e32 v164, v136, v128
	ds_load_b128 v[125:128], v2 offset:384
	s_waitcnt lgkmcnt(1)
	v_fmac_f32_e32 v164, v137, v129
	v_fmac_f32_e32 v164, v138, v130
	s_delay_alu instid0(VALU_DEP_1) | instskip(SKIP_1) | instid1(VALU_DEP_1)
	v_fmac_f32_e32 v164, v139, v131
	s_waitcnt vmcnt(6)
	v_fmac_f32_e32 v164, v140, v132
	ds_load_b128 v[129:132], v2 offset:400
	s_waitcnt lgkmcnt(1)
	v_fmac_f32_e32 v164, v141, v125
	;; [unrolled: 17-line block ×4, first 2 shown]
	s_delay_alu instid0(VALU_DEP_1) | instskip(NEXT) | instid1(VALU_DEP_1)
	v_fmac_f32_e32 v164, v158, v126
	v_fmac_f32_e32 v164, v159, v127
	s_waitcnt vmcnt(1)
	s_delay_alu instid0(VALU_DEP_1) | instskip(SKIP_1) | instid1(VALU_DEP_1)
	v_fmac_f32_e32 v164, v160, v128
	s_waitcnt lgkmcnt(0)
	v_fmac_f32_e32 v164, v161, v129
	s_delay_alu instid0(VALU_DEP_1) | instskip(NEXT) | instid1(VALU_DEP_1)
	v_fmac_f32_e32 v164, v162, v130
	v_fmac_f32_e32 v164, v163, v131
	s_waitcnt vmcnt(0)
	s_delay_alu instid0(VALU_DEP_1) | instskip(NEXT) | instid1(VALU_DEP_1)
	v_fmac_f32_e32 v164, v3, v132
	v_sub_f32_e32 v2, v124, v164
	scratch_store_b32 off, v2, off offset:76
	v_cmpx_lt_u32_e32 18, v0
	s_cbranch_execz .LBB59_331
; %bb.330:
	scratch_load_b32 v2, off, off offset:72
	v_mov_b32_e32 v3, 0
	scratch_store_b32 off, v3, off offset:72
	s_waitcnt vmcnt(0)
	ds_store_b32 v1, v2
.LBB59_331:
	s_or_b32 exec_lo, exec_lo, s0
	s_waitcnt lgkmcnt(0)
	s_waitcnt_vscnt null, 0x0
	s_barrier
	buffer_gl0_inv
	s_clause 0xa
	scratch_load_b128 v[124:127], off, off offset:72
	scratch_load_b128 v[128:131], off, off offset:88
	;; [unrolled: 1-line block ×10, first 2 shown]
	scratch_load_b64 v[164:165], off, off offset:232
	v_mov_b32_e32 v2, 0
	ds_load_2addr_b32 v[166:167], v2 offset0:79 offset1:80
	ds_load_2addr_b32 v[168:169], v2 offset0:81 offset1:82
	;; [unrolled: 1-line block ×4, first 2 shown]
	s_mov_b32 s0, exec_lo
	s_waitcnt vmcnt(10) lgkmcnt(3)
	v_fma_f32 v3, v125, v166, 0
	s_delay_alu instid0(VALU_DEP_1) | instskip(SKIP_4) | instid1(VALU_DEP_1)
	v_fmac_f32_e32 v3, v126, v167
	ds_load_2addr_b32 v[125:126], v2 offset0:87 offset1:88
	s_waitcnt lgkmcnt(3)
	v_fmac_f32_e32 v3, v127, v168
	s_waitcnt vmcnt(9)
	v_fmac_f32_e32 v3, v128, v169
	ds_load_2addr_b32 v[127:128], v2 offset0:89 offset1:90
	s_waitcnt lgkmcnt(3)
	v_fmac_f32_e32 v3, v129, v170
	s_delay_alu instid0(VALU_DEP_1) | instskip(SKIP_1) | instid1(VALU_DEP_1)
	v_fmac_f32_e32 v3, v130, v171
	s_waitcnt lgkmcnt(2)
	v_fmac_f32_e32 v3, v131, v172
	s_waitcnt vmcnt(8)
	s_delay_alu instid0(VALU_DEP_1) | instskip(SKIP_4) | instid1(VALU_DEP_1)
	v_fmac_f32_e32 v3, v132, v173
	ds_load_2addr_b32 v[129:130], v2 offset0:91 offset1:92
	ds_load_2addr_b32 v[131:132], v2 offset0:93 offset1:94
	s_waitcnt lgkmcnt(3)
	v_fmac_f32_e32 v3, v133, v125
	v_fmac_f32_e32 v3, v134, v126
	ds_load_2addr_b32 v[125:126], v2 offset0:95 offset1:96
	s_waitcnt lgkmcnt(3)
	v_fmac_f32_e32 v3, v135, v127
	s_waitcnt vmcnt(7)
	s_delay_alu instid0(VALU_DEP_1) | instskip(SKIP_3) | instid1(VALU_DEP_1)
	v_fmac_f32_e32 v3, v136, v128
	ds_load_2addr_b32 v[127:128], v2 offset0:97 offset1:98
	s_waitcnt lgkmcnt(3)
	v_fmac_f32_e32 v3, v137, v129
	v_fmac_f32_e32 v3, v138, v130
	s_waitcnt lgkmcnt(2)
	s_delay_alu instid0(VALU_DEP_1) | instskip(SKIP_1) | instid1(VALU_DEP_1)
	v_fmac_f32_e32 v3, v139, v131
	s_waitcnt vmcnt(6)
	v_fmac_f32_e32 v3, v140, v132
	ds_load_2addr_b32 v[129:130], v2 offset0:99 offset1:100
	ds_load_2addr_b32 v[131:132], v2 offset0:101 offset1:102
	s_waitcnt lgkmcnt(3)
	v_fmac_f32_e32 v3, v141, v125
	s_delay_alu instid0(VALU_DEP_1) | instskip(SKIP_4) | instid1(VALU_DEP_1)
	v_fmac_f32_e32 v3, v142, v126
	ds_load_2addr_b32 v[125:126], v2 offset0:103 offset1:104
	s_waitcnt lgkmcnt(3)
	v_fmac_f32_e32 v3, v143, v127
	s_waitcnt vmcnt(5)
	v_fmac_f32_e32 v3, v144, v128
	ds_load_2addr_b32 v[127:128], v2 offset0:105 offset1:106
	s_waitcnt lgkmcnt(3)
	v_fmac_f32_e32 v3, v145, v129
	s_delay_alu instid0(VALU_DEP_1) | instskip(SKIP_1) | instid1(VALU_DEP_1)
	v_fmac_f32_e32 v3, v146, v130
	s_waitcnt lgkmcnt(2)
	v_fmac_f32_e32 v3, v147, v131
	s_waitcnt vmcnt(4)
	s_delay_alu instid0(VALU_DEP_1) | instskip(SKIP_4) | instid1(VALU_DEP_1)
	v_fmac_f32_e32 v3, v148, v132
	ds_load_2addr_b32 v[129:130], v2 offset0:107 offset1:108
	ds_load_2addr_b32 v[131:132], v2 offset0:109 offset1:110
	s_waitcnt lgkmcnt(3)
	v_fmac_f32_e32 v3, v149, v125
	v_fmac_f32_e32 v3, v150, v126
	ds_load_2addr_b32 v[125:126], v2 offset0:111 offset1:112
	s_waitcnt lgkmcnt(3)
	v_fmac_f32_e32 v3, v151, v127
	s_waitcnt vmcnt(3)
	s_delay_alu instid0(VALU_DEP_1) | instskip(SKIP_3) | instid1(VALU_DEP_1)
	v_fmac_f32_e32 v3, v152, v128
	ds_load_2addr_b32 v[127:128], v2 offset0:113 offset1:114
	s_waitcnt lgkmcnt(3)
	v_fmac_f32_e32 v3, v153, v129
	v_fmac_f32_e32 v3, v154, v130
	s_waitcnt lgkmcnt(2)
	s_delay_alu instid0(VALU_DEP_1) | instskip(SKIP_1) | instid1(VALU_DEP_1)
	v_fmac_f32_e32 v3, v155, v131
	s_waitcnt vmcnt(2)
	v_fmac_f32_e32 v3, v156, v132
	ds_load_2addr_b32 v[129:130], v2 offset0:115 offset1:116
	ds_load_2addr_b32 v[131:132], v2 offset0:117 offset1:118
	s_waitcnt lgkmcnt(3)
	v_fmac_f32_e32 v3, v157, v125
	ds_load_b32 v125, v2 offset:476
	v_fmac_f32_e32 v3, v158, v126
	s_waitcnt lgkmcnt(3)
	s_delay_alu instid0(VALU_DEP_1) | instskip(SKIP_1) | instid1(VALU_DEP_1)
	v_fmac_f32_e32 v3, v159, v127
	s_waitcnt vmcnt(1)
	v_fmac_f32_e32 v3, v160, v128
	s_waitcnt lgkmcnt(2)
	s_delay_alu instid0(VALU_DEP_1) | instskip(NEXT) | instid1(VALU_DEP_1)
	v_fmac_f32_e32 v3, v161, v129
	v_fmac_f32_e32 v3, v162, v130
	s_waitcnt lgkmcnt(1)
	s_delay_alu instid0(VALU_DEP_1) | instskip(SKIP_1) | instid1(VALU_DEP_1)
	v_fmac_f32_e32 v3, v163, v131
	s_waitcnt vmcnt(0)
	v_fmac_f32_e32 v3, v164, v132
	s_waitcnt lgkmcnt(0)
	s_delay_alu instid0(VALU_DEP_1) | instskip(NEXT) | instid1(VALU_DEP_1)
	v_fmac_f32_e32 v3, v165, v125
	v_sub_f32_e32 v3, v124, v3
	scratch_store_b32 off, v3, off offset:72
	v_cmpx_lt_u32_e32 17, v0
	s_cbranch_execz .LBB59_333
; %bb.332:
	scratch_load_b32 v3, off, off offset:68
	scratch_store_b32 off, v2, off offset:68
	s_waitcnt vmcnt(0)
	ds_store_b32 v1, v3
.LBB59_333:
	s_or_b32 exec_lo, exec_lo, s0
	s_waitcnt lgkmcnt(0)
	s_waitcnt_vscnt null, 0x0
	s_barrier
	buffer_gl0_inv
	s_clause 0xa
	scratch_load_b128 v[124:127], off, off offset:68
	scratch_load_b128 v[128:131], off, off offset:84
	;; [unrolled: 1-line block ×10, first 2 shown]
	scratch_load_b96 v[172:174], off, off offset:228
	ds_load_2addr_b64 v[164:167], v2 offset0:39 offset1:40
	ds_load_2addr_b64 v[168:171], v2 offset0:41 offset1:42
	s_mov_b32 s0, exec_lo
	s_waitcnt vmcnt(10) lgkmcnt(1)
	v_fma_f32 v164, v125, v164, 0
	s_delay_alu instid0(VALU_DEP_1) | instskip(NEXT) | instid1(VALU_DEP_1)
	v_fmac_f32_e32 v164, v126, v165
	v_fmac_f32_e32 v164, v127, v166
	s_waitcnt vmcnt(9)
	s_delay_alu instid0(VALU_DEP_1) | instskip(SKIP_3) | instid1(VALU_DEP_1)
	v_fmac_f32_e32 v164, v128, v167
	ds_load_2addr_b64 v[125:128], v2 offset0:43 offset1:44
	s_waitcnt lgkmcnt(1)
	v_fmac_f32_e32 v164, v129, v168
	v_fmac_f32_e32 v164, v130, v169
	s_delay_alu instid0(VALU_DEP_1) | instskip(SKIP_1) | instid1(VALU_DEP_1)
	v_fmac_f32_e32 v164, v131, v170
	s_waitcnt vmcnt(8)
	v_fmac_f32_e32 v164, v132, v171
	ds_load_2addr_b64 v[129:132], v2 offset0:45 offset1:46
	s_waitcnt lgkmcnt(1)
	v_fmac_f32_e32 v164, v133, v125
	s_delay_alu instid0(VALU_DEP_1) | instskip(NEXT) | instid1(VALU_DEP_1)
	v_fmac_f32_e32 v164, v134, v126
	v_fmac_f32_e32 v164, v135, v127
	s_waitcnt vmcnt(7)
	s_delay_alu instid0(VALU_DEP_1) | instskip(SKIP_3) | instid1(VALU_DEP_1)
	v_fmac_f32_e32 v164, v136, v128
	ds_load_2addr_b64 v[125:128], v2 offset0:47 offset1:48
	s_waitcnt lgkmcnt(1)
	v_fmac_f32_e32 v164, v137, v129
	v_fmac_f32_e32 v164, v138, v130
	s_delay_alu instid0(VALU_DEP_1) | instskip(SKIP_1) | instid1(VALU_DEP_1)
	v_fmac_f32_e32 v164, v139, v131
	s_waitcnt vmcnt(6)
	v_fmac_f32_e32 v164, v140, v132
	ds_load_2addr_b64 v[129:132], v2 offset0:49 offset1:50
	s_waitcnt lgkmcnt(1)
	v_fmac_f32_e32 v164, v141, v125
	s_delay_alu instid0(VALU_DEP_1) | instskip(NEXT) | instid1(VALU_DEP_1)
	v_fmac_f32_e32 v164, v142, v126
	v_fmac_f32_e32 v164, v143, v127
	s_waitcnt vmcnt(5)
	s_delay_alu instid0(VALU_DEP_1) | instskip(SKIP_3) | instid1(VALU_DEP_1)
	v_fmac_f32_e32 v164, v144, v128
	ds_load_2addr_b64 v[125:128], v2 offset0:51 offset1:52
	s_waitcnt lgkmcnt(1)
	v_fmac_f32_e32 v164, v145, v129
	v_fmac_f32_e32 v164, v146, v130
	s_delay_alu instid0(VALU_DEP_1) | instskip(SKIP_1) | instid1(VALU_DEP_1)
	v_fmac_f32_e32 v164, v147, v131
	s_waitcnt vmcnt(4)
	v_fmac_f32_e32 v164, v148, v132
	ds_load_2addr_b64 v[129:132], v2 offset0:53 offset1:54
	s_waitcnt lgkmcnt(1)
	v_fmac_f32_e32 v164, v149, v125
	s_delay_alu instid0(VALU_DEP_1) | instskip(NEXT) | instid1(VALU_DEP_1)
	v_fmac_f32_e32 v164, v150, v126
	v_fmac_f32_e32 v164, v151, v127
	s_waitcnt vmcnt(3)
	s_delay_alu instid0(VALU_DEP_1) | instskip(SKIP_3) | instid1(VALU_DEP_1)
	v_fmac_f32_e32 v164, v152, v128
	ds_load_2addr_b64 v[125:128], v2 offset0:55 offset1:56
	s_waitcnt lgkmcnt(1)
	v_fmac_f32_e32 v164, v153, v129
	v_fmac_f32_e32 v164, v154, v130
	s_delay_alu instid0(VALU_DEP_1) | instskip(SKIP_1) | instid1(VALU_DEP_1)
	v_fmac_f32_e32 v164, v155, v131
	s_waitcnt vmcnt(2)
	v_fmac_f32_e32 v164, v156, v132
	ds_load_2addr_b64 v[129:132], v2 offset0:57 offset1:58
	ds_load_b64 v[2:3], v2 offset:472
	s_waitcnt lgkmcnt(2)
	v_fmac_f32_e32 v164, v157, v125
	s_delay_alu instid0(VALU_DEP_1) | instskip(NEXT) | instid1(VALU_DEP_1)
	v_fmac_f32_e32 v164, v158, v126
	v_fmac_f32_e32 v164, v159, v127
	s_waitcnt vmcnt(1)
	s_delay_alu instid0(VALU_DEP_1) | instskip(SKIP_1) | instid1(VALU_DEP_1)
	v_fmac_f32_e32 v164, v160, v128
	s_waitcnt lgkmcnt(1)
	v_fmac_f32_e32 v164, v161, v129
	s_delay_alu instid0(VALU_DEP_1) | instskip(NEXT) | instid1(VALU_DEP_1)
	v_fmac_f32_e32 v164, v162, v130
	v_fmac_f32_e32 v164, v163, v131
	s_waitcnt vmcnt(0)
	s_delay_alu instid0(VALU_DEP_1) | instskip(SKIP_1) | instid1(VALU_DEP_1)
	v_fmac_f32_e32 v164, v172, v132
	s_waitcnt lgkmcnt(0)
	v_fmac_f32_e32 v164, v173, v2
	s_delay_alu instid0(VALU_DEP_1) | instskip(NEXT) | instid1(VALU_DEP_1)
	v_fmac_f32_e32 v164, v174, v3
	v_sub_f32_e32 v2, v124, v164
	scratch_store_b32 off, v2, off offset:68
	v_cmpx_lt_u32_e32 16, v0
	s_cbranch_execz .LBB59_335
; %bb.334:
	scratch_load_b32 v2, off, off offset:64
	v_mov_b32_e32 v3, 0
	scratch_store_b32 off, v3, off offset:64
	s_waitcnt vmcnt(0)
	ds_store_b32 v1, v2
.LBB59_335:
	s_or_b32 exec_lo, exec_lo, s0
	s_waitcnt lgkmcnt(0)
	s_waitcnt_vscnt null, 0x0
	s_barrier
	buffer_gl0_inv
	s_clause 0xa
	scratch_load_b128 v[124:127], off, off offset:64
	scratch_load_b128 v[128:131], off, off offset:80
	;; [unrolled: 1-line block ×11, first 2 shown]
	v_mov_b32_e32 v2, 0
	ds_load_2addr_b32 v[168:169], v2 offset0:77 offset1:78
	ds_load_2addr_b32 v[170:171], v2 offset0:79 offset1:80
	;; [unrolled: 1-line block ×4, first 2 shown]
	s_mov_b32 s0, exec_lo
	s_waitcnt vmcnt(10) lgkmcnt(3)
	v_fma_f32 v3, v125, v168, 0
	s_delay_alu instid0(VALU_DEP_1) | instskip(SKIP_4) | instid1(VALU_DEP_1)
	v_fmac_f32_e32 v3, v126, v169
	ds_load_2addr_b32 v[125:126], v2 offset0:85 offset1:86
	s_waitcnt lgkmcnt(3)
	v_fmac_f32_e32 v3, v127, v170
	s_waitcnt vmcnt(9)
	v_fmac_f32_e32 v3, v128, v171
	ds_load_2addr_b32 v[127:128], v2 offset0:87 offset1:88
	s_waitcnt lgkmcnt(3)
	v_fmac_f32_e32 v3, v129, v172
	s_delay_alu instid0(VALU_DEP_1) | instskip(SKIP_1) | instid1(VALU_DEP_1)
	v_fmac_f32_e32 v3, v130, v173
	s_waitcnt lgkmcnt(2)
	v_fmac_f32_e32 v3, v131, v174
	s_waitcnt vmcnt(8)
	s_delay_alu instid0(VALU_DEP_1) | instskip(SKIP_4) | instid1(VALU_DEP_1)
	v_fmac_f32_e32 v3, v132, v175
	ds_load_2addr_b32 v[129:130], v2 offset0:89 offset1:90
	ds_load_2addr_b32 v[131:132], v2 offset0:91 offset1:92
	s_waitcnt lgkmcnt(3)
	v_fmac_f32_e32 v3, v133, v125
	v_fmac_f32_e32 v3, v134, v126
	ds_load_2addr_b32 v[125:126], v2 offset0:93 offset1:94
	s_waitcnt lgkmcnt(3)
	v_fmac_f32_e32 v3, v135, v127
	s_waitcnt vmcnt(7)
	s_delay_alu instid0(VALU_DEP_1) | instskip(SKIP_3) | instid1(VALU_DEP_1)
	v_fmac_f32_e32 v3, v136, v128
	ds_load_2addr_b32 v[127:128], v2 offset0:95 offset1:96
	s_waitcnt lgkmcnt(3)
	v_fmac_f32_e32 v3, v137, v129
	v_fmac_f32_e32 v3, v138, v130
	s_waitcnt lgkmcnt(2)
	s_delay_alu instid0(VALU_DEP_1) | instskip(SKIP_1) | instid1(VALU_DEP_1)
	v_fmac_f32_e32 v3, v139, v131
	s_waitcnt vmcnt(6)
	v_fmac_f32_e32 v3, v140, v132
	ds_load_2addr_b32 v[129:130], v2 offset0:97 offset1:98
	ds_load_2addr_b32 v[131:132], v2 offset0:99 offset1:100
	s_waitcnt lgkmcnt(3)
	v_fmac_f32_e32 v3, v141, v125
	s_delay_alu instid0(VALU_DEP_1) | instskip(SKIP_4) | instid1(VALU_DEP_1)
	v_fmac_f32_e32 v3, v142, v126
	ds_load_2addr_b32 v[125:126], v2 offset0:101 offset1:102
	s_waitcnt lgkmcnt(3)
	v_fmac_f32_e32 v3, v143, v127
	s_waitcnt vmcnt(5)
	v_fmac_f32_e32 v3, v144, v128
	ds_load_2addr_b32 v[127:128], v2 offset0:103 offset1:104
	s_waitcnt lgkmcnt(3)
	v_fmac_f32_e32 v3, v145, v129
	s_delay_alu instid0(VALU_DEP_1) | instskip(SKIP_1) | instid1(VALU_DEP_1)
	v_fmac_f32_e32 v3, v146, v130
	s_waitcnt lgkmcnt(2)
	v_fmac_f32_e32 v3, v147, v131
	s_waitcnt vmcnt(4)
	s_delay_alu instid0(VALU_DEP_1) | instskip(SKIP_4) | instid1(VALU_DEP_1)
	v_fmac_f32_e32 v3, v148, v132
	ds_load_2addr_b32 v[129:130], v2 offset0:105 offset1:106
	ds_load_2addr_b32 v[131:132], v2 offset0:107 offset1:108
	s_waitcnt lgkmcnt(3)
	v_fmac_f32_e32 v3, v149, v125
	v_fmac_f32_e32 v3, v150, v126
	ds_load_2addr_b32 v[125:126], v2 offset0:109 offset1:110
	s_waitcnt lgkmcnt(3)
	v_fmac_f32_e32 v3, v151, v127
	s_waitcnt vmcnt(3)
	s_delay_alu instid0(VALU_DEP_1) | instskip(SKIP_3) | instid1(VALU_DEP_1)
	v_fmac_f32_e32 v3, v152, v128
	ds_load_2addr_b32 v[127:128], v2 offset0:111 offset1:112
	s_waitcnt lgkmcnt(3)
	v_fmac_f32_e32 v3, v153, v129
	v_fmac_f32_e32 v3, v154, v130
	s_waitcnt lgkmcnt(2)
	s_delay_alu instid0(VALU_DEP_1) | instskip(SKIP_1) | instid1(VALU_DEP_1)
	v_fmac_f32_e32 v3, v155, v131
	s_waitcnt vmcnt(2)
	v_fmac_f32_e32 v3, v156, v132
	ds_load_2addr_b32 v[129:130], v2 offset0:113 offset1:114
	ds_load_2addr_b32 v[131:132], v2 offset0:115 offset1:116
	s_waitcnt lgkmcnt(3)
	v_fmac_f32_e32 v3, v157, v125
	s_delay_alu instid0(VALU_DEP_1)
	v_fmac_f32_e32 v3, v158, v126
	ds_load_2addr_b32 v[125:126], v2 offset0:117 offset1:118
	s_waitcnt lgkmcnt(3)
	v_fmac_f32_e32 v3, v159, v127
	ds_load_b32 v127, v2 offset:476
	s_waitcnt vmcnt(1)
	v_fmac_f32_e32 v3, v160, v128
	s_waitcnt lgkmcnt(3)
	s_delay_alu instid0(VALU_DEP_1) | instskip(NEXT) | instid1(VALU_DEP_1)
	v_fmac_f32_e32 v3, v161, v129
	v_fmac_f32_e32 v3, v162, v130
	s_waitcnt lgkmcnt(2)
	s_delay_alu instid0(VALU_DEP_1) | instskip(SKIP_1) | instid1(VALU_DEP_1)
	v_fmac_f32_e32 v3, v163, v131
	s_waitcnt vmcnt(0)
	v_fmac_f32_e32 v3, v164, v132
	s_waitcnt lgkmcnt(1)
	s_delay_alu instid0(VALU_DEP_1) | instskip(NEXT) | instid1(VALU_DEP_1)
	v_fmac_f32_e32 v3, v165, v125
	v_fmac_f32_e32 v3, v166, v126
	s_waitcnt lgkmcnt(0)
	s_delay_alu instid0(VALU_DEP_1) | instskip(NEXT) | instid1(VALU_DEP_1)
	v_fmac_f32_e32 v3, v167, v127
	v_sub_f32_e32 v3, v124, v3
	scratch_store_b32 off, v3, off offset:64
	v_cmpx_lt_u32_e32 15, v0
	s_cbranch_execz .LBB59_337
; %bb.336:
	scratch_load_b32 v3, off, off offset:60
	scratch_store_b32 off, v2, off offset:60
	s_waitcnt vmcnt(0)
	ds_store_b32 v1, v3
.LBB59_337:
	s_or_b32 exec_lo, exec_lo, s0
	s_waitcnt lgkmcnt(0)
	s_waitcnt_vscnt null, 0x0
	s_barrier
	buffer_gl0_inv
	s_clause 0xb
	scratch_load_b128 v[124:127], off, off offset:60
	scratch_load_b128 v[128:131], off, off offset:76
	;; [unrolled: 1-line block ×11, first 2 shown]
	scratch_load_b32 v3, off, off offset:236
	ds_load_b128 v[168:171], v2 offset:304
	ds_load_b128 v[172:175], v2 offset:320
	s_mov_b32 s0, exec_lo
	s_waitcnt vmcnt(11) lgkmcnt(1)
	v_fma_f32 v168, v125, v168, 0
	s_delay_alu instid0(VALU_DEP_1) | instskip(NEXT) | instid1(VALU_DEP_1)
	v_fmac_f32_e32 v168, v126, v169
	v_fmac_f32_e32 v168, v127, v170
	s_waitcnt vmcnt(10)
	s_delay_alu instid0(VALU_DEP_1) | instskip(SKIP_3) | instid1(VALU_DEP_1)
	v_fmac_f32_e32 v168, v128, v171
	ds_load_b128 v[125:128], v2 offset:336
	s_waitcnt lgkmcnt(1)
	v_fmac_f32_e32 v168, v129, v172
	v_fmac_f32_e32 v168, v130, v173
	s_delay_alu instid0(VALU_DEP_1) | instskip(SKIP_1) | instid1(VALU_DEP_1)
	v_fmac_f32_e32 v168, v131, v174
	s_waitcnt vmcnt(9)
	v_fmac_f32_e32 v168, v132, v175
	ds_load_b128 v[129:132], v2 offset:352
	s_waitcnt lgkmcnt(1)
	v_fmac_f32_e32 v168, v133, v125
	s_delay_alu instid0(VALU_DEP_1) | instskip(NEXT) | instid1(VALU_DEP_1)
	v_fmac_f32_e32 v168, v134, v126
	v_fmac_f32_e32 v168, v135, v127
	s_waitcnt vmcnt(8)
	s_delay_alu instid0(VALU_DEP_1) | instskip(SKIP_3) | instid1(VALU_DEP_1)
	v_fmac_f32_e32 v168, v136, v128
	ds_load_b128 v[125:128], v2 offset:368
	s_waitcnt lgkmcnt(1)
	v_fmac_f32_e32 v168, v137, v129
	v_fmac_f32_e32 v168, v138, v130
	s_delay_alu instid0(VALU_DEP_1) | instskip(SKIP_1) | instid1(VALU_DEP_1)
	v_fmac_f32_e32 v168, v139, v131
	s_waitcnt vmcnt(7)
	v_fmac_f32_e32 v168, v140, v132
	ds_load_b128 v[129:132], v2 offset:384
	s_waitcnt lgkmcnt(1)
	v_fmac_f32_e32 v168, v141, v125
	;; [unrolled: 17-line block ×4, first 2 shown]
	s_delay_alu instid0(VALU_DEP_1) | instskip(NEXT) | instid1(VALU_DEP_1)
	v_fmac_f32_e32 v168, v158, v126
	v_fmac_f32_e32 v168, v159, v127
	s_waitcnt vmcnt(2)
	s_delay_alu instid0(VALU_DEP_1) | instskip(SKIP_3) | instid1(VALU_DEP_1)
	v_fmac_f32_e32 v168, v160, v128
	ds_load_b128 v[125:128], v2 offset:464
	s_waitcnt lgkmcnt(1)
	v_fmac_f32_e32 v168, v161, v129
	v_fmac_f32_e32 v168, v162, v130
	s_delay_alu instid0(VALU_DEP_1) | instskip(SKIP_1) | instid1(VALU_DEP_1)
	v_fmac_f32_e32 v168, v163, v131
	s_waitcnt vmcnt(1)
	v_fmac_f32_e32 v168, v164, v132
	s_waitcnt lgkmcnt(0)
	s_delay_alu instid0(VALU_DEP_1) | instskip(NEXT) | instid1(VALU_DEP_1)
	v_fmac_f32_e32 v168, v165, v125
	v_fmac_f32_e32 v168, v166, v126
	s_delay_alu instid0(VALU_DEP_1) | instskip(SKIP_1) | instid1(VALU_DEP_1)
	v_fmac_f32_e32 v168, v167, v127
	s_waitcnt vmcnt(0)
	v_fmac_f32_e32 v168, v3, v128
	s_delay_alu instid0(VALU_DEP_1)
	v_sub_f32_e32 v2, v124, v168
	scratch_store_b32 off, v2, off offset:60
	v_cmpx_lt_u32_e32 14, v0
	s_cbranch_execz .LBB59_339
; %bb.338:
	scratch_load_b32 v2, off, off offset:56
	v_mov_b32_e32 v3, 0
	scratch_store_b32 off, v3, off offset:56
	s_waitcnt vmcnt(0)
	ds_store_b32 v1, v2
.LBB59_339:
	s_or_b32 exec_lo, exec_lo, s0
	s_waitcnt lgkmcnt(0)
	s_waitcnt_vscnt null, 0x0
	s_barrier
	buffer_gl0_inv
	s_clause 0xb
	scratch_load_b128 v[124:127], off, off offset:56
	scratch_load_b128 v[128:131], off, off offset:72
	;; [unrolled: 1-line block ×11, first 2 shown]
	scratch_load_b64 v[168:169], off, off offset:232
	v_mov_b32_e32 v2, 0
	ds_load_2addr_b32 v[170:171], v2 offset0:75 offset1:76
	ds_load_2addr_b32 v[172:173], v2 offset0:77 offset1:78
	;; [unrolled: 1-line block ×4, first 2 shown]
	s_mov_b32 s0, exec_lo
	s_waitcnt vmcnt(11) lgkmcnt(3)
	v_fma_f32 v3, v125, v170, 0
	s_delay_alu instid0(VALU_DEP_1) | instskip(SKIP_4) | instid1(VALU_DEP_1)
	v_fmac_f32_e32 v3, v126, v171
	ds_load_2addr_b32 v[125:126], v2 offset0:83 offset1:84
	s_waitcnt lgkmcnt(3)
	v_fmac_f32_e32 v3, v127, v172
	s_waitcnt vmcnt(10)
	v_fmac_f32_e32 v3, v128, v173
	ds_load_2addr_b32 v[127:128], v2 offset0:85 offset1:86
	s_waitcnt lgkmcnt(3)
	v_fmac_f32_e32 v3, v129, v174
	s_delay_alu instid0(VALU_DEP_1) | instskip(SKIP_1) | instid1(VALU_DEP_1)
	v_fmac_f32_e32 v3, v130, v175
	s_waitcnt lgkmcnt(2)
	v_fmac_f32_e32 v3, v131, v176
	s_waitcnt vmcnt(9)
	s_delay_alu instid0(VALU_DEP_1) | instskip(SKIP_4) | instid1(VALU_DEP_1)
	v_fmac_f32_e32 v3, v132, v177
	ds_load_2addr_b32 v[129:130], v2 offset0:87 offset1:88
	ds_load_2addr_b32 v[131:132], v2 offset0:89 offset1:90
	s_waitcnt lgkmcnt(3)
	v_fmac_f32_e32 v3, v133, v125
	v_fmac_f32_e32 v3, v134, v126
	ds_load_2addr_b32 v[125:126], v2 offset0:91 offset1:92
	s_waitcnt lgkmcnt(3)
	v_fmac_f32_e32 v3, v135, v127
	s_waitcnt vmcnt(8)
	s_delay_alu instid0(VALU_DEP_1) | instskip(SKIP_3) | instid1(VALU_DEP_1)
	v_fmac_f32_e32 v3, v136, v128
	ds_load_2addr_b32 v[127:128], v2 offset0:93 offset1:94
	s_waitcnt lgkmcnt(3)
	v_fmac_f32_e32 v3, v137, v129
	v_fmac_f32_e32 v3, v138, v130
	s_waitcnt lgkmcnt(2)
	s_delay_alu instid0(VALU_DEP_1) | instskip(SKIP_1) | instid1(VALU_DEP_1)
	v_fmac_f32_e32 v3, v139, v131
	s_waitcnt vmcnt(7)
	v_fmac_f32_e32 v3, v140, v132
	ds_load_2addr_b32 v[129:130], v2 offset0:95 offset1:96
	ds_load_2addr_b32 v[131:132], v2 offset0:97 offset1:98
	s_waitcnt lgkmcnt(3)
	v_fmac_f32_e32 v3, v141, v125
	s_delay_alu instid0(VALU_DEP_1) | instskip(SKIP_4) | instid1(VALU_DEP_1)
	v_fmac_f32_e32 v3, v142, v126
	ds_load_2addr_b32 v[125:126], v2 offset0:99 offset1:100
	s_waitcnt lgkmcnt(3)
	v_fmac_f32_e32 v3, v143, v127
	s_waitcnt vmcnt(6)
	v_fmac_f32_e32 v3, v144, v128
	ds_load_2addr_b32 v[127:128], v2 offset0:101 offset1:102
	s_waitcnt lgkmcnt(3)
	v_fmac_f32_e32 v3, v145, v129
	s_delay_alu instid0(VALU_DEP_1) | instskip(SKIP_1) | instid1(VALU_DEP_1)
	v_fmac_f32_e32 v3, v146, v130
	s_waitcnt lgkmcnt(2)
	v_fmac_f32_e32 v3, v147, v131
	s_waitcnt vmcnt(5)
	s_delay_alu instid0(VALU_DEP_1) | instskip(SKIP_4) | instid1(VALU_DEP_1)
	v_fmac_f32_e32 v3, v148, v132
	ds_load_2addr_b32 v[129:130], v2 offset0:103 offset1:104
	ds_load_2addr_b32 v[131:132], v2 offset0:105 offset1:106
	s_waitcnt lgkmcnt(3)
	v_fmac_f32_e32 v3, v149, v125
	v_fmac_f32_e32 v3, v150, v126
	ds_load_2addr_b32 v[125:126], v2 offset0:107 offset1:108
	s_waitcnt lgkmcnt(3)
	v_fmac_f32_e32 v3, v151, v127
	s_waitcnt vmcnt(4)
	s_delay_alu instid0(VALU_DEP_1) | instskip(SKIP_3) | instid1(VALU_DEP_1)
	v_fmac_f32_e32 v3, v152, v128
	ds_load_2addr_b32 v[127:128], v2 offset0:109 offset1:110
	s_waitcnt lgkmcnt(3)
	v_fmac_f32_e32 v3, v153, v129
	v_fmac_f32_e32 v3, v154, v130
	s_waitcnt lgkmcnt(2)
	s_delay_alu instid0(VALU_DEP_1) | instskip(SKIP_1) | instid1(VALU_DEP_1)
	v_fmac_f32_e32 v3, v155, v131
	s_waitcnt vmcnt(3)
	v_fmac_f32_e32 v3, v156, v132
	ds_load_2addr_b32 v[129:130], v2 offset0:111 offset1:112
	ds_load_2addr_b32 v[131:132], v2 offset0:113 offset1:114
	s_waitcnt lgkmcnt(3)
	v_fmac_f32_e32 v3, v157, v125
	s_delay_alu instid0(VALU_DEP_1) | instskip(SKIP_4) | instid1(VALU_DEP_1)
	v_fmac_f32_e32 v3, v158, v126
	ds_load_2addr_b32 v[125:126], v2 offset0:115 offset1:116
	s_waitcnt lgkmcnt(3)
	v_fmac_f32_e32 v3, v159, v127
	s_waitcnt vmcnt(2)
	v_fmac_f32_e32 v3, v160, v128
	ds_load_2addr_b32 v[127:128], v2 offset0:117 offset1:118
	s_waitcnt lgkmcnt(3)
	v_fmac_f32_e32 v3, v161, v129
	ds_load_b32 v129, v2 offset:476
	v_fmac_f32_e32 v3, v162, v130
	s_waitcnt lgkmcnt(3)
	s_delay_alu instid0(VALU_DEP_1) | instskip(SKIP_1) | instid1(VALU_DEP_1)
	v_fmac_f32_e32 v3, v163, v131
	s_waitcnt vmcnt(1)
	v_fmac_f32_e32 v3, v164, v132
	s_waitcnt lgkmcnt(2)
	s_delay_alu instid0(VALU_DEP_1) | instskip(NEXT) | instid1(VALU_DEP_1)
	v_fmac_f32_e32 v3, v165, v125
	v_fmac_f32_e32 v3, v166, v126
	s_waitcnt lgkmcnt(1)
	s_delay_alu instid0(VALU_DEP_1) | instskip(SKIP_1) | instid1(VALU_DEP_1)
	v_fmac_f32_e32 v3, v167, v127
	s_waitcnt vmcnt(0)
	v_fmac_f32_e32 v3, v168, v128
	s_waitcnt lgkmcnt(0)
	s_delay_alu instid0(VALU_DEP_1) | instskip(NEXT) | instid1(VALU_DEP_1)
	v_fmac_f32_e32 v3, v169, v129
	v_sub_f32_e32 v3, v124, v3
	scratch_store_b32 off, v3, off offset:56
	v_cmpx_lt_u32_e32 13, v0
	s_cbranch_execz .LBB59_341
; %bb.340:
	scratch_load_b32 v3, off, off offset:52
	scratch_store_b32 off, v2, off offset:52
	s_waitcnt vmcnt(0)
	ds_store_b32 v1, v3
.LBB59_341:
	s_or_b32 exec_lo, exec_lo, s0
	s_waitcnt lgkmcnt(0)
	s_waitcnt_vscnt null, 0x0
	s_barrier
	buffer_gl0_inv
	s_clause 0xb
	scratch_load_b128 v[124:127], off, off offset:52
	scratch_load_b128 v[128:131], off, off offset:68
	scratch_load_b128 v[132:135], off, off offset:84
	scratch_load_b128 v[136:139], off, off offset:100
	scratch_load_b128 v[140:143], off, off offset:116
	scratch_load_b128 v[144:147], off, off offset:132
	scratch_load_b128 v[148:151], off, off offset:148
	scratch_load_b128 v[152:155], off, off offset:164
	scratch_load_b128 v[156:159], off, off offset:180
	scratch_load_b128 v[160:163], off, off offset:196
	scratch_load_b128 v[164:167], off, off offset:212
	scratch_load_b96 v[176:178], off, off offset:228
	ds_load_2addr_b64 v[168:171], v2 offset0:37 offset1:38
	ds_load_2addr_b64 v[172:175], v2 offset0:39 offset1:40
	s_mov_b32 s0, exec_lo
	s_waitcnt vmcnt(11) lgkmcnt(1)
	v_fma_f32 v168, v125, v168, 0
	s_delay_alu instid0(VALU_DEP_1) | instskip(NEXT) | instid1(VALU_DEP_1)
	v_fmac_f32_e32 v168, v126, v169
	v_fmac_f32_e32 v168, v127, v170
	s_waitcnt vmcnt(10)
	s_delay_alu instid0(VALU_DEP_1) | instskip(SKIP_3) | instid1(VALU_DEP_1)
	v_fmac_f32_e32 v168, v128, v171
	ds_load_2addr_b64 v[125:128], v2 offset0:41 offset1:42
	s_waitcnt lgkmcnt(1)
	v_fmac_f32_e32 v168, v129, v172
	v_fmac_f32_e32 v168, v130, v173
	s_delay_alu instid0(VALU_DEP_1) | instskip(SKIP_1) | instid1(VALU_DEP_1)
	v_fmac_f32_e32 v168, v131, v174
	s_waitcnt vmcnt(9)
	v_fmac_f32_e32 v168, v132, v175
	ds_load_2addr_b64 v[129:132], v2 offset0:43 offset1:44
	s_waitcnt lgkmcnt(1)
	v_fmac_f32_e32 v168, v133, v125
	s_delay_alu instid0(VALU_DEP_1) | instskip(NEXT) | instid1(VALU_DEP_1)
	v_fmac_f32_e32 v168, v134, v126
	v_fmac_f32_e32 v168, v135, v127
	s_waitcnt vmcnt(8)
	s_delay_alu instid0(VALU_DEP_1) | instskip(SKIP_3) | instid1(VALU_DEP_1)
	v_fmac_f32_e32 v168, v136, v128
	ds_load_2addr_b64 v[125:128], v2 offset0:45 offset1:46
	s_waitcnt lgkmcnt(1)
	v_fmac_f32_e32 v168, v137, v129
	v_fmac_f32_e32 v168, v138, v130
	s_delay_alu instid0(VALU_DEP_1) | instskip(SKIP_1) | instid1(VALU_DEP_1)
	v_fmac_f32_e32 v168, v139, v131
	s_waitcnt vmcnt(7)
	v_fmac_f32_e32 v168, v140, v132
	ds_load_2addr_b64 v[129:132], v2 offset0:47 offset1:48
	s_waitcnt lgkmcnt(1)
	v_fmac_f32_e32 v168, v141, v125
	;; [unrolled: 17-line block ×4, first 2 shown]
	s_delay_alu instid0(VALU_DEP_1) | instskip(NEXT) | instid1(VALU_DEP_1)
	v_fmac_f32_e32 v168, v158, v126
	v_fmac_f32_e32 v168, v159, v127
	s_waitcnt vmcnt(2)
	s_delay_alu instid0(VALU_DEP_1) | instskip(SKIP_4) | instid1(VALU_DEP_1)
	v_fmac_f32_e32 v168, v160, v128
	ds_load_2addr_b64 v[125:128], v2 offset0:57 offset1:58
	ds_load_b64 v[2:3], v2 offset:472
	s_waitcnt lgkmcnt(2)
	v_fmac_f32_e32 v168, v161, v129
	v_fmac_f32_e32 v168, v162, v130
	s_delay_alu instid0(VALU_DEP_1) | instskip(SKIP_1) | instid1(VALU_DEP_1)
	v_fmac_f32_e32 v168, v163, v131
	s_waitcnt vmcnt(1)
	v_fmac_f32_e32 v168, v164, v132
	s_waitcnt lgkmcnt(1)
	s_delay_alu instid0(VALU_DEP_1) | instskip(NEXT) | instid1(VALU_DEP_1)
	v_fmac_f32_e32 v168, v165, v125
	v_fmac_f32_e32 v168, v166, v126
	s_delay_alu instid0(VALU_DEP_1) | instskip(SKIP_1) | instid1(VALU_DEP_1)
	v_fmac_f32_e32 v168, v167, v127
	s_waitcnt vmcnt(0)
	v_fmac_f32_e32 v168, v176, v128
	s_waitcnt lgkmcnt(0)
	s_delay_alu instid0(VALU_DEP_1) | instskip(NEXT) | instid1(VALU_DEP_1)
	v_fmac_f32_e32 v168, v177, v2
	v_fmac_f32_e32 v168, v178, v3
	s_delay_alu instid0(VALU_DEP_1)
	v_sub_f32_e32 v2, v124, v168
	scratch_store_b32 off, v2, off offset:52
	v_cmpx_lt_u32_e32 12, v0
	s_cbranch_execz .LBB59_343
; %bb.342:
	scratch_load_b32 v2, off, off offset:48
	v_mov_b32_e32 v3, 0
	scratch_store_b32 off, v3, off offset:48
	s_waitcnt vmcnt(0)
	ds_store_b32 v1, v2
.LBB59_343:
	s_or_b32 exec_lo, exec_lo, s0
	s_waitcnt lgkmcnt(0)
	s_waitcnt_vscnt null, 0x0
	s_barrier
	buffer_gl0_inv
	s_clause 0xb
	scratch_load_b128 v[124:127], off, off offset:48
	scratch_load_b128 v[128:131], off, off offset:64
	;; [unrolled: 1-line block ×12, first 2 shown]
	v_mov_b32_e32 v2, 0
	ds_load_2addr_b32 v[172:173], v2 offset0:73 offset1:74
	ds_load_2addr_b32 v[174:175], v2 offset0:75 offset1:76
	;; [unrolled: 1-line block ×4, first 2 shown]
	s_mov_b32 s0, exec_lo
	s_waitcnt vmcnt(11) lgkmcnt(3)
	v_fma_f32 v3, v125, v172, 0
	s_delay_alu instid0(VALU_DEP_1) | instskip(SKIP_4) | instid1(VALU_DEP_1)
	v_fmac_f32_e32 v3, v126, v173
	ds_load_2addr_b32 v[125:126], v2 offset0:81 offset1:82
	s_waitcnt lgkmcnt(3)
	v_fmac_f32_e32 v3, v127, v174
	s_waitcnt vmcnt(10)
	v_fmac_f32_e32 v3, v128, v175
	ds_load_2addr_b32 v[127:128], v2 offset0:83 offset1:84
	s_waitcnt lgkmcnt(3)
	v_fmac_f32_e32 v3, v129, v176
	s_delay_alu instid0(VALU_DEP_1) | instskip(SKIP_1) | instid1(VALU_DEP_1)
	v_fmac_f32_e32 v3, v130, v177
	s_waitcnt lgkmcnt(2)
	v_fmac_f32_e32 v3, v131, v178
	s_waitcnt vmcnt(9)
	s_delay_alu instid0(VALU_DEP_1) | instskip(SKIP_4) | instid1(VALU_DEP_1)
	v_fmac_f32_e32 v3, v132, v179
	ds_load_2addr_b32 v[129:130], v2 offset0:85 offset1:86
	ds_load_2addr_b32 v[131:132], v2 offset0:87 offset1:88
	s_waitcnt lgkmcnt(3)
	v_fmac_f32_e32 v3, v133, v125
	v_fmac_f32_e32 v3, v134, v126
	ds_load_2addr_b32 v[125:126], v2 offset0:89 offset1:90
	s_waitcnt lgkmcnt(3)
	v_fmac_f32_e32 v3, v135, v127
	s_waitcnt vmcnt(8)
	s_delay_alu instid0(VALU_DEP_1) | instskip(SKIP_3) | instid1(VALU_DEP_1)
	v_fmac_f32_e32 v3, v136, v128
	ds_load_2addr_b32 v[127:128], v2 offset0:91 offset1:92
	s_waitcnt lgkmcnt(3)
	v_fmac_f32_e32 v3, v137, v129
	v_fmac_f32_e32 v3, v138, v130
	s_waitcnt lgkmcnt(2)
	s_delay_alu instid0(VALU_DEP_1) | instskip(SKIP_1) | instid1(VALU_DEP_1)
	v_fmac_f32_e32 v3, v139, v131
	s_waitcnt vmcnt(7)
	v_fmac_f32_e32 v3, v140, v132
	ds_load_2addr_b32 v[129:130], v2 offset0:93 offset1:94
	ds_load_2addr_b32 v[131:132], v2 offset0:95 offset1:96
	s_waitcnt lgkmcnt(3)
	v_fmac_f32_e32 v3, v141, v125
	s_delay_alu instid0(VALU_DEP_1) | instskip(SKIP_4) | instid1(VALU_DEP_1)
	v_fmac_f32_e32 v3, v142, v126
	ds_load_2addr_b32 v[125:126], v2 offset0:97 offset1:98
	s_waitcnt lgkmcnt(3)
	v_fmac_f32_e32 v3, v143, v127
	s_waitcnt vmcnt(6)
	v_fmac_f32_e32 v3, v144, v128
	ds_load_2addr_b32 v[127:128], v2 offset0:99 offset1:100
	s_waitcnt lgkmcnt(3)
	v_fmac_f32_e32 v3, v145, v129
	s_delay_alu instid0(VALU_DEP_1) | instskip(SKIP_1) | instid1(VALU_DEP_1)
	v_fmac_f32_e32 v3, v146, v130
	s_waitcnt lgkmcnt(2)
	v_fmac_f32_e32 v3, v147, v131
	s_waitcnt vmcnt(5)
	s_delay_alu instid0(VALU_DEP_1) | instskip(SKIP_4) | instid1(VALU_DEP_1)
	v_fmac_f32_e32 v3, v148, v132
	ds_load_2addr_b32 v[129:130], v2 offset0:101 offset1:102
	ds_load_2addr_b32 v[131:132], v2 offset0:103 offset1:104
	s_waitcnt lgkmcnt(3)
	v_fmac_f32_e32 v3, v149, v125
	v_fmac_f32_e32 v3, v150, v126
	ds_load_2addr_b32 v[125:126], v2 offset0:105 offset1:106
	s_waitcnt lgkmcnt(3)
	v_fmac_f32_e32 v3, v151, v127
	s_waitcnt vmcnt(4)
	s_delay_alu instid0(VALU_DEP_1) | instskip(SKIP_3) | instid1(VALU_DEP_1)
	v_fmac_f32_e32 v3, v152, v128
	ds_load_2addr_b32 v[127:128], v2 offset0:107 offset1:108
	s_waitcnt lgkmcnt(3)
	v_fmac_f32_e32 v3, v153, v129
	v_fmac_f32_e32 v3, v154, v130
	s_waitcnt lgkmcnt(2)
	s_delay_alu instid0(VALU_DEP_1) | instskip(SKIP_1) | instid1(VALU_DEP_1)
	v_fmac_f32_e32 v3, v155, v131
	s_waitcnt vmcnt(3)
	v_fmac_f32_e32 v3, v156, v132
	ds_load_2addr_b32 v[129:130], v2 offset0:109 offset1:110
	ds_load_2addr_b32 v[131:132], v2 offset0:111 offset1:112
	s_waitcnt lgkmcnt(3)
	v_fmac_f32_e32 v3, v157, v125
	s_delay_alu instid0(VALU_DEP_1) | instskip(SKIP_4) | instid1(VALU_DEP_1)
	v_fmac_f32_e32 v3, v158, v126
	ds_load_2addr_b32 v[125:126], v2 offset0:113 offset1:114
	s_waitcnt lgkmcnt(3)
	v_fmac_f32_e32 v3, v159, v127
	s_waitcnt vmcnt(2)
	v_fmac_f32_e32 v3, v160, v128
	ds_load_2addr_b32 v[127:128], v2 offset0:115 offset1:116
	s_waitcnt lgkmcnt(3)
	v_fmac_f32_e32 v3, v161, v129
	s_delay_alu instid0(VALU_DEP_1) | instskip(SKIP_1) | instid1(VALU_DEP_1)
	v_fmac_f32_e32 v3, v162, v130
	s_waitcnt lgkmcnt(2)
	v_fmac_f32_e32 v3, v163, v131
	ds_load_2addr_b32 v[129:130], v2 offset0:117 offset1:118
	ds_load_b32 v131, v2 offset:476
	s_waitcnt vmcnt(1)
	v_fmac_f32_e32 v3, v164, v132
	s_waitcnt lgkmcnt(3)
	s_delay_alu instid0(VALU_DEP_1) | instskip(NEXT) | instid1(VALU_DEP_1)
	v_fmac_f32_e32 v3, v165, v125
	v_fmac_f32_e32 v3, v166, v126
	s_waitcnt lgkmcnt(2)
	s_delay_alu instid0(VALU_DEP_1) | instskip(SKIP_1) | instid1(VALU_DEP_1)
	v_fmac_f32_e32 v3, v167, v127
	s_waitcnt vmcnt(0)
	v_fmac_f32_e32 v3, v168, v128
	s_waitcnt lgkmcnt(1)
	s_delay_alu instid0(VALU_DEP_1) | instskip(NEXT) | instid1(VALU_DEP_1)
	v_fmac_f32_e32 v3, v169, v129
	v_fmac_f32_e32 v3, v170, v130
	s_waitcnt lgkmcnt(0)
	s_delay_alu instid0(VALU_DEP_1) | instskip(NEXT) | instid1(VALU_DEP_1)
	v_fmac_f32_e32 v3, v171, v131
	v_sub_f32_e32 v3, v124, v3
	scratch_store_b32 off, v3, off offset:48
	v_cmpx_lt_u32_e32 11, v0
	s_cbranch_execz .LBB59_345
; %bb.344:
	scratch_load_b32 v3, off, off offset:44
	scratch_store_b32 off, v2, off offset:44
	s_waitcnt vmcnt(0)
	ds_store_b32 v1, v3
.LBB59_345:
	s_or_b32 exec_lo, exec_lo, s0
	s_waitcnt lgkmcnt(0)
	s_waitcnt_vscnt null, 0x0
	s_barrier
	buffer_gl0_inv
	s_clause 0xc
	scratch_load_b128 v[124:127], off, off offset:44
	scratch_load_b128 v[128:131], off, off offset:60
	;; [unrolled: 1-line block ×12, first 2 shown]
	scratch_load_b32 v3, off, off offset:236
	ds_load_b128 v[172:175], v2 offset:288
	ds_load_b128 v[176:179], v2 offset:304
	s_mov_b32 s0, exec_lo
	s_waitcnt vmcnt(12) lgkmcnt(1)
	v_fma_f32 v172, v125, v172, 0
	s_delay_alu instid0(VALU_DEP_1) | instskip(NEXT) | instid1(VALU_DEP_1)
	v_fmac_f32_e32 v172, v126, v173
	v_fmac_f32_e32 v172, v127, v174
	s_waitcnt vmcnt(11)
	s_delay_alu instid0(VALU_DEP_1) | instskip(SKIP_3) | instid1(VALU_DEP_1)
	v_fmac_f32_e32 v172, v128, v175
	ds_load_b128 v[125:128], v2 offset:320
	s_waitcnt lgkmcnt(1)
	v_fmac_f32_e32 v172, v129, v176
	v_fmac_f32_e32 v172, v130, v177
	s_delay_alu instid0(VALU_DEP_1) | instskip(SKIP_1) | instid1(VALU_DEP_1)
	v_fmac_f32_e32 v172, v131, v178
	s_waitcnt vmcnt(10)
	v_fmac_f32_e32 v172, v132, v179
	ds_load_b128 v[129:132], v2 offset:336
	s_waitcnt lgkmcnt(1)
	v_fmac_f32_e32 v172, v133, v125
	s_delay_alu instid0(VALU_DEP_1) | instskip(NEXT) | instid1(VALU_DEP_1)
	v_fmac_f32_e32 v172, v134, v126
	v_fmac_f32_e32 v172, v135, v127
	s_waitcnt vmcnt(9)
	s_delay_alu instid0(VALU_DEP_1) | instskip(SKIP_3) | instid1(VALU_DEP_1)
	v_fmac_f32_e32 v172, v136, v128
	ds_load_b128 v[125:128], v2 offset:352
	s_waitcnt lgkmcnt(1)
	v_fmac_f32_e32 v172, v137, v129
	v_fmac_f32_e32 v172, v138, v130
	s_delay_alu instid0(VALU_DEP_1) | instskip(SKIP_1) | instid1(VALU_DEP_1)
	v_fmac_f32_e32 v172, v139, v131
	s_waitcnt vmcnt(8)
	v_fmac_f32_e32 v172, v140, v132
	ds_load_b128 v[129:132], v2 offset:368
	s_waitcnt lgkmcnt(1)
	v_fmac_f32_e32 v172, v141, v125
	;; [unrolled: 17-line block ×5, first 2 shown]
	s_delay_alu instid0(VALU_DEP_1) | instskip(NEXT) | instid1(VALU_DEP_1)
	v_fmac_f32_e32 v172, v166, v126
	v_fmac_f32_e32 v172, v167, v127
	s_waitcnt vmcnt(1)
	s_delay_alu instid0(VALU_DEP_1) | instskip(SKIP_1) | instid1(VALU_DEP_1)
	v_fmac_f32_e32 v172, v168, v128
	s_waitcnt lgkmcnt(0)
	v_fmac_f32_e32 v172, v169, v129
	s_delay_alu instid0(VALU_DEP_1) | instskip(NEXT) | instid1(VALU_DEP_1)
	v_fmac_f32_e32 v172, v170, v130
	v_fmac_f32_e32 v172, v171, v131
	s_waitcnt vmcnt(0)
	s_delay_alu instid0(VALU_DEP_1) | instskip(NEXT) | instid1(VALU_DEP_1)
	v_fmac_f32_e32 v172, v3, v132
	v_sub_f32_e32 v2, v124, v172
	scratch_store_b32 off, v2, off offset:44
	v_cmpx_lt_u32_e32 10, v0
	s_cbranch_execz .LBB59_347
; %bb.346:
	scratch_load_b32 v2, off, off offset:40
	v_mov_b32_e32 v3, 0
	scratch_store_b32 off, v3, off offset:40
	s_waitcnt vmcnt(0)
	ds_store_b32 v1, v2
.LBB59_347:
	s_or_b32 exec_lo, exec_lo, s0
	s_waitcnt lgkmcnt(0)
	s_waitcnt_vscnt null, 0x0
	s_barrier
	buffer_gl0_inv
	s_clause 0xc
	scratch_load_b128 v[124:127], off, off offset:40
	scratch_load_b128 v[128:131], off, off offset:56
	;; [unrolled: 1-line block ×12, first 2 shown]
	scratch_load_b64 v[172:173], off, off offset:232
	v_mov_b32_e32 v2, 0
	ds_load_2addr_b32 v[174:175], v2 offset0:71 offset1:72
	ds_load_2addr_b32 v[176:177], v2 offset0:73 offset1:74
	;; [unrolled: 1-line block ×4, first 2 shown]
	s_mov_b32 s0, exec_lo
	s_waitcnt vmcnt(12) lgkmcnt(3)
	v_fma_f32 v3, v125, v174, 0
	s_delay_alu instid0(VALU_DEP_1) | instskip(SKIP_4) | instid1(VALU_DEP_1)
	v_fmac_f32_e32 v3, v126, v175
	ds_load_2addr_b32 v[125:126], v2 offset0:79 offset1:80
	s_waitcnt lgkmcnt(3)
	v_fmac_f32_e32 v3, v127, v176
	s_waitcnt vmcnt(11)
	v_fmac_f32_e32 v3, v128, v177
	ds_load_2addr_b32 v[127:128], v2 offset0:81 offset1:82
	s_waitcnt lgkmcnt(3)
	v_fmac_f32_e32 v3, v129, v178
	s_delay_alu instid0(VALU_DEP_1) | instskip(SKIP_1) | instid1(VALU_DEP_1)
	v_fmac_f32_e32 v3, v130, v179
	s_waitcnt lgkmcnt(2)
	v_fmac_f32_e32 v3, v131, v180
	s_waitcnt vmcnt(10)
	s_delay_alu instid0(VALU_DEP_1) | instskip(SKIP_4) | instid1(VALU_DEP_1)
	v_fmac_f32_e32 v3, v132, v181
	ds_load_2addr_b32 v[129:130], v2 offset0:83 offset1:84
	ds_load_2addr_b32 v[131:132], v2 offset0:85 offset1:86
	s_waitcnt lgkmcnt(3)
	v_fmac_f32_e32 v3, v133, v125
	v_fmac_f32_e32 v3, v134, v126
	ds_load_2addr_b32 v[125:126], v2 offset0:87 offset1:88
	s_waitcnt lgkmcnt(3)
	v_fmac_f32_e32 v3, v135, v127
	s_waitcnt vmcnt(9)
	s_delay_alu instid0(VALU_DEP_1) | instskip(SKIP_3) | instid1(VALU_DEP_1)
	v_fmac_f32_e32 v3, v136, v128
	ds_load_2addr_b32 v[127:128], v2 offset0:89 offset1:90
	s_waitcnt lgkmcnt(3)
	v_fmac_f32_e32 v3, v137, v129
	v_fmac_f32_e32 v3, v138, v130
	s_waitcnt lgkmcnt(2)
	s_delay_alu instid0(VALU_DEP_1) | instskip(SKIP_1) | instid1(VALU_DEP_1)
	v_fmac_f32_e32 v3, v139, v131
	s_waitcnt vmcnt(8)
	v_fmac_f32_e32 v3, v140, v132
	ds_load_2addr_b32 v[129:130], v2 offset0:91 offset1:92
	ds_load_2addr_b32 v[131:132], v2 offset0:93 offset1:94
	s_waitcnt lgkmcnt(3)
	v_fmac_f32_e32 v3, v141, v125
	s_delay_alu instid0(VALU_DEP_1) | instskip(SKIP_4) | instid1(VALU_DEP_1)
	v_fmac_f32_e32 v3, v142, v126
	ds_load_2addr_b32 v[125:126], v2 offset0:95 offset1:96
	s_waitcnt lgkmcnt(3)
	v_fmac_f32_e32 v3, v143, v127
	s_waitcnt vmcnt(7)
	v_fmac_f32_e32 v3, v144, v128
	ds_load_2addr_b32 v[127:128], v2 offset0:97 offset1:98
	s_waitcnt lgkmcnt(3)
	v_fmac_f32_e32 v3, v145, v129
	s_delay_alu instid0(VALU_DEP_1) | instskip(SKIP_1) | instid1(VALU_DEP_1)
	v_fmac_f32_e32 v3, v146, v130
	s_waitcnt lgkmcnt(2)
	v_fmac_f32_e32 v3, v147, v131
	s_waitcnt vmcnt(6)
	s_delay_alu instid0(VALU_DEP_1) | instskip(SKIP_4) | instid1(VALU_DEP_1)
	v_fmac_f32_e32 v3, v148, v132
	ds_load_2addr_b32 v[129:130], v2 offset0:99 offset1:100
	ds_load_2addr_b32 v[131:132], v2 offset0:101 offset1:102
	s_waitcnt lgkmcnt(3)
	v_fmac_f32_e32 v3, v149, v125
	v_fmac_f32_e32 v3, v150, v126
	ds_load_2addr_b32 v[125:126], v2 offset0:103 offset1:104
	s_waitcnt lgkmcnt(3)
	v_fmac_f32_e32 v3, v151, v127
	s_waitcnt vmcnt(5)
	s_delay_alu instid0(VALU_DEP_1) | instskip(SKIP_3) | instid1(VALU_DEP_1)
	v_fmac_f32_e32 v3, v152, v128
	ds_load_2addr_b32 v[127:128], v2 offset0:105 offset1:106
	s_waitcnt lgkmcnt(3)
	v_fmac_f32_e32 v3, v153, v129
	v_fmac_f32_e32 v3, v154, v130
	s_waitcnt lgkmcnt(2)
	s_delay_alu instid0(VALU_DEP_1) | instskip(SKIP_1) | instid1(VALU_DEP_1)
	v_fmac_f32_e32 v3, v155, v131
	s_waitcnt vmcnt(4)
	v_fmac_f32_e32 v3, v156, v132
	ds_load_2addr_b32 v[129:130], v2 offset0:107 offset1:108
	ds_load_2addr_b32 v[131:132], v2 offset0:109 offset1:110
	s_waitcnt lgkmcnt(3)
	v_fmac_f32_e32 v3, v157, v125
	s_delay_alu instid0(VALU_DEP_1) | instskip(SKIP_4) | instid1(VALU_DEP_1)
	v_fmac_f32_e32 v3, v158, v126
	ds_load_2addr_b32 v[125:126], v2 offset0:111 offset1:112
	s_waitcnt lgkmcnt(3)
	v_fmac_f32_e32 v3, v159, v127
	s_waitcnt vmcnt(3)
	v_fmac_f32_e32 v3, v160, v128
	ds_load_2addr_b32 v[127:128], v2 offset0:113 offset1:114
	s_waitcnt lgkmcnt(3)
	v_fmac_f32_e32 v3, v161, v129
	s_delay_alu instid0(VALU_DEP_1) | instskip(SKIP_1) | instid1(VALU_DEP_1)
	v_fmac_f32_e32 v3, v162, v130
	s_waitcnt lgkmcnt(2)
	v_fmac_f32_e32 v3, v163, v131
	s_waitcnt vmcnt(2)
	s_delay_alu instid0(VALU_DEP_1)
	v_fmac_f32_e32 v3, v164, v132
	ds_load_2addr_b32 v[129:130], v2 offset0:115 offset1:116
	ds_load_2addr_b32 v[131:132], v2 offset0:117 offset1:118
	s_waitcnt lgkmcnt(3)
	v_fmac_f32_e32 v3, v165, v125
	ds_load_b32 v125, v2 offset:476
	v_fmac_f32_e32 v3, v166, v126
	s_waitcnt lgkmcnt(3)
	s_delay_alu instid0(VALU_DEP_1) | instskip(SKIP_1) | instid1(VALU_DEP_1)
	v_fmac_f32_e32 v3, v167, v127
	s_waitcnt vmcnt(1)
	v_fmac_f32_e32 v3, v168, v128
	s_waitcnt lgkmcnt(2)
	s_delay_alu instid0(VALU_DEP_1) | instskip(NEXT) | instid1(VALU_DEP_1)
	v_fmac_f32_e32 v3, v169, v129
	v_fmac_f32_e32 v3, v170, v130
	s_waitcnt lgkmcnt(1)
	s_delay_alu instid0(VALU_DEP_1) | instskip(SKIP_1) | instid1(VALU_DEP_1)
	v_fmac_f32_e32 v3, v171, v131
	s_waitcnt vmcnt(0)
	v_fmac_f32_e32 v3, v172, v132
	s_waitcnt lgkmcnt(0)
	s_delay_alu instid0(VALU_DEP_1) | instskip(NEXT) | instid1(VALU_DEP_1)
	v_fmac_f32_e32 v3, v173, v125
	v_sub_f32_e32 v3, v124, v3
	scratch_store_b32 off, v3, off offset:40
	v_cmpx_lt_u32_e32 9, v0
	s_cbranch_execz .LBB59_349
; %bb.348:
	scratch_load_b32 v3, off, off offset:36
	scratch_store_b32 off, v2, off offset:36
	s_waitcnt vmcnt(0)
	ds_store_b32 v1, v3
.LBB59_349:
	s_or_b32 exec_lo, exec_lo, s0
	s_waitcnt lgkmcnt(0)
	s_waitcnt_vscnt null, 0x0
	s_barrier
	buffer_gl0_inv
	s_clause 0xc
	scratch_load_b128 v[124:127], off, off offset:36
	scratch_load_b128 v[128:131], off, off offset:52
	;; [unrolled: 1-line block ×12, first 2 shown]
	scratch_load_b96 v[180:182], off, off offset:228
	ds_load_2addr_b64 v[172:175], v2 offset0:35 offset1:36
	ds_load_2addr_b64 v[176:179], v2 offset0:37 offset1:38
	s_mov_b32 s0, exec_lo
	s_waitcnt vmcnt(12) lgkmcnt(1)
	v_fma_f32 v172, v125, v172, 0
	s_delay_alu instid0(VALU_DEP_1) | instskip(NEXT) | instid1(VALU_DEP_1)
	v_fmac_f32_e32 v172, v126, v173
	v_fmac_f32_e32 v172, v127, v174
	s_waitcnt vmcnt(11)
	s_delay_alu instid0(VALU_DEP_1) | instskip(SKIP_3) | instid1(VALU_DEP_1)
	v_fmac_f32_e32 v172, v128, v175
	ds_load_2addr_b64 v[125:128], v2 offset0:39 offset1:40
	s_waitcnt lgkmcnt(1)
	v_fmac_f32_e32 v172, v129, v176
	v_fmac_f32_e32 v172, v130, v177
	s_delay_alu instid0(VALU_DEP_1) | instskip(SKIP_1) | instid1(VALU_DEP_1)
	v_fmac_f32_e32 v172, v131, v178
	s_waitcnt vmcnt(10)
	v_fmac_f32_e32 v172, v132, v179
	ds_load_2addr_b64 v[129:132], v2 offset0:41 offset1:42
	s_waitcnt lgkmcnt(1)
	v_fmac_f32_e32 v172, v133, v125
	s_delay_alu instid0(VALU_DEP_1) | instskip(NEXT) | instid1(VALU_DEP_1)
	v_fmac_f32_e32 v172, v134, v126
	v_fmac_f32_e32 v172, v135, v127
	s_waitcnt vmcnt(9)
	s_delay_alu instid0(VALU_DEP_1) | instskip(SKIP_3) | instid1(VALU_DEP_1)
	v_fmac_f32_e32 v172, v136, v128
	ds_load_2addr_b64 v[125:128], v2 offset0:43 offset1:44
	s_waitcnt lgkmcnt(1)
	v_fmac_f32_e32 v172, v137, v129
	v_fmac_f32_e32 v172, v138, v130
	s_delay_alu instid0(VALU_DEP_1) | instskip(SKIP_1) | instid1(VALU_DEP_1)
	v_fmac_f32_e32 v172, v139, v131
	s_waitcnt vmcnt(8)
	v_fmac_f32_e32 v172, v140, v132
	ds_load_2addr_b64 v[129:132], v2 offset0:45 offset1:46
	s_waitcnt lgkmcnt(1)
	v_fmac_f32_e32 v172, v141, v125
	;; [unrolled: 17-line block ×4, first 2 shown]
	s_delay_alu instid0(VALU_DEP_1) | instskip(NEXT) | instid1(VALU_DEP_1)
	v_fmac_f32_e32 v172, v158, v126
	v_fmac_f32_e32 v172, v159, v127
	s_waitcnt vmcnt(3)
	s_delay_alu instid0(VALU_DEP_1) | instskip(SKIP_3) | instid1(VALU_DEP_1)
	v_fmac_f32_e32 v172, v160, v128
	ds_load_2addr_b64 v[125:128], v2 offset0:55 offset1:56
	s_waitcnt lgkmcnt(1)
	v_fmac_f32_e32 v172, v161, v129
	v_fmac_f32_e32 v172, v162, v130
	s_delay_alu instid0(VALU_DEP_1) | instskip(SKIP_1) | instid1(VALU_DEP_1)
	v_fmac_f32_e32 v172, v163, v131
	s_waitcnt vmcnt(2)
	v_fmac_f32_e32 v172, v164, v132
	ds_load_2addr_b64 v[129:132], v2 offset0:57 offset1:58
	ds_load_b64 v[2:3], v2 offset:472
	s_waitcnt lgkmcnt(2)
	v_fmac_f32_e32 v172, v165, v125
	s_delay_alu instid0(VALU_DEP_1) | instskip(NEXT) | instid1(VALU_DEP_1)
	v_fmac_f32_e32 v172, v166, v126
	v_fmac_f32_e32 v172, v167, v127
	s_waitcnt vmcnt(1)
	s_delay_alu instid0(VALU_DEP_1) | instskip(SKIP_1) | instid1(VALU_DEP_1)
	v_fmac_f32_e32 v172, v168, v128
	s_waitcnt lgkmcnt(1)
	v_fmac_f32_e32 v172, v169, v129
	s_delay_alu instid0(VALU_DEP_1) | instskip(NEXT) | instid1(VALU_DEP_1)
	v_fmac_f32_e32 v172, v170, v130
	v_fmac_f32_e32 v172, v171, v131
	s_waitcnt vmcnt(0)
	s_delay_alu instid0(VALU_DEP_1) | instskip(SKIP_1) | instid1(VALU_DEP_1)
	v_fmac_f32_e32 v172, v180, v132
	s_waitcnt lgkmcnt(0)
	v_fmac_f32_e32 v172, v181, v2
	s_delay_alu instid0(VALU_DEP_1) | instskip(NEXT) | instid1(VALU_DEP_1)
	v_fmac_f32_e32 v172, v182, v3
	v_sub_f32_e32 v2, v124, v172
	scratch_store_b32 off, v2, off offset:36
	v_cmpx_lt_u32_e32 8, v0
	s_cbranch_execz .LBB59_351
; %bb.350:
	scratch_load_b32 v2, off, off offset:32
	v_mov_b32_e32 v3, 0
	scratch_store_b32 off, v3, off offset:32
	s_waitcnt vmcnt(0)
	ds_store_b32 v1, v2
.LBB59_351:
	s_or_b32 exec_lo, exec_lo, s0
	s_waitcnt lgkmcnt(0)
	s_waitcnt_vscnt null, 0x0
	s_barrier
	buffer_gl0_inv
	s_clause 0xc
	scratch_load_b128 v[124:127], off, off offset:32
	scratch_load_b128 v[128:131], off, off offset:48
	;; [unrolled: 1-line block ×13, first 2 shown]
	v_mov_b32_e32 v2, 0
	ds_load_2addr_b32 v[176:177], v2 offset0:69 offset1:70
	ds_load_2addr_b32 v[178:179], v2 offset0:71 offset1:72
	;; [unrolled: 1-line block ×4, first 2 shown]
	s_mov_b32 s0, exec_lo
	s_waitcnt vmcnt(12) lgkmcnt(3)
	v_fma_f32 v3, v125, v176, 0
	s_delay_alu instid0(VALU_DEP_1) | instskip(SKIP_4) | instid1(VALU_DEP_1)
	v_fmac_f32_e32 v3, v126, v177
	ds_load_2addr_b32 v[125:126], v2 offset0:77 offset1:78
	s_waitcnt lgkmcnt(3)
	v_fmac_f32_e32 v3, v127, v178
	s_waitcnt vmcnt(11)
	v_fmac_f32_e32 v3, v128, v179
	ds_load_2addr_b32 v[127:128], v2 offset0:79 offset1:80
	s_waitcnt lgkmcnt(3)
	v_fmac_f32_e32 v3, v129, v180
	s_delay_alu instid0(VALU_DEP_1) | instskip(SKIP_1) | instid1(VALU_DEP_1)
	v_fmac_f32_e32 v3, v130, v181
	s_waitcnt lgkmcnt(2)
	v_fmac_f32_e32 v3, v131, v182
	s_waitcnt vmcnt(10)
	s_delay_alu instid0(VALU_DEP_1) | instskip(SKIP_4) | instid1(VALU_DEP_1)
	v_fmac_f32_e32 v3, v132, v183
	ds_load_2addr_b32 v[129:130], v2 offset0:81 offset1:82
	ds_load_2addr_b32 v[131:132], v2 offset0:83 offset1:84
	s_waitcnt lgkmcnt(3)
	v_fmac_f32_e32 v3, v133, v125
	v_fmac_f32_e32 v3, v134, v126
	ds_load_2addr_b32 v[125:126], v2 offset0:85 offset1:86
	s_waitcnt lgkmcnt(3)
	v_fmac_f32_e32 v3, v135, v127
	s_waitcnt vmcnt(9)
	s_delay_alu instid0(VALU_DEP_1) | instskip(SKIP_3) | instid1(VALU_DEP_1)
	v_fmac_f32_e32 v3, v136, v128
	ds_load_2addr_b32 v[127:128], v2 offset0:87 offset1:88
	s_waitcnt lgkmcnt(3)
	v_fmac_f32_e32 v3, v137, v129
	v_fmac_f32_e32 v3, v138, v130
	s_waitcnt lgkmcnt(2)
	s_delay_alu instid0(VALU_DEP_1) | instskip(SKIP_1) | instid1(VALU_DEP_1)
	v_fmac_f32_e32 v3, v139, v131
	s_waitcnt vmcnt(8)
	v_fmac_f32_e32 v3, v140, v132
	ds_load_2addr_b32 v[129:130], v2 offset0:89 offset1:90
	ds_load_2addr_b32 v[131:132], v2 offset0:91 offset1:92
	s_waitcnt lgkmcnt(3)
	v_fmac_f32_e32 v3, v141, v125
	s_delay_alu instid0(VALU_DEP_1) | instskip(SKIP_4) | instid1(VALU_DEP_1)
	v_fmac_f32_e32 v3, v142, v126
	ds_load_2addr_b32 v[125:126], v2 offset0:93 offset1:94
	s_waitcnt lgkmcnt(3)
	v_fmac_f32_e32 v3, v143, v127
	s_waitcnt vmcnt(7)
	v_fmac_f32_e32 v3, v144, v128
	ds_load_2addr_b32 v[127:128], v2 offset0:95 offset1:96
	s_waitcnt lgkmcnt(3)
	v_fmac_f32_e32 v3, v145, v129
	s_delay_alu instid0(VALU_DEP_1) | instskip(SKIP_1) | instid1(VALU_DEP_1)
	v_fmac_f32_e32 v3, v146, v130
	s_waitcnt lgkmcnt(2)
	v_fmac_f32_e32 v3, v147, v131
	s_waitcnt vmcnt(6)
	s_delay_alu instid0(VALU_DEP_1) | instskip(SKIP_4) | instid1(VALU_DEP_1)
	v_fmac_f32_e32 v3, v148, v132
	ds_load_2addr_b32 v[129:130], v2 offset0:97 offset1:98
	ds_load_2addr_b32 v[131:132], v2 offset0:99 offset1:100
	s_waitcnt lgkmcnt(3)
	v_fmac_f32_e32 v3, v149, v125
	v_fmac_f32_e32 v3, v150, v126
	ds_load_2addr_b32 v[125:126], v2 offset0:101 offset1:102
	s_waitcnt lgkmcnt(3)
	v_fmac_f32_e32 v3, v151, v127
	s_waitcnt vmcnt(5)
	s_delay_alu instid0(VALU_DEP_1) | instskip(SKIP_3) | instid1(VALU_DEP_1)
	v_fmac_f32_e32 v3, v152, v128
	ds_load_2addr_b32 v[127:128], v2 offset0:103 offset1:104
	s_waitcnt lgkmcnt(3)
	v_fmac_f32_e32 v3, v153, v129
	v_fmac_f32_e32 v3, v154, v130
	s_waitcnt lgkmcnt(2)
	s_delay_alu instid0(VALU_DEP_1) | instskip(SKIP_1) | instid1(VALU_DEP_1)
	v_fmac_f32_e32 v3, v155, v131
	s_waitcnt vmcnt(4)
	v_fmac_f32_e32 v3, v156, v132
	ds_load_2addr_b32 v[129:130], v2 offset0:105 offset1:106
	ds_load_2addr_b32 v[131:132], v2 offset0:107 offset1:108
	s_waitcnt lgkmcnt(3)
	v_fmac_f32_e32 v3, v157, v125
	s_delay_alu instid0(VALU_DEP_1) | instskip(SKIP_4) | instid1(VALU_DEP_1)
	v_fmac_f32_e32 v3, v158, v126
	ds_load_2addr_b32 v[125:126], v2 offset0:109 offset1:110
	s_waitcnt lgkmcnt(3)
	v_fmac_f32_e32 v3, v159, v127
	s_waitcnt vmcnt(3)
	v_fmac_f32_e32 v3, v160, v128
	ds_load_2addr_b32 v[127:128], v2 offset0:111 offset1:112
	s_waitcnt lgkmcnt(3)
	v_fmac_f32_e32 v3, v161, v129
	s_delay_alu instid0(VALU_DEP_1) | instskip(SKIP_1) | instid1(VALU_DEP_1)
	v_fmac_f32_e32 v3, v162, v130
	s_waitcnt lgkmcnt(2)
	v_fmac_f32_e32 v3, v163, v131
	s_waitcnt vmcnt(2)
	s_delay_alu instid0(VALU_DEP_1) | instskip(SKIP_4) | instid1(VALU_DEP_1)
	v_fmac_f32_e32 v3, v164, v132
	ds_load_2addr_b32 v[129:130], v2 offset0:113 offset1:114
	ds_load_2addr_b32 v[131:132], v2 offset0:115 offset1:116
	s_waitcnt lgkmcnt(3)
	v_fmac_f32_e32 v3, v165, v125
	v_fmac_f32_e32 v3, v166, v126
	ds_load_2addr_b32 v[125:126], v2 offset0:117 offset1:118
	s_waitcnt lgkmcnt(3)
	v_fmac_f32_e32 v3, v167, v127
	ds_load_b32 v127, v2 offset:476
	s_waitcnt vmcnt(1)
	v_fmac_f32_e32 v3, v168, v128
	s_waitcnt lgkmcnt(3)
	s_delay_alu instid0(VALU_DEP_1) | instskip(NEXT) | instid1(VALU_DEP_1)
	v_fmac_f32_e32 v3, v169, v129
	v_fmac_f32_e32 v3, v170, v130
	s_waitcnt lgkmcnt(2)
	s_delay_alu instid0(VALU_DEP_1) | instskip(SKIP_1) | instid1(VALU_DEP_1)
	v_fmac_f32_e32 v3, v171, v131
	s_waitcnt vmcnt(0)
	v_fmac_f32_e32 v3, v172, v132
	s_waitcnt lgkmcnt(1)
	s_delay_alu instid0(VALU_DEP_1) | instskip(NEXT) | instid1(VALU_DEP_1)
	v_fmac_f32_e32 v3, v173, v125
	v_fmac_f32_e32 v3, v174, v126
	s_waitcnt lgkmcnt(0)
	s_delay_alu instid0(VALU_DEP_1) | instskip(NEXT) | instid1(VALU_DEP_1)
	v_fmac_f32_e32 v3, v175, v127
	v_sub_f32_e32 v3, v124, v3
	scratch_store_b32 off, v3, off offset:32
	v_cmpx_lt_u32_e32 7, v0
	s_cbranch_execz .LBB59_353
; %bb.352:
	scratch_load_b32 v3, off, off offset:28
	scratch_store_b32 off, v2, off offset:28
	s_waitcnt vmcnt(0)
	ds_store_b32 v1, v3
.LBB59_353:
	s_or_b32 exec_lo, exec_lo, s0
	s_waitcnt lgkmcnt(0)
	s_waitcnt_vscnt null, 0x0
	s_barrier
	buffer_gl0_inv
	s_clause 0xd
	scratch_load_b128 v[124:127], off, off offset:28
	scratch_load_b128 v[128:131], off, off offset:44
	;; [unrolled: 1-line block ×13, first 2 shown]
	scratch_load_b32 v3, off, off offset:236
	ds_load_b128 v[176:179], v2 offset:272
	ds_load_b128 v[180:183], v2 offset:288
	s_mov_b32 s0, exec_lo
	s_waitcnt vmcnt(13) lgkmcnt(1)
	v_fma_f32 v176, v125, v176, 0
	s_delay_alu instid0(VALU_DEP_1) | instskip(NEXT) | instid1(VALU_DEP_1)
	v_fmac_f32_e32 v176, v126, v177
	v_fmac_f32_e32 v176, v127, v178
	s_waitcnt vmcnt(12)
	s_delay_alu instid0(VALU_DEP_1) | instskip(SKIP_3) | instid1(VALU_DEP_1)
	v_fmac_f32_e32 v176, v128, v179
	ds_load_b128 v[125:128], v2 offset:304
	s_waitcnt lgkmcnt(1)
	v_fmac_f32_e32 v176, v129, v180
	v_fmac_f32_e32 v176, v130, v181
	s_delay_alu instid0(VALU_DEP_1) | instskip(SKIP_1) | instid1(VALU_DEP_1)
	v_fmac_f32_e32 v176, v131, v182
	s_waitcnt vmcnt(11)
	v_fmac_f32_e32 v176, v132, v183
	ds_load_b128 v[129:132], v2 offset:320
	s_waitcnt lgkmcnt(1)
	v_fmac_f32_e32 v176, v133, v125
	s_delay_alu instid0(VALU_DEP_1) | instskip(NEXT) | instid1(VALU_DEP_1)
	v_fmac_f32_e32 v176, v134, v126
	v_fmac_f32_e32 v176, v135, v127
	s_waitcnt vmcnt(10)
	s_delay_alu instid0(VALU_DEP_1) | instskip(SKIP_3) | instid1(VALU_DEP_1)
	v_fmac_f32_e32 v176, v136, v128
	ds_load_b128 v[125:128], v2 offset:336
	s_waitcnt lgkmcnt(1)
	v_fmac_f32_e32 v176, v137, v129
	v_fmac_f32_e32 v176, v138, v130
	s_delay_alu instid0(VALU_DEP_1) | instskip(SKIP_1) | instid1(VALU_DEP_1)
	v_fmac_f32_e32 v176, v139, v131
	s_waitcnt vmcnt(9)
	v_fmac_f32_e32 v176, v140, v132
	ds_load_b128 v[129:132], v2 offset:352
	s_waitcnt lgkmcnt(1)
	v_fmac_f32_e32 v176, v141, v125
	;; [unrolled: 17-line block ×5, first 2 shown]
	s_delay_alu instid0(VALU_DEP_1) | instskip(NEXT) | instid1(VALU_DEP_1)
	v_fmac_f32_e32 v176, v166, v126
	v_fmac_f32_e32 v176, v167, v127
	s_waitcnt vmcnt(2)
	s_delay_alu instid0(VALU_DEP_1) | instskip(SKIP_3) | instid1(VALU_DEP_1)
	v_fmac_f32_e32 v176, v168, v128
	ds_load_b128 v[125:128], v2 offset:464
	s_waitcnt lgkmcnt(1)
	v_fmac_f32_e32 v176, v169, v129
	v_fmac_f32_e32 v176, v170, v130
	s_delay_alu instid0(VALU_DEP_1) | instskip(SKIP_1) | instid1(VALU_DEP_1)
	v_fmac_f32_e32 v176, v171, v131
	s_waitcnt vmcnt(1)
	v_fmac_f32_e32 v176, v172, v132
	s_waitcnt lgkmcnt(0)
	s_delay_alu instid0(VALU_DEP_1) | instskip(NEXT) | instid1(VALU_DEP_1)
	v_fmac_f32_e32 v176, v173, v125
	v_fmac_f32_e32 v176, v174, v126
	s_delay_alu instid0(VALU_DEP_1) | instskip(SKIP_1) | instid1(VALU_DEP_1)
	v_fmac_f32_e32 v176, v175, v127
	s_waitcnt vmcnt(0)
	v_fmac_f32_e32 v176, v3, v128
	s_delay_alu instid0(VALU_DEP_1)
	v_sub_f32_e32 v2, v124, v176
	scratch_store_b32 off, v2, off offset:28
	v_cmpx_lt_u32_e32 6, v0
	s_cbranch_execz .LBB59_355
; %bb.354:
	scratch_load_b32 v2, off, off offset:24
	v_mov_b32_e32 v3, 0
	scratch_store_b32 off, v3, off offset:24
	s_waitcnt vmcnt(0)
	ds_store_b32 v1, v2
.LBB59_355:
	s_or_b32 exec_lo, exec_lo, s0
	s_waitcnt lgkmcnt(0)
	s_waitcnt_vscnt null, 0x0
	s_barrier
	buffer_gl0_inv
	s_clause 0xd
	scratch_load_b128 v[124:127], off, off offset:24
	scratch_load_b128 v[128:131], off, off offset:40
	;; [unrolled: 1-line block ×13, first 2 shown]
	scratch_load_b64 v[176:177], off, off offset:232
	v_mov_b32_e32 v2, 0
	ds_load_2addr_b32 v[178:179], v2 offset0:67 offset1:68
	ds_load_2addr_b32 v[180:181], v2 offset0:69 offset1:70
	;; [unrolled: 1-line block ×4, first 2 shown]
	s_mov_b32 s0, exec_lo
	s_waitcnt vmcnt(13) lgkmcnt(3)
	v_fma_f32 v3, v125, v178, 0
	s_delay_alu instid0(VALU_DEP_1) | instskip(SKIP_4) | instid1(VALU_DEP_1)
	v_fmac_f32_e32 v3, v126, v179
	ds_load_2addr_b32 v[125:126], v2 offset0:75 offset1:76
	s_waitcnt lgkmcnt(3)
	v_fmac_f32_e32 v3, v127, v180
	s_waitcnt vmcnt(12)
	v_fmac_f32_e32 v3, v128, v181
	ds_load_2addr_b32 v[127:128], v2 offset0:77 offset1:78
	s_waitcnt lgkmcnt(3)
	v_fmac_f32_e32 v3, v129, v182
	s_delay_alu instid0(VALU_DEP_1) | instskip(SKIP_1) | instid1(VALU_DEP_1)
	v_fmac_f32_e32 v3, v130, v183
	s_waitcnt lgkmcnt(2)
	v_fmac_f32_e32 v3, v131, v184
	s_waitcnt vmcnt(11)
	s_delay_alu instid0(VALU_DEP_1) | instskip(SKIP_4) | instid1(VALU_DEP_1)
	v_fmac_f32_e32 v3, v132, v185
	ds_load_2addr_b32 v[129:130], v2 offset0:79 offset1:80
	ds_load_2addr_b32 v[131:132], v2 offset0:81 offset1:82
	s_waitcnt lgkmcnt(3)
	v_fmac_f32_e32 v3, v133, v125
	v_fmac_f32_e32 v3, v134, v126
	ds_load_2addr_b32 v[125:126], v2 offset0:83 offset1:84
	s_waitcnt lgkmcnt(3)
	v_fmac_f32_e32 v3, v135, v127
	s_waitcnt vmcnt(10)
	s_delay_alu instid0(VALU_DEP_1) | instskip(SKIP_3) | instid1(VALU_DEP_1)
	v_fmac_f32_e32 v3, v136, v128
	ds_load_2addr_b32 v[127:128], v2 offset0:85 offset1:86
	s_waitcnt lgkmcnt(3)
	v_fmac_f32_e32 v3, v137, v129
	v_fmac_f32_e32 v3, v138, v130
	s_waitcnt lgkmcnt(2)
	s_delay_alu instid0(VALU_DEP_1) | instskip(SKIP_1) | instid1(VALU_DEP_1)
	v_fmac_f32_e32 v3, v139, v131
	s_waitcnt vmcnt(9)
	v_fmac_f32_e32 v3, v140, v132
	ds_load_2addr_b32 v[129:130], v2 offset0:87 offset1:88
	ds_load_2addr_b32 v[131:132], v2 offset0:89 offset1:90
	s_waitcnt lgkmcnt(3)
	v_fmac_f32_e32 v3, v141, v125
	s_delay_alu instid0(VALU_DEP_1) | instskip(SKIP_4) | instid1(VALU_DEP_1)
	v_fmac_f32_e32 v3, v142, v126
	ds_load_2addr_b32 v[125:126], v2 offset0:91 offset1:92
	s_waitcnt lgkmcnt(3)
	v_fmac_f32_e32 v3, v143, v127
	s_waitcnt vmcnt(8)
	v_fmac_f32_e32 v3, v144, v128
	ds_load_2addr_b32 v[127:128], v2 offset0:93 offset1:94
	s_waitcnt lgkmcnt(3)
	v_fmac_f32_e32 v3, v145, v129
	s_delay_alu instid0(VALU_DEP_1) | instskip(SKIP_1) | instid1(VALU_DEP_1)
	v_fmac_f32_e32 v3, v146, v130
	s_waitcnt lgkmcnt(2)
	v_fmac_f32_e32 v3, v147, v131
	s_waitcnt vmcnt(7)
	s_delay_alu instid0(VALU_DEP_1) | instskip(SKIP_4) | instid1(VALU_DEP_1)
	v_fmac_f32_e32 v3, v148, v132
	ds_load_2addr_b32 v[129:130], v2 offset0:95 offset1:96
	ds_load_2addr_b32 v[131:132], v2 offset0:97 offset1:98
	s_waitcnt lgkmcnt(3)
	v_fmac_f32_e32 v3, v149, v125
	v_fmac_f32_e32 v3, v150, v126
	ds_load_2addr_b32 v[125:126], v2 offset0:99 offset1:100
	s_waitcnt lgkmcnt(3)
	v_fmac_f32_e32 v3, v151, v127
	s_waitcnt vmcnt(6)
	s_delay_alu instid0(VALU_DEP_1) | instskip(SKIP_3) | instid1(VALU_DEP_1)
	v_fmac_f32_e32 v3, v152, v128
	ds_load_2addr_b32 v[127:128], v2 offset0:101 offset1:102
	s_waitcnt lgkmcnt(3)
	v_fmac_f32_e32 v3, v153, v129
	v_fmac_f32_e32 v3, v154, v130
	s_waitcnt lgkmcnt(2)
	s_delay_alu instid0(VALU_DEP_1) | instskip(SKIP_1) | instid1(VALU_DEP_1)
	v_fmac_f32_e32 v3, v155, v131
	s_waitcnt vmcnt(5)
	v_fmac_f32_e32 v3, v156, v132
	ds_load_2addr_b32 v[129:130], v2 offset0:103 offset1:104
	ds_load_2addr_b32 v[131:132], v2 offset0:105 offset1:106
	s_waitcnt lgkmcnt(3)
	v_fmac_f32_e32 v3, v157, v125
	s_delay_alu instid0(VALU_DEP_1) | instskip(SKIP_4) | instid1(VALU_DEP_1)
	v_fmac_f32_e32 v3, v158, v126
	ds_load_2addr_b32 v[125:126], v2 offset0:107 offset1:108
	s_waitcnt lgkmcnt(3)
	v_fmac_f32_e32 v3, v159, v127
	s_waitcnt vmcnt(4)
	v_fmac_f32_e32 v3, v160, v128
	ds_load_2addr_b32 v[127:128], v2 offset0:109 offset1:110
	s_waitcnt lgkmcnt(3)
	v_fmac_f32_e32 v3, v161, v129
	s_delay_alu instid0(VALU_DEP_1) | instskip(SKIP_1) | instid1(VALU_DEP_1)
	v_fmac_f32_e32 v3, v162, v130
	s_waitcnt lgkmcnt(2)
	v_fmac_f32_e32 v3, v163, v131
	s_waitcnt vmcnt(3)
	s_delay_alu instid0(VALU_DEP_1) | instskip(SKIP_4) | instid1(VALU_DEP_1)
	v_fmac_f32_e32 v3, v164, v132
	ds_load_2addr_b32 v[129:130], v2 offset0:111 offset1:112
	ds_load_2addr_b32 v[131:132], v2 offset0:113 offset1:114
	s_waitcnt lgkmcnt(3)
	v_fmac_f32_e32 v3, v165, v125
	v_fmac_f32_e32 v3, v166, v126
	ds_load_2addr_b32 v[125:126], v2 offset0:115 offset1:116
	s_waitcnt lgkmcnt(3)
	v_fmac_f32_e32 v3, v167, v127
	s_waitcnt vmcnt(2)
	s_delay_alu instid0(VALU_DEP_1)
	v_fmac_f32_e32 v3, v168, v128
	ds_load_2addr_b32 v[127:128], v2 offset0:117 offset1:118
	s_waitcnt lgkmcnt(3)
	v_fmac_f32_e32 v3, v169, v129
	ds_load_b32 v129, v2 offset:476
	v_fmac_f32_e32 v3, v170, v130
	s_waitcnt lgkmcnt(3)
	s_delay_alu instid0(VALU_DEP_1) | instskip(SKIP_1) | instid1(VALU_DEP_1)
	v_fmac_f32_e32 v3, v171, v131
	s_waitcnt vmcnt(1)
	v_fmac_f32_e32 v3, v172, v132
	s_waitcnt lgkmcnt(2)
	s_delay_alu instid0(VALU_DEP_1) | instskip(NEXT) | instid1(VALU_DEP_1)
	v_fmac_f32_e32 v3, v173, v125
	v_fmac_f32_e32 v3, v174, v126
	s_waitcnt lgkmcnt(1)
	s_delay_alu instid0(VALU_DEP_1) | instskip(SKIP_1) | instid1(VALU_DEP_1)
	v_fmac_f32_e32 v3, v175, v127
	s_waitcnt vmcnt(0)
	v_fmac_f32_e32 v3, v176, v128
	s_waitcnt lgkmcnt(0)
	s_delay_alu instid0(VALU_DEP_1) | instskip(NEXT) | instid1(VALU_DEP_1)
	v_fmac_f32_e32 v3, v177, v129
	v_sub_f32_e32 v3, v124, v3
	scratch_store_b32 off, v3, off offset:24
	v_cmpx_lt_u32_e32 5, v0
	s_cbranch_execz .LBB59_357
; %bb.356:
	scratch_load_b32 v3, off, off offset:20
	scratch_store_b32 off, v2, off offset:20
	s_waitcnt vmcnt(0)
	ds_store_b32 v1, v3
.LBB59_357:
	s_or_b32 exec_lo, exec_lo, s0
	s_waitcnt lgkmcnt(0)
	s_waitcnt_vscnt null, 0x0
	s_barrier
	buffer_gl0_inv
	s_clause 0xd
	scratch_load_b128 v[124:127], off, off offset:20
	scratch_load_b128 v[128:131], off, off offset:36
	;; [unrolled: 1-line block ×13, first 2 shown]
	scratch_load_b96 v[184:186], off, off offset:228
	ds_load_2addr_b64 v[176:179], v2 offset0:33 offset1:34
	ds_load_2addr_b64 v[180:183], v2 offset0:35 offset1:36
	s_mov_b32 s0, exec_lo
	s_waitcnt vmcnt(13) lgkmcnt(1)
	v_fma_f32 v176, v125, v176, 0
	s_delay_alu instid0(VALU_DEP_1) | instskip(NEXT) | instid1(VALU_DEP_1)
	v_fmac_f32_e32 v176, v126, v177
	v_fmac_f32_e32 v176, v127, v178
	s_waitcnt vmcnt(12)
	s_delay_alu instid0(VALU_DEP_1) | instskip(SKIP_3) | instid1(VALU_DEP_1)
	v_fmac_f32_e32 v176, v128, v179
	ds_load_2addr_b64 v[125:128], v2 offset0:37 offset1:38
	s_waitcnt lgkmcnt(1)
	v_fmac_f32_e32 v176, v129, v180
	v_fmac_f32_e32 v176, v130, v181
	s_delay_alu instid0(VALU_DEP_1) | instskip(SKIP_1) | instid1(VALU_DEP_1)
	v_fmac_f32_e32 v176, v131, v182
	s_waitcnt vmcnt(11)
	v_fmac_f32_e32 v176, v132, v183
	ds_load_2addr_b64 v[129:132], v2 offset0:39 offset1:40
	s_waitcnt lgkmcnt(1)
	v_fmac_f32_e32 v176, v133, v125
	s_delay_alu instid0(VALU_DEP_1) | instskip(NEXT) | instid1(VALU_DEP_1)
	v_fmac_f32_e32 v176, v134, v126
	v_fmac_f32_e32 v176, v135, v127
	s_waitcnt vmcnt(10)
	s_delay_alu instid0(VALU_DEP_1) | instskip(SKIP_3) | instid1(VALU_DEP_1)
	v_fmac_f32_e32 v176, v136, v128
	ds_load_2addr_b64 v[125:128], v2 offset0:41 offset1:42
	s_waitcnt lgkmcnt(1)
	v_fmac_f32_e32 v176, v137, v129
	v_fmac_f32_e32 v176, v138, v130
	s_delay_alu instid0(VALU_DEP_1) | instskip(SKIP_1) | instid1(VALU_DEP_1)
	v_fmac_f32_e32 v176, v139, v131
	s_waitcnt vmcnt(9)
	v_fmac_f32_e32 v176, v140, v132
	ds_load_2addr_b64 v[129:132], v2 offset0:43 offset1:44
	s_waitcnt lgkmcnt(1)
	v_fmac_f32_e32 v176, v141, v125
	;; [unrolled: 17-line block ×5, first 2 shown]
	s_delay_alu instid0(VALU_DEP_1) | instskip(NEXT) | instid1(VALU_DEP_1)
	v_fmac_f32_e32 v176, v166, v126
	v_fmac_f32_e32 v176, v167, v127
	s_waitcnt vmcnt(2)
	s_delay_alu instid0(VALU_DEP_1) | instskip(SKIP_4) | instid1(VALU_DEP_1)
	v_fmac_f32_e32 v176, v168, v128
	ds_load_2addr_b64 v[125:128], v2 offset0:57 offset1:58
	ds_load_b64 v[2:3], v2 offset:472
	s_waitcnt lgkmcnt(2)
	v_fmac_f32_e32 v176, v169, v129
	v_fmac_f32_e32 v176, v170, v130
	s_delay_alu instid0(VALU_DEP_1) | instskip(SKIP_1) | instid1(VALU_DEP_1)
	v_fmac_f32_e32 v176, v171, v131
	s_waitcnt vmcnt(1)
	v_fmac_f32_e32 v176, v172, v132
	s_waitcnt lgkmcnt(1)
	s_delay_alu instid0(VALU_DEP_1) | instskip(NEXT) | instid1(VALU_DEP_1)
	v_fmac_f32_e32 v176, v173, v125
	v_fmac_f32_e32 v176, v174, v126
	s_delay_alu instid0(VALU_DEP_1) | instskip(SKIP_1) | instid1(VALU_DEP_1)
	v_fmac_f32_e32 v176, v175, v127
	s_waitcnt vmcnt(0)
	v_fmac_f32_e32 v176, v184, v128
	s_waitcnt lgkmcnt(0)
	s_delay_alu instid0(VALU_DEP_1) | instskip(NEXT) | instid1(VALU_DEP_1)
	v_fmac_f32_e32 v176, v185, v2
	v_fmac_f32_e32 v176, v186, v3
	s_delay_alu instid0(VALU_DEP_1)
	v_sub_f32_e32 v2, v124, v176
	scratch_store_b32 off, v2, off offset:20
	v_cmpx_lt_u32_e32 4, v0
	s_cbranch_execz .LBB59_359
; %bb.358:
	scratch_load_b32 v2, off, off offset:16
	v_mov_b32_e32 v3, 0
	scratch_store_b32 off, v3, off offset:16
	s_waitcnt vmcnt(0)
	ds_store_b32 v1, v2
.LBB59_359:
	s_or_b32 exec_lo, exec_lo, s0
	s_waitcnt lgkmcnt(0)
	s_waitcnt_vscnt null, 0x0
	s_barrier
	buffer_gl0_inv
	s_clause 0xd
	scratch_load_b128 v[124:127], off, off offset:16
	scratch_load_b128 v[128:131], off, off offset:32
	scratch_load_b128 v[132:135], off, off offset:48
	scratch_load_b128 v[136:139], off, off offset:64
	scratch_load_b128 v[140:143], off, off offset:80
	scratch_load_b128 v[144:147], off, off offset:96
	scratch_load_b128 v[148:151], off, off offset:112
	scratch_load_b128 v[152:155], off, off offset:128
	scratch_load_b128 v[156:159], off, off offset:144
	scratch_load_b128 v[160:163], off, off offset:160
	scratch_load_b128 v[164:167], off, off offset:176
	scratch_load_b128 v[168:171], off, off offset:192
	scratch_load_b128 v[172:175], off, off offset:208
	scratch_load_b128 v[176:179], off, off offset:224
	v_mov_b32_e32 v2, 0
	ds_load_2addr_b32 v[180:181], v2 offset0:65 offset1:66
	ds_load_2addr_b32 v[182:183], v2 offset0:67 offset1:68
	;; [unrolled: 1-line block ×4, first 2 shown]
	s_mov_b32 s0, exec_lo
	s_waitcnt vmcnt(13) lgkmcnt(3)
	v_fma_f32 v3, v125, v180, 0
	s_delay_alu instid0(VALU_DEP_1) | instskip(SKIP_4) | instid1(VALU_DEP_1)
	v_fmac_f32_e32 v3, v126, v181
	ds_load_2addr_b32 v[125:126], v2 offset0:73 offset1:74
	s_waitcnt lgkmcnt(3)
	v_fmac_f32_e32 v3, v127, v182
	s_waitcnt vmcnt(12)
	v_fmac_f32_e32 v3, v128, v183
	ds_load_2addr_b32 v[127:128], v2 offset0:75 offset1:76
	s_waitcnt lgkmcnt(3)
	v_fmac_f32_e32 v3, v129, v184
	s_delay_alu instid0(VALU_DEP_1) | instskip(SKIP_1) | instid1(VALU_DEP_1)
	v_fmac_f32_e32 v3, v130, v185
	s_waitcnt lgkmcnt(2)
	v_fmac_f32_e32 v3, v131, v186
	s_waitcnt vmcnt(11)
	s_delay_alu instid0(VALU_DEP_1) | instskip(SKIP_4) | instid1(VALU_DEP_1)
	v_fmac_f32_e32 v3, v132, v187
	ds_load_2addr_b32 v[129:130], v2 offset0:77 offset1:78
	ds_load_2addr_b32 v[131:132], v2 offset0:79 offset1:80
	s_waitcnt lgkmcnt(3)
	v_fmac_f32_e32 v3, v133, v125
	v_fmac_f32_e32 v3, v134, v126
	ds_load_2addr_b32 v[125:126], v2 offset0:81 offset1:82
	s_waitcnt lgkmcnt(3)
	v_fmac_f32_e32 v3, v135, v127
	s_waitcnt vmcnt(10)
	s_delay_alu instid0(VALU_DEP_1) | instskip(SKIP_3) | instid1(VALU_DEP_1)
	v_fmac_f32_e32 v3, v136, v128
	ds_load_2addr_b32 v[127:128], v2 offset0:83 offset1:84
	s_waitcnt lgkmcnt(3)
	v_fmac_f32_e32 v3, v137, v129
	v_fmac_f32_e32 v3, v138, v130
	s_waitcnt lgkmcnt(2)
	s_delay_alu instid0(VALU_DEP_1) | instskip(SKIP_1) | instid1(VALU_DEP_1)
	v_fmac_f32_e32 v3, v139, v131
	s_waitcnt vmcnt(9)
	v_fmac_f32_e32 v3, v140, v132
	ds_load_2addr_b32 v[129:130], v2 offset0:85 offset1:86
	ds_load_2addr_b32 v[131:132], v2 offset0:87 offset1:88
	s_waitcnt lgkmcnt(3)
	v_fmac_f32_e32 v3, v141, v125
	s_delay_alu instid0(VALU_DEP_1) | instskip(SKIP_4) | instid1(VALU_DEP_1)
	v_fmac_f32_e32 v3, v142, v126
	ds_load_2addr_b32 v[125:126], v2 offset0:89 offset1:90
	s_waitcnt lgkmcnt(3)
	v_fmac_f32_e32 v3, v143, v127
	s_waitcnt vmcnt(8)
	v_fmac_f32_e32 v3, v144, v128
	ds_load_2addr_b32 v[127:128], v2 offset0:91 offset1:92
	s_waitcnt lgkmcnt(3)
	v_fmac_f32_e32 v3, v145, v129
	s_delay_alu instid0(VALU_DEP_1) | instskip(SKIP_1) | instid1(VALU_DEP_1)
	v_fmac_f32_e32 v3, v146, v130
	s_waitcnt lgkmcnt(2)
	v_fmac_f32_e32 v3, v147, v131
	s_waitcnt vmcnt(7)
	s_delay_alu instid0(VALU_DEP_1) | instskip(SKIP_4) | instid1(VALU_DEP_1)
	v_fmac_f32_e32 v3, v148, v132
	ds_load_2addr_b32 v[129:130], v2 offset0:93 offset1:94
	ds_load_2addr_b32 v[131:132], v2 offset0:95 offset1:96
	s_waitcnt lgkmcnt(3)
	v_fmac_f32_e32 v3, v149, v125
	v_fmac_f32_e32 v3, v150, v126
	ds_load_2addr_b32 v[125:126], v2 offset0:97 offset1:98
	s_waitcnt lgkmcnt(3)
	v_fmac_f32_e32 v3, v151, v127
	s_waitcnt vmcnt(6)
	s_delay_alu instid0(VALU_DEP_1) | instskip(SKIP_3) | instid1(VALU_DEP_1)
	v_fmac_f32_e32 v3, v152, v128
	ds_load_2addr_b32 v[127:128], v2 offset0:99 offset1:100
	s_waitcnt lgkmcnt(3)
	v_fmac_f32_e32 v3, v153, v129
	v_fmac_f32_e32 v3, v154, v130
	s_waitcnt lgkmcnt(2)
	s_delay_alu instid0(VALU_DEP_1) | instskip(SKIP_1) | instid1(VALU_DEP_1)
	v_fmac_f32_e32 v3, v155, v131
	s_waitcnt vmcnt(5)
	v_fmac_f32_e32 v3, v156, v132
	ds_load_2addr_b32 v[129:130], v2 offset0:101 offset1:102
	ds_load_2addr_b32 v[131:132], v2 offset0:103 offset1:104
	s_waitcnt lgkmcnt(3)
	v_fmac_f32_e32 v3, v157, v125
	s_delay_alu instid0(VALU_DEP_1) | instskip(SKIP_4) | instid1(VALU_DEP_1)
	v_fmac_f32_e32 v3, v158, v126
	ds_load_2addr_b32 v[125:126], v2 offset0:105 offset1:106
	s_waitcnt lgkmcnt(3)
	v_fmac_f32_e32 v3, v159, v127
	s_waitcnt vmcnt(4)
	v_fmac_f32_e32 v3, v160, v128
	ds_load_2addr_b32 v[127:128], v2 offset0:107 offset1:108
	s_waitcnt lgkmcnt(3)
	v_fmac_f32_e32 v3, v161, v129
	s_delay_alu instid0(VALU_DEP_1) | instskip(SKIP_1) | instid1(VALU_DEP_1)
	v_fmac_f32_e32 v3, v162, v130
	s_waitcnt lgkmcnt(2)
	v_fmac_f32_e32 v3, v163, v131
	s_waitcnt vmcnt(3)
	s_delay_alu instid0(VALU_DEP_1) | instskip(SKIP_4) | instid1(VALU_DEP_1)
	v_fmac_f32_e32 v3, v164, v132
	ds_load_2addr_b32 v[129:130], v2 offset0:109 offset1:110
	ds_load_2addr_b32 v[131:132], v2 offset0:111 offset1:112
	s_waitcnt lgkmcnt(3)
	v_fmac_f32_e32 v3, v165, v125
	v_fmac_f32_e32 v3, v166, v126
	ds_load_2addr_b32 v[125:126], v2 offset0:113 offset1:114
	s_waitcnt lgkmcnt(3)
	v_fmac_f32_e32 v3, v167, v127
	s_waitcnt vmcnt(2)
	s_delay_alu instid0(VALU_DEP_1) | instskip(SKIP_3) | instid1(VALU_DEP_1)
	v_fmac_f32_e32 v3, v168, v128
	ds_load_2addr_b32 v[127:128], v2 offset0:115 offset1:116
	s_waitcnt lgkmcnt(3)
	v_fmac_f32_e32 v3, v169, v129
	v_fmac_f32_e32 v3, v170, v130
	s_waitcnt lgkmcnt(2)
	s_delay_alu instid0(VALU_DEP_1)
	v_fmac_f32_e32 v3, v171, v131
	ds_load_2addr_b32 v[129:130], v2 offset0:117 offset1:118
	ds_load_b32 v131, v2 offset:476
	s_waitcnt vmcnt(1)
	v_fmac_f32_e32 v3, v172, v132
	s_waitcnt lgkmcnt(3)
	s_delay_alu instid0(VALU_DEP_1) | instskip(NEXT) | instid1(VALU_DEP_1)
	v_fmac_f32_e32 v3, v173, v125
	v_fmac_f32_e32 v3, v174, v126
	s_waitcnt lgkmcnt(2)
	s_delay_alu instid0(VALU_DEP_1) | instskip(SKIP_1) | instid1(VALU_DEP_1)
	v_fmac_f32_e32 v3, v175, v127
	s_waitcnt vmcnt(0)
	v_fmac_f32_e32 v3, v176, v128
	s_waitcnt lgkmcnt(1)
	s_delay_alu instid0(VALU_DEP_1) | instskip(NEXT) | instid1(VALU_DEP_1)
	v_fmac_f32_e32 v3, v177, v129
	v_fmac_f32_e32 v3, v178, v130
	s_waitcnt lgkmcnt(0)
	s_delay_alu instid0(VALU_DEP_1) | instskip(NEXT) | instid1(VALU_DEP_1)
	v_fmac_f32_e32 v3, v179, v131
	v_sub_f32_e32 v3, v124, v3
	scratch_store_b32 off, v3, off offset:16
	v_cmpx_lt_u32_e32 3, v0
	s_cbranch_execz .LBB59_361
; %bb.360:
	scratch_load_b32 v3, off, off offset:12
	scratch_store_b32 off, v2, off offset:12
	s_waitcnt vmcnt(0)
	ds_store_b32 v1, v3
.LBB59_361:
	s_or_b32 exec_lo, exec_lo, s0
	s_waitcnt lgkmcnt(0)
	s_waitcnt_vscnt null, 0x0
	s_barrier
	buffer_gl0_inv
	s_clause 0xe
	scratch_load_b128 v[124:127], off, off offset:12
	scratch_load_b128 v[128:131], off, off offset:28
	;; [unrolled: 1-line block ×14, first 2 shown]
	scratch_load_b32 v3, off, off offset:236
	ds_load_b128 v[180:183], v2 offset:256
	ds_load_b128 v[184:187], v2 offset:272
	s_mov_b32 s0, exec_lo
	s_waitcnt vmcnt(14) lgkmcnt(1)
	v_fma_f32 v180, v125, v180, 0
	s_delay_alu instid0(VALU_DEP_1) | instskip(NEXT) | instid1(VALU_DEP_1)
	v_fmac_f32_e32 v180, v126, v181
	v_fmac_f32_e32 v180, v127, v182
	s_waitcnt vmcnt(13)
	s_delay_alu instid0(VALU_DEP_1) | instskip(SKIP_3) | instid1(VALU_DEP_1)
	v_fmac_f32_e32 v180, v128, v183
	ds_load_b128 v[125:128], v2 offset:288
	s_waitcnt lgkmcnt(1)
	v_fmac_f32_e32 v180, v129, v184
	v_fmac_f32_e32 v180, v130, v185
	s_delay_alu instid0(VALU_DEP_1) | instskip(SKIP_1) | instid1(VALU_DEP_1)
	v_fmac_f32_e32 v180, v131, v186
	s_waitcnt vmcnt(12)
	v_fmac_f32_e32 v180, v132, v187
	ds_load_b128 v[129:132], v2 offset:304
	s_waitcnt lgkmcnt(1)
	v_fmac_f32_e32 v180, v133, v125
	s_delay_alu instid0(VALU_DEP_1) | instskip(NEXT) | instid1(VALU_DEP_1)
	v_fmac_f32_e32 v180, v134, v126
	v_fmac_f32_e32 v180, v135, v127
	s_waitcnt vmcnt(11)
	s_delay_alu instid0(VALU_DEP_1) | instskip(SKIP_3) | instid1(VALU_DEP_1)
	v_fmac_f32_e32 v180, v136, v128
	ds_load_b128 v[125:128], v2 offset:320
	s_waitcnt lgkmcnt(1)
	v_fmac_f32_e32 v180, v137, v129
	v_fmac_f32_e32 v180, v138, v130
	s_delay_alu instid0(VALU_DEP_1) | instskip(SKIP_1) | instid1(VALU_DEP_1)
	v_fmac_f32_e32 v180, v139, v131
	s_waitcnt vmcnt(10)
	v_fmac_f32_e32 v180, v140, v132
	ds_load_b128 v[129:132], v2 offset:336
	s_waitcnt lgkmcnt(1)
	v_fmac_f32_e32 v180, v141, v125
	;; [unrolled: 17-line block ×6, first 2 shown]
	s_delay_alu instid0(VALU_DEP_1) | instskip(NEXT) | instid1(VALU_DEP_1)
	v_fmac_f32_e32 v180, v174, v126
	v_fmac_f32_e32 v180, v175, v127
	s_waitcnt vmcnt(1)
	s_delay_alu instid0(VALU_DEP_1) | instskip(SKIP_1) | instid1(VALU_DEP_1)
	v_fmac_f32_e32 v180, v176, v128
	s_waitcnt lgkmcnt(0)
	v_fmac_f32_e32 v180, v177, v129
	s_delay_alu instid0(VALU_DEP_1) | instskip(NEXT) | instid1(VALU_DEP_1)
	v_fmac_f32_e32 v180, v178, v130
	v_fmac_f32_e32 v180, v179, v131
	s_waitcnt vmcnt(0)
	s_delay_alu instid0(VALU_DEP_1) | instskip(NEXT) | instid1(VALU_DEP_1)
	v_fmac_f32_e32 v180, v3, v132
	v_sub_f32_e32 v2, v124, v180
	scratch_store_b32 off, v2, off offset:12
	v_cmpx_lt_u32_e32 2, v0
	s_cbranch_execz .LBB59_363
; %bb.362:
	scratch_load_b32 v2, off, off offset:8
	v_mov_b32_e32 v3, 0
	scratch_store_b32 off, v3, off offset:8
	s_waitcnt vmcnt(0)
	ds_store_b32 v1, v2
.LBB59_363:
	s_or_b32 exec_lo, exec_lo, s0
	s_waitcnt lgkmcnt(0)
	s_waitcnt_vscnt null, 0x0
	s_barrier
	buffer_gl0_inv
	s_clause 0xe
	scratch_load_b128 v[124:127], off, off offset:8
	scratch_load_b128 v[128:131], off, off offset:24
	;; [unrolled: 1-line block ×14, first 2 shown]
	scratch_load_b64 v[180:181], off, off offset:232
	v_mov_b32_e32 v2, 0
	ds_load_2addr_b32 v[182:183], v2 offset0:63 offset1:64
	ds_load_2addr_b32 v[184:185], v2 offset0:65 offset1:66
	;; [unrolled: 1-line block ×4, first 2 shown]
	s_mov_b32 s0, exec_lo
	s_waitcnt vmcnt(14) lgkmcnt(3)
	v_fma_f32 v3, v125, v182, 0
	s_delay_alu instid0(VALU_DEP_1) | instskip(SKIP_4) | instid1(VALU_DEP_1)
	v_fmac_f32_e32 v3, v126, v183
	ds_load_2addr_b32 v[125:126], v2 offset0:71 offset1:72
	s_waitcnt lgkmcnt(3)
	v_fmac_f32_e32 v3, v127, v184
	s_waitcnt vmcnt(13)
	v_fmac_f32_e32 v3, v128, v185
	ds_load_2addr_b32 v[127:128], v2 offset0:73 offset1:74
	s_waitcnt lgkmcnt(3)
	v_fmac_f32_e32 v3, v129, v186
	s_delay_alu instid0(VALU_DEP_1) | instskip(SKIP_1) | instid1(VALU_DEP_1)
	v_fmac_f32_e32 v3, v130, v187
	s_waitcnt lgkmcnt(2)
	v_fmac_f32_e32 v3, v131, v188
	s_waitcnt vmcnt(12)
	s_delay_alu instid0(VALU_DEP_1) | instskip(SKIP_4) | instid1(VALU_DEP_1)
	v_fmac_f32_e32 v3, v132, v189
	ds_load_2addr_b32 v[129:130], v2 offset0:75 offset1:76
	ds_load_2addr_b32 v[131:132], v2 offset0:77 offset1:78
	s_waitcnt lgkmcnt(3)
	v_fmac_f32_e32 v3, v133, v125
	v_fmac_f32_e32 v3, v134, v126
	ds_load_2addr_b32 v[125:126], v2 offset0:79 offset1:80
	s_waitcnt lgkmcnt(3)
	v_fmac_f32_e32 v3, v135, v127
	s_waitcnt vmcnt(11)
	s_delay_alu instid0(VALU_DEP_1) | instskip(SKIP_3) | instid1(VALU_DEP_1)
	v_fmac_f32_e32 v3, v136, v128
	ds_load_2addr_b32 v[127:128], v2 offset0:81 offset1:82
	s_waitcnt lgkmcnt(3)
	v_fmac_f32_e32 v3, v137, v129
	v_fmac_f32_e32 v3, v138, v130
	s_waitcnt lgkmcnt(2)
	s_delay_alu instid0(VALU_DEP_1) | instskip(SKIP_1) | instid1(VALU_DEP_1)
	v_fmac_f32_e32 v3, v139, v131
	s_waitcnt vmcnt(10)
	v_fmac_f32_e32 v3, v140, v132
	ds_load_2addr_b32 v[129:130], v2 offset0:83 offset1:84
	ds_load_2addr_b32 v[131:132], v2 offset0:85 offset1:86
	s_waitcnt lgkmcnt(3)
	v_fmac_f32_e32 v3, v141, v125
	s_delay_alu instid0(VALU_DEP_1) | instskip(SKIP_4) | instid1(VALU_DEP_1)
	v_fmac_f32_e32 v3, v142, v126
	ds_load_2addr_b32 v[125:126], v2 offset0:87 offset1:88
	s_waitcnt lgkmcnt(3)
	v_fmac_f32_e32 v3, v143, v127
	s_waitcnt vmcnt(9)
	v_fmac_f32_e32 v3, v144, v128
	ds_load_2addr_b32 v[127:128], v2 offset0:89 offset1:90
	s_waitcnt lgkmcnt(3)
	v_fmac_f32_e32 v3, v145, v129
	s_delay_alu instid0(VALU_DEP_1) | instskip(SKIP_1) | instid1(VALU_DEP_1)
	v_fmac_f32_e32 v3, v146, v130
	s_waitcnt lgkmcnt(2)
	v_fmac_f32_e32 v3, v147, v131
	s_waitcnt vmcnt(8)
	s_delay_alu instid0(VALU_DEP_1) | instskip(SKIP_4) | instid1(VALU_DEP_1)
	v_fmac_f32_e32 v3, v148, v132
	ds_load_2addr_b32 v[129:130], v2 offset0:91 offset1:92
	ds_load_2addr_b32 v[131:132], v2 offset0:93 offset1:94
	s_waitcnt lgkmcnt(3)
	v_fmac_f32_e32 v3, v149, v125
	v_fmac_f32_e32 v3, v150, v126
	ds_load_2addr_b32 v[125:126], v2 offset0:95 offset1:96
	s_waitcnt lgkmcnt(3)
	v_fmac_f32_e32 v3, v151, v127
	s_waitcnt vmcnt(7)
	s_delay_alu instid0(VALU_DEP_1) | instskip(SKIP_3) | instid1(VALU_DEP_1)
	v_fmac_f32_e32 v3, v152, v128
	ds_load_2addr_b32 v[127:128], v2 offset0:97 offset1:98
	s_waitcnt lgkmcnt(3)
	v_fmac_f32_e32 v3, v153, v129
	v_fmac_f32_e32 v3, v154, v130
	s_waitcnt lgkmcnt(2)
	s_delay_alu instid0(VALU_DEP_1) | instskip(SKIP_1) | instid1(VALU_DEP_1)
	v_fmac_f32_e32 v3, v155, v131
	s_waitcnt vmcnt(6)
	v_fmac_f32_e32 v3, v156, v132
	ds_load_2addr_b32 v[129:130], v2 offset0:99 offset1:100
	ds_load_2addr_b32 v[131:132], v2 offset0:101 offset1:102
	s_waitcnt lgkmcnt(3)
	v_fmac_f32_e32 v3, v157, v125
	;; [unrolled: 41-line block ×3, first 2 shown]
	ds_load_b32 v125, v2 offset:476
	v_fmac_f32_e32 v3, v174, v126
	s_waitcnt lgkmcnt(3)
	s_delay_alu instid0(VALU_DEP_1) | instskip(SKIP_1) | instid1(VALU_DEP_1)
	v_fmac_f32_e32 v3, v175, v127
	s_waitcnt vmcnt(1)
	v_fmac_f32_e32 v3, v176, v128
	s_waitcnt lgkmcnt(2)
	s_delay_alu instid0(VALU_DEP_1) | instskip(NEXT) | instid1(VALU_DEP_1)
	v_fmac_f32_e32 v3, v177, v129
	v_fmac_f32_e32 v3, v178, v130
	s_waitcnt lgkmcnt(1)
	s_delay_alu instid0(VALU_DEP_1) | instskip(SKIP_1) | instid1(VALU_DEP_1)
	v_fmac_f32_e32 v3, v179, v131
	s_waitcnt vmcnt(0)
	v_fmac_f32_e32 v3, v180, v132
	s_waitcnt lgkmcnt(0)
	s_delay_alu instid0(VALU_DEP_1) | instskip(NEXT) | instid1(VALU_DEP_1)
	v_fmac_f32_e32 v3, v181, v125
	v_sub_f32_e32 v3, v124, v3
	scratch_store_b32 off, v3, off offset:8
	v_cmpx_lt_u32_e32 1, v0
	s_cbranch_execz .LBB59_365
; %bb.364:
	scratch_load_b32 v3, off, off offset:4
	scratch_store_b32 off, v2, off offset:4
	s_waitcnt vmcnt(0)
	ds_store_b32 v1, v3
.LBB59_365:
	s_or_b32 exec_lo, exec_lo, s0
	s_waitcnt lgkmcnt(0)
	s_waitcnt_vscnt null, 0x0
	s_barrier
	buffer_gl0_inv
	s_clause 0xe
	scratch_load_b128 v[124:127], off, off offset:4
	scratch_load_b128 v[128:131], off, off offset:20
	;; [unrolled: 1-line block ×14, first 2 shown]
	scratch_load_b96 v[188:190], off, off offset:228
	ds_load_2addr_b64 v[180:183], v2 offset0:31 offset1:32
	ds_load_2addr_b64 v[184:187], v2 offset0:33 offset1:34
	s_mov_b32 s0, exec_lo
	s_waitcnt vmcnt(14) lgkmcnt(1)
	v_fma_f32 v180, v125, v180, 0
	s_delay_alu instid0(VALU_DEP_1) | instskip(NEXT) | instid1(VALU_DEP_1)
	v_fmac_f32_e32 v180, v126, v181
	v_fmac_f32_e32 v180, v127, v182
	s_waitcnt vmcnt(13)
	s_delay_alu instid0(VALU_DEP_1) | instskip(SKIP_3) | instid1(VALU_DEP_1)
	v_fmac_f32_e32 v180, v128, v183
	ds_load_2addr_b64 v[125:128], v2 offset0:35 offset1:36
	s_waitcnt lgkmcnt(1)
	v_fmac_f32_e32 v180, v129, v184
	v_fmac_f32_e32 v180, v130, v185
	s_delay_alu instid0(VALU_DEP_1) | instskip(SKIP_1) | instid1(VALU_DEP_1)
	v_fmac_f32_e32 v180, v131, v186
	s_waitcnt vmcnt(12)
	v_fmac_f32_e32 v180, v132, v187
	ds_load_2addr_b64 v[129:132], v2 offset0:37 offset1:38
	s_waitcnt lgkmcnt(1)
	v_fmac_f32_e32 v180, v133, v125
	s_delay_alu instid0(VALU_DEP_1) | instskip(NEXT) | instid1(VALU_DEP_1)
	v_fmac_f32_e32 v180, v134, v126
	v_fmac_f32_e32 v180, v135, v127
	s_waitcnt vmcnt(11)
	s_delay_alu instid0(VALU_DEP_1) | instskip(SKIP_3) | instid1(VALU_DEP_1)
	v_fmac_f32_e32 v180, v136, v128
	ds_load_2addr_b64 v[125:128], v2 offset0:39 offset1:40
	s_waitcnt lgkmcnt(1)
	v_fmac_f32_e32 v180, v137, v129
	v_fmac_f32_e32 v180, v138, v130
	s_delay_alu instid0(VALU_DEP_1) | instskip(SKIP_1) | instid1(VALU_DEP_1)
	v_fmac_f32_e32 v180, v139, v131
	s_waitcnt vmcnt(10)
	v_fmac_f32_e32 v180, v140, v132
	ds_load_2addr_b64 v[129:132], v2 offset0:41 offset1:42
	s_waitcnt lgkmcnt(1)
	v_fmac_f32_e32 v180, v141, v125
	;; [unrolled: 17-line block ×5, first 2 shown]
	s_delay_alu instid0(VALU_DEP_1) | instskip(NEXT) | instid1(VALU_DEP_1)
	v_fmac_f32_e32 v180, v166, v126
	v_fmac_f32_e32 v180, v167, v127
	s_waitcnt vmcnt(3)
	s_delay_alu instid0(VALU_DEP_1) | instskip(SKIP_3) | instid1(VALU_DEP_1)
	v_fmac_f32_e32 v180, v168, v128
	ds_load_2addr_b64 v[125:128], v2 offset0:55 offset1:56
	s_waitcnt lgkmcnt(1)
	v_fmac_f32_e32 v180, v169, v129
	v_fmac_f32_e32 v180, v170, v130
	s_delay_alu instid0(VALU_DEP_1) | instskip(SKIP_1) | instid1(VALU_DEP_1)
	v_fmac_f32_e32 v180, v171, v131
	s_waitcnt vmcnt(2)
	v_fmac_f32_e32 v180, v172, v132
	ds_load_2addr_b64 v[129:132], v2 offset0:57 offset1:58
	ds_load_b64 v[2:3], v2 offset:472
	s_waitcnt lgkmcnt(2)
	v_fmac_f32_e32 v180, v173, v125
	s_delay_alu instid0(VALU_DEP_1) | instskip(NEXT) | instid1(VALU_DEP_1)
	v_fmac_f32_e32 v180, v174, v126
	v_fmac_f32_e32 v180, v175, v127
	s_waitcnt vmcnt(1)
	s_delay_alu instid0(VALU_DEP_1) | instskip(SKIP_1) | instid1(VALU_DEP_1)
	v_fmac_f32_e32 v180, v176, v128
	s_waitcnt lgkmcnt(1)
	v_fmac_f32_e32 v180, v177, v129
	s_delay_alu instid0(VALU_DEP_1) | instskip(NEXT) | instid1(VALU_DEP_1)
	v_fmac_f32_e32 v180, v178, v130
	v_fmac_f32_e32 v180, v179, v131
	s_waitcnt vmcnt(0)
	s_delay_alu instid0(VALU_DEP_1) | instskip(SKIP_1) | instid1(VALU_DEP_1)
	v_fmac_f32_e32 v180, v188, v132
	s_waitcnt lgkmcnt(0)
	v_fmac_f32_e32 v180, v189, v2
	s_delay_alu instid0(VALU_DEP_1) | instskip(NEXT) | instid1(VALU_DEP_1)
	v_fmac_f32_e32 v180, v190, v3
	v_sub_f32_e32 v2, v124, v180
	scratch_store_b32 off, v2, off offset:4
	v_cmpx_ne_u32_e32 0, v0
	s_cbranch_execz .LBB59_367
; %bb.366:
	scratch_load_b32 v0, off, off
	v_mov_b32_e32 v2, 0
	scratch_store_b32 off, v2, off
	s_waitcnt vmcnt(0)
	ds_store_b32 v1, v0
.LBB59_367:
	s_or_b32 exec_lo, exec_lo, s0
	s_waitcnt lgkmcnt(0)
	s_waitcnt_vscnt null, 0x0
	s_barrier
	buffer_gl0_inv
	s_clause 0xe
	scratch_load_b128 v[124:127], off, off
	scratch_load_b128 v[128:131], off, off offset:16
	scratch_load_b128 v[132:135], off, off offset:32
	;; [unrolled: 1-line block ×14, first 2 shown]
	v_mov_b32_e32 v188, 0
	ds_load_2addr_b32 v[180:181], v188 offset0:61 offset1:62
	ds_load_2addr_b32 v[182:183], v188 offset0:63 offset1:64
	;; [unrolled: 1-line block ×4, first 2 shown]
	s_and_b32 vcc_lo, exec_lo, s16
	s_waitcnt vmcnt(14) lgkmcnt(3)
	v_fma_f32 v180, v125, v180, 0
	s_delay_alu instid0(VALU_DEP_1) | instskip(SKIP_4) | instid1(VALU_DEP_1)
	v_fmac_f32_e32 v180, v126, v181
	ds_load_2addr_b32 v[125:126], v188 offset0:69 offset1:70
	s_waitcnt lgkmcnt(3)
	v_fmac_f32_e32 v180, v127, v182
	s_waitcnt vmcnt(13)
	v_fmac_f32_e32 v180, v128, v183
	ds_load_2addr_b32 v[127:128], v188 offset0:71 offset1:72
	s_waitcnt lgkmcnt(3)
	v_fmac_f32_e32 v180, v129, v184
	s_delay_alu instid0(VALU_DEP_1) | instskip(SKIP_1) | instid1(VALU_DEP_1)
	v_fmac_f32_e32 v180, v130, v185
	s_waitcnt lgkmcnt(2)
	v_fmac_f32_e32 v180, v131, v186
	s_waitcnt vmcnt(12)
	s_delay_alu instid0(VALU_DEP_1) | instskip(SKIP_4) | instid1(VALU_DEP_1)
	v_fmac_f32_e32 v180, v132, v187
	ds_load_2addr_b32 v[129:130], v188 offset0:73 offset1:74
	ds_load_2addr_b32 v[131:132], v188 offset0:75 offset1:76
	s_waitcnt lgkmcnt(3)
	v_fmac_f32_e32 v180, v133, v125
	v_fmac_f32_e32 v180, v134, v126
	ds_load_2addr_b32 v[125:126], v188 offset0:77 offset1:78
	s_waitcnt lgkmcnt(3)
	v_fmac_f32_e32 v180, v135, v127
	s_waitcnt vmcnt(11)
	s_delay_alu instid0(VALU_DEP_1) | instskip(SKIP_3) | instid1(VALU_DEP_1)
	v_fmac_f32_e32 v180, v136, v128
	ds_load_2addr_b32 v[127:128], v188 offset0:79 offset1:80
	s_waitcnt lgkmcnt(3)
	v_fmac_f32_e32 v180, v137, v129
	v_fmac_f32_e32 v180, v138, v130
	s_waitcnt lgkmcnt(2)
	s_delay_alu instid0(VALU_DEP_1) | instskip(SKIP_1) | instid1(VALU_DEP_1)
	v_fmac_f32_e32 v180, v139, v131
	s_waitcnt vmcnt(10)
	v_fmac_f32_e32 v180, v140, v132
	ds_load_2addr_b32 v[129:130], v188 offset0:81 offset1:82
	ds_load_2addr_b32 v[131:132], v188 offset0:83 offset1:84
	s_waitcnt lgkmcnt(3)
	v_fmac_f32_e32 v180, v141, v125
	s_delay_alu instid0(VALU_DEP_1) | instskip(SKIP_4) | instid1(VALU_DEP_1)
	v_fmac_f32_e32 v180, v142, v126
	ds_load_2addr_b32 v[125:126], v188 offset0:85 offset1:86
	s_waitcnt lgkmcnt(3)
	v_fmac_f32_e32 v180, v143, v127
	s_waitcnt vmcnt(9)
	v_fmac_f32_e32 v180, v144, v128
	ds_load_2addr_b32 v[127:128], v188 offset0:87 offset1:88
	s_waitcnt lgkmcnt(3)
	v_fmac_f32_e32 v180, v145, v129
	s_delay_alu instid0(VALU_DEP_1) | instskip(SKIP_1) | instid1(VALU_DEP_1)
	v_fmac_f32_e32 v180, v146, v130
	s_waitcnt lgkmcnt(2)
	v_fmac_f32_e32 v180, v147, v131
	s_waitcnt vmcnt(8)
	s_delay_alu instid0(VALU_DEP_1) | instskip(SKIP_4) | instid1(VALU_DEP_1)
	v_fmac_f32_e32 v180, v148, v132
	ds_load_2addr_b32 v[129:130], v188 offset0:89 offset1:90
	ds_load_2addr_b32 v[131:132], v188 offset0:91 offset1:92
	s_waitcnt lgkmcnt(3)
	v_fmac_f32_e32 v180, v149, v125
	v_fmac_f32_e32 v180, v150, v126
	ds_load_2addr_b32 v[125:126], v188 offset0:93 offset1:94
	s_waitcnt lgkmcnt(3)
	v_fmac_f32_e32 v180, v151, v127
	s_waitcnt vmcnt(7)
	s_delay_alu instid0(VALU_DEP_1) | instskip(SKIP_3) | instid1(VALU_DEP_1)
	v_fmac_f32_e32 v180, v152, v128
	ds_load_2addr_b32 v[127:128], v188 offset0:95 offset1:96
	s_waitcnt lgkmcnt(3)
	v_fmac_f32_e32 v180, v153, v129
	v_fmac_f32_e32 v180, v154, v130
	s_waitcnt lgkmcnt(2)
	s_delay_alu instid0(VALU_DEP_1) | instskip(SKIP_1) | instid1(VALU_DEP_1)
	v_fmac_f32_e32 v180, v155, v131
	s_waitcnt vmcnt(6)
	v_fmac_f32_e32 v180, v156, v132
	ds_load_2addr_b32 v[129:130], v188 offset0:97 offset1:98
	ds_load_2addr_b32 v[131:132], v188 offset0:99 offset1:100
	s_waitcnt lgkmcnt(3)
	v_fmac_f32_e32 v180, v157, v125
	;; [unrolled: 41-line block ×3, first 2 shown]
	s_delay_alu instid0(VALU_DEP_1)
	v_fmac_f32_e32 v180, v174, v126
	ds_load_2addr_b32 v[125:126], v188 offset0:117 offset1:118
	s_waitcnt lgkmcnt(3)
	v_fmac_f32_e32 v180, v175, v127
	ds_load_b32 v127, v188 offset:476
	s_waitcnt vmcnt(1)
	v_fmac_f32_e32 v180, v176, v128
	s_waitcnt lgkmcnt(3)
	s_delay_alu instid0(VALU_DEP_1) | instskip(NEXT) | instid1(VALU_DEP_1)
	v_fmac_f32_e32 v180, v177, v129
	v_fmac_f32_e32 v180, v178, v130
	s_waitcnt lgkmcnt(2)
	s_delay_alu instid0(VALU_DEP_1) | instskip(SKIP_1) | instid1(VALU_DEP_1)
	v_fmac_f32_e32 v180, v179, v131
	s_waitcnt vmcnt(0)
	v_fmac_f32_e32 v180, v0, v132
	s_waitcnt lgkmcnt(1)
	s_delay_alu instid0(VALU_DEP_1) | instskip(NEXT) | instid1(VALU_DEP_1)
	v_fmac_f32_e32 v180, v1, v125
	v_fmac_f32_e32 v180, v2, v126
	s_waitcnt lgkmcnt(0)
	s_delay_alu instid0(VALU_DEP_1) | instskip(NEXT) | instid1(VALU_DEP_1)
	v_fmac_f32_e32 v180, v3, v127
	v_sub_f32_e32 v0, v124, v180
	scratch_store_b32 off, v0, off
	s_cbranch_vccz .LBB59_487
; %bb.368:
	v_dual_mov_b32 v0, s12 :: v_dual_mov_b32 v1, s13
	s_mov_b32 s0, exec_lo
	flat_load_b32 v0, v[0:1] offset:232
	s_waitcnt vmcnt(0) lgkmcnt(0)
	v_cmpx_ne_u32_e32 59, v0
	s_cbranch_execz .LBB59_370
; %bb.369:
	v_lshl_add_u32 v0, v0, 2, 0
	scratch_load_b32 v1, v0, off offset:-4
	s_waitcnt vmcnt(0)
	scratch_store_b32 off, v1, off offset:232
	scratch_store_b32 v0, v2, off offset:-4
.LBB59_370:
	s_or_b32 exec_lo, exec_lo, s0
	v_dual_mov_b32 v0, s12 :: v_dual_mov_b32 v1, s13
	s_mov_b32 s0, exec_lo
	flat_load_b32 v0, v[0:1] offset:228
	s_waitcnt vmcnt(0) lgkmcnt(0)
	v_cmpx_ne_u32_e32 58, v0
	s_cbranch_execz .LBB59_372
; %bb.371:
	v_lshl_add_u32 v0, v0, 2, 0
	scratch_load_b32 v1, v0, off offset:-4
	scratch_load_b32 v2, off, off offset:228
	s_waitcnt vmcnt(1)
	scratch_store_b32 off, v1, off offset:228
	s_waitcnt vmcnt(0)
	scratch_store_b32 v0, v2, off offset:-4
.LBB59_372:
	s_or_b32 exec_lo, exec_lo, s0
	v_dual_mov_b32 v0, s12 :: v_dual_mov_b32 v1, s13
	s_mov_b32 s0, exec_lo
	flat_load_b32 v0, v[0:1] offset:224
	s_waitcnt vmcnt(0) lgkmcnt(0)
	v_cmpx_ne_u32_e32 57, v0
	s_cbranch_execz .LBB59_374
; %bb.373:
	v_lshl_add_u32 v0, v0, 2, 0
	scratch_load_b32 v1, v0, off offset:-4
	scratch_load_b32 v2, off, off offset:224
	s_waitcnt vmcnt(1)
	scratch_store_b32 off, v1, off offset:224
	s_waitcnt vmcnt(0)
	scratch_store_b32 v0, v2, off offset:-4
.LBB59_374:
	;; [unrolled: 16-line block ×57, first 2 shown]
	s_or_b32 exec_lo, exec_lo, s0
	v_dual_mov_b32 v0, s12 :: v_dual_mov_b32 v1, s13
	s_mov_b32 s0, exec_lo
	flat_load_b32 v1, v[0:1]
	scratch_load_b32 v0, off, off
	s_waitcnt vmcnt(1) lgkmcnt(0)
	v_cmpx_ne_u32_e32 1, v1
	s_cbranch_execz .LBB59_486
; %bb.485:
	v_lshl_add_u32 v1, v1, 2, 0
	scratch_load_b32 v2, v1, off offset:-4
	s_waitcnt vmcnt(0)
	scratch_store_b32 off, v2, off
	scratch_store_b32 v1, v0, off offset:-4
	scratch_load_b32 v0, off, off
.LBB59_486:
	s_or_b32 exec_lo, exec_lo, s0
.LBB59_487:
	s_clause 0xe
	scratch_load_b128 v[124:127], off, off offset:4
	scratch_load_b128 v[128:131], off, off offset:20
	;; [unrolled: 1-line block ×14, first 2 shown]
	scratch_load_b96 v[1:3], off, off offset:228
	s_waitcnt vmcnt(15)
	global_store_b32 v[4:5], v0, off
	s_waitcnt vmcnt(14)
	s_clause 0x3
	global_store_b32 v[6:7], v124, off
	global_store_b32 v[8:9], v125, off
	global_store_b32 v[10:11], v126, off
	global_store_b32 v[12:13], v127, off
	s_waitcnt vmcnt(13)
	s_clause 0x3
	global_store_b32 v[14:15], v128, off
	global_store_b32 v[16:17], v129, off
	global_store_b32 v[18:19], v130, off
	;; [unrolled: 6-line block ×15, first 2 shown]
	s_endpgm
	.section	.rodata,"a",@progbits
	.p2align	6, 0x0
	.amdhsa_kernel _ZN9rocsolver6v33100L18getri_kernel_smallILi60EfPfEEvT1_iilPiilS4_bb
		.amdhsa_group_segment_fixed_size 484
		.amdhsa_private_segment_fixed_size 256
		.amdhsa_kernarg_size 60
		.amdhsa_user_sgpr_count 15
		.amdhsa_user_sgpr_dispatch_ptr 0
		.amdhsa_user_sgpr_queue_ptr 0
		.amdhsa_user_sgpr_kernarg_segment_ptr 1
		.amdhsa_user_sgpr_dispatch_id 0
		.amdhsa_user_sgpr_private_segment_size 0
		.amdhsa_wavefront_size32 1
		.amdhsa_uses_dynamic_stack 0
		.amdhsa_enable_private_segment 1
		.amdhsa_system_sgpr_workgroup_id_x 1
		.amdhsa_system_sgpr_workgroup_id_y 0
		.amdhsa_system_sgpr_workgroup_id_z 0
		.amdhsa_system_sgpr_workgroup_info 0
		.amdhsa_system_vgpr_workitem_id 0
		.amdhsa_next_free_vgpr 191
		.amdhsa_next_free_sgpr 18
		.amdhsa_reserve_vcc 1
		.amdhsa_float_round_mode_32 0
		.amdhsa_float_round_mode_16_64 0
		.amdhsa_float_denorm_mode_32 3
		.amdhsa_float_denorm_mode_16_64 3
		.amdhsa_dx10_clamp 1
		.amdhsa_ieee_mode 1
		.amdhsa_fp16_overflow 0
		.amdhsa_workgroup_processor_mode 1
		.amdhsa_memory_ordered 1
		.amdhsa_forward_progress 0
		.amdhsa_shared_vgpr_count 0
		.amdhsa_exception_fp_ieee_invalid_op 0
		.amdhsa_exception_fp_denorm_src 0
		.amdhsa_exception_fp_ieee_div_zero 0
		.amdhsa_exception_fp_ieee_overflow 0
		.amdhsa_exception_fp_ieee_underflow 0
		.amdhsa_exception_fp_ieee_inexact 0
		.amdhsa_exception_int_div_zero 0
	.end_amdhsa_kernel
	.section	.text._ZN9rocsolver6v33100L18getri_kernel_smallILi60EfPfEEvT1_iilPiilS4_bb,"axG",@progbits,_ZN9rocsolver6v33100L18getri_kernel_smallILi60EfPfEEvT1_iilPiilS4_bb,comdat
.Lfunc_end59:
	.size	_ZN9rocsolver6v33100L18getri_kernel_smallILi60EfPfEEvT1_iilPiilS4_bb, .Lfunc_end59-_ZN9rocsolver6v33100L18getri_kernel_smallILi60EfPfEEvT1_iilPiilS4_bb
                                        ; -- End function
	.section	.AMDGPU.csdata,"",@progbits
; Kernel info:
; codeLenInByte = 48208
; NumSgprs: 20
; NumVgprs: 191
; ScratchSize: 256
; MemoryBound: 0
; FloatMode: 240
; IeeeMode: 1
; LDSByteSize: 484 bytes/workgroup (compile time only)
; SGPRBlocks: 2
; VGPRBlocks: 23
; NumSGPRsForWavesPerEU: 20
; NumVGPRsForWavesPerEU: 191
; Occupancy: 8
; WaveLimiterHint : 1
; COMPUTE_PGM_RSRC2:SCRATCH_EN: 1
; COMPUTE_PGM_RSRC2:USER_SGPR: 15
; COMPUTE_PGM_RSRC2:TRAP_HANDLER: 0
; COMPUTE_PGM_RSRC2:TGID_X_EN: 1
; COMPUTE_PGM_RSRC2:TGID_Y_EN: 0
; COMPUTE_PGM_RSRC2:TGID_Z_EN: 0
; COMPUTE_PGM_RSRC2:TIDIG_COMP_CNT: 0
	.section	.text._ZN9rocsolver6v33100L18getri_kernel_smallILi61EfPfEEvT1_iilPiilS4_bb,"axG",@progbits,_ZN9rocsolver6v33100L18getri_kernel_smallILi61EfPfEEvT1_iilPiilS4_bb,comdat
	.globl	_ZN9rocsolver6v33100L18getri_kernel_smallILi61EfPfEEvT1_iilPiilS4_bb ; -- Begin function _ZN9rocsolver6v33100L18getri_kernel_smallILi61EfPfEEvT1_iilPiilS4_bb
	.p2align	8
	.type	_ZN9rocsolver6v33100L18getri_kernel_smallILi61EfPfEEvT1_iilPiilS4_bb,@function
_ZN9rocsolver6v33100L18getri_kernel_smallILi61EfPfEEvT1_iilPiilS4_bb: ; @_ZN9rocsolver6v33100L18getri_kernel_smallILi61EfPfEEvT1_iilPiilS4_bb
; %bb.0:
	s_mov_b32 s2, exec_lo
	v_cmpx_gt_u32_e32 61, v0
	s_cbranch_execz .LBB60_252
; %bb.1:
	s_clause 0x2
	s_load_b32 s17, s[0:1], 0x38
	s_load_b128 s[8:11], s[0:1], 0x10
	s_load_b128 s[4:7], s[0:1], 0x28
	s_mov_b32 s14, s15
                                        ; implicit-def: $sgpr12_sgpr13
	s_waitcnt lgkmcnt(0)
	s_bitcmp1_b32 s17, 8
	s_cselect_b32 s16, -1, 0
	s_bfe_u32 s2, s17, 0x10008
	s_ashr_i32 s15, s15, 31
	s_cmp_eq_u32 s2, 0
	s_cbranch_scc1 .LBB60_3
; %bb.2:
	s_load_b32 s2, s[0:1], 0x20
	s_mul_i32 s3, s14, s5
	s_mul_hi_u32 s5, s14, s4
	s_mul_i32 s12, s15, s4
	s_add_i32 s3, s5, s3
	s_mul_i32 s4, s14, s4
	s_add_i32 s5, s3, s12
	s_delay_alu instid0(SALU_CYCLE_1)
	s_lshl_b64 s[4:5], s[4:5], 2
	s_waitcnt lgkmcnt(0)
	s_ashr_i32 s3, s2, 31
	s_add_u32 s4, s10, s4
	s_addc_u32 s5, s11, s5
	s_lshl_b64 s[2:3], s[2:3], 2
	s_delay_alu instid0(SALU_CYCLE_1)
	s_add_u32 s12, s4, s2
	s_addc_u32 s13, s5, s3
.LBB60_3:
	s_load_b128 s[0:3], s[0:1], 0x0
	s_mul_i32 s4, s14, s9
	s_mul_hi_u32 s5, s14, s8
	s_mul_i32 s9, s15, s8
	s_add_i32 s5, s5, s4
	s_mul_i32 s4, s14, s8
	s_add_i32 s5, s5, s9
	v_lshlrev_b32_e32 v127, 2, v0
	s_lshl_b64 s[4:5], s[4:5], 2
	s_waitcnt lgkmcnt(0)
	v_add3_u32 v2, s3, s3, v0
	s_ashr_i32 s9, s2, 31
	s_mov_b32 s8, s2
	s_add_u32 s2, s0, s4
	s_addc_u32 s4, s1, s5
	v_add_nc_u32_e32 v9, s3, v2
	s_lshl_b64 s[0:1], s[8:9], 2
	v_ashrrev_i32_e32 v3, 31, v2
	s_add_u32 s0, s2, s0
	s_addc_u32 s1, s4, s1
	v_add_nc_u32_e32 v11, s3, v9
	v_add_co_u32 v5, s2, s0, v127
	v_ashrrev_i32_e32 v10, 31, v9
	s_mov_b32 s10, s3
	s_delay_alu instid0(VALU_DEP_3) | instskip(SKIP_3) | instid1(VALU_DEP_3)
	v_add_nc_u32_e32 v13, s3, v11
	s_ashr_i32 s11, s3, 31
	v_add_co_ci_u32_e64 v6, null, s1, 0, s2
	v_lshlrev_b64 v[2:3], 2, v[2:3]
	v_add_nc_u32_e32 v15, s3, v13
	s_lshl_b64 s[4:5], s[10:11], 2
	v_lshlrev_b64 v[54:55], 2, v[9:10]
	v_add_co_u32 v7, vcc_lo, v5, s4
	s_delay_alu instid0(VALU_DEP_3) | instskip(SKIP_3) | instid1(VALU_DEP_4)
	v_add_nc_u32_e32 v17, s3, v15
	v_ashrrev_i32_e32 v12, 31, v11
	v_add_co_ci_u32_e32 v8, vcc_lo, s5, v6, vcc_lo
	v_add_co_u32 v9, vcc_lo, s0, v2
	v_add_nc_u32_e32 v19, s3, v17
	v_ashrrev_i32_e32 v14, 31, v13
	v_add_co_ci_u32_e32 v10, vcc_lo, s1, v3, vcc_lo
	v_lshlrev_b64 v[2:3], 2, v[11:12]
	s_delay_alu instid0(VALU_DEP_4) | instskip(SKIP_2) | instid1(VALU_DEP_3)
	v_add_nc_u32_e32 v21, s3, v19
	v_add_co_u32 v11, vcc_lo, s0, v54
	v_add_co_ci_u32_e32 v12, vcc_lo, s1, v55, vcc_lo
	v_add_nc_u32_e32 v23, s3, v21
	v_lshlrev_b64 v[54:55], 2, v[13:14]
	v_ashrrev_i32_e32 v16, 31, v15
	v_add_co_u32 v13, vcc_lo, s0, v2
	s_delay_alu instid0(VALU_DEP_4) | instskip(SKIP_3) | instid1(VALU_DEP_4)
	v_add_nc_u32_e32 v25, s3, v23
	v_ashrrev_i32_e32 v18, 31, v17
	v_add_co_ci_u32_e32 v14, vcc_lo, s1, v3, vcc_lo
	v_lshlrev_b64 v[2:3], 2, v[15:16]
	v_add_nc_u32_e32 v27, s3, v25
	v_add_co_u32 v15, vcc_lo, s0, v54
	v_add_co_ci_u32_e32 v16, vcc_lo, s1, v55, vcc_lo
	s_delay_alu instid0(VALU_DEP_3) | instskip(SKIP_3) | instid1(VALU_DEP_4)
	v_add_nc_u32_e32 v29, s3, v27
	v_lshlrev_b64 v[54:55], 2, v[17:18]
	v_ashrrev_i32_e32 v20, 31, v19
	v_add_co_u32 v17, vcc_lo, s0, v2
	v_add_nc_u32_e32 v31, s3, v29
	v_ashrrev_i32_e32 v22, 31, v21
	v_add_co_ci_u32_e32 v18, vcc_lo, s1, v3, vcc_lo
	v_lshlrev_b64 v[2:3], 2, v[19:20]
	s_delay_alu instid0(VALU_DEP_4) | instskip(SKIP_3) | instid1(VALU_DEP_4)
	v_add_nc_u32_e32 v33, s3, v31
	v_add_co_u32 v19, vcc_lo, s0, v54
	v_ashrrev_i32_e32 v24, 31, v23
	v_add_co_ci_u32_e32 v20, vcc_lo, s1, v55, vcc_lo
	v_add_nc_u32_e32 v35, s3, v33
	v_lshlrev_b64 v[54:55], 2, v[21:22]
	v_add_co_u32 v21, vcc_lo, s0, v2
	v_lshlrev_b64 v[69:70], 2, v[23:24]
	s_delay_alu instid0(VALU_DEP_4) | instskip(SKIP_3) | instid1(VALU_DEP_4)
	v_add_nc_u32_e32 v37, s3, v35
	v_ashrrev_i32_e32 v26, 31, v25
	v_add_co_ci_u32_e32 v22, vcc_lo, s1, v3, vcc_lo
	v_add_co_u32 v23, vcc_lo, s0, v54
	v_add_nc_u32_e32 v39, s3, v37
	v_ashrrev_i32_e32 v28, 31, v27
	v_add_co_ci_u32_e32 v24, vcc_lo, s1, v55, vcc_lo
	v_lshlrev_b64 v[54:55], 2, v[25:26]
	s_delay_alu instid0(VALU_DEP_4) | instskip(SKIP_2) | instid1(VALU_DEP_3)
	v_add_nc_u32_e32 v41, s3, v39
	v_add_co_u32 v25, vcc_lo, s0, v69
	v_add_co_ci_u32_e32 v26, vcc_lo, s1, v70, vcc_lo
	v_add_nc_u32_e32 v43, s3, v41
	v_lshlrev_b64 v[69:70], 2, v[27:28]
	v_ashrrev_i32_e32 v30, 31, v29
	v_add_co_u32 v27, vcc_lo, s0, v54
	s_delay_alu instid0(VALU_DEP_4) | instskip(SKIP_3) | instid1(VALU_DEP_4)
	v_add_nc_u32_e32 v45, s3, v43
	v_ashrrev_i32_e32 v32, 31, v31
	v_add_co_ci_u32_e32 v28, vcc_lo, s1, v55, vcc_lo
	v_lshlrev_b64 v[54:55], 2, v[29:30]
	v_add_nc_u32_e32 v47, s3, v45
	v_add_co_u32 v29, vcc_lo, s0, v69
	v_add_co_ci_u32_e32 v30, vcc_lo, s1, v70, vcc_lo
	s_delay_alu instid0(VALU_DEP_3) | instskip(SKIP_3) | instid1(VALU_DEP_4)
	v_add_nc_u32_e32 v49, s3, v47
	v_lshlrev_b64 v[69:70], 2, v[31:32]
	v_ashrrev_i32_e32 v34, 31, v33
	v_add_co_u32 v31, vcc_lo, s0, v54
	v_add_nc_u32_e32 v51, s3, v49
	v_ashrrev_i32_e32 v36, 31, v35
	v_add_co_ci_u32_e32 v32, vcc_lo, s1, v55, vcc_lo
	v_lshlrev_b64 v[54:55], 2, v[33:34]
	s_delay_alu instid0(VALU_DEP_4) | instskip(SKIP_2) | instid1(VALU_DEP_3)
	v_add_nc_u32_e32 v53, s3, v51
	v_add_co_u32 v33, vcc_lo, s0, v69
	v_add_co_ci_u32_e32 v34, vcc_lo, s1, v70, vcc_lo
	v_add_nc_u32_e32 v56, s3, v53
	v_lshlrev_b64 v[69:70], 2, v[35:36]
	v_ashrrev_i32_e32 v38, 31, v37
	v_add_co_u32 v35, vcc_lo, s0, v54
	s_delay_alu instid0(VALU_DEP_4) | instskip(SKIP_3) | instid1(VALU_DEP_4)
	v_add_nc_u32_e32 v58, s3, v56
	v_ashrrev_i32_e32 v40, 31, v39
	v_add_co_ci_u32_e32 v36, vcc_lo, s1, v55, vcc_lo
	v_lshlrev_b64 v[54:55], 2, v[37:38]
	v_add_nc_u32_e32 v60, s3, v58
	v_add_co_u32 v37, vcc_lo, s0, v69
	v_add_co_ci_u32_e32 v38, vcc_lo, s1, v70, vcc_lo
	s_delay_alu instid0(VALU_DEP_3) | instskip(SKIP_3) | instid1(VALU_DEP_4)
	v_add_nc_u32_e32 v62, s3, v60
	v_lshlrev_b64 v[69:70], 2, v[39:40]
	v_ashrrev_i32_e32 v42, 31, v41
	v_add_co_u32 v39, vcc_lo, s0, v54
	v_add_nc_u32_e32 v64, s3, v62
	v_ashrrev_i32_e32 v44, 31, v43
	v_add_co_ci_u32_e32 v40, vcc_lo, s1, v55, vcc_lo
	v_lshlrev_b64 v[54:55], 2, v[41:42]
	s_delay_alu instid0(VALU_DEP_4) | instskip(SKIP_2) | instid1(VALU_DEP_3)
	v_add_nc_u32_e32 v66, s3, v64
	v_add_co_u32 v41, vcc_lo, s0, v69
	v_add_co_ci_u32_e32 v42, vcc_lo, s1, v70, vcc_lo
	v_add_nc_u32_e32 v68, s3, v66
	v_lshlrev_b64 v[69:70], 2, v[43:44]
	v_ashrrev_i32_e32 v46, 31, v45
	v_add_co_u32 v43, vcc_lo, s0, v54
	s_delay_alu instid0(VALU_DEP_4) | instskip(SKIP_3) | instid1(VALU_DEP_4)
	v_add_nc_u32_e32 v71, s3, v68
	v_ashrrev_i32_e32 v48, 31, v47
	v_add_co_ci_u32_e32 v44, vcc_lo, s1, v55, vcc_lo
	v_lshlrev_b64 v[54:55], 2, v[45:46]
	v_add_nc_u32_e32 v73, s3, v71
	v_add_co_u32 v45, vcc_lo, s0, v69
	v_ashrrev_i32_e32 v50, 31, v49
	v_add_co_ci_u32_e32 v46, vcc_lo, s1, v70, vcc_lo
	s_delay_alu instid0(VALU_DEP_4) | instskip(SKIP_3) | instid1(VALU_DEP_4)
	v_add_nc_u32_e32 v75, s3, v73
	v_lshlrev_b64 v[69:70], 2, v[47:48]
	v_add_co_u32 v47, vcc_lo, s0, v54
	v_lshlrev_b64 v[86:87], 2, v[49:50]
	v_add_nc_u32_e32 v77, s3, v75
	v_ashrrev_i32_e32 v52, 31, v51
	v_add_co_ci_u32_e32 v48, vcc_lo, s1, v55, vcc_lo
	v_add_co_u32 v49, vcc_lo, s0, v69
	s_delay_alu instid0(VALU_DEP_4) | instskip(SKIP_3) | instid1(VALU_DEP_4)
	v_add_nc_u32_e32 v79, s3, v77
	v_ashrrev_i32_e32 v54, 31, v53
	v_add_co_ci_u32_e32 v50, vcc_lo, s1, v70, vcc_lo
	v_lshlrev_b64 v[69:70], 2, v[51:52]
	v_add_nc_u32_e32 v81, s3, v79
	v_add_co_u32 v51, vcc_lo, s0, v86
	v_add_co_ci_u32_e32 v52, vcc_lo, s1, v87, vcc_lo
	s_delay_alu instid0(VALU_DEP_3) | instskip(SKIP_3) | instid1(VALU_DEP_4)
	v_add_nc_u32_e32 v83, s3, v81
	v_lshlrev_b64 v[86:87], 2, v[53:54]
	v_ashrrev_i32_e32 v57, 31, v56
	v_add_co_u32 v53, vcc_lo, s0, v69
	v_add_nc_u32_e32 v85, s3, v83
	v_ashrrev_i32_e32 v59, 31, v58
	v_add_co_ci_u32_e32 v54, vcc_lo, s1, v70, vcc_lo
	v_lshlrev_b64 v[69:70], 2, v[56:57]
	s_delay_alu instid0(VALU_DEP_4) | instskip(SKIP_2) | instid1(VALU_DEP_3)
	v_add_nc_u32_e32 v89, s3, v85
	v_add_co_u32 v55, vcc_lo, s0, v86
	v_add_co_ci_u32_e32 v56, vcc_lo, s1, v87, vcc_lo
	v_add_nc_u32_e32 v91, s3, v89
	v_lshlrev_b64 v[86:87], 2, v[58:59]
	v_ashrrev_i32_e32 v61, 31, v60
	v_add_co_u32 v57, vcc_lo, s0, v69
	s_delay_alu instid0(VALU_DEP_4) | instskip(SKIP_3) | instid1(VALU_DEP_4)
	v_add_nc_u32_e32 v93, s3, v91
	v_ashrrev_i32_e32 v63, 31, v62
	v_add_co_ci_u32_e32 v58, vcc_lo, s1, v70, vcc_lo
	v_lshlrev_b64 v[69:70], 2, v[60:61]
	v_add_nc_u32_e32 v95, s3, v93
	v_add_co_u32 v59, vcc_lo, s0, v86
	v_add_co_ci_u32_e32 v60, vcc_lo, s1, v87, vcc_lo
	s_delay_alu instid0(VALU_DEP_3) | instskip(SKIP_3) | instid1(VALU_DEP_4)
	v_add_nc_u32_e32 v97, s3, v95
	v_lshlrev_b64 v[86:87], 2, v[62:63]
	v_ashrrev_i32_e32 v65, 31, v64
	v_add_co_u32 v61, vcc_lo, s0, v69
	v_add_nc_u32_e32 v99, s3, v97
	v_ashrrev_i32_e32 v67, 31, v66
	v_add_co_ci_u32_e32 v62, vcc_lo, s1, v70, vcc_lo
	v_lshlrev_b64 v[118:119], 2, v[64:65]
	s_delay_alu instid0(VALU_DEP_4) | instskip(SKIP_3) | instid1(VALU_DEP_4)
	v_add_nc_u32_e32 v101, s3, v99
	v_add_co_u32 v63, vcc_lo, s0, v86
	v_ashrrev_i32_e32 v69, 31, v68
	v_add_co_ci_u32_e32 v64, vcc_lo, s1, v87, vcc_lo
	v_add_nc_u32_e32 v103, s3, v101
	v_lshlrev_b64 v[86:87], 2, v[66:67]
	v_add_co_u32 v65, vcc_lo, s0, v118
	v_lshlrev_b64 v[69:70], 2, v[68:69]
	s_delay_alu instid0(VALU_DEP_4) | instskip(SKIP_3) | instid1(VALU_DEP_4)
	v_add_nc_u32_e32 v105, s3, v103
	v_ashrrev_i32_e32 v72, 31, v71
	v_add_co_ci_u32_e32 v66, vcc_lo, s1, v119, vcc_lo
	v_add_co_u32 v67, vcc_lo, s0, v86
	v_add_nc_u32_e32 v107, s3, v105
	v_ashrrev_i32_e32 v74, 31, v73
	v_add_co_ci_u32_e32 v68, vcc_lo, s1, v87, vcc_lo
	v_lshlrev_b64 v[86:87], 2, v[71:72]
	s_delay_alu instid0(VALU_DEP_4) | instskip(SKIP_2) | instid1(VALU_DEP_3)
	v_add_nc_u32_e32 v109, s3, v107
	v_add_co_u32 v71, vcc_lo, s0, v69
	v_add_co_ci_u32_e32 v72, vcc_lo, s1, v70, vcc_lo
	v_add_nc_u32_e32 v111, s3, v109
	v_lshlrev_b64 v[69:70], 2, v[73:74]
	v_ashrrev_i32_e32 v76, 31, v75
	v_add_co_u32 v73, vcc_lo, s0, v86
	s_delay_alu instid0(VALU_DEP_4) | instskip(SKIP_1) | instid1(VALU_DEP_4)
	v_add_nc_u32_e32 v113, s3, v111
	v_add_co_ci_u32_e32 v74, vcc_lo, s1, v87, vcc_lo
	v_lshlrev_b64 v[86:87], 2, v[75:76]
	v_ashrrev_i32_e32 v78, 31, v77
	s_delay_alu instid0(VALU_DEP_4) | instskip(SKIP_2) | instid1(VALU_DEP_3)
	v_add_nc_u32_e32 v115, s3, v113
	v_add_co_u32 v75, vcc_lo, s0, v69
	v_add_co_ci_u32_e32 v76, vcc_lo, s1, v70, vcc_lo
	v_add_nc_u32_e32 v117, s3, v115
	v_ashrrev_i32_e32 v80, 31, v79
	v_lshlrev_b64 v[125:126], 2, v[77:78]
	v_ashrrev_i32_e32 v82, 31, v81
	v_ashrrev_i32_e32 v84, 31, v83
	v_add_nc_u32_e32 v120, s3, v117
	v_ashrrev_i32_e32 v90, 31, v89
	v_ashrrev_i32_e32 v92, 31, v91
	;; [unrolled: 1-line block ×4, first 2 shown]
	v_add_nc_u32_e32 v122, s3, v120
	v_lshlrev_b64 v[89:90], 2, v[89:90]
	v_lshlrev_b64 v[91:92], 2, v[91:92]
	;; [unrolled: 1-line block ×3, first 2 shown]
	v_ashrrev_i32_e32 v98, 31, v97
	v_add_nc_u32_e32 v124, s3, v122
	v_lshlrev_b64 v[95:96], 2, v[95:96]
	v_ashrrev_i32_e32 v100, 31, v99
	v_ashrrev_i32_e32 v102, 31, v101
	v_lshlrev_b64 v[97:98], 2, v[97:98]
	v_add_nc_u32_e32 v173, s3, v124
	v_ashrrev_i32_e32 v104, 31, v103
	v_lshlrev_b64 v[99:100], 2, v[99:100]
	v_lshlrev_b64 v[101:102], 2, v[101:102]
	v_ashrrev_i32_e32 v106, 31, v105
	v_add_nc_u32_e32 v118, s3, v173
	v_lshlrev_b64 v[103:104], 2, v[103:104]
	v_ashrrev_i32_e32 v108, 31, v107
	v_ashrrev_i32_e32 v110, 31, v109
	v_lshlrev_b64 v[105:106], 2, v[105:106]
	v_ashrrev_i32_e32 v119, 31, v118
	v_ashrrev_i32_e32 v112, 31, v111
	v_lshlrev_b64 v[107:108], 2, v[107:108]
	v_lshlrev_b64 v[109:110], 2, v[109:110]
	v_ashrrev_i32_e32 v114, 31, v113
	v_lshlrev_b64 v[118:119], 2, v[118:119]
	v_lshlrev_b64 v[111:112], 2, v[111:112]
	v_ashrrev_i32_e32 v116, 31, v115
	v_ashrrev_i32_e32 v121, 31, v120
	v_lshlrev_b64 v[113:114], 2, v[113:114]
	v_ashrrev_i32_e32 v123, 31, v122
	v_add_co_u32 v69, vcc_lo, s0, v118
	v_add_co_ci_u32_e32 v70, vcc_lo, s1, v119, vcc_lo
	v_add_co_u32 v77, vcc_lo, s0, v86
	v_add_co_ci_u32_e32 v78, vcc_lo, s1, v87, vcc_lo
	v_lshlrev_b64 v[86:87], 2, v[79:80]
	v_add_co_u32 v79, vcc_lo, s0, v125
	v_lshlrev_b64 v[118:119], 2, v[81:82]
	v_add_co_ci_u32_e32 v80, vcc_lo, s1, v126, vcc_lo
	s_delay_alu instid0(VALU_DEP_4)
	v_add_co_u32 v81, vcc_lo, s0, v86
	v_ashrrev_i32_e32 v86, 31, v85
	v_add_co_ci_u32_e32 v82, vcc_lo, s1, v87, vcc_lo
	v_lshlrev_b64 v[87:88], 2, v[83:84]
	v_add_co_u32 v83, vcc_lo, s0, v118
	v_add_co_ci_u32_e32 v84, vcc_lo, s1, v119, vcc_lo
	v_lshlrev_b64 v[118:119], 2, v[85:86]
	s_delay_alu instid0(VALU_DEP_4) | instskip(SKIP_2) | instid1(VALU_DEP_4)
	v_add_co_u32 v85, vcc_lo, s0, v87
	v_add_co_ci_u32_e32 v86, vcc_lo, s1, v88, vcc_lo
	v_lshlrev_b64 v[115:116], 2, v[115:116]
	v_add_co_u32 v87, vcc_lo, s0, v118
	v_add_co_ci_u32_e32 v88, vcc_lo, s1, v119, vcc_lo
	v_add_co_u32 v89, vcc_lo, s0, v89
	v_add_co_ci_u32_e32 v90, vcc_lo, s1, v90, vcc_lo
	;; [unrolled: 2-line block ×11, first 2 shown]
	v_add_co_u32 v109, vcc_lo, s0, v109
	v_ashrrev_i32_e32 v118, 31, v117
	v_add_co_ci_u32_e32 v110, vcc_lo, s1, v110, vcc_lo
	v_add_co_u32 v111, vcc_lo, s0, v111
	v_add_co_ci_u32_e32 v112, vcc_lo, s1, v112, vcc_lo
	v_add_co_u32 v113, vcc_lo, s0, v113
	v_lshlrev_b64 v[117:118], 2, v[117:118]
	v_add_co_ci_u32_e32 v114, vcc_lo, s1, v114, vcc_lo
	v_add_co_u32 v115, vcc_lo, s0, v115
	v_lshlrev_b64 v[119:120], 2, v[120:121]
	v_ashrrev_i32_e32 v125, 31, v124
	v_add_co_ci_u32_e32 v116, vcc_lo, s1, v116, vcc_lo
	v_add_co_u32 v117, vcc_lo, s0, v117
	v_lshlrev_b64 v[121:122], 2, v[122:123]
	v_ashrrev_i32_e32 v174, 31, v173
	v_add_co_ci_u32_e32 v118, vcc_lo, s1, v118, vcc_lo
	v_add_co_u32 v119, vcc_lo, s0, v119
	v_lshlrev_b64 v[123:124], 2, v[124:125]
	v_add_co_ci_u32_e32 v120, vcc_lo, s1, v120, vcc_lo
	v_add_co_u32 v121, vcc_lo, s0, v121
	v_lshlrev_b64 v[125:126], 2, v[173:174]
	v_add_co_ci_u32_e32 v122, vcc_lo, s1, v122, vcc_lo
	v_add_co_u32 v123, vcc_lo, s0, v123
	v_add_co_ci_u32_e32 v124, vcc_lo, s1, v124, vcc_lo
	s_delay_alu instid0(VALU_DEP_4)
	v_add_co_u32 v125, vcc_lo, s0, v125
	s_clause 0x1f
	global_load_b32 v1, v127, s[0:1]
	global_load_b32 v2, v[7:8], off
	global_load_b32 v3, v[9:10], off
	global_load_b32 v4, v[11:12], off
	global_load_b32 v128, v[13:14], off
	global_load_b32 v129, v[15:16], off
	global_load_b32 v130, v[17:18], off
	global_load_b32 v131, v[19:20], off
	global_load_b32 v132, v[21:22], off
	global_load_b32 v133, v[23:24], off
	global_load_b32 v134, v[25:26], off
	global_load_b32 v135, v[27:28], off
	global_load_b32 v136, v[29:30], off
	global_load_b32 v137, v[31:32], off
	global_load_b32 v138, v[33:34], off
	global_load_b32 v139, v[35:36], off
	global_load_b32 v140, v[37:38], off
	global_load_b32 v141, v[39:40], off
	global_load_b32 v142, v[41:42], off
	global_load_b32 v143, v[43:44], off
	global_load_b32 v144, v[45:46], off
	global_load_b32 v145, v[47:48], off
	global_load_b32 v146, v[49:50], off
	global_load_b32 v147, v[51:52], off
	global_load_b32 v148, v[53:54], off
	global_load_b32 v149, v[55:56], off
	global_load_b32 v150, v[57:58], off
	global_load_b32 v151, v[59:60], off
	global_load_b32 v152, v[61:62], off
	global_load_b32 v153, v[63:64], off
	global_load_b32 v154, v[65:66], off
	global_load_b32 v155, v[67:68], off
	s_clause 0x10
	global_load_b32 v156, v[71:72], off
	global_load_b32 v157, v[73:74], off
	;; [unrolled: 1-line block ×17, first 2 shown]
	v_add_co_ci_u32_e32 v126, vcc_lo, s1, v126, vcc_lo
	s_clause 0xb
	global_load_b32 v173, v[105:106], off
	global_load_b32 v174, v[107:108], off
	;; [unrolled: 1-line block ×12, first 2 shown]
	s_mov_b32 s1, -1
	s_bitcmp0_b32 s17, 0
	s_waitcnt vmcnt(57)
	scratch_store_b128 off, v[1:4], off
	s_waitcnt vmcnt(53)
	scratch_store_b128 off, v[128:131], off offset:16
	s_waitcnt vmcnt(49)
	scratch_store_b128 off, v[132:135], off offset:32
	;; [unrolled: 2-line block ×14, first 2 shown]
	s_waitcnt vmcnt(0)
	scratch_store_b32 off, v184, off offset:240
	s_cbranch_scc1 .LBB60_250
; %bb.4:
	v_cmp_eq_u32_e64 s0, 0, v0
	s_delay_alu instid0(VALU_DEP_1)
	s_and_saveexec_b32 s1, s0
	s_cbranch_execz .LBB60_6
; %bb.5:
	v_mov_b32_e32 v1, 0
	ds_store_b32 v1, v1 offset:244
.LBB60_6:
	s_or_b32 exec_lo, exec_lo, s1
	s_waitcnt lgkmcnt(0)
	s_waitcnt_vscnt null, 0x0
	s_barrier
	buffer_gl0_inv
	scratch_load_b32 v1, v127, off
	s_mov_b32 s2, exec_lo
	s_waitcnt vmcnt(0)
	v_cmpx_eq_f32_e32 0, v1
	s_cbranch_execz .LBB60_10
; %bb.7:
	v_mov_b32_e32 v1, 0
	s_mov_b32 s3, 0
	ds_load_b32 v2, v1 offset:244
	s_waitcnt lgkmcnt(0)
	v_readfirstlane_b32 s1, v2
	v_add_nc_u32_e32 v2, 1, v0
	s_delay_alu instid0(VALU_DEP_2) | instskip(NEXT) | instid1(VALU_DEP_1)
	s_cmp_eq_u32 s1, 0
	v_cmp_gt_i32_e32 vcc_lo, s1, v2
	s_cselect_b32 s4, -1, 0
	s_delay_alu instid0(SALU_CYCLE_1) | instskip(NEXT) | instid1(SALU_CYCLE_1)
	s_or_b32 s4, s4, vcc_lo
	s_and_b32 exec_lo, exec_lo, s4
	s_cbranch_execz .LBB60_10
; %bb.8:
	v_mov_b32_e32 v3, s1
.LBB60_9:                               ; =>This Inner Loop Header: Depth=1
	ds_cmpstore_rtn_b32 v3, v1, v2, v3 offset:244
	s_waitcnt lgkmcnt(0)
	v_cmp_ne_u32_e32 vcc_lo, 0, v3
	v_cmp_le_i32_e64 s1, v3, v2
	s_delay_alu instid0(VALU_DEP_1) | instskip(NEXT) | instid1(SALU_CYCLE_1)
	s_and_b32 s1, vcc_lo, s1
	s_and_b32 s1, exec_lo, s1
	s_delay_alu instid0(SALU_CYCLE_1) | instskip(NEXT) | instid1(SALU_CYCLE_1)
	s_or_b32 s3, s1, s3
	s_and_not1_b32 exec_lo, exec_lo, s3
	s_cbranch_execnz .LBB60_9
.LBB60_10:
	s_or_b32 exec_lo, exec_lo, s2
	v_mov_b32_e32 v1, 0
	s_barrier
	buffer_gl0_inv
	ds_load_b32 v2, v1 offset:244
	s_and_saveexec_b32 s1, s0
	s_cbranch_execz .LBB60_12
; %bb.11:
	s_lshl_b64 s[2:3], s[14:15], 2
	s_delay_alu instid0(SALU_CYCLE_1)
	s_add_u32 s2, s6, s2
	s_addc_u32 s3, s7, s3
	s_waitcnt lgkmcnt(0)
	global_store_b32 v1, v2, s[2:3]
.LBB60_12:
	s_or_b32 exec_lo, exec_lo, s1
	s_waitcnt lgkmcnt(0)
	v_cmp_ne_u32_e32 vcc_lo, 0, v2
	s_mov_b32 s1, 0
	s_cbranch_vccnz .LBB60_250
; %bb.13:
	v_add_nc_u32_e32 v1, 0, v127
	scratch_load_b32 v2, v1, off
	s_waitcnt vmcnt(0)
	v_div_scale_f32 v3, null, v2, v2, 1.0
	v_div_scale_f32 v129, vcc_lo, 1.0, v2, 1.0
	s_delay_alu instid0(VALU_DEP_2) | instskip(SKIP_2) | instid1(VALU_DEP_1)
	v_rcp_f32_e32 v4, v3
	s_waitcnt_depctr 0xfff
	v_fma_f32 v128, -v3, v4, 1.0
	v_fmac_f32_e32 v4, v128, v4
	s_delay_alu instid0(VALU_DEP_1) | instskip(NEXT) | instid1(VALU_DEP_1)
	v_mul_f32_e32 v128, v129, v4
	v_fma_f32 v130, -v3, v128, v129
	s_delay_alu instid0(VALU_DEP_1) | instskip(NEXT) | instid1(VALU_DEP_1)
	v_fmac_f32_e32 v128, v130, v4
	v_fma_f32 v3, -v3, v128, v129
	s_delay_alu instid0(VALU_DEP_1) | instskip(NEXT) | instid1(VALU_DEP_1)
	v_div_fmas_f32 v3, v3, v4, v128
	v_div_fixup_f32 v2, v3, v2, 1.0
	scratch_store_b32 v1, v2, off
	scratch_load_b32 v3, off, off offset:4
	v_xor_b32_e32 v4, 0x80000000, v2
	v_or_b32_e32 v2, 0x100, v127
	s_waitcnt vmcnt(0)
	ds_store_2addr_stride64_b32 v127, v4, v3 offset1:1
	s_waitcnt lgkmcnt(0)
	s_waitcnt_vscnt null, 0x0
	s_barrier
	buffer_gl0_inv
	s_and_saveexec_b32 s1, s0
	s_cbranch_execz .LBB60_15
; %bb.14:
	scratch_load_b32 v3, v1, off
	ds_load_b32 v4, v2
	v_mov_b32_e32 v128, 0
	ds_load_b32 v128, v128 offset:4
	s_waitcnt vmcnt(0) lgkmcnt(1)
	v_fma_f32 v3, v3, v4, 0
	s_waitcnt lgkmcnt(0)
	s_delay_alu instid0(VALU_DEP_1)
	v_mul_f32_e32 v3, v3, v128
	scratch_store_b32 off, v3, off offset:4
.LBB60_15:
	s_or_b32 exec_lo, exec_lo, s1
	s_waitcnt_vscnt null, 0x0
	s_barrier
	buffer_gl0_inv
	scratch_load_b32 v3, off, off offset:8
	s_mov_b32 s1, exec_lo
	s_waitcnt vmcnt(0)
	ds_store_b32 v2, v3
	s_waitcnt lgkmcnt(0)
	s_barrier
	buffer_gl0_inv
	v_cmpx_gt_u32_e32 2, v0
	s_cbranch_execz .LBB60_17
; %bb.16:
	scratch_load_b32 v128, v1, off
	scratch_load_b32 v129, off, off offset:4
	ds_load_b32 v130, v2
	v_mov_b32_e32 v3, 0
	ds_load_2addr_b32 v[3:4], v3 offset0:2 offset1:65
	s_waitcnt vmcnt(1) lgkmcnt(1)
	v_fma_f32 v128, v128, v130, 0
	s_waitcnt vmcnt(0) lgkmcnt(0)
	s_delay_alu instid0(VALU_DEP_1) | instskip(NEXT) | instid1(VALU_DEP_1)
	v_fma_f32 v4, v129, v4, v128
	v_cndmask_b32_e64 v4, v128, v4, s0
	s_delay_alu instid0(VALU_DEP_1)
	v_mul_f32_e32 v3, v4, v3
	scratch_store_b32 off, v3, off offset:8
.LBB60_17:
	s_or_b32 exec_lo, exec_lo, s1
	s_waitcnt_vscnt null, 0x0
	s_barrier
	buffer_gl0_inv
	scratch_load_b32 v4, off, off offset:12
	v_add_nc_u32_e32 v3, -1, v0
	s_mov_b32 s0, exec_lo
	s_waitcnt vmcnt(0)
	ds_store_b32 v2, v4
	s_waitcnt lgkmcnt(0)
	s_barrier
	buffer_gl0_inv
	v_cmpx_gt_u32_e32 3, v0
	s_cbranch_execz .LBB60_21
; %bb.18:
	v_add_nc_u32_e32 v128, -1, v0
	v_or_b32_e32 v129, 0x100, v127
	v_add_nc_u32_e32 v130, 0, v127
	v_mov_b32_e32 v4, 0
	s_mov_b32 s1, 0
.LBB60_19:                              ; =>This Inner Loop Header: Depth=1
	scratch_load_b32 v131, v130, off
	ds_load_b32 v132, v129
	v_add_nc_u32_e32 v128, 1, v128
	v_add_nc_u32_e32 v129, 4, v129
	v_add_nc_u32_e32 v130, 4, v130
	s_delay_alu instid0(VALU_DEP_3)
	v_cmp_lt_u32_e32 vcc_lo, 1, v128
	s_or_b32 s1, vcc_lo, s1
	s_waitcnt vmcnt(0) lgkmcnt(0)
	v_fmac_f32_e32 v4, v131, v132
	s_and_not1_b32 exec_lo, exec_lo, s1
	s_cbranch_execnz .LBB60_19
; %bb.20:
	s_or_b32 exec_lo, exec_lo, s1
	v_mov_b32_e32 v128, 0
	ds_load_b32 v128, v128 offset:12
	s_waitcnt lgkmcnt(0)
	v_mul_f32_e32 v4, v4, v128
	scratch_store_b32 off, v4, off offset:12
.LBB60_21:
	s_or_b32 exec_lo, exec_lo, s0
	s_waitcnt_vscnt null, 0x0
	s_barrier
	buffer_gl0_inv
	scratch_load_b32 v4, off, off offset:16
	s_mov_b32 s0, exec_lo
	s_waitcnt vmcnt(0)
	ds_store_b32 v2, v4
	s_waitcnt lgkmcnt(0)
	s_barrier
	buffer_gl0_inv
	v_cmpx_gt_u32_e32 4, v0
	s_cbranch_execz .LBB60_25
; %bb.22:
	v_add_nc_u32_e32 v128, -1, v0
	v_or_b32_e32 v129, 0x100, v127
	v_add_nc_u32_e32 v130, 0, v127
	v_mov_b32_e32 v4, 0
	s_mov_b32 s1, 0
.LBB60_23:                              ; =>This Inner Loop Header: Depth=1
	scratch_load_b32 v131, v130, off
	ds_load_b32 v132, v129
	v_add_nc_u32_e32 v128, 1, v128
	v_add_nc_u32_e32 v129, 4, v129
	v_add_nc_u32_e32 v130, 4, v130
	s_delay_alu instid0(VALU_DEP_3)
	v_cmp_lt_u32_e32 vcc_lo, 2, v128
	s_or_b32 s1, vcc_lo, s1
	s_waitcnt vmcnt(0) lgkmcnt(0)
	v_fmac_f32_e32 v4, v131, v132
	s_and_not1_b32 exec_lo, exec_lo, s1
	s_cbranch_execnz .LBB60_23
; %bb.24:
	s_or_b32 exec_lo, exec_lo, s1
	v_mov_b32_e32 v128, 0
	ds_load_b32 v128, v128 offset:16
	s_waitcnt lgkmcnt(0)
	v_mul_f32_e32 v4, v4, v128
	scratch_store_b32 off, v4, off offset:16
.LBB60_25:
	s_or_b32 exec_lo, exec_lo, s0
	s_waitcnt_vscnt null, 0x0
	s_barrier
	buffer_gl0_inv
	scratch_load_b32 v4, off, off offset:20
	;; [unrolled: 40-line block ×21, first 2 shown]
	s_mov_b32 s0, exec_lo
	s_waitcnt vmcnt(0)
	ds_store_b32 v2, v4
	s_waitcnt lgkmcnt(0)
	s_barrier
	buffer_gl0_inv
	v_cmpx_gt_u32_e32 24, v0
	s_cbranch_execz .LBB60_105
; %bb.102:
	v_add_nc_u32_e32 v128, -1, v0
	v_or_b32_e32 v129, 0x100, v127
	v_add_nc_u32_e32 v130, 0, v127
	v_mov_b32_e32 v4, 0
	s_mov_b32 s1, 0
.LBB60_103:                             ; =>This Inner Loop Header: Depth=1
	scratch_load_b32 v131, v130, off
	ds_load_b32 v132, v129
	v_add_nc_u32_e32 v128, 1, v128
	v_add_nc_u32_e32 v129, 4, v129
	v_add_nc_u32_e32 v130, 4, v130
	s_delay_alu instid0(VALU_DEP_3)
	v_cmp_lt_u32_e32 vcc_lo, 22, v128
	s_or_b32 s1, vcc_lo, s1
	s_waitcnt vmcnt(0) lgkmcnt(0)
	v_fmac_f32_e32 v4, v131, v132
	s_and_not1_b32 exec_lo, exec_lo, s1
	s_cbranch_execnz .LBB60_103
; %bb.104:
	s_or_b32 exec_lo, exec_lo, s1
	v_mov_b32_e32 v128, 0
	ds_load_b32 v128, v128 offset:96
	s_waitcnt lgkmcnt(0)
	v_mul_f32_e32 v4, v4, v128
	scratch_store_b32 off, v4, off offset:96
.LBB60_105:
	s_or_b32 exec_lo, exec_lo, s0
	s_waitcnt_vscnt null, 0x0
	s_barrier
	buffer_gl0_inv
	scratch_load_b32 v4, off, off offset:100
	s_mov_b32 s0, exec_lo
	s_waitcnt vmcnt(0)
	ds_store_b32 v2, v4
	s_waitcnt lgkmcnt(0)
	s_barrier
	buffer_gl0_inv
	v_cmpx_gt_u32_e32 25, v0
	s_cbranch_execz .LBB60_109
; %bb.106:
	v_add_nc_u32_e32 v128, -1, v0
	v_or_b32_e32 v129, 0x100, v127
	v_add_nc_u32_e32 v130, 0, v127
	v_mov_b32_e32 v4, 0
	s_mov_b32 s1, 0
.LBB60_107:                             ; =>This Inner Loop Header: Depth=1
	scratch_load_b32 v131, v130, off
	ds_load_b32 v132, v129
	v_add_nc_u32_e32 v128, 1, v128
	v_add_nc_u32_e32 v129, 4, v129
	v_add_nc_u32_e32 v130, 4, v130
	s_delay_alu instid0(VALU_DEP_3)
	v_cmp_lt_u32_e32 vcc_lo, 23, v128
	s_or_b32 s1, vcc_lo, s1
	s_waitcnt vmcnt(0) lgkmcnt(0)
	v_fmac_f32_e32 v4, v131, v132
	s_and_not1_b32 exec_lo, exec_lo, s1
	s_cbranch_execnz .LBB60_107
; %bb.108:
	s_or_b32 exec_lo, exec_lo, s1
	v_mov_b32_e32 v128, 0
	ds_load_b32 v128, v128 offset:100
	s_waitcnt lgkmcnt(0)
	v_mul_f32_e32 v4, v4, v128
	scratch_store_b32 off, v4, off offset:100
.LBB60_109:
	s_or_b32 exec_lo, exec_lo, s0
	s_waitcnt_vscnt null, 0x0
	s_barrier
	buffer_gl0_inv
	scratch_load_b32 v4, off, off offset:104
	s_mov_b32 s0, exec_lo
	s_waitcnt vmcnt(0)
	ds_store_b32 v2, v4
	s_waitcnt lgkmcnt(0)
	s_barrier
	buffer_gl0_inv
	v_cmpx_gt_u32_e32 26, v0
	s_cbranch_execz .LBB60_113
; %bb.110:
	v_add_nc_u32_e32 v128, -1, v0
	v_or_b32_e32 v129, 0x100, v127
	v_add_nc_u32_e32 v130, 0, v127
	v_mov_b32_e32 v4, 0
	s_mov_b32 s1, 0
.LBB60_111:                             ; =>This Inner Loop Header: Depth=1
	scratch_load_b32 v131, v130, off
	ds_load_b32 v132, v129
	v_add_nc_u32_e32 v128, 1, v128
	v_add_nc_u32_e32 v129, 4, v129
	v_add_nc_u32_e32 v130, 4, v130
	s_delay_alu instid0(VALU_DEP_3)
	v_cmp_lt_u32_e32 vcc_lo, 24, v128
	s_or_b32 s1, vcc_lo, s1
	s_waitcnt vmcnt(0) lgkmcnt(0)
	v_fmac_f32_e32 v4, v131, v132
	s_and_not1_b32 exec_lo, exec_lo, s1
	s_cbranch_execnz .LBB60_111
; %bb.112:
	s_or_b32 exec_lo, exec_lo, s1
	v_mov_b32_e32 v128, 0
	ds_load_b32 v128, v128 offset:104
	s_waitcnt lgkmcnt(0)
	v_mul_f32_e32 v4, v4, v128
	scratch_store_b32 off, v4, off offset:104
.LBB60_113:
	s_or_b32 exec_lo, exec_lo, s0
	s_waitcnt_vscnt null, 0x0
	s_barrier
	buffer_gl0_inv
	scratch_load_b32 v4, off, off offset:108
	s_mov_b32 s0, exec_lo
	s_waitcnt vmcnt(0)
	ds_store_b32 v2, v4
	s_waitcnt lgkmcnt(0)
	s_barrier
	buffer_gl0_inv
	v_cmpx_gt_u32_e32 27, v0
	s_cbranch_execz .LBB60_117
; %bb.114:
	v_add_nc_u32_e32 v128, -1, v0
	v_or_b32_e32 v129, 0x100, v127
	v_add_nc_u32_e32 v130, 0, v127
	v_mov_b32_e32 v4, 0
	s_mov_b32 s1, 0
.LBB60_115:                             ; =>This Inner Loop Header: Depth=1
	scratch_load_b32 v131, v130, off
	ds_load_b32 v132, v129
	v_add_nc_u32_e32 v128, 1, v128
	v_add_nc_u32_e32 v129, 4, v129
	v_add_nc_u32_e32 v130, 4, v130
	s_delay_alu instid0(VALU_DEP_3)
	v_cmp_lt_u32_e32 vcc_lo, 25, v128
	s_or_b32 s1, vcc_lo, s1
	s_waitcnt vmcnt(0) lgkmcnt(0)
	v_fmac_f32_e32 v4, v131, v132
	s_and_not1_b32 exec_lo, exec_lo, s1
	s_cbranch_execnz .LBB60_115
; %bb.116:
	s_or_b32 exec_lo, exec_lo, s1
	v_mov_b32_e32 v128, 0
	ds_load_b32 v128, v128 offset:108
	s_waitcnt lgkmcnt(0)
	v_mul_f32_e32 v4, v4, v128
	scratch_store_b32 off, v4, off offset:108
.LBB60_117:
	s_or_b32 exec_lo, exec_lo, s0
	s_waitcnt_vscnt null, 0x0
	s_barrier
	buffer_gl0_inv
	scratch_load_b32 v4, off, off offset:112
	s_mov_b32 s0, exec_lo
	s_waitcnt vmcnt(0)
	ds_store_b32 v2, v4
	s_waitcnt lgkmcnt(0)
	s_barrier
	buffer_gl0_inv
	v_cmpx_gt_u32_e32 28, v0
	s_cbranch_execz .LBB60_121
; %bb.118:
	v_add_nc_u32_e32 v128, -1, v0
	v_or_b32_e32 v129, 0x100, v127
	v_add_nc_u32_e32 v130, 0, v127
	v_mov_b32_e32 v4, 0
	s_mov_b32 s1, 0
.LBB60_119:                             ; =>This Inner Loop Header: Depth=1
	scratch_load_b32 v131, v130, off
	ds_load_b32 v132, v129
	v_add_nc_u32_e32 v128, 1, v128
	v_add_nc_u32_e32 v129, 4, v129
	v_add_nc_u32_e32 v130, 4, v130
	s_delay_alu instid0(VALU_DEP_3)
	v_cmp_lt_u32_e32 vcc_lo, 26, v128
	s_or_b32 s1, vcc_lo, s1
	s_waitcnt vmcnt(0) lgkmcnt(0)
	v_fmac_f32_e32 v4, v131, v132
	s_and_not1_b32 exec_lo, exec_lo, s1
	s_cbranch_execnz .LBB60_119
; %bb.120:
	s_or_b32 exec_lo, exec_lo, s1
	v_mov_b32_e32 v128, 0
	ds_load_b32 v128, v128 offset:112
	s_waitcnt lgkmcnt(0)
	v_mul_f32_e32 v4, v4, v128
	scratch_store_b32 off, v4, off offset:112
.LBB60_121:
	s_or_b32 exec_lo, exec_lo, s0
	s_waitcnt_vscnt null, 0x0
	s_barrier
	buffer_gl0_inv
	scratch_load_b32 v4, off, off offset:116
	s_mov_b32 s0, exec_lo
	s_waitcnt vmcnt(0)
	ds_store_b32 v2, v4
	s_waitcnt lgkmcnt(0)
	s_barrier
	buffer_gl0_inv
	v_cmpx_gt_u32_e32 29, v0
	s_cbranch_execz .LBB60_125
; %bb.122:
	v_add_nc_u32_e32 v128, -1, v0
	v_or_b32_e32 v129, 0x100, v127
	v_add_nc_u32_e32 v130, 0, v127
	v_mov_b32_e32 v4, 0
	s_mov_b32 s1, 0
.LBB60_123:                             ; =>This Inner Loop Header: Depth=1
	scratch_load_b32 v131, v130, off
	ds_load_b32 v132, v129
	v_add_nc_u32_e32 v128, 1, v128
	v_add_nc_u32_e32 v129, 4, v129
	v_add_nc_u32_e32 v130, 4, v130
	s_delay_alu instid0(VALU_DEP_3)
	v_cmp_lt_u32_e32 vcc_lo, 27, v128
	s_or_b32 s1, vcc_lo, s1
	s_waitcnt vmcnt(0) lgkmcnt(0)
	v_fmac_f32_e32 v4, v131, v132
	s_and_not1_b32 exec_lo, exec_lo, s1
	s_cbranch_execnz .LBB60_123
; %bb.124:
	s_or_b32 exec_lo, exec_lo, s1
	v_mov_b32_e32 v128, 0
	ds_load_b32 v128, v128 offset:116
	s_waitcnt lgkmcnt(0)
	v_mul_f32_e32 v4, v4, v128
	scratch_store_b32 off, v4, off offset:116
.LBB60_125:
	s_or_b32 exec_lo, exec_lo, s0
	s_waitcnt_vscnt null, 0x0
	s_barrier
	buffer_gl0_inv
	scratch_load_b32 v4, off, off offset:120
	s_mov_b32 s0, exec_lo
	s_waitcnt vmcnt(0)
	ds_store_b32 v2, v4
	s_waitcnt lgkmcnt(0)
	s_barrier
	buffer_gl0_inv
	v_cmpx_gt_u32_e32 30, v0
	s_cbranch_execz .LBB60_129
; %bb.126:
	v_add_nc_u32_e32 v128, -1, v0
	v_or_b32_e32 v129, 0x100, v127
	v_add_nc_u32_e32 v130, 0, v127
	v_mov_b32_e32 v4, 0
	s_mov_b32 s1, 0
.LBB60_127:                             ; =>This Inner Loop Header: Depth=1
	scratch_load_b32 v131, v130, off
	ds_load_b32 v132, v129
	v_add_nc_u32_e32 v128, 1, v128
	v_add_nc_u32_e32 v129, 4, v129
	v_add_nc_u32_e32 v130, 4, v130
	s_delay_alu instid0(VALU_DEP_3)
	v_cmp_lt_u32_e32 vcc_lo, 28, v128
	s_or_b32 s1, vcc_lo, s1
	s_waitcnt vmcnt(0) lgkmcnt(0)
	v_fmac_f32_e32 v4, v131, v132
	s_and_not1_b32 exec_lo, exec_lo, s1
	s_cbranch_execnz .LBB60_127
; %bb.128:
	s_or_b32 exec_lo, exec_lo, s1
	v_mov_b32_e32 v128, 0
	ds_load_b32 v128, v128 offset:120
	s_waitcnt lgkmcnt(0)
	v_mul_f32_e32 v4, v4, v128
	scratch_store_b32 off, v4, off offset:120
.LBB60_129:
	s_or_b32 exec_lo, exec_lo, s0
	s_waitcnt_vscnt null, 0x0
	s_barrier
	buffer_gl0_inv
	scratch_load_b32 v4, off, off offset:124
	s_mov_b32 s0, exec_lo
	s_waitcnt vmcnt(0)
	ds_store_b32 v2, v4
	s_waitcnt lgkmcnt(0)
	s_barrier
	buffer_gl0_inv
	v_cmpx_gt_u32_e32 31, v0
	s_cbranch_execz .LBB60_133
; %bb.130:
	v_add_nc_u32_e32 v128, -1, v0
	v_or_b32_e32 v129, 0x100, v127
	v_add_nc_u32_e32 v130, 0, v127
	v_mov_b32_e32 v4, 0
	s_mov_b32 s1, 0
.LBB60_131:                             ; =>This Inner Loop Header: Depth=1
	scratch_load_b32 v131, v130, off
	ds_load_b32 v132, v129
	v_add_nc_u32_e32 v128, 1, v128
	v_add_nc_u32_e32 v129, 4, v129
	v_add_nc_u32_e32 v130, 4, v130
	s_delay_alu instid0(VALU_DEP_3)
	v_cmp_lt_u32_e32 vcc_lo, 29, v128
	s_or_b32 s1, vcc_lo, s1
	s_waitcnt vmcnt(0) lgkmcnt(0)
	v_fmac_f32_e32 v4, v131, v132
	s_and_not1_b32 exec_lo, exec_lo, s1
	s_cbranch_execnz .LBB60_131
; %bb.132:
	s_or_b32 exec_lo, exec_lo, s1
	v_mov_b32_e32 v128, 0
	ds_load_b32 v128, v128 offset:124
	s_waitcnt lgkmcnt(0)
	v_mul_f32_e32 v4, v4, v128
	scratch_store_b32 off, v4, off offset:124
.LBB60_133:
	s_or_b32 exec_lo, exec_lo, s0
	s_waitcnt_vscnt null, 0x0
	s_barrier
	buffer_gl0_inv
	scratch_load_b32 v4, off, off offset:128
	s_mov_b32 s0, exec_lo
	s_waitcnt vmcnt(0)
	ds_store_b32 v2, v4
	s_waitcnt lgkmcnt(0)
	s_barrier
	buffer_gl0_inv
	v_cmpx_gt_u32_e32 32, v0
	s_cbranch_execz .LBB60_137
; %bb.134:
	v_add_nc_u32_e32 v128, -1, v0
	v_or_b32_e32 v129, 0x100, v127
	v_add_nc_u32_e32 v130, 0, v127
	v_mov_b32_e32 v4, 0
	s_mov_b32 s1, 0
.LBB60_135:                             ; =>This Inner Loop Header: Depth=1
	scratch_load_b32 v131, v130, off
	ds_load_b32 v132, v129
	v_add_nc_u32_e32 v128, 1, v128
	v_add_nc_u32_e32 v129, 4, v129
	v_add_nc_u32_e32 v130, 4, v130
	s_delay_alu instid0(VALU_DEP_3)
	v_cmp_lt_u32_e32 vcc_lo, 30, v128
	s_or_b32 s1, vcc_lo, s1
	s_waitcnt vmcnt(0) lgkmcnt(0)
	v_fmac_f32_e32 v4, v131, v132
	s_and_not1_b32 exec_lo, exec_lo, s1
	s_cbranch_execnz .LBB60_135
; %bb.136:
	s_or_b32 exec_lo, exec_lo, s1
	v_mov_b32_e32 v128, 0
	ds_load_b32 v128, v128 offset:128
	s_waitcnt lgkmcnt(0)
	v_mul_f32_e32 v4, v4, v128
	scratch_store_b32 off, v4, off offset:128
.LBB60_137:
	s_or_b32 exec_lo, exec_lo, s0
	s_waitcnt_vscnt null, 0x0
	s_barrier
	buffer_gl0_inv
	scratch_load_b32 v4, off, off offset:132
	s_mov_b32 s0, exec_lo
	s_waitcnt vmcnt(0)
	ds_store_b32 v2, v4
	s_waitcnt lgkmcnt(0)
	s_barrier
	buffer_gl0_inv
	v_cmpx_gt_u32_e32 33, v0
	s_cbranch_execz .LBB60_141
; %bb.138:
	v_add_nc_u32_e32 v128, -1, v0
	v_or_b32_e32 v129, 0x100, v127
	v_add_nc_u32_e32 v130, 0, v127
	v_mov_b32_e32 v4, 0
	s_mov_b32 s1, 0
.LBB60_139:                             ; =>This Inner Loop Header: Depth=1
	scratch_load_b32 v131, v130, off
	ds_load_b32 v132, v129
	v_add_nc_u32_e32 v128, 1, v128
	v_add_nc_u32_e32 v129, 4, v129
	v_add_nc_u32_e32 v130, 4, v130
	s_delay_alu instid0(VALU_DEP_3)
	v_cmp_lt_u32_e32 vcc_lo, 31, v128
	s_or_b32 s1, vcc_lo, s1
	s_waitcnt vmcnt(0) lgkmcnt(0)
	v_fmac_f32_e32 v4, v131, v132
	s_and_not1_b32 exec_lo, exec_lo, s1
	s_cbranch_execnz .LBB60_139
; %bb.140:
	s_or_b32 exec_lo, exec_lo, s1
	v_mov_b32_e32 v128, 0
	ds_load_b32 v128, v128 offset:132
	s_waitcnt lgkmcnt(0)
	v_mul_f32_e32 v4, v4, v128
	scratch_store_b32 off, v4, off offset:132
.LBB60_141:
	s_or_b32 exec_lo, exec_lo, s0
	s_waitcnt_vscnt null, 0x0
	s_barrier
	buffer_gl0_inv
	scratch_load_b32 v4, off, off offset:136
	s_mov_b32 s0, exec_lo
	s_waitcnt vmcnt(0)
	ds_store_b32 v2, v4
	s_waitcnt lgkmcnt(0)
	s_barrier
	buffer_gl0_inv
	v_cmpx_gt_u32_e32 34, v0
	s_cbranch_execz .LBB60_145
; %bb.142:
	v_add_nc_u32_e32 v128, -1, v0
	v_or_b32_e32 v129, 0x100, v127
	v_add_nc_u32_e32 v130, 0, v127
	v_mov_b32_e32 v4, 0
	s_mov_b32 s1, 0
.LBB60_143:                             ; =>This Inner Loop Header: Depth=1
	scratch_load_b32 v131, v130, off
	ds_load_b32 v132, v129
	v_add_nc_u32_e32 v128, 1, v128
	v_add_nc_u32_e32 v129, 4, v129
	v_add_nc_u32_e32 v130, 4, v130
	s_delay_alu instid0(VALU_DEP_3)
	v_cmp_lt_u32_e32 vcc_lo, 32, v128
	s_or_b32 s1, vcc_lo, s1
	s_waitcnt vmcnt(0) lgkmcnt(0)
	v_fmac_f32_e32 v4, v131, v132
	s_and_not1_b32 exec_lo, exec_lo, s1
	s_cbranch_execnz .LBB60_143
; %bb.144:
	s_or_b32 exec_lo, exec_lo, s1
	v_mov_b32_e32 v128, 0
	ds_load_b32 v128, v128 offset:136
	s_waitcnt lgkmcnt(0)
	v_mul_f32_e32 v4, v4, v128
	scratch_store_b32 off, v4, off offset:136
.LBB60_145:
	s_or_b32 exec_lo, exec_lo, s0
	s_waitcnt_vscnt null, 0x0
	s_barrier
	buffer_gl0_inv
	scratch_load_b32 v4, off, off offset:140
	s_mov_b32 s0, exec_lo
	s_waitcnt vmcnt(0)
	ds_store_b32 v2, v4
	s_waitcnt lgkmcnt(0)
	s_barrier
	buffer_gl0_inv
	v_cmpx_gt_u32_e32 35, v0
	s_cbranch_execz .LBB60_149
; %bb.146:
	v_add_nc_u32_e32 v128, -1, v0
	v_or_b32_e32 v129, 0x100, v127
	v_add_nc_u32_e32 v130, 0, v127
	v_mov_b32_e32 v4, 0
	s_mov_b32 s1, 0
.LBB60_147:                             ; =>This Inner Loop Header: Depth=1
	scratch_load_b32 v131, v130, off
	ds_load_b32 v132, v129
	v_add_nc_u32_e32 v128, 1, v128
	v_add_nc_u32_e32 v129, 4, v129
	v_add_nc_u32_e32 v130, 4, v130
	s_delay_alu instid0(VALU_DEP_3)
	v_cmp_lt_u32_e32 vcc_lo, 33, v128
	s_or_b32 s1, vcc_lo, s1
	s_waitcnt vmcnt(0) lgkmcnt(0)
	v_fmac_f32_e32 v4, v131, v132
	s_and_not1_b32 exec_lo, exec_lo, s1
	s_cbranch_execnz .LBB60_147
; %bb.148:
	s_or_b32 exec_lo, exec_lo, s1
	v_mov_b32_e32 v128, 0
	ds_load_b32 v128, v128 offset:140
	s_waitcnt lgkmcnt(0)
	v_mul_f32_e32 v4, v4, v128
	scratch_store_b32 off, v4, off offset:140
.LBB60_149:
	s_or_b32 exec_lo, exec_lo, s0
	s_waitcnt_vscnt null, 0x0
	s_barrier
	buffer_gl0_inv
	scratch_load_b32 v4, off, off offset:144
	s_mov_b32 s0, exec_lo
	s_waitcnt vmcnt(0)
	ds_store_b32 v2, v4
	s_waitcnt lgkmcnt(0)
	s_barrier
	buffer_gl0_inv
	v_cmpx_gt_u32_e32 36, v0
	s_cbranch_execz .LBB60_153
; %bb.150:
	v_add_nc_u32_e32 v128, -1, v0
	v_or_b32_e32 v129, 0x100, v127
	v_add_nc_u32_e32 v130, 0, v127
	v_mov_b32_e32 v4, 0
	s_mov_b32 s1, 0
.LBB60_151:                             ; =>This Inner Loop Header: Depth=1
	scratch_load_b32 v131, v130, off
	ds_load_b32 v132, v129
	v_add_nc_u32_e32 v128, 1, v128
	v_add_nc_u32_e32 v129, 4, v129
	v_add_nc_u32_e32 v130, 4, v130
	s_delay_alu instid0(VALU_DEP_3)
	v_cmp_lt_u32_e32 vcc_lo, 34, v128
	s_or_b32 s1, vcc_lo, s1
	s_waitcnt vmcnt(0) lgkmcnt(0)
	v_fmac_f32_e32 v4, v131, v132
	s_and_not1_b32 exec_lo, exec_lo, s1
	s_cbranch_execnz .LBB60_151
; %bb.152:
	s_or_b32 exec_lo, exec_lo, s1
	v_mov_b32_e32 v128, 0
	ds_load_b32 v128, v128 offset:144
	s_waitcnt lgkmcnt(0)
	v_mul_f32_e32 v4, v4, v128
	scratch_store_b32 off, v4, off offset:144
.LBB60_153:
	s_or_b32 exec_lo, exec_lo, s0
	s_waitcnt_vscnt null, 0x0
	s_barrier
	buffer_gl0_inv
	scratch_load_b32 v4, off, off offset:148
	s_mov_b32 s0, exec_lo
	s_waitcnt vmcnt(0)
	ds_store_b32 v2, v4
	s_waitcnt lgkmcnt(0)
	s_barrier
	buffer_gl0_inv
	v_cmpx_gt_u32_e32 37, v0
	s_cbranch_execz .LBB60_157
; %bb.154:
	v_add_nc_u32_e32 v128, -1, v0
	v_or_b32_e32 v129, 0x100, v127
	v_add_nc_u32_e32 v130, 0, v127
	v_mov_b32_e32 v4, 0
	s_mov_b32 s1, 0
.LBB60_155:                             ; =>This Inner Loop Header: Depth=1
	scratch_load_b32 v131, v130, off
	ds_load_b32 v132, v129
	v_add_nc_u32_e32 v128, 1, v128
	v_add_nc_u32_e32 v129, 4, v129
	v_add_nc_u32_e32 v130, 4, v130
	s_delay_alu instid0(VALU_DEP_3)
	v_cmp_lt_u32_e32 vcc_lo, 35, v128
	s_or_b32 s1, vcc_lo, s1
	s_waitcnt vmcnt(0) lgkmcnt(0)
	v_fmac_f32_e32 v4, v131, v132
	s_and_not1_b32 exec_lo, exec_lo, s1
	s_cbranch_execnz .LBB60_155
; %bb.156:
	s_or_b32 exec_lo, exec_lo, s1
	v_mov_b32_e32 v128, 0
	ds_load_b32 v128, v128 offset:148
	s_waitcnt lgkmcnt(0)
	v_mul_f32_e32 v4, v4, v128
	scratch_store_b32 off, v4, off offset:148
.LBB60_157:
	s_or_b32 exec_lo, exec_lo, s0
	s_waitcnt_vscnt null, 0x0
	s_barrier
	buffer_gl0_inv
	scratch_load_b32 v4, off, off offset:152
	s_mov_b32 s0, exec_lo
	s_waitcnt vmcnt(0)
	ds_store_b32 v2, v4
	s_waitcnt lgkmcnt(0)
	s_barrier
	buffer_gl0_inv
	v_cmpx_gt_u32_e32 38, v0
	s_cbranch_execz .LBB60_161
; %bb.158:
	v_add_nc_u32_e32 v128, -1, v0
	v_or_b32_e32 v129, 0x100, v127
	v_add_nc_u32_e32 v130, 0, v127
	v_mov_b32_e32 v4, 0
	s_mov_b32 s1, 0
.LBB60_159:                             ; =>This Inner Loop Header: Depth=1
	scratch_load_b32 v131, v130, off
	ds_load_b32 v132, v129
	v_add_nc_u32_e32 v128, 1, v128
	v_add_nc_u32_e32 v129, 4, v129
	v_add_nc_u32_e32 v130, 4, v130
	s_delay_alu instid0(VALU_DEP_3)
	v_cmp_lt_u32_e32 vcc_lo, 36, v128
	s_or_b32 s1, vcc_lo, s1
	s_waitcnt vmcnt(0) lgkmcnt(0)
	v_fmac_f32_e32 v4, v131, v132
	s_and_not1_b32 exec_lo, exec_lo, s1
	s_cbranch_execnz .LBB60_159
; %bb.160:
	s_or_b32 exec_lo, exec_lo, s1
	v_mov_b32_e32 v128, 0
	ds_load_b32 v128, v128 offset:152
	s_waitcnt lgkmcnt(0)
	v_mul_f32_e32 v4, v4, v128
	scratch_store_b32 off, v4, off offset:152
.LBB60_161:
	s_or_b32 exec_lo, exec_lo, s0
	s_waitcnt_vscnt null, 0x0
	s_barrier
	buffer_gl0_inv
	scratch_load_b32 v4, off, off offset:156
	s_mov_b32 s0, exec_lo
	s_waitcnt vmcnt(0)
	ds_store_b32 v2, v4
	s_waitcnt lgkmcnt(0)
	s_barrier
	buffer_gl0_inv
	v_cmpx_gt_u32_e32 39, v0
	s_cbranch_execz .LBB60_165
; %bb.162:
	v_add_nc_u32_e32 v128, -1, v0
	v_or_b32_e32 v129, 0x100, v127
	v_add_nc_u32_e32 v130, 0, v127
	v_mov_b32_e32 v4, 0
	s_mov_b32 s1, 0
.LBB60_163:                             ; =>This Inner Loop Header: Depth=1
	scratch_load_b32 v131, v130, off
	ds_load_b32 v132, v129
	v_add_nc_u32_e32 v128, 1, v128
	v_add_nc_u32_e32 v129, 4, v129
	v_add_nc_u32_e32 v130, 4, v130
	s_delay_alu instid0(VALU_DEP_3)
	v_cmp_lt_u32_e32 vcc_lo, 37, v128
	s_or_b32 s1, vcc_lo, s1
	s_waitcnt vmcnt(0) lgkmcnt(0)
	v_fmac_f32_e32 v4, v131, v132
	s_and_not1_b32 exec_lo, exec_lo, s1
	s_cbranch_execnz .LBB60_163
; %bb.164:
	s_or_b32 exec_lo, exec_lo, s1
	v_mov_b32_e32 v128, 0
	ds_load_b32 v128, v128 offset:156
	s_waitcnt lgkmcnt(0)
	v_mul_f32_e32 v4, v4, v128
	scratch_store_b32 off, v4, off offset:156
.LBB60_165:
	s_or_b32 exec_lo, exec_lo, s0
	s_waitcnt_vscnt null, 0x0
	s_barrier
	buffer_gl0_inv
	scratch_load_b32 v4, off, off offset:160
	s_mov_b32 s0, exec_lo
	s_waitcnt vmcnt(0)
	ds_store_b32 v2, v4
	s_waitcnt lgkmcnt(0)
	s_barrier
	buffer_gl0_inv
	v_cmpx_gt_u32_e32 40, v0
	s_cbranch_execz .LBB60_169
; %bb.166:
	v_add_nc_u32_e32 v128, -1, v0
	v_or_b32_e32 v129, 0x100, v127
	v_add_nc_u32_e32 v130, 0, v127
	v_mov_b32_e32 v4, 0
	s_mov_b32 s1, 0
.LBB60_167:                             ; =>This Inner Loop Header: Depth=1
	scratch_load_b32 v131, v130, off
	ds_load_b32 v132, v129
	v_add_nc_u32_e32 v128, 1, v128
	v_add_nc_u32_e32 v129, 4, v129
	v_add_nc_u32_e32 v130, 4, v130
	s_delay_alu instid0(VALU_DEP_3)
	v_cmp_lt_u32_e32 vcc_lo, 38, v128
	s_or_b32 s1, vcc_lo, s1
	s_waitcnt vmcnt(0) lgkmcnt(0)
	v_fmac_f32_e32 v4, v131, v132
	s_and_not1_b32 exec_lo, exec_lo, s1
	s_cbranch_execnz .LBB60_167
; %bb.168:
	s_or_b32 exec_lo, exec_lo, s1
	v_mov_b32_e32 v128, 0
	ds_load_b32 v128, v128 offset:160
	s_waitcnt lgkmcnt(0)
	v_mul_f32_e32 v4, v4, v128
	scratch_store_b32 off, v4, off offset:160
.LBB60_169:
	s_or_b32 exec_lo, exec_lo, s0
	s_waitcnt_vscnt null, 0x0
	s_barrier
	buffer_gl0_inv
	scratch_load_b32 v4, off, off offset:164
	s_mov_b32 s0, exec_lo
	s_waitcnt vmcnt(0)
	ds_store_b32 v2, v4
	s_waitcnt lgkmcnt(0)
	s_barrier
	buffer_gl0_inv
	v_cmpx_gt_u32_e32 41, v0
	s_cbranch_execz .LBB60_173
; %bb.170:
	v_add_nc_u32_e32 v128, -1, v0
	v_or_b32_e32 v129, 0x100, v127
	v_add_nc_u32_e32 v130, 0, v127
	v_mov_b32_e32 v4, 0
	s_mov_b32 s1, 0
.LBB60_171:                             ; =>This Inner Loop Header: Depth=1
	scratch_load_b32 v131, v130, off
	ds_load_b32 v132, v129
	v_add_nc_u32_e32 v128, 1, v128
	v_add_nc_u32_e32 v129, 4, v129
	v_add_nc_u32_e32 v130, 4, v130
	s_delay_alu instid0(VALU_DEP_3)
	v_cmp_lt_u32_e32 vcc_lo, 39, v128
	s_or_b32 s1, vcc_lo, s1
	s_waitcnt vmcnt(0) lgkmcnt(0)
	v_fmac_f32_e32 v4, v131, v132
	s_and_not1_b32 exec_lo, exec_lo, s1
	s_cbranch_execnz .LBB60_171
; %bb.172:
	s_or_b32 exec_lo, exec_lo, s1
	v_mov_b32_e32 v128, 0
	ds_load_b32 v128, v128 offset:164
	s_waitcnt lgkmcnt(0)
	v_mul_f32_e32 v4, v4, v128
	scratch_store_b32 off, v4, off offset:164
.LBB60_173:
	s_or_b32 exec_lo, exec_lo, s0
	s_waitcnt_vscnt null, 0x0
	s_barrier
	buffer_gl0_inv
	scratch_load_b32 v4, off, off offset:168
	s_mov_b32 s0, exec_lo
	s_waitcnt vmcnt(0)
	ds_store_b32 v2, v4
	s_waitcnt lgkmcnt(0)
	s_barrier
	buffer_gl0_inv
	v_cmpx_gt_u32_e32 42, v0
	s_cbranch_execz .LBB60_177
; %bb.174:
	v_add_nc_u32_e32 v128, -1, v0
	v_or_b32_e32 v129, 0x100, v127
	v_add_nc_u32_e32 v130, 0, v127
	v_mov_b32_e32 v4, 0
	s_mov_b32 s1, 0
.LBB60_175:                             ; =>This Inner Loop Header: Depth=1
	scratch_load_b32 v131, v130, off
	ds_load_b32 v132, v129
	v_add_nc_u32_e32 v128, 1, v128
	v_add_nc_u32_e32 v129, 4, v129
	v_add_nc_u32_e32 v130, 4, v130
	s_delay_alu instid0(VALU_DEP_3)
	v_cmp_lt_u32_e32 vcc_lo, 40, v128
	s_or_b32 s1, vcc_lo, s1
	s_waitcnt vmcnt(0) lgkmcnt(0)
	v_fmac_f32_e32 v4, v131, v132
	s_and_not1_b32 exec_lo, exec_lo, s1
	s_cbranch_execnz .LBB60_175
; %bb.176:
	s_or_b32 exec_lo, exec_lo, s1
	v_mov_b32_e32 v128, 0
	ds_load_b32 v128, v128 offset:168
	s_waitcnt lgkmcnt(0)
	v_mul_f32_e32 v4, v4, v128
	scratch_store_b32 off, v4, off offset:168
.LBB60_177:
	s_or_b32 exec_lo, exec_lo, s0
	s_waitcnt_vscnt null, 0x0
	s_barrier
	buffer_gl0_inv
	scratch_load_b32 v4, off, off offset:172
	s_mov_b32 s0, exec_lo
	s_waitcnt vmcnt(0)
	ds_store_b32 v2, v4
	s_waitcnt lgkmcnt(0)
	s_barrier
	buffer_gl0_inv
	v_cmpx_gt_u32_e32 43, v0
	s_cbranch_execz .LBB60_181
; %bb.178:
	v_add_nc_u32_e32 v128, -1, v0
	v_or_b32_e32 v129, 0x100, v127
	v_add_nc_u32_e32 v130, 0, v127
	v_mov_b32_e32 v4, 0
	s_mov_b32 s1, 0
.LBB60_179:                             ; =>This Inner Loop Header: Depth=1
	scratch_load_b32 v131, v130, off
	ds_load_b32 v132, v129
	v_add_nc_u32_e32 v128, 1, v128
	v_add_nc_u32_e32 v129, 4, v129
	v_add_nc_u32_e32 v130, 4, v130
	s_delay_alu instid0(VALU_DEP_3)
	v_cmp_lt_u32_e32 vcc_lo, 41, v128
	s_or_b32 s1, vcc_lo, s1
	s_waitcnt vmcnt(0) lgkmcnt(0)
	v_fmac_f32_e32 v4, v131, v132
	s_and_not1_b32 exec_lo, exec_lo, s1
	s_cbranch_execnz .LBB60_179
; %bb.180:
	s_or_b32 exec_lo, exec_lo, s1
	v_mov_b32_e32 v128, 0
	ds_load_b32 v128, v128 offset:172
	s_waitcnt lgkmcnt(0)
	v_mul_f32_e32 v4, v4, v128
	scratch_store_b32 off, v4, off offset:172
.LBB60_181:
	s_or_b32 exec_lo, exec_lo, s0
	s_waitcnt_vscnt null, 0x0
	s_barrier
	buffer_gl0_inv
	scratch_load_b32 v4, off, off offset:176
	s_mov_b32 s0, exec_lo
	s_waitcnt vmcnt(0)
	ds_store_b32 v2, v4
	s_waitcnt lgkmcnt(0)
	s_barrier
	buffer_gl0_inv
	v_cmpx_gt_u32_e32 44, v0
	s_cbranch_execz .LBB60_185
; %bb.182:
	v_add_nc_u32_e32 v128, -1, v0
	v_or_b32_e32 v129, 0x100, v127
	v_add_nc_u32_e32 v130, 0, v127
	v_mov_b32_e32 v4, 0
	s_mov_b32 s1, 0
.LBB60_183:                             ; =>This Inner Loop Header: Depth=1
	scratch_load_b32 v131, v130, off
	ds_load_b32 v132, v129
	v_add_nc_u32_e32 v128, 1, v128
	v_add_nc_u32_e32 v129, 4, v129
	v_add_nc_u32_e32 v130, 4, v130
	s_delay_alu instid0(VALU_DEP_3)
	v_cmp_lt_u32_e32 vcc_lo, 42, v128
	s_or_b32 s1, vcc_lo, s1
	s_waitcnt vmcnt(0) lgkmcnt(0)
	v_fmac_f32_e32 v4, v131, v132
	s_and_not1_b32 exec_lo, exec_lo, s1
	s_cbranch_execnz .LBB60_183
; %bb.184:
	s_or_b32 exec_lo, exec_lo, s1
	v_mov_b32_e32 v128, 0
	ds_load_b32 v128, v128 offset:176
	s_waitcnt lgkmcnt(0)
	v_mul_f32_e32 v4, v4, v128
	scratch_store_b32 off, v4, off offset:176
.LBB60_185:
	s_or_b32 exec_lo, exec_lo, s0
	s_waitcnt_vscnt null, 0x0
	s_barrier
	buffer_gl0_inv
	scratch_load_b32 v4, off, off offset:180
	s_mov_b32 s0, exec_lo
	s_waitcnt vmcnt(0)
	ds_store_b32 v2, v4
	s_waitcnt lgkmcnt(0)
	s_barrier
	buffer_gl0_inv
	v_cmpx_gt_u32_e32 45, v0
	s_cbranch_execz .LBB60_189
; %bb.186:
	v_add_nc_u32_e32 v128, -1, v0
	v_or_b32_e32 v129, 0x100, v127
	v_add_nc_u32_e32 v130, 0, v127
	v_mov_b32_e32 v4, 0
	s_mov_b32 s1, 0
.LBB60_187:                             ; =>This Inner Loop Header: Depth=1
	scratch_load_b32 v131, v130, off
	ds_load_b32 v132, v129
	v_add_nc_u32_e32 v128, 1, v128
	v_add_nc_u32_e32 v129, 4, v129
	v_add_nc_u32_e32 v130, 4, v130
	s_delay_alu instid0(VALU_DEP_3)
	v_cmp_lt_u32_e32 vcc_lo, 43, v128
	s_or_b32 s1, vcc_lo, s1
	s_waitcnt vmcnt(0) lgkmcnt(0)
	v_fmac_f32_e32 v4, v131, v132
	s_and_not1_b32 exec_lo, exec_lo, s1
	s_cbranch_execnz .LBB60_187
; %bb.188:
	s_or_b32 exec_lo, exec_lo, s1
	v_mov_b32_e32 v128, 0
	ds_load_b32 v128, v128 offset:180
	s_waitcnt lgkmcnt(0)
	v_mul_f32_e32 v4, v4, v128
	scratch_store_b32 off, v4, off offset:180
.LBB60_189:
	s_or_b32 exec_lo, exec_lo, s0
	s_waitcnt_vscnt null, 0x0
	s_barrier
	buffer_gl0_inv
	scratch_load_b32 v4, off, off offset:184
	s_mov_b32 s0, exec_lo
	s_waitcnt vmcnt(0)
	ds_store_b32 v2, v4
	s_waitcnt lgkmcnt(0)
	s_barrier
	buffer_gl0_inv
	v_cmpx_gt_u32_e32 46, v0
	s_cbranch_execz .LBB60_193
; %bb.190:
	v_add_nc_u32_e32 v128, -1, v0
	v_or_b32_e32 v129, 0x100, v127
	v_add_nc_u32_e32 v130, 0, v127
	v_mov_b32_e32 v4, 0
	s_mov_b32 s1, 0
.LBB60_191:                             ; =>This Inner Loop Header: Depth=1
	scratch_load_b32 v131, v130, off
	ds_load_b32 v132, v129
	v_add_nc_u32_e32 v128, 1, v128
	v_add_nc_u32_e32 v129, 4, v129
	v_add_nc_u32_e32 v130, 4, v130
	s_delay_alu instid0(VALU_DEP_3)
	v_cmp_lt_u32_e32 vcc_lo, 44, v128
	s_or_b32 s1, vcc_lo, s1
	s_waitcnt vmcnt(0) lgkmcnt(0)
	v_fmac_f32_e32 v4, v131, v132
	s_and_not1_b32 exec_lo, exec_lo, s1
	s_cbranch_execnz .LBB60_191
; %bb.192:
	s_or_b32 exec_lo, exec_lo, s1
	v_mov_b32_e32 v128, 0
	ds_load_b32 v128, v128 offset:184
	s_waitcnt lgkmcnt(0)
	v_mul_f32_e32 v4, v4, v128
	scratch_store_b32 off, v4, off offset:184
.LBB60_193:
	s_or_b32 exec_lo, exec_lo, s0
	s_waitcnt_vscnt null, 0x0
	s_barrier
	buffer_gl0_inv
	scratch_load_b32 v4, off, off offset:188
	s_mov_b32 s0, exec_lo
	s_waitcnt vmcnt(0)
	ds_store_b32 v2, v4
	s_waitcnt lgkmcnt(0)
	s_barrier
	buffer_gl0_inv
	v_cmpx_gt_u32_e32 47, v0
	s_cbranch_execz .LBB60_197
; %bb.194:
	v_add_nc_u32_e32 v128, -1, v0
	v_or_b32_e32 v129, 0x100, v127
	v_add_nc_u32_e32 v130, 0, v127
	v_mov_b32_e32 v4, 0
	s_mov_b32 s1, 0
.LBB60_195:                             ; =>This Inner Loop Header: Depth=1
	scratch_load_b32 v131, v130, off
	ds_load_b32 v132, v129
	v_add_nc_u32_e32 v128, 1, v128
	v_add_nc_u32_e32 v129, 4, v129
	v_add_nc_u32_e32 v130, 4, v130
	s_delay_alu instid0(VALU_DEP_3)
	v_cmp_lt_u32_e32 vcc_lo, 45, v128
	s_or_b32 s1, vcc_lo, s1
	s_waitcnt vmcnt(0) lgkmcnt(0)
	v_fmac_f32_e32 v4, v131, v132
	s_and_not1_b32 exec_lo, exec_lo, s1
	s_cbranch_execnz .LBB60_195
; %bb.196:
	s_or_b32 exec_lo, exec_lo, s1
	v_mov_b32_e32 v128, 0
	ds_load_b32 v128, v128 offset:188
	s_waitcnt lgkmcnt(0)
	v_mul_f32_e32 v4, v4, v128
	scratch_store_b32 off, v4, off offset:188
.LBB60_197:
	s_or_b32 exec_lo, exec_lo, s0
	s_waitcnt_vscnt null, 0x0
	s_barrier
	buffer_gl0_inv
	scratch_load_b32 v4, off, off offset:192
	s_mov_b32 s0, exec_lo
	s_waitcnt vmcnt(0)
	ds_store_b32 v2, v4
	s_waitcnt lgkmcnt(0)
	s_barrier
	buffer_gl0_inv
	v_cmpx_gt_u32_e32 48, v0
	s_cbranch_execz .LBB60_201
; %bb.198:
	v_add_nc_u32_e32 v128, -1, v0
	v_or_b32_e32 v129, 0x100, v127
	v_add_nc_u32_e32 v130, 0, v127
	v_mov_b32_e32 v4, 0
	s_mov_b32 s1, 0
.LBB60_199:                             ; =>This Inner Loop Header: Depth=1
	scratch_load_b32 v131, v130, off
	ds_load_b32 v132, v129
	v_add_nc_u32_e32 v128, 1, v128
	v_add_nc_u32_e32 v129, 4, v129
	v_add_nc_u32_e32 v130, 4, v130
	s_delay_alu instid0(VALU_DEP_3)
	v_cmp_lt_u32_e32 vcc_lo, 46, v128
	s_or_b32 s1, vcc_lo, s1
	s_waitcnt vmcnt(0) lgkmcnt(0)
	v_fmac_f32_e32 v4, v131, v132
	s_and_not1_b32 exec_lo, exec_lo, s1
	s_cbranch_execnz .LBB60_199
; %bb.200:
	s_or_b32 exec_lo, exec_lo, s1
	v_mov_b32_e32 v128, 0
	ds_load_b32 v128, v128 offset:192
	s_waitcnt lgkmcnt(0)
	v_mul_f32_e32 v4, v4, v128
	scratch_store_b32 off, v4, off offset:192
.LBB60_201:
	s_or_b32 exec_lo, exec_lo, s0
	s_waitcnt_vscnt null, 0x0
	s_barrier
	buffer_gl0_inv
	scratch_load_b32 v4, off, off offset:196
	s_mov_b32 s0, exec_lo
	s_waitcnt vmcnt(0)
	ds_store_b32 v2, v4
	s_waitcnt lgkmcnt(0)
	s_barrier
	buffer_gl0_inv
	v_cmpx_gt_u32_e32 49, v0
	s_cbranch_execz .LBB60_205
; %bb.202:
	v_add_nc_u32_e32 v128, -1, v0
	v_or_b32_e32 v129, 0x100, v127
	v_add_nc_u32_e32 v130, 0, v127
	v_mov_b32_e32 v4, 0
	s_mov_b32 s1, 0
.LBB60_203:                             ; =>This Inner Loop Header: Depth=1
	scratch_load_b32 v131, v130, off
	ds_load_b32 v132, v129
	v_add_nc_u32_e32 v128, 1, v128
	v_add_nc_u32_e32 v129, 4, v129
	v_add_nc_u32_e32 v130, 4, v130
	s_delay_alu instid0(VALU_DEP_3)
	v_cmp_lt_u32_e32 vcc_lo, 47, v128
	s_or_b32 s1, vcc_lo, s1
	s_waitcnt vmcnt(0) lgkmcnt(0)
	v_fmac_f32_e32 v4, v131, v132
	s_and_not1_b32 exec_lo, exec_lo, s1
	s_cbranch_execnz .LBB60_203
; %bb.204:
	s_or_b32 exec_lo, exec_lo, s1
	v_mov_b32_e32 v128, 0
	ds_load_b32 v128, v128 offset:196
	s_waitcnt lgkmcnt(0)
	v_mul_f32_e32 v4, v4, v128
	scratch_store_b32 off, v4, off offset:196
.LBB60_205:
	s_or_b32 exec_lo, exec_lo, s0
	s_waitcnt_vscnt null, 0x0
	s_barrier
	buffer_gl0_inv
	scratch_load_b32 v4, off, off offset:200
	s_mov_b32 s0, exec_lo
	s_waitcnt vmcnt(0)
	ds_store_b32 v2, v4
	s_waitcnt lgkmcnt(0)
	s_barrier
	buffer_gl0_inv
	v_cmpx_gt_u32_e32 50, v0
	s_cbranch_execz .LBB60_209
; %bb.206:
	v_add_nc_u32_e32 v128, -1, v0
	v_or_b32_e32 v129, 0x100, v127
	v_add_nc_u32_e32 v130, 0, v127
	v_mov_b32_e32 v4, 0
	s_mov_b32 s1, 0
.LBB60_207:                             ; =>This Inner Loop Header: Depth=1
	scratch_load_b32 v131, v130, off
	ds_load_b32 v132, v129
	v_add_nc_u32_e32 v128, 1, v128
	v_add_nc_u32_e32 v129, 4, v129
	v_add_nc_u32_e32 v130, 4, v130
	s_delay_alu instid0(VALU_DEP_3)
	v_cmp_lt_u32_e32 vcc_lo, 48, v128
	s_or_b32 s1, vcc_lo, s1
	s_waitcnt vmcnt(0) lgkmcnt(0)
	v_fmac_f32_e32 v4, v131, v132
	s_and_not1_b32 exec_lo, exec_lo, s1
	s_cbranch_execnz .LBB60_207
; %bb.208:
	s_or_b32 exec_lo, exec_lo, s1
	v_mov_b32_e32 v128, 0
	ds_load_b32 v128, v128 offset:200
	s_waitcnt lgkmcnt(0)
	v_mul_f32_e32 v4, v4, v128
	scratch_store_b32 off, v4, off offset:200
.LBB60_209:
	s_or_b32 exec_lo, exec_lo, s0
	s_waitcnt_vscnt null, 0x0
	s_barrier
	buffer_gl0_inv
	scratch_load_b32 v4, off, off offset:204
	s_mov_b32 s0, exec_lo
	s_waitcnt vmcnt(0)
	ds_store_b32 v2, v4
	s_waitcnt lgkmcnt(0)
	s_barrier
	buffer_gl0_inv
	v_cmpx_gt_u32_e32 51, v0
	s_cbranch_execz .LBB60_213
; %bb.210:
	v_add_nc_u32_e32 v128, -1, v0
	v_or_b32_e32 v129, 0x100, v127
	v_add_nc_u32_e32 v130, 0, v127
	v_mov_b32_e32 v4, 0
	s_mov_b32 s1, 0
.LBB60_211:                             ; =>This Inner Loop Header: Depth=1
	scratch_load_b32 v131, v130, off
	ds_load_b32 v132, v129
	v_add_nc_u32_e32 v128, 1, v128
	v_add_nc_u32_e32 v129, 4, v129
	v_add_nc_u32_e32 v130, 4, v130
	s_delay_alu instid0(VALU_DEP_3)
	v_cmp_lt_u32_e32 vcc_lo, 49, v128
	s_or_b32 s1, vcc_lo, s1
	s_waitcnt vmcnt(0) lgkmcnt(0)
	v_fmac_f32_e32 v4, v131, v132
	s_and_not1_b32 exec_lo, exec_lo, s1
	s_cbranch_execnz .LBB60_211
; %bb.212:
	s_or_b32 exec_lo, exec_lo, s1
	v_mov_b32_e32 v128, 0
	ds_load_b32 v128, v128 offset:204
	s_waitcnt lgkmcnt(0)
	v_mul_f32_e32 v4, v4, v128
	scratch_store_b32 off, v4, off offset:204
.LBB60_213:
	s_or_b32 exec_lo, exec_lo, s0
	s_waitcnt_vscnt null, 0x0
	s_barrier
	buffer_gl0_inv
	scratch_load_b32 v4, off, off offset:208
	s_mov_b32 s0, exec_lo
	s_waitcnt vmcnt(0)
	ds_store_b32 v2, v4
	s_waitcnt lgkmcnt(0)
	s_barrier
	buffer_gl0_inv
	v_cmpx_gt_u32_e32 52, v0
	s_cbranch_execz .LBB60_217
; %bb.214:
	v_add_nc_u32_e32 v128, -1, v0
	v_or_b32_e32 v129, 0x100, v127
	v_add_nc_u32_e32 v130, 0, v127
	v_mov_b32_e32 v4, 0
	s_mov_b32 s1, 0
.LBB60_215:                             ; =>This Inner Loop Header: Depth=1
	scratch_load_b32 v131, v130, off
	ds_load_b32 v132, v129
	v_add_nc_u32_e32 v128, 1, v128
	v_add_nc_u32_e32 v129, 4, v129
	v_add_nc_u32_e32 v130, 4, v130
	s_delay_alu instid0(VALU_DEP_3)
	v_cmp_lt_u32_e32 vcc_lo, 50, v128
	s_or_b32 s1, vcc_lo, s1
	s_waitcnt vmcnt(0) lgkmcnt(0)
	v_fmac_f32_e32 v4, v131, v132
	s_and_not1_b32 exec_lo, exec_lo, s1
	s_cbranch_execnz .LBB60_215
; %bb.216:
	s_or_b32 exec_lo, exec_lo, s1
	v_mov_b32_e32 v128, 0
	ds_load_b32 v128, v128 offset:208
	s_waitcnt lgkmcnt(0)
	v_mul_f32_e32 v4, v4, v128
	scratch_store_b32 off, v4, off offset:208
.LBB60_217:
	s_or_b32 exec_lo, exec_lo, s0
	s_waitcnt_vscnt null, 0x0
	s_barrier
	buffer_gl0_inv
	scratch_load_b32 v4, off, off offset:212
	s_mov_b32 s0, exec_lo
	s_waitcnt vmcnt(0)
	ds_store_b32 v2, v4
	s_waitcnt lgkmcnt(0)
	s_barrier
	buffer_gl0_inv
	v_cmpx_gt_u32_e32 53, v0
	s_cbranch_execz .LBB60_221
; %bb.218:
	v_add_nc_u32_e32 v128, -1, v0
	v_or_b32_e32 v129, 0x100, v127
	v_add_nc_u32_e32 v130, 0, v127
	v_mov_b32_e32 v4, 0
	s_mov_b32 s1, 0
.LBB60_219:                             ; =>This Inner Loop Header: Depth=1
	scratch_load_b32 v131, v130, off
	ds_load_b32 v132, v129
	v_add_nc_u32_e32 v128, 1, v128
	v_add_nc_u32_e32 v129, 4, v129
	v_add_nc_u32_e32 v130, 4, v130
	s_delay_alu instid0(VALU_DEP_3)
	v_cmp_lt_u32_e32 vcc_lo, 51, v128
	s_or_b32 s1, vcc_lo, s1
	s_waitcnt vmcnt(0) lgkmcnt(0)
	v_fmac_f32_e32 v4, v131, v132
	s_and_not1_b32 exec_lo, exec_lo, s1
	s_cbranch_execnz .LBB60_219
; %bb.220:
	s_or_b32 exec_lo, exec_lo, s1
	v_mov_b32_e32 v128, 0
	ds_load_b32 v128, v128 offset:212
	s_waitcnt lgkmcnt(0)
	v_mul_f32_e32 v4, v4, v128
	scratch_store_b32 off, v4, off offset:212
.LBB60_221:
	s_or_b32 exec_lo, exec_lo, s0
	s_waitcnt_vscnt null, 0x0
	s_barrier
	buffer_gl0_inv
	scratch_load_b32 v4, off, off offset:216
	s_mov_b32 s0, exec_lo
	s_waitcnt vmcnt(0)
	ds_store_b32 v2, v4
	s_waitcnt lgkmcnt(0)
	s_barrier
	buffer_gl0_inv
	v_cmpx_gt_u32_e32 54, v0
	s_cbranch_execz .LBB60_225
; %bb.222:
	v_add_nc_u32_e32 v128, -1, v0
	v_or_b32_e32 v129, 0x100, v127
	v_add_nc_u32_e32 v130, 0, v127
	v_mov_b32_e32 v4, 0
	s_mov_b32 s1, 0
.LBB60_223:                             ; =>This Inner Loop Header: Depth=1
	scratch_load_b32 v131, v130, off
	ds_load_b32 v132, v129
	v_add_nc_u32_e32 v128, 1, v128
	v_add_nc_u32_e32 v129, 4, v129
	v_add_nc_u32_e32 v130, 4, v130
	s_delay_alu instid0(VALU_DEP_3)
	v_cmp_lt_u32_e32 vcc_lo, 52, v128
	s_or_b32 s1, vcc_lo, s1
	s_waitcnt vmcnt(0) lgkmcnt(0)
	v_fmac_f32_e32 v4, v131, v132
	s_and_not1_b32 exec_lo, exec_lo, s1
	s_cbranch_execnz .LBB60_223
; %bb.224:
	s_or_b32 exec_lo, exec_lo, s1
	v_mov_b32_e32 v128, 0
	ds_load_b32 v128, v128 offset:216
	s_waitcnt lgkmcnt(0)
	v_mul_f32_e32 v4, v4, v128
	scratch_store_b32 off, v4, off offset:216
.LBB60_225:
	s_or_b32 exec_lo, exec_lo, s0
	s_waitcnt_vscnt null, 0x0
	s_barrier
	buffer_gl0_inv
	scratch_load_b32 v4, off, off offset:220
	s_mov_b32 s0, exec_lo
	s_waitcnt vmcnt(0)
	ds_store_b32 v2, v4
	s_waitcnt lgkmcnt(0)
	s_barrier
	buffer_gl0_inv
	v_cmpx_gt_u32_e32 55, v0
	s_cbranch_execz .LBB60_229
; %bb.226:
	v_add_nc_u32_e32 v128, -1, v0
	v_or_b32_e32 v129, 0x100, v127
	v_add_nc_u32_e32 v130, 0, v127
	v_mov_b32_e32 v4, 0
	s_mov_b32 s1, 0
.LBB60_227:                             ; =>This Inner Loop Header: Depth=1
	scratch_load_b32 v131, v130, off
	ds_load_b32 v132, v129
	v_add_nc_u32_e32 v128, 1, v128
	v_add_nc_u32_e32 v129, 4, v129
	v_add_nc_u32_e32 v130, 4, v130
	s_delay_alu instid0(VALU_DEP_3)
	v_cmp_lt_u32_e32 vcc_lo, 53, v128
	s_or_b32 s1, vcc_lo, s1
	s_waitcnt vmcnt(0) lgkmcnt(0)
	v_fmac_f32_e32 v4, v131, v132
	s_and_not1_b32 exec_lo, exec_lo, s1
	s_cbranch_execnz .LBB60_227
; %bb.228:
	s_or_b32 exec_lo, exec_lo, s1
	v_mov_b32_e32 v128, 0
	ds_load_b32 v128, v128 offset:220
	s_waitcnt lgkmcnt(0)
	v_mul_f32_e32 v4, v4, v128
	scratch_store_b32 off, v4, off offset:220
.LBB60_229:
	s_or_b32 exec_lo, exec_lo, s0
	s_waitcnt_vscnt null, 0x0
	s_barrier
	buffer_gl0_inv
	scratch_load_b32 v4, off, off offset:224
	s_mov_b32 s0, exec_lo
	s_waitcnt vmcnt(0)
	ds_store_b32 v2, v4
	s_waitcnt lgkmcnt(0)
	s_barrier
	buffer_gl0_inv
	v_cmpx_gt_u32_e32 56, v0
	s_cbranch_execz .LBB60_233
; %bb.230:
	v_add_nc_u32_e32 v128, -1, v0
	v_or_b32_e32 v129, 0x100, v127
	v_add_nc_u32_e32 v130, 0, v127
	v_mov_b32_e32 v4, 0
	s_mov_b32 s1, 0
.LBB60_231:                             ; =>This Inner Loop Header: Depth=1
	scratch_load_b32 v131, v130, off
	ds_load_b32 v132, v129
	v_add_nc_u32_e32 v128, 1, v128
	v_add_nc_u32_e32 v129, 4, v129
	v_add_nc_u32_e32 v130, 4, v130
	s_delay_alu instid0(VALU_DEP_3)
	v_cmp_lt_u32_e32 vcc_lo, 54, v128
	s_or_b32 s1, vcc_lo, s1
	s_waitcnt vmcnt(0) lgkmcnt(0)
	v_fmac_f32_e32 v4, v131, v132
	s_and_not1_b32 exec_lo, exec_lo, s1
	s_cbranch_execnz .LBB60_231
; %bb.232:
	s_or_b32 exec_lo, exec_lo, s1
	v_mov_b32_e32 v128, 0
	ds_load_b32 v128, v128 offset:224
	s_waitcnt lgkmcnt(0)
	v_mul_f32_e32 v4, v4, v128
	scratch_store_b32 off, v4, off offset:224
.LBB60_233:
	s_or_b32 exec_lo, exec_lo, s0
	s_waitcnt_vscnt null, 0x0
	s_barrier
	buffer_gl0_inv
	scratch_load_b32 v4, off, off offset:228
	s_mov_b32 s0, exec_lo
	s_waitcnt vmcnt(0)
	ds_store_b32 v2, v4
	s_waitcnt lgkmcnt(0)
	s_barrier
	buffer_gl0_inv
	v_cmpx_gt_u32_e32 57, v0
	s_cbranch_execz .LBB60_237
; %bb.234:
	v_add_nc_u32_e32 v128, -1, v0
	v_or_b32_e32 v129, 0x100, v127
	v_add_nc_u32_e32 v130, 0, v127
	v_mov_b32_e32 v4, 0
	s_mov_b32 s1, 0
.LBB60_235:                             ; =>This Inner Loop Header: Depth=1
	scratch_load_b32 v131, v130, off
	ds_load_b32 v132, v129
	v_add_nc_u32_e32 v128, 1, v128
	v_add_nc_u32_e32 v129, 4, v129
	v_add_nc_u32_e32 v130, 4, v130
	s_delay_alu instid0(VALU_DEP_3)
	v_cmp_lt_u32_e32 vcc_lo, 55, v128
	s_or_b32 s1, vcc_lo, s1
	s_waitcnt vmcnt(0) lgkmcnt(0)
	v_fmac_f32_e32 v4, v131, v132
	s_and_not1_b32 exec_lo, exec_lo, s1
	s_cbranch_execnz .LBB60_235
; %bb.236:
	s_or_b32 exec_lo, exec_lo, s1
	v_mov_b32_e32 v128, 0
	ds_load_b32 v128, v128 offset:228
	s_waitcnt lgkmcnt(0)
	v_mul_f32_e32 v4, v4, v128
	scratch_store_b32 off, v4, off offset:228
.LBB60_237:
	s_or_b32 exec_lo, exec_lo, s0
	s_waitcnt_vscnt null, 0x0
	s_barrier
	buffer_gl0_inv
	scratch_load_b32 v4, off, off offset:232
	s_mov_b32 s0, exec_lo
	s_waitcnt vmcnt(0)
	ds_store_b32 v2, v4
	s_waitcnt lgkmcnt(0)
	s_barrier
	buffer_gl0_inv
	v_cmpx_gt_u32_e32 58, v0
	s_cbranch_execz .LBB60_241
; %bb.238:
	v_add_nc_u32_e32 v128, -1, v0
	v_or_b32_e32 v129, 0x100, v127
	v_add_nc_u32_e32 v130, 0, v127
	v_mov_b32_e32 v4, 0
	s_mov_b32 s1, 0
.LBB60_239:                             ; =>This Inner Loop Header: Depth=1
	scratch_load_b32 v131, v130, off
	ds_load_b32 v132, v129
	v_add_nc_u32_e32 v128, 1, v128
	v_add_nc_u32_e32 v129, 4, v129
	v_add_nc_u32_e32 v130, 4, v130
	s_delay_alu instid0(VALU_DEP_3)
	v_cmp_lt_u32_e32 vcc_lo, 56, v128
	s_or_b32 s1, vcc_lo, s1
	s_waitcnt vmcnt(0) lgkmcnt(0)
	v_fmac_f32_e32 v4, v131, v132
	s_and_not1_b32 exec_lo, exec_lo, s1
	s_cbranch_execnz .LBB60_239
; %bb.240:
	s_or_b32 exec_lo, exec_lo, s1
	v_mov_b32_e32 v128, 0
	ds_load_b32 v128, v128 offset:232
	s_waitcnt lgkmcnt(0)
	v_mul_f32_e32 v4, v4, v128
	scratch_store_b32 off, v4, off offset:232
.LBB60_241:
	s_or_b32 exec_lo, exec_lo, s0
	s_waitcnt_vscnt null, 0x0
	s_barrier
	buffer_gl0_inv
	scratch_load_b32 v4, off, off offset:236
	s_mov_b32 s0, exec_lo
	s_waitcnt vmcnt(0)
	ds_store_b32 v2, v4
	s_waitcnt lgkmcnt(0)
	s_barrier
	buffer_gl0_inv
	v_cmpx_gt_u32_e32 59, v0
	s_cbranch_execz .LBB60_245
; %bb.242:
	v_add_nc_u32_e32 v128, -1, v0
	v_or_b32_e32 v129, 0x100, v127
	v_dual_mov_b32 v4, 0 :: v_dual_add_nc_u32 v127, 0, v127
	s_mov_b32 s1, 0
.LBB60_243:                             ; =>This Inner Loop Header: Depth=1
	scratch_load_b32 v130, v127, off
	ds_load_b32 v131, v129
	v_add_nc_u32_e32 v128, 1, v128
	v_add_nc_u32_e32 v129, 4, v129
	;; [unrolled: 1-line block ×3, first 2 shown]
	s_delay_alu instid0(VALU_DEP_3)
	v_cmp_lt_u32_e32 vcc_lo, 57, v128
	s_or_b32 s1, vcc_lo, s1
	s_waitcnt vmcnt(0) lgkmcnt(0)
	v_fmac_f32_e32 v4, v130, v131
	s_and_not1_b32 exec_lo, exec_lo, s1
	s_cbranch_execnz .LBB60_243
; %bb.244:
	s_or_b32 exec_lo, exec_lo, s1
	v_mov_b32_e32 v127, 0
	ds_load_b32 v127, v127 offset:236
	s_waitcnt lgkmcnt(0)
	v_mul_f32_e32 v4, v4, v127
	scratch_store_b32 off, v4, off offset:236
.LBB60_245:
	s_or_b32 exec_lo, exec_lo, s0
	s_waitcnt_vscnt null, 0x0
	s_barrier
	buffer_gl0_inv
	scratch_load_b32 v4, off, off offset:240
	s_mov_b32 s0, exec_lo
	s_waitcnt vmcnt(0)
	ds_store_b32 v2, v4
	s_waitcnt lgkmcnt(0)
	s_barrier
	buffer_gl0_inv
	v_cmpx_ne_u32_e32 60, v0
	s_cbranch_execz .LBB60_249
; %bb.246:
	v_mov_b32_e32 v4, 0
	s_mov_b32 s1, 0
.LBB60_247:                             ; =>This Inner Loop Header: Depth=1
	scratch_load_b32 v127, v1, off
	ds_load_b32 v128, v2
	v_add_nc_u32_e32 v3, 1, v3
	v_add_nc_u32_e32 v2, 4, v2
	s_waitcnt vmcnt(0) lgkmcnt(0)
	v_dual_fmac_f32 v4, v127, v128 :: v_dual_add_nc_u32 v1, 4, v1
	s_delay_alu instid0(VALU_DEP_3) | instskip(SKIP_1) | instid1(SALU_CYCLE_1)
	v_cmp_lt_u32_e32 vcc_lo, 58, v3
	s_or_b32 s1, vcc_lo, s1
	s_and_not1_b32 exec_lo, exec_lo, s1
	s_cbranch_execnz .LBB60_247
; %bb.248:
	s_or_b32 exec_lo, exec_lo, s1
	v_mov_b32_e32 v1, 0
	ds_load_b32 v1, v1 offset:240
	s_waitcnt lgkmcnt(0)
	v_mul_f32_e32 v1, v4, v1
	scratch_store_b32 off, v1, off offset:240
.LBB60_249:
	s_or_b32 exec_lo, exec_lo, s0
	s_mov_b32 s1, -1
	s_waitcnt_vscnt null, 0x0
	s_barrier
	buffer_gl0_inv
.LBB60_250:
	s_and_b32 vcc_lo, exec_lo, s1
	s_cbranch_vccz .LBB60_252
; %bb.251:
	s_lshl_b64 s[0:1], s[14:15], 2
	v_mov_b32_e32 v1, 0
	s_add_u32 s0, s6, s0
	s_addc_u32 s1, s7, s1
	global_load_b32 v1, v1, s[0:1]
	s_waitcnt vmcnt(0)
	v_cmp_ne_u32_e32 vcc_lo, 0, v1
	s_cbranch_vccz .LBB60_253
.LBB60_252:
	s_endpgm
.LBB60_253:
	v_lshl_or_b32 v1, v0, 2, 0x100
	s_mov_b32 s0, exec_lo
	v_cmpx_eq_u32_e32 60, v0
	s_cbranch_execz .LBB60_255
; %bb.254:
	scratch_load_b32 v2, off, off offset:236
	v_mov_b32_e32 v3, 0
	scratch_store_b32 off, v3, off offset:236
	s_waitcnt vmcnt(0)
	ds_store_b32 v1, v2
.LBB60_255:
	s_or_b32 exec_lo, exec_lo, s0
	s_waitcnt lgkmcnt(0)
	s_waitcnt_vscnt null, 0x0
	s_barrier
	buffer_gl0_inv
	scratch_load_b64 v[3:4], off, off offset:236
	v_mov_b32_e32 v2, 0
	s_mov_b32 s0, exec_lo
	ds_load_b32 v127, v2 offset:496
	s_waitcnt vmcnt(0) lgkmcnt(0)
	v_fma_f32 v4, v4, v127, 0
	s_delay_alu instid0(VALU_DEP_1)
	v_sub_f32_e32 v3, v3, v4
	scratch_store_b32 off, v3, off offset:236
	v_cmpx_lt_u32_e32 58, v0
	s_cbranch_execz .LBB60_257
; %bb.256:
	scratch_load_b32 v3, off, off offset:232
	scratch_store_b32 off, v2, off offset:232
	s_waitcnt vmcnt(0)
	ds_store_b32 v1, v3
.LBB60_257:
	s_or_b32 exec_lo, exec_lo, s0
	s_waitcnt lgkmcnt(0)
	s_waitcnt_vscnt null, 0x0
	s_barrier
	buffer_gl0_inv
	scratch_load_b96 v[127:129], off, off offset:232
	ds_load_2addr_b32 v[2:3], v2 offset0:123 offset1:124
	s_mov_b32 s0, exec_lo
	s_waitcnt vmcnt(0) lgkmcnt(0)
	v_fma_f32 v2, v128, v2, 0
	s_delay_alu instid0(VALU_DEP_1) | instskip(NEXT) | instid1(VALU_DEP_1)
	v_fmac_f32_e32 v2, v129, v3
	v_sub_f32_e32 v2, v127, v2
	scratch_store_b32 off, v2, off offset:232
	v_cmpx_lt_u32_e32 57, v0
	s_cbranch_execz .LBB60_259
; %bb.258:
	scratch_load_b32 v2, off, off offset:228
	v_mov_b32_e32 v3, 0
	scratch_store_b32 off, v3, off offset:228
	s_waitcnt vmcnt(0)
	ds_store_b32 v1, v2
.LBB60_259:
	s_or_b32 exec_lo, exec_lo, s0
	s_waitcnt lgkmcnt(0)
	s_waitcnt_vscnt null, 0x0
	s_barrier
	buffer_gl0_inv
	scratch_load_b128 v[127:130], off, off offset:228
	v_mov_b32_e32 v2, 0
	ds_load_b64 v[3:4], v2 offset:488
	ds_load_b32 v131, v2 offset:496
	s_mov_b32 s0, exec_lo
	s_waitcnt vmcnt(0) lgkmcnt(1)
	v_fma_f32 v3, v128, v3, 0
	s_delay_alu instid0(VALU_DEP_1) | instskip(SKIP_1) | instid1(VALU_DEP_1)
	v_fmac_f32_e32 v3, v129, v4
	s_waitcnt lgkmcnt(0)
	v_fmac_f32_e32 v3, v130, v131
	s_delay_alu instid0(VALU_DEP_1)
	v_sub_f32_e32 v3, v127, v3
	scratch_store_b32 off, v3, off offset:228
	v_cmpx_lt_u32_e32 56, v0
	s_cbranch_execz .LBB60_261
; %bb.260:
	scratch_load_b32 v3, off, off offset:224
	scratch_store_b32 off, v2, off offset:224
	s_waitcnt vmcnt(0)
	ds_store_b32 v1, v3
.LBB60_261:
	s_or_b32 exec_lo, exec_lo, s0
	s_waitcnt lgkmcnt(0)
	s_waitcnt_vscnt null, 0x0
	s_barrier
	buffer_gl0_inv
	s_clause 0x1
	scratch_load_b128 v[127:130], off, off offset:224
	scratch_load_b32 v133, off, off offset:240
	ds_load_2addr_b32 v[3:4], v2 offset0:121 offset1:122
	ds_load_2addr_b32 v[131:132], v2 offset0:123 offset1:124
	s_mov_b32 s0, exec_lo
	s_waitcnt vmcnt(1) lgkmcnt(1)
	v_fma_f32 v2, v128, v3, 0
	s_delay_alu instid0(VALU_DEP_1) | instskip(SKIP_1) | instid1(VALU_DEP_1)
	v_fmac_f32_e32 v2, v129, v4
	s_waitcnt lgkmcnt(0)
	v_fmac_f32_e32 v2, v130, v131
	s_waitcnt vmcnt(0)
	s_delay_alu instid0(VALU_DEP_1) | instskip(NEXT) | instid1(VALU_DEP_1)
	v_fmac_f32_e32 v2, v133, v132
	v_sub_f32_e32 v2, v127, v2
	scratch_store_b32 off, v2, off offset:224
	v_cmpx_lt_u32_e32 55, v0
	s_cbranch_execz .LBB60_263
; %bb.262:
	scratch_load_b32 v2, off, off offset:220
	v_mov_b32_e32 v3, 0
	scratch_store_b32 off, v3, off offset:220
	s_waitcnt vmcnt(0)
	ds_store_b32 v1, v2
.LBB60_263:
	s_or_b32 exec_lo, exec_lo, s0
	s_waitcnt lgkmcnt(0)
	s_waitcnt_vscnt null, 0x0
	s_barrier
	buffer_gl0_inv
	s_clause 0x1
	scratch_load_b128 v[127:130], off, off offset:220
	scratch_load_b64 v[3:4], off, off offset:236
	v_mov_b32_e32 v2, 0
	ds_load_b128 v[131:134], v2 offset:480
	ds_load_b32 v135, v2 offset:496
	s_mov_b32 s0, exec_lo
	s_waitcnt vmcnt(1) lgkmcnt(1)
	v_fma_f32 v128, v128, v131, 0
	s_delay_alu instid0(VALU_DEP_1) | instskip(NEXT) | instid1(VALU_DEP_1)
	v_fmac_f32_e32 v128, v129, v132
	v_fmac_f32_e32 v128, v130, v133
	s_waitcnt vmcnt(0)
	s_delay_alu instid0(VALU_DEP_1) | instskip(SKIP_1) | instid1(VALU_DEP_1)
	v_fmac_f32_e32 v128, v3, v134
	s_waitcnt lgkmcnt(0)
	v_fmac_f32_e32 v128, v4, v135
	s_delay_alu instid0(VALU_DEP_1)
	v_sub_f32_e32 v3, v127, v128
	scratch_store_b32 off, v3, off offset:220
	v_cmpx_lt_u32_e32 54, v0
	s_cbranch_execz .LBB60_265
; %bb.264:
	scratch_load_b32 v3, off, off offset:216
	scratch_store_b32 off, v2, off offset:216
	s_waitcnt vmcnt(0)
	ds_store_b32 v1, v3
.LBB60_265:
	s_or_b32 exec_lo, exec_lo, s0
	s_waitcnt lgkmcnt(0)
	s_waitcnt_vscnt null, 0x0
	s_barrier
	buffer_gl0_inv
	s_clause 0x1
	scratch_load_b128 v[127:130], off, off offset:216
	scratch_load_b96 v[131:133], off, off offset:232
	ds_load_2addr_b32 v[3:4], v2 offset0:119 offset1:120
	ds_load_2addr_b32 v[134:135], v2 offset0:121 offset1:122
	;; [unrolled: 1-line block ×3, first 2 shown]
	s_mov_b32 s0, exec_lo
	s_waitcnt vmcnt(1) lgkmcnt(2)
	v_fma_f32 v2, v128, v3, 0
	s_delay_alu instid0(VALU_DEP_1) | instskip(SKIP_1) | instid1(VALU_DEP_1)
	v_fmac_f32_e32 v2, v129, v4
	s_waitcnt lgkmcnt(1)
	v_fmac_f32_e32 v2, v130, v134
	s_waitcnt vmcnt(0)
	s_delay_alu instid0(VALU_DEP_1) | instskip(SKIP_1) | instid1(VALU_DEP_1)
	v_fmac_f32_e32 v2, v131, v135
	s_waitcnt lgkmcnt(0)
	v_fmac_f32_e32 v2, v132, v136
	s_delay_alu instid0(VALU_DEP_1) | instskip(NEXT) | instid1(VALU_DEP_1)
	v_fmac_f32_e32 v2, v133, v137
	v_sub_f32_e32 v2, v127, v2
	scratch_store_b32 off, v2, off offset:216
	v_cmpx_lt_u32_e32 53, v0
	s_cbranch_execz .LBB60_267
; %bb.266:
	scratch_load_b32 v2, off, off offset:212
	v_mov_b32_e32 v3, 0
	scratch_store_b32 off, v3, off offset:212
	s_waitcnt vmcnt(0)
	ds_store_b32 v1, v2
.LBB60_267:
	s_or_b32 exec_lo, exec_lo, s0
	s_waitcnt lgkmcnt(0)
	s_waitcnt_vscnt null, 0x0
	s_barrier
	buffer_gl0_inv
	s_clause 0x1
	scratch_load_b128 v[127:130], off, off offset:212
	scratch_load_b128 v[131:134], off, off offset:228
	v_mov_b32_e32 v2, 0
	ds_load_2addr_b64 v[135:138], v2 offset0:59 offset1:60
	ds_load_b64 v[3:4], v2 offset:488
	s_mov_b32 s0, exec_lo
	s_waitcnt vmcnt(1) lgkmcnt(1)
	v_fma_f32 v128, v128, v135, 0
	s_delay_alu instid0(VALU_DEP_1) | instskip(SKIP_3) | instid1(VALU_DEP_1)
	v_fmac_f32_e32 v128, v129, v136
	ds_load_b32 v129, v2 offset:496
	v_fmac_f32_e32 v128, v130, v137
	s_waitcnt vmcnt(0)
	v_fmac_f32_e32 v128, v131, v138
	s_waitcnt lgkmcnt(1)
	s_delay_alu instid0(VALU_DEP_1) | instskip(NEXT) | instid1(VALU_DEP_1)
	v_fmac_f32_e32 v128, v132, v3
	v_fmac_f32_e32 v128, v133, v4
	s_waitcnt lgkmcnt(0)
	s_delay_alu instid0(VALU_DEP_1) | instskip(NEXT) | instid1(VALU_DEP_1)
	v_fmac_f32_e32 v128, v134, v129
	v_sub_f32_e32 v3, v127, v128
	scratch_store_b32 off, v3, off offset:212
	v_cmpx_lt_u32_e32 52, v0
	s_cbranch_execz .LBB60_269
; %bb.268:
	scratch_load_b32 v3, off, off offset:208
	scratch_store_b32 off, v2, off offset:208
	s_waitcnt vmcnt(0)
	ds_store_b32 v1, v3
.LBB60_269:
	s_or_b32 exec_lo, exec_lo, s0
	s_waitcnt lgkmcnt(0)
	s_waitcnt_vscnt null, 0x0
	s_barrier
	buffer_gl0_inv
	s_clause 0x2
	scratch_load_b128 v[127:130], off, off offset:208
	scratch_load_b128 v[131:134], off, off offset:224
	scratch_load_b32 v141, off, off offset:240
	ds_load_2addr_b32 v[3:4], v2 offset0:117 offset1:118
	ds_load_2addr_b32 v[135:136], v2 offset0:119 offset1:120
	;; [unrolled: 1-line block ×4, first 2 shown]
	s_mov_b32 s0, exec_lo
	s_waitcnt vmcnt(2) lgkmcnt(3)
	v_fma_f32 v2, v128, v3, 0
	s_delay_alu instid0(VALU_DEP_1) | instskip(SKIP_1) | instid1(VALU_DEP_1)
	v_fmac_f32_e32 v2, v129, v4
	s_waitcnt lgkmcnt(2)
	v_fmac_f32_e32 v2, v130, v135
	s_waitcnt vmcnt(1)
	s_delay_alu instid0(VALU_DEP_1) | instskip(SKIP_1) | instid1(VALU_DEP_1)
	v_fmac_f32_e32 v2, v131, v136
	s_waitcnt lgkmcnt(1)
	v_fmac_f32_e32 v2, v132, v137
	s_delay_alu instid0(VALU_DEP_1) | instskip(SKIP_1) | instid1(VALU_DEP_1)
	v_fmac_f32_e32 v2, v133, v138
	s_waitcnt lgkmcnt(0)
	v_fmac_f32_e32 v2, v134, v139
	s_waitcnt vmcnt(0)
	s_delay_alu instid0(VALU_DEP_1) | instskip(NEXT) | instid1(VALU_DEP_1)
	v_fmac_f32_e32 v2, v141, v140
	v_sub_f32_e32 v2, v127, v2
	scratch_store_b32 off, v2, off offset:208
	v_cmpx_lt_u32_e32 51, v0
	s_cbranch_execz .LBB60_271
; %bb.270:
	scratch_load_b32 v2, off, off offset:204
	v_mov_b32_e32 v3, 0
	scratch_store_b32 off, v3, off offset:204
	s_waitcnt vmcnt(0)
	ds_store_b32 v1, v2
.LBB60_271:
	s_or_b32 exec_lo, exec_lo, s0
	s_waitcnt lgkmcnt(0)
	s_waitcnt_vscnt null, 0x0
	s_barrier
	buffer_gl0_inv
	s_clause 0x2
	scratch_load_b128 v[127:130], off, off offset:204
	scratch_load_b128 v[131:134], off, off offset:220
	scratch_load_b64 v[3:4], off, off offset:236
	v_mov_b32_e32 v2, 0
	ds_load_b128 v[135:138], v2 offset:464
	ds_load_b128 v[139:142], v2 offset:480
	s_mov_b32 s0, exec_lo
	s_waitcnt vmcnt(2) lgkmcnt(1)
	v_fma_f32 v128, v128, v135, 0
	s_delay_alu instid0(VALU_DEP_1) | instskip(SKIP_3) | instid1(VALU_DEP_1)
	v_fmac_f32_e32 v128, v129, v136
	ds_load_b32 v129, v2 offset:496
	v_fmac_f32_e32 v128, v130, v137
	s_waitcnt vmcnt(1)
	v_fmac_f32_e32 v128, v131, v138
	s_waitcnt lgkmcnt(1)
	s_delay_alu instid0(VALU_DEP_1) | instskip(NEXT) | instid1(VALU_DEP_1)
	v_fmac_f32_e32 v128, v132, v139
	v_fmac_f32_e32 v128, v133, v140
	s_delay_alu instid0(VALU_DEP_1) | instskip(SKIP_1) | instid1(VALU_DEP_1)
	v_fmac_f32_e32 v128, v134, v141
	s_waitcnt vmcnt(0)
	v_fmac_f32_e32 v128, v3, v142
	s_waitcnt lgkmcnt(0)
	s_delay_alu instid0(VALU_DEP_1) | instskip(NEXT) | instid1(VALU_DEP_1)
	v_fmac_f32_e32 v128, v4, v129
	v_sub_f32_e32 v3, v127, v128
	scratch_store_b32 off, v3, off offset:204
	v_cmpx_lt_u32_e32 50, v0
	s_cbranch_execz .LBB60_273
; %bb.272:
	scratch_load_b32 v3, off, off offset:200
	scratch_store_b32 off, v2, off offset:200
	s_waitcnt vmcnt(0)
	ds_store_b32 v1, v3
.LBB60_273:
	s_or_b32 exec_lo, exec_lo, s0
	s_waitcnt lgkmcnt(0)
	s_waitcnt_vscnt null, 0x0
	s_barrier
	buffer_gl0_inv
	s_clause 0x2
	scratch_load_b128 v[127:130], off, off offset:200
	scratch_load_b128 v[131:134], off, off offset:216
	scratch_load_b96 v[135:137], off, off offset:232
	ds_load_2addr_b32 v[3:4], v2 offset0:115 offset1:116
	ds_load_2addr_b32 v[138:139], v2 offset0:117 offset1:118
	;; [unrolled: 1-line block ×4, first 2 shown]
	s_mov_b32 s0, exec_lo
	s_waitcnt vmcnt(2) lgkmcnt(3)
	v_fma_f32 v128, v128, v3, 0
	ds_load_2addr_b32 v[2:3], v2 offset0:123 offset1:124
	v_fmac_f32_e32 v128, v129, v4
	s_waitcnt lgkmcnt(3)
	s_delay_alu instid0(VALU_DEP_1) | instskip(SKIP_1) | instid1(VALU_DEP_1)
	v_fmac_f32_e32 v128, v130, v138
	s_waitcnt vmcnt(1)
	v_fmac_f32_e32 v128, v131, v139
	s_waitcnt lgkmcnt(2)
	s_delay_alu instid0(VALU_DEP_1) | instskip(NEXT) | instid1(VALU_DEP_1)
	v_fmac_f32_e32 v128, v132, v140
	v_fmac_f32_e32 v128, v133, v141
	s_waitcnt lgkmcnt(1)
	s_delay_alu instid0(VALU_DEP_1) | instskip(SKIP_1) | instid1(VALU_DEP_1)
	v_fmac_f32_e32 v128, v134, v142
	s_waitcnt vmcnt(0)
	v_fmac_f32_e32 v128, v135, v143
	s_waitcnt lgkmcnt(0)
	s_delay_alu instid0(VALU_DEP_1) | instskip(NEXT) | instid1(VALU_DEP_1)
	v_fmac_f32_e32 v128, v136, v2
	v_fmac_f32_e32 v128, v137, v3
	s_delay_alu instid0(VALU_DEP_1)
	v_sub_f32_e32 v2, v127, v128
	scratch_store_b32 off, v2, off offset:200
	v_cmpx_lt_u32_e32 49, v0
	s_cbranch_execz .LBB60_275
; %bb.274:
	scratch_load_b32 v2, off, off offset:196
	v_mov_b32_e32 v3, 0
	scratch_store_b32 off, v3, off offset:196
	s_waitcnt vmcnt(0)
	ds_store_b32 v1, v2
.LBB60_275:
	s_or_b32 exec_lo, exec_lo, s0
	s_waitcnt lgkmcnt(0)
	s_waitcnt_vscnt null, 0x0
	s_barrier
	buffer_gl0_inv
	s_clause 0x2
	scratch_load_b128 v[127:130], off, off offset:196
	scratch_load_b128 v[131:134], off, off offset:212
	scratch_load_b128 v[135:138], off, off offset:228
	v_mov_b32_e32 v2, 0
	ds_load_2addr_b64 v[139:142], v2 offset0:57 offset1:58
	ds_load_2addr_b64 v[143:146], v2 offset0:59 offset1:60
	ds_load_b64 v[3:4], v2 offset:488
	s_mov_b32 s0, exec_lo
	s_waitcnt vmcnt(2) lgkmcnt(2)
	v_fma_f32 v128, v128, v139, 0
	s_delay_alu instid0(VALU_DEP_1) | instskip(SKIP_3) | instid1(VALU_DEP_1)
	v_fmac_f32_e32 v128, v129, v140
	ds_load_b32 v129, v2 offset:496
	v_fmac_f32_e32 v128, v130, v141
	s_waitcnt vmcnt(1)
	v_fmac_f32_e32 v128, v131, v142
	s_waitcnt lgkmcnt(2)
	s_delay_alu instid0(VALU_DEP_1) | instskip(NEXT) | instid1(VALU_DEP_1)
	v_fmac_f32_e32 v128, v132, v143
	v_fmac_f32_e32 v128, v133, v144
	s_delay_alu instid0(VALU_DEP_1) | instskip(SKIP_1) | instid1(VALU_DEP_1)
	v_fmac_f32_e32 v128, v134, v145
	s_waitcnt vmcnt(0)
	v_fmac_f32_e32 v128, v135, v146
	s_waitcnt lgkmcnt(1)
	s_delay_alu instid0(VALU_DEP_1) | instskip(NEXT) | instid1(VALU_DEP_1)
	v_fmac_f32_e32 v128, v136, v3
	v_fmac_f32_e32 v128, v137, v4
	s_waitcnt lgkmcnt(0)
	s_delay_alu instid0(VALU_DEP_1) | instskip(NEXT) | instid1(VALU_DEP_1)
	v_fmac_f32_e32 v128, v138, v129
	v_sub_f32_e32 v3, v127, v128
	scratch_store_b32 off, v3, off offset:196
	v_cmpx_lt_u32_e32 48, v0
	s_cbranch_execz .LBB60_277
; %bb.276:
	scratch_load_b32 v3, off, off offset:192
	scratch_store_b32 off, v2, off offset:192
	s_waitcnt vmcnt(0)
	ds_store_b32 v1, v3
.LBB60_277:
	s_or_b32 exec_lo, exec_lo, s0
	s_waitcnt lgkmcnt(0)
	s_waitcnt_vscnt null, 0x0
	s_barrier
	buffer_gl0_inv
	s_clause 0x3
	scratch_load_b128 v[127:130], off, off offset:192
	scratch_load_b128 v[131:134], off, off offset:208
	;; [unrolled: 1-line block ×3, first 2 shown]
	scratch_load_b32 v145, off, off offset:240
	ds_load_2addr_b32 v[3:4], v2 offset0:113 offset1:114
	ds_load_2addr_b32 v[139:140], v2 offset0:115 offset1:116
	;; [unrolled: 1-line block ×4, first 2 shown]
	s_mov_b32 s0, exec_lo
	s_waitcnt vmcnt(3) lgkmcnt(3)
	v_fma_f32 v146, v128, v3, 0
	s_delay_alu instid0(VALU_DEP_1)
	v_fmac_f32_e32 v146, v129, v4
	ds_load_2addr_b32 v[3:4], v2 offset0:121 offset1:122
	ds_load_2addr_b32 v[128:129], v2 offset0:123 offset1:124
	s_waitcnt lgkmcnt(4)
	v_fmac_f32_e32 v146, v130, v139
	s_waitcnt vmcnt(2)
	s_delay_alu instid0(VALU_DEP_1) | instskip(SKIP_1) | instid1(VALU_DEP_1)
	v_fmac_f32_e32 v146, v131, v140
	s_waitcnt lgkmcnt(3)
	v_fmac_f32_e32 v146, v132, v141
	s_delay_alu instid0(VALU_DEP_1) | instskip(SKIP_1) | instid1(VALU_DEP_1)
	v_fmac_f32_e32 v146, v133, v142
	s_waitcnt lgkmcnt(2)
	v_fmac_f32_e32 v146, v134, v143
	s_waitcnt vmcnt(1)
	s_delay_alu instid0(VALU_DEP_1) | instskip(SKIP_1) | instid1(VALU_DEP_1)
	v_fmac_f32_e32 v146, v135, v144
	s_waitcnt lgkmcnt(1)
	v_fmac_f32_e32 v146, v136, v3
	s_delay_alu instid0(VALU_DEP_1) | instskip(SKIP_1) | instid1(VALU_DEP_1)
	v_fmac_f32_e32 v146, v137, v4
	s_waitcnt lgkmcnt(0)
	v_fmac_f32_e32 v146, v138, v128
	s_waitcnt vmcnt(0)
	s_delay_alu instid0(VALU_DEP_1) | instskip(NEXT) | instid1(VALU_DEP_1)
	v_fmac_f32_e32 v146, v145, v129
	v_sub_f32_e32 v2, v127, v146
	scratch_store_b32 off, v2, off offset:192
	v_cmpx_lt_u32_e32 47, v0
	s_cbranch_execz .LBB60_279
; %bb.278:
	scratch_load_b32 v2, off, off offset:188
	v_mov_b32_e32 v3, 0
	scratch_store_b32 off, v3, off offset:188
	s_waitcnt vmcnt(0)
	ds_store_b32 v1, v2
.LBB60_279:
	s_or_b32 exec_lo, exec_lo, s0
	s_waitcnt lgkmcnt(0)
	s_waitcnt_vscnt null, 0x0
	s_barrier
	buffer_gl0_inv
	s_clause 0x3
	scratch_load_b128 v[127:130], off, off offset:188
	scratch_load_b128 v[131:134], off, off offset:204
	;; [unrolled: 1-line block ×3, first 2 shown]
	scratch_load_b64 v[3:4], off, off offset:236
	v_mov_b32_e32 v2, 0
	ds_load_b128 v[139:142], v2 offset:448
	ds_load_b128 v[143:146], v2 offset:464
	s_mov_b32 s0, exec_lo
	s_waitcnt vmcnt(3) lgkmcnt(1)
	v_fma_f32 v139, v128, v139, 0
	s_delay_alu instid0(VALU_DEP_1) | instskip(NEXT) | instid1(VALU_DEP_1)
	v_fmac_f32_e32 v139, v129, v140
	v_fmac_f32_e32 v139, v130, v141
	s_waitcnt vmcnt(2)
	s_delay_alu instid0(VALU_DEP_1)
	v_fmac_f32_e32 v139, v131, v142
	ds_load_b128 v[128:131], v2 offset:480
	s_waitcnt lgkmcnt(1)
	v_fmac_f32_e32 v139, v132, v143
	ds_load_b32 v132, v2 offset:496
	v_fmac_f32_e32 v139, v133, v144
	s_delay_alu instid0(VALU_DEP_1) | instskip(SKIP_1) | instid1(VALU_DEP_1)
	v_fmac_f32_e32 v139, v134, v145
	s_waitcnt vmcnt(1)
	v_fmac_f32_e32 v139, v135, v146
	s_waitcnt lgkmcnt(1)
	s_delay_alu instid0(VALU_DEP_1) | instskip(NEXT) | instid1(VALU_DEP_1)
	v_fmac_f32_e32 v139, v136, v128
	v_fmac_f32_e32 v139, v137, v129
	s_delay_alu instid0(VALU_DEP_1) | instskip(SKIP_1) | instid1(VALU_DEP_1)
	v_fmac_f32_e32 v139, v138, v130
	s_waitcnt vmcnt(0)
	v_fmac_f32_e32 v139, v3, v131
	s_waitcnt lgkmcnt(0)
	s_delay_alu instid0(VALU_DEP_1) | instskip(NEXT) | instid1(VALU_DEP_1)
	v_fmac_f32_e32 v139, v4, v132
	v_sub_f32_e32 v3, v127, v139
	scratch_store_b32 off, v3, off offset:188
	v_cmpx_lt_u32_e32 46, v0
	s_cbranch_execz .LBB60_281
; %bb.280:
	scratch_load_b32 v3, off, off offset:184
	scratch_store_b32 off, v2, off offset:184
	s_waitcnt vmcnt(0)
	ds_store_b32 v1, v3
.LBB60_281:
	s_or_b32 exec_lo, exec_lo, s0
	s_waitcnt lgkmcnt(0)
	s_waitcnt_vscnt null, 0x0
	s_barrier
	buffer_gl0_inv
	s_clause 0x3
	scratch_load_b128 v[127:130], off, off offset:184
	scratch_load_b128 v[131:134], off, off offset:200
	;; [unrolled: 1-line block ×3, first 2 shown]
	scratch_load_b96 v[139:141], off, off offset:232
	ds_load_2addr_b32 v[3:4], v2 offset0:111 offset1:112
	ds_load_2addr_b32 v[142:143], v2 offset0:113 offset1:114
	;; [unrolled: 1-line block ×4, first 2 shown]
	s_mov_b32 s0, exec_lo
	s_waitcnt vmcnt(3) lgkmcnt(3)
	v_fma_f32 v148, v128, v3, 0
	s_delay_alu instid0(VALU_DEP_1)
	v_fmac_f32_e32 v148, v129, v4
	ds_load_2addr_b32 v[3:4], v2 offset0:119 offset1:120
	ds_load_2addr_b32 v[128:129], v2 offset0:121 offset1:122
	s_waitcnt lgkmcnt(4)
	v_fmac_f32_e32 v148, v130, v142
	s_waitcnt vmcnt(2)
	s_delay_alu instid0(VALU_DEP_1) | instskip(SKIP_3) | instid1(VALU_DEP_1)
	v_fmac_f32_e32 v148, v131, v143
	ds_load_2addr_b32 v[130:131], v2 offset0:123 offset1:124
	s_waitcnt lgkmcnt(4)
	v_fmac_f32_e32 v148, v132, v144
	v_fmac_f32_e32 v148, v133, v145
	s_waitcnt lgkmcnt(3)
	s_delay_alu instid0(VALU_DEP_1) | instskip(SKIP_1) | instid1(VALU_DEP_1)
	v_fmac_f32_e32 v148, v134, v146
	s_waitcnt vmcnt(1)
	v_fmac_f32_e32 v148, v135, v147
	s_waitcnt lgkmcnt(2)
	s_delay_alu instid0(VALU_DEP_1) | instskip(NEXT) | instid1(VALU_DEP_1)
	v_fmac_f32_e32 v148, v136, v3
	v_fmac_f32_e32 v148, v137, v4
	s_waitcnt lgkmcnt(1)
	s_delay_alu instid0(VALU_DEP_1) | instskip(SKIP_1) | instid1(VALU_DEP_1)
	v_fmac_f32_e32 v148, v138, v128
	s_waitcnt vmcnt(0)
	v_fmac_f32_e32 v148, v139, v129
	s_waitcnt lgkmcnt(0)
	s_delay_alu instid0(VALU_DEP_1) | instskip(NEXT) | instid1(VALU_DEP_1)
	v_fmac_f32_e32 v148, v140, v130
	v_fmac_f32_e32 v148, v141, v131
	s_delay_alu instid0(VALU_DEP_1)
	v_sub_f32_e32 v2, v127, v148
	scratch_store_b32 off, v2, off offset:184
	v_cmpx_lt_u32_e32 45, v0
	s_cbranch_execz .LBB60_283
; %bb.282:
	scratch_load_b32 v2, off, off offset:180
	v_mov_b32_e32 v3, 0
	scratch_store_b32 off, v3, off offset:180
	s_waitcnt vmcnt(0)
	ds_store_b32 v1, v2
.LBB60_283:
	s_or_b32 exec_lo, exec_lo, s0
	s_waitcnt lgkmcnt(0)
	s_waitcnt_vscnt null, 0x0
	s_barrier
	buffer_gl0_inv
	s_clause 0x3
	scratch_load_b128 v[127:130], off, off offset:180
	scratch_load_b128 v[131:134], off, off offset:196
	;; [unrolled: 1-line block ×4, first 2 shown]
	v_mov_b32_e32 v2, 0
	ds_load_2addr_b64 v[143:146], v2 offset0:55 offset1:56
	ds_load_2addr_b64 v[147:150], v2 offset0:57 offset1:58
	s_mov_b32 s0, exec_lo
	s_waitcnt vmcnt(3) lgkmcnt(1)
	v_fma_f32 v143, v128, v143, 0
	s_delay_alu instid0(VALU_DEP_1) | instskip(SKIP_3) | instid1(VALU_DEP_1)
	v_fmac_f32_e32 v143, v129, v144
	ds_load_b64 v[3:4], v2 offset:488
	v_fmac_f32_e32 v143, v130, v145
	s_waitcnt vmcnt(2)
	v_fmac_f32_e32 v143, v131, v146
	ds_load_2addr_b64 v[128:131], v2 offset0:59 offset1:60
	s_waitcnt lgkmcnt(2)
	v_fmac_f32_e32 v143, v132, v147
	s_delay_alu instid0(VALU_DEP_1) | instskip(NEXT) | instid1(VALU_DEP_1)
	v_fmac_f32_e32 v143, v133, v148
	v_fmac_f32_e32 v143, v134, v149
	s_waitcnt vmcnt(1)
	s_delay_alu instid0(VALU_DEP_1) | instskip(SKIP_1) | instid1(VALU_DEP_1)
	v_fmac_f32_e32 v143, v135, v150
	s_waitcnt lgkmcnt(0)
	v_fmac_f32_e32 v143, v136, v128
	ds_load_b32 v128, v2 offset:496
	v_fmac_f32_e32 v143, v137, v129
	s_delay_alu instid0(VALU_DEP_1) | instskip(SKIP_1) | instid1(VALU_DEP_1)
	v_fmac_f32_e32 v143, v138, v130
	s_waitcnt vmcnt(0)
	v_fmac_f32_e32 v143, v139, v131
	s_delay_alu instid0(VALU_DEP_1) | instskip(NEXT) | instid1(VALU_DEP_1)
	v_fmac_f32_e32 v143, v140, v3
	v_fmac_f32_e32 v143, v141, v4
	s_waitcnt lgkmcnt(0)
	s_delay_alu instid0(VALU_DEP_1) | instskip(NEXT) | instid1(VALU_DEP_1)
	v_fmac_f32_e32 v143, v142, v128
	v_sub_f32_e32 v3, v127, v143
	scratch_store_b32 off, v3, off offset:180
	v_cmpx_lt_u32_e32 44, v0
	s_cbranch_execz .LBB60_285
; %bb.284:
	scratch_load_b32 v3, off, off offset:176
	scratch_store_b32 off, v2, off offset:176
	s_waitcnt vmcnt(0)
	ds_store_b32 v1, v3
.LBB60_285:
	s_or_b32 exec_lo, exec_lo, s0
	s_waitcnt lgkmcnt(0)
	s_waitcnt_vscnt null, 0x0
	s_barrier
	buffer_gl0_inv
	s_clause 0x4
	scratch_load_b128 v[127:130], off, off offset:176
	scratch_load_b128 v[131:134], off, off offset:192
	scratch_load_b128 v[135:138], off, off offset:208
	scratch_load_b128 v[139:142], off, off offset:224
	scratch_load_b32 v149, off, off offset:240
	ds_load_2addr_b32 v[3:4], v2 offset0:109 offset1:110
	ds_load_2addr_b32 v[143:144], v2 offset0:111 offset1:112
	;; [unrolled: 1-line block ×4, first 2 shown]
	s_mov_b32 s0, exec_lo
	s_waitcnt vmcnt(4) lgkmcnt(3)
	v_fma_f32 v150, v128, v3, 0
	s_delay_alu instid0(VALU_DEP_1)
	v_fmac_f32_e32 v150, v129, v4
	ds_load_2addr_b32 v[3:4], v2 offset0:117 offset1:118
	ds_load_2addr_b32 v[128:129], v2 offset0:119 offset1:120
	s_waitcnt lgkmcnt(4)
	v_fmac_f32_e32 v150, v130, v143
	s_waitcnt vmcnt(3)
	s_delay_alu instid0(VALU_DEP_1) | instskip(SKIP_1) | instid1(VALU_DEP_1)
	v_fmac_f32_e32 v150, v131, v144
	s_waitcnt lgkmcnt(3)
	v_fmac_f32_e32 v150, v132, v145
	s_delay_alu instid0(VALU_DEP_1)
	v_fmac_f32_e32 v150, v133, v146
	ds_load_2addr_b32 v[130:131], v2 offset0:121 offset1:122
	ds_load_2addr_b32 v[132:133], v2 offset0:123 offset1:124
	s_waitcnt lgkmcnt(4)
	v_fmac_f32_e32 v150, v134, v147
	s_waitcnt vmcnt(2)
	s_delay_alu instid0(VALU_DEP_1) | instskip(SKIP_1) | instid1(VALU_DEP_1)
	v_fmac_f32_e32 v150, v135, v148
	s_waitcnt lgkmcnt(3)
	v_fmac_f32_e32 v150, v136, v3
	s_delay_alu instid0(VALU_DEP_1) | instskip(SKIP_1) | instid1(VALU_DEP_1)
	v_fmac_f32_e32 v150, v137, v4
	s_waitcnt lgkmcnt(2)
	v_fmac_f32_e32 v150, v138, v128
	s_waitcnt vmcnt(1)
	s_delay_alu instid0(VALU_DEP_1) | instskip(SKIP_1) | instid1(VALU_DEP_1)
	v_fmac_f32_e32 v150, v139, v129
	s_waitcnt lgkmcnt(1)
	v_fmac_f32_e32 v150, v140, v130
	s_delay_alu instid0(VALU_DEP_1) | instskip(SKIP_1) | instid1(VALU_DEP_1)
	v_fmac_f32_e32 v150, v141, v131
	s_waitcnt lgkmcnt(0)
	v_fmac_f32_e32 v150, v142, v132
	s_waitcnt vmcnt(0)
	s_delay_alu instid0(VALU_DEP_1) | instskip(NEXT) | instid1(VALU_DEP_1)
	v_fmac_f32_e32 v150, v149, v133
	v_sub_f32_e32 v2, v127, v150
	scratch_store_b32 off, v2, off offset:176
	v_cmpx_lt_u32_e32 43, v0
	s_cbranch_execz .LBB60_287
; %bb.286:
	scratch_load_b32 v2, off, off offset:172
	v_mov_b32_e32 v3, 0
	scratch_store_b32 off, v3, off offset:172
	s_waitcnt vmcnt(0)
	ds_store_b32 v1, v2
.LBB60_287:
	s_or_b32 exec_lo, exec_lo, s0
	s_waitcnt lgkmcnt(0)
	s_waitcnt_vscnt null, 0x0
	s_barrier
	buffer_gl0_inv
	s_clause 0x4
	scratch_load_b128 v[127:130], off, off offset:172
	scratch_load_b128 v[131:134], off, off offset:188
	;; [unrolled: 1-line block ×4, first 2 shown]
	scratch_load_b64 v[3:4], off, off offset:236
	v_mov_b32_e32 v2, 0
	ds_load_b128 v[143:146], v2 offset:432
	ds_load_b128 v[147:150], v2 offset:448
	s_mov_b32 s0, exec_lo
	s_waitcnt vmcnt(4) lgkmcnt(1)
	v_fma_f32 v143, v128, v143, 0
	s_delay_alu instid0(VALU_DEP_1) | instskip(NEXT) | instid1(VALU_DEP_1)
	v_fmac_f32_e32 v143, v129, v144
	v_fmac_f32_e32 v143, v130, v145
	s_waitcnt vmcnt(3)
	s_delay_alu instid0(VALU_DEP_1) | instskip(SKIP_3) | instid1(VALU_DEP_1)
	v_fmac_f32_e32 v143, v131, v146
	ds_load_b128 v[128:131], v2 offset:464
	s_waitcnt lgkmcnt(1)
	v_fmac_f32_e32 v143, v132, v147
	v_fmac_f32_e32 v143, v133, v148
	s_delay_alu instid0(VALU_DEP_1) | instskip(SKIP_1) | instid1(VALU_DEP_1)
	v_fmac_f32_e32 v143, v134, v149
	s_waitcnt vmcnt(2)
	v_fmac_f32_e32 v143, v135, v150
	ds_load_b128 v[132:135], v2 offset:480
	s_waitcnt lgkmcnt(1)
	v_fmac_f32_e32 v143, v136, v128
	ds_load_b32 v128, v2 offset:496
	v_fmac_f32_e32 v143, v137, v129
	s_delay_alu instid0(VALU_DEP_1) | instskip(SKIP_1) | instid1(VALU_DEP_1)
	v_fmac_f32_e32 v143, v138, v130
	s_waitcnt vmcnt(1)
	v_fmac_f32_e32 v143, v139, v131
	s_waitcnt lgkmcnt(1)
	s_delay_alu instid0(VALU_DEP_1) | instskip(NEXT) | instid1(VALU_DEP_1)
	v_fmac_f32_e32 v143, v140, v132
	v_fmac_f32_e32 v143, v141, v133
	s_delay_alu instid0(VALU_DEP_1) | instskip(SKIP_1) | instid1(VALU_DEP_1)
	v_fmac_f32_e32 v143, v142, v134
	s_waitcnt vmcnt(0)
	v_fmac_f32_e32 v143, v3, v135
	s_waitcnt lgkmcnt(0)
	s_delay_alu instid0(VALU_DEP_1) | instskip(NEXT) | instid1(VALU_DEP_1)
	v_fmac_f32_e32 v143, v4, v128
	v_sub_f32_e32 v3, v127, v143
	scratch_store_b32 off, v3, off offset:172
	v_cmpx_lt_u32_e32 42, v0
	s_cbranch_execz .LBB60_289
; %bb.288:
	scratch_load_b32 v3, off, off offset:168
	scratch_store_b32 off, v2, off offset:168
	s_waitcnt vmcnt(0)
	ds_store_b32 v1, v3
.LBB60_289:
	s_or_b32 exec_lo, exec_lo, s0
	s_waitcnt lgkmcnt(0)
	s_waitcnt_vscnt null, 0x0
	s_barrier
	buffer_gl0_inv
	s_clause 0x4
	scratch_load_b128 v[127:130], off, off offset:168
	scratch_load_b128 v[131:134], off, off offset:184
	;; [unrolled: 1-line block ×4, first 2 shown]
	scratch_load_b96 v[143:145], off, off offset:232
	ds_load_2addr_b32 v[3:4], v2 offset0:107 offset1:108
	ds_load_2addr_b32 v[146:147], v2 offset0:109 offset1:110
	;; [unrolled: 1-line block ×4, first 2 shown]
	s_mov_b32 s0, exec_lo
	s_waitcnt vmcnt(4) lgkmcnt(3)
	v_fma_f32 v152, v128, v3, 0
	s_delay_alu instid0(VALU_DEP_1)
	v_fmac_f32_e32 v152, v129, v4
	ds_load_2addr_b32 v[3:4], v2 offset0:115 offset1:116
	ds_load_2addr_b32 v[128:129], v2 offset0:117 offset1:118
	s_waitcnt lgkmcnt(4)
	v_fmac_f32_e32 v152, v130, v146
	s_waitcnt vmcnt(3)
	s_delay_alu instid0(VALU_DEP_1) | instskip(SKIP_1) | instid1(VALU_DEP_1)
	v_fmac_f32_e32 v152, v131, v147
	s_waitcnt lgkmcnt(3)
	v_fmac_f32_e32 v152, v132, v148
	s_delay_alu instid0(VALU_DEP_1)
	v_fmac_f32_e32 v152, v133, v149
	ds_load_2addr_b32 v[130:131], v2 offset0:119 offset1:120
	ds_load_2addr_b32 v[132:133], v2 offset0:121 offset1:122
	s_waitcnt lgkmcnt(4)
	v_fmac_f32_e32 v152, v134, v150
	s_waitcnt vmcnt(2)
	s_delay_alu instid0(VALU_DEP_1) | instskip(SKIP_1) | instid1(VALU_DEP_1)
	v_fmac_f32_e32 v152, v135, v151
	s_waitcnt lgkmcnt(3)
	v_fmac_f32_e32 v152, v136, v3
	ds_load_2addr_b32 v[2:3], v2 offset0:123 offset1:124
	v_fmac_f32_e32 v152, v137, v4
	s_waitcnt lgkmcnt(3)
	s_delay_alu instid0(VALU_DEP_1) | instskip(SKIP_1) | instid1(VALU_DEP_1)
	v_fmac_f32_e32 v152, v138, v128
	s_waitcnt vmcnt(1)
	v_fmac_f32_e32 v152, v139, v129
	s_waitcnt lgkmcnt(2)
	s_delay_alu instid0(VALU_DEP_1) | instskip(NEXT) | instid1(VALU_DEP_1)
	v_fmac_f32_e32 v152, v140, v130
	v_fmac_f32_e32 v152, v141, v131
	s_waitcnt lgkmcnt(1)
	s_delay_alu instid0(VALU_DEP_1) | instskip(SKIP_1) | instid1(VALU_DEP_1)
	v_fmac_f32_e32 v152, v142, v132
	s_waitcnt vmcnt(0)
	v_fmac_f32_e32 v152, v143, v133
	s_waitcnt lgkmcnt(0)
	s_delay_alu instid0(VALU_DEP_1) | instskip(NEXT) | instid1(VALU_DEP_1)
	v_fmac_f32_e32 v152, v144, v2
	v_fmac_f32_e32 v152, v145, v3
	s_delay_alu instid0(VALU_DEP_1)
	v_sub_f32_e32 v2, v127, v152
	scratch_store_b32 off, v2, off offset:168
	v_cmpx_lt_u32_e32 41, v0
	s_cbranch_execz .LBB60_291
; %bb.290:
	scratch_load_b32 v2, off, off offset:164
	v_mov_b32_e32 v3, 0
	scratch_store_b32 off, v3, off offset:164
	s_waitcnt vmcnt(0)
	ds_store_b32 v1, v2
.LBB60_291:
	s_or_b32 exec_lo, exec_lo, s0
	s_waitcnt lgkmcnt(0)
	s_waitcnt_vscnt null, 0x0
	s_barrier
	buffer_gl0_inv
	s_clause 0x4
	scratch_load_b128 v[127:130], off, off offset:164
	scratch_load_b128 v[131:134], off, off offset:180
	;; [unrolled: 1-line block ×5, first 2 shown]
	v_mov_b32_e32 v2, 0
	ds_load_2addr_b64 v[147:150], v2 offset0:53 offset1:54
	ds_load_2addr_b64 v[151:154], v2 offset0:55 offset1:56
	s_mov_b32 s0, exec_lo
	s_waitcnt vmcnt(4) lgkmcnt(1)
	v_fma_f32 v147, v128, v147, 0
	s_delay_alu instid0(VALU_DEP_1) | instskip(SKIP_3) | instid1(VALU_DEP_1)
	v_fmac_f32_e32 v147, v129, v148
	ds_load_b64 v[3:4], v2 offset:488
	v_fmac_f32_e32 v147, v130, v149
	s_waitcnt vmcnt(3)
	v_fmac_f32_e32 v147, v131, v150
	ds_load_2addr_b64 v[128:131], v2 offset0:57 offset1:58
	s_waitcnt lgkmcnt(2)
	v_fmac_f32_e32 v147, v132, v151
	s_delay_alu instid0(VALU_DEP_1) | instskip(NEXT) | instid1(VALU_DEP_1)
	v_fmac_f32_e32 v147, v133, v152
	v_fmac_f32_e32 v147, v134, v153
	s_waitcnt vmcnt(2)
	s_delay_alu instid0(VALU_DEP_1)
	v_fmac_f32_e32 v147, v135, v154
	ds_load_2addr_b64 v[132:135], v2 offset0:59 offset1:60
	s_waitcnt lgkmcnt(1)
	v_fmac_f32_e32 v147, v136, v128
	ds_load_b32 v128, v2 offset:496
	v_fmac_f32_e32 v147, v137, v129
	s_delay_alu instid0(VALU_DEP_1) | instskip(SKIP_1) | instid1(VALU_DEP_1)
	v_fmac_f32_e32 v147, v138, v130
	s_waitcnt vmcnt(1)
	v_fmac_f32_e32 v147, v139, v131
	s_waitcnt lgkmcnt(1)
	s_delay_alu instid0(VALU_DEP_1) | instskip(NEXT) | instid1(VALU_DEP_1)
	v_fmac_f32_e32 v147, v140, v132
	v_fmac_f32_e32 v147, v141, v133
	s_delay_alu instid0(VALU_DEP_1) | instskip(SKIP_1) | instid1(VALU_DEP_1)
	v_fmac_f32_e32 v147, v142, v134
	s_waitcnt vmcnt(0)
	v_fmac_f32_e32 v147, v143, v135
	s_delay_alu instid0(VALU_DEP_1) | instskip(NEXT) | instid1(VALU_DEP_1)
	v_fmac_f32_e32 v147, v144, v3
	v_fmac_f32_e32 v147, v145, v4
	s_waitcnt lgkmcnt(0)
	s_delay_alu instid0(VALU_DEP_1) | instskip(NEXT) | instid1(VALU_DEP_1)
	v_fmac_f32_e32 v147, v146, v128
	v_sub_f32_e32 v3, v127, v147
	scratch_store_b32 off, v3, off offset:164
	v_cmpx_lt_u32_e32 40, v0
	s_cbranch_execz .LBB60_293
; %bb.292:
	scratch_load_b32 v3, off, off offset:160
	scratch_store_b32 off, v2, off offset:160
	s_waitcnt vmcnt(0)
	ds_store_b32 v1, v3
.LBB60_293:
	s_or_b32 exec_lo, exec_lo, s0
	s_waitcnt lgkmcnt(0)
	s_waitcnt_vscnt null, 0x0
	s_barrier
	buffer_gl0_inv
	s_clause 0x5
	scratch_load_b128 v[127:130], off, off offset:160
	scratch_load_b128 v[131:134], off, off offset:176
	;; [unrolled: 1-line block ×5, first 2 shown]
	scratch_load_b32 v153, off, off offset:240
	ds_load_2addr_b32 v[3:4], v2 offset0:105 offset1:106
	ds_load_2addr_b32 v[147:148], v2 offset0:107 offset1:108
	;; [unrolled: 1-line block ×4, first 2 shown]
	s_mov_b32 s0, exec_lo
	s_waitcnt vmcnt(5) lgkmcnt(3)
	v_fma_f32 v154, v128, v3, 0
	s_delay_alu instid0(VALU_DEP_1)
	v_fmac_f32_e32 v154, v129, v4
	ds_load_2addr_b32 v[3:4], v2 offset0:113 offset1:114
	ds_load_2addr_b32 v[128:129], v2 offset0:115 offset1:116
	s_waitcnt lgkmcnt(4)
	v_fmac_f32_e32 v154, v130, v147
	s_waitcnt vmcnt(4)
	s_delay_alu instid0(VALU_DEP_1) | instskip(SKIP_1) | instid1(VALU_DEP_1)
	v_fmac_f32_e32 v154, v131, v148
	s_waitcnt lgkmcnt(3)
	v_fmac_f32_e32 v154, v132, v149
	s_delay_alu instid0(VALU_DEP_1)
	v_fmac_f32_e32 v154, v133, v150
	ds_load_2addr_b32 v[130:131], v2 offset0:117 offset1:118
	ds_load_2addr_b32 v[132:133], v2 offset0:119 offset1:120
	s_waitcnt lgkmcnt(4)
	v_fmac_f32_e32 v154, v134, v151
	s_waitcnt vmcnt(3)
	s_delay_alu instid0(VALU_DEP_1) | instskip(SKIP_1) | instid1(VALU_DEP_1)
	v_fmac_f32_e32 v154, v135, v152
	s_waitcnt lgkmcnt(3)
	v_fmac_f32_e32 v154, v136, v3
	s_delay_alu instid0(VALU_DEP_1) | instskip(SKIP_4) | instid1(VALU_DEP_1)
	v_fmac_f32_e32 v154, v137, v4
	ds_load_2addr_b32 v[3:4], v2 offset0:121 offset1:122
	s_waitcnt lgkmcnt(3)
	v_fmac_f32_e32 v154, v138, v128
	s_waitcnt vmcnt(2)
	v_fmac_f32_e32 v154, v139, v129
	ds_load_2addr_b32 v[128:129], v2 offset0:123 offset1:124
	s_waitcnt lgkmcnt(3)
	v_fmac_f32_e32 v154, v140, v130
	s_delay_alu instid0(VALU_DEP_1) | instskip(SKIP_1) | instid1(VALU_DEP_1)
	v_fmac_f32_e32 v154, v141, v131
	s_waitcnt lgkmcnt(2)
	v_fmac_f32_e32 v154, v142, v132
	s_waitcnt vmcnt(1)
	s_delay_alu instid0(VALU_DEP_1) | instskip(SKIP_1) | instid1(VALU_DEP_1)
	v_fmac_f32_e32 v154, v143, v133
	s_waitcnt lgkmcnt(1)
	v_fmac_f32_e32 v154, v144, v3
	s_delay_alu instid0(VALU_DEP_1) | instskip(SKIP_1) | instid1(VALU_DEP_1)
	v_fmac_f32_e32 v154, v145, v4
	s_waitcnt lgkmcnt(0)
	v_fmac_f32_e32 v154, v146, v128
	s_waitcnt vmcnt(0)
	s_delay_alu instid0(VALU_DEP_1) | instskip(NEXT) | instid1(VALU_DEP_1)
	v_fmac_f32_e32 v154, v153, v129
	v_sub_f32_e32 v2, v127, v154
	scratch_store_b32 off, v2, off offset:160
	v_cmpx_lt_u32_e32 39, v0
	s_cbranch_execz .LBB60_295
; %bb.294:
	scratch_load_b32 v2, off, off offset:156
	v_mov_b32_e32 v3, 0
	scratch_store_b32 off, v3, off offset:156
	s_waitcnt vmcnt(0)
	ds_store_b32 v1, v2
.LBB60_295:
	s_or_b32 exec_lo, exec_lo, s0
	s_waitcnt lgkmcnt(0)
	s_waitcnt_vscnt null, 0x0
	s_barrier
	buffer_gl0_inv
	s_clause 0x5
	scratch_load_b128 v[127:130], off, off offset:156
	scratch_load_b128 v[131:134], off, off offset:172
	;; [unrolled: 1-line block ×5, first 2 shown]
	scratch_load_b64 v[3:4], off, off offset:236
	v_mov_b32_e32 v2, 0
	ds_load_b128 v[147:150], v2 offset:416
	ds_load_b128 v[151:154], v2 offset:432
	s_mov_b32 s0, exec_lo
	s_waitcnt vmcnt(5) lgkmcnt(1)
	v_fma_f32 v147, v128, v147, 0
	s_delay_alu instid0(VALU_DEP_1) | instskip(NEXT) | instid1(VALU_DEP_1)
	v_fmac_f32_e32 v147, v129, v148
	v_fmac_f32_e32 v147, v130, v149
	s_waitcnt vmcnt(4)
	s_delay_alu instid0(VALU_DEP_1) | instskip(SKIP_3) | instid1(VALU_DEP_1)
	v_fmac_f32_e32 v147, v131, v150
	ds_load_b128 v[128:131], v2 offset:448
	s_waitcnt lgkmcnt(1)
	v_fmac_f32_e32 v147, v132, v151
	v_fmac_f32_e32 v147, v133, v152
	s_delay_alu instid0(VALU_DEP_1) | instskip(SKIP_1) | instid1(VALU_DEP_1)
	v_fmac_f32_e32 v147, v134, v153
	s_waitcnt vmcnt(3)
	v_fmac_f32_e32 v147, v135, v154
	ds_load_b128 v[132:135], v2 offset:464
	s_waitcnt lgkmcnt(1)
	v_fmac_f32_e32 v147, v136, v128
	s_delay_alu instid0(VALU_DEP_1) | instskip(NEXT) | instid1(VALU_DEP_1)
	v_fmac_f32_e32 v147, v137, v129
	v_fmac_f32_e32 v147, v138, v130
	s_waitcnt vmcnt(2)
	s_delay_alu instid0(VALU_DEP_1)
	v_fmac_f32_e32 v147, v139, v131
	ds_load_b128 v[128:131], v2 offset:480
	s_waitcnt lgkmcnt(1)
	v_fmac_f32_e32 v147, v140, v132
	ds_load_b32 v132, v2 offset:496
	v_fmac_f32_e32 v147, v141, v133
	s_delay_alu instid0(VALU_DEP_1) | instskip(SKIP_1) | instid1(VALU_DEP_1)
	v_fmac_f32_e32 v147, v142, v134
	s_waitcnt vmcnt(1)
	v_fmac_f32_e32 v147, v143, v135
	s_waitcnt lgkmcnt(1)
	s_delay_alu instid0(VALU_DEP_1) | instskip(NEXT) | instid1(VALU_DEP_1)
	v_fmac_f32_e32 v147, v144, v128
	v_fmac_f32_e32 v147, v145, v129
	s_delay_alu instid0(VALU_DEP_1) | instskip(SKIP_1) | instid1(VALU_DEP_1)
	v_fmac_f32_e32 v147, v146, v130
	s_waitcnt vmcnt(0)
	v_fmac_f32_e32 v147, v3, v131
	s_waitcnt lgkmcnt(0)
	s_delay_alu instid0(VALU_DEP_1) | instskip(NEXT) | instid1(VALU_DEP_1)
	v_fmac_f32_e32 v147, v4, v132
	v_sub_f32_e32 v3, v127, v147
	scratch_store_b32 off, v3, off offset:156
	v_cmpx_lt_u32_e32 38, v0
	s_cbranch_execz .LBB60_297
; %bb.296:
	scratch_load_b32 v3, off, off offset:152
	scratch_store_b32 off, v2, off offset:152
	s_waitcnt vmcnt(0)
	ds_store_b32 v1, v3
.LBB60_297:
	s_or_b32 exec_lo, exec_lo, s0
	s_waitcnt lgkmcnt(0)
	s_waitcnt_vscnt null, 0x0
	s_barrier
	buffer_gl0_inv
	s_clause 0x5
	scratch_load_b128 v[127:130], off, off offset:152
	scratch_load_b128 v[131:134], off, off offset:168
	;; [unrolled: 1-line block ×5, first 2 shown]
	scratch_load_b96 v[147:149], off, off offset:232
	ds_load_2addr_b32 v[3:4], v2 offset0:103 offset1:104
	ds_load_2addr_b32 v[150:151], v2 offset0:105 offset1:106
	;; [unrolled: 1-line block ×4, first 2 shown]
	s_mov_b32 s0, exec_lo
	s_waitcnt vmcnt(5) lgkmcnt(3)
	v_fma_f32 v156, v128, v3, 0
	s_delay_alu instid0(VALU_DEP_1)
	v_fmac_f32_e32 v156, v129, v4
	ds_load_2addr_b32 v[3:4], v2 offset0:111 offset1:112
	ds_load_2addr_b32 v[128:129], v2 offset0:113 offset1:114
	s_waitcnt lgkmcnt(4)
	v_fmac_f32_e32 v156, v130, v150
	s_waitcnt vmcnt(4)
	s_delay_alu instid0(VALU_DEP_1) | instskip(SKIP_1) | instid1(VALU_DEP_1)
	v_fmac_f32_e32 v156, v131, v151
	s_waitcnt lgkmcnt(3)
	v_fmac_f32_e32 v156, v132, v152
	s_delay_alu instid0(VALU_DEP_1)
	v_fmac_f32_e32 v156, v133, v153
	ds_load_2addr_b32 v[130:131], v2 offset0:115 offset1:116
	ds_load_2addr_b32 v[132:133], v2 offset0:117 offset1:118
	s_waitcnt lgkmcnt(4)
	v_fmac_f32_e32 v156, v134, v154
	s_waitcnt vmcnt(3)
	s_delay_alu instid0(VALU_DEP_1) | instskip(SKIP_1) | instid1(VALU_DEP_1)
	v_fmac_f32_e32 v156, v135, v155
	s_waitcnt lgkmcnt(3)
	v_fmac_f32_e32 v156, v136, v3
	s_delay_alu instid0(VALU_DEP_1) | instskip(SKIP_4) | instid1(VALU_DEP_1)
	v_fmac_f32_e32 v156, v137, v4
	ds_load_2addr_b32 v[3:4], v2 offset0:119 offset1:120
	s_waitcnt lgkmcnt(3)
	v_fmac_f32_e32 v156, v138, v128
	s_waitcnt vmcnt(2)
	v_fmac_f32_e32 v156, v139, v129
	ds_load_2addr_b32 v[128:129], v2 offset0:121 offset1:122
	s_waitcnt lgkmcnt(3)
	v_fmac_f32_e32 v156, v140, v130
	s_delay_alu instid0(VALU_DEP_1) | instskip(SKIP_4) | instid1(VALU_DEP_1)
	v_fmac_f32_e32 v156, v141, v131
	ds_load_2addr_b32 v[130:131], v2 offset0:123 offset1:124
	s_waitcnt lgkmcnt(3)
	v_fmac_f32_e32 v156, v142, v132
	s_waitcnt vmcnt(1)
	v_fmac_f32_e32 v156, v143, v133
	s_waitcnt lgkmcnt(2)
	s_delay_alu instid0(VALU_DEP_1) | instskip(NEXT) | instid1(VALU_DEP_1)
	v_fmac_f32_e32 v156, v144, v3
	v_fmac_f32_e32 v156, v145, v4
	s_waitcnt lgkmcnt(1)
	s_delay_alu instid0(VALU_DEP_1) | instskip(SKIP_1) | instid1(VALU_DEP_1)
	v_fmac_f32_e32 v156, v146, v128
	s_waitcnt vmcnt(0)
	v_fmac_f32_e32 v156, v147, v129
	s_waitcnt lgkmcnt(0)
	s_delay_alu instid0(VALU_DEP_1) | instskip(NEXT) | instid1(VALU_DEP_1)
	v_fmac_f32_e32 v156, v148, v130
	v_fmac_f32_e32 v156, v149, v131
	s_delay_alu instid0(VALU_DEP_1)
	v_sub_f32_e32 v2, v127, v156
	scratch_store_b32 off, v2, off offset:152
	v_cmpx_lt_u32_e32 37, v0
	s_cbranch_execz .LBB60_299
; %bb.298:
	scratch_load_b32 v2, off, off offset:148
	v_mov_b32_e32 v3, 0
	scratch_store_b32 off, v3, off offset:148
	s_waitcnt vmcnt(0)
	ds_store_b32 v1, v2
.LBB60_299:
	s_or_b32 exec_lo, exec_lo, s0
	s_waitcnt lgkmcnt(0)
	s_waitcnt_vscnt null, 0x0
	s_barrier
	buffer_gl0_inv
	s_clause 0x5
	scratch_load_b128 v[127:130], off, off offset:148
	scratch_load_b128 v[131:134], off, off offset:164
	;; [unrolled: 1-line block ×6, first 2 shown]
	v_mov_b32_e32 v2, 0
	ds_load_2addr_b64 v[151:154], v2 offset0:51 offset1:52
	ds_load_2addr_b64 v[155:158], v2 offset0:53 offset1:54
	s_mov_b32 s0, exec_lo
	s_waitcnt vmcnt(5) lgkmcnt(1)
	v_fma_f32 v151, v128, v151, 0
	s_delay_alu instid0(VALU_DEP_1) | instskip(SKIP_3) | instid1(VALU_DEP_1)
	v_fmac_f32_e32 v151, v129, v152
	ds_load_b64 v[3:4], v2 offset:488
	v_fmac_f32_e32 v151, v130, v153
	s_waitcnt vmcnt(4)
	v_fmac_f32_e32 v151, v131, v154
	ds_load_2addr_b64 v[128:131], v2 offset0:55 offset1:56
	s_waitcnt lgkmcnt(2)
	v_fmac_f32_e32 v151, v132, v155
	s_delay_alu instid0(VALU_DEP_1) | instskip(NEXT) | instid1(VALU_DEP_1)
	v_fmac_f32_e32 v151, v133, v156
	v_fmac_f32_e32 v151, v134, v157
	s_waitcnt vmcnt(3)
	s_delay_alu instid0(VALU_DEP_1) | instskip(SKIP_3) | instid1(VALU_DEP_1)
	v_fmac_f32_e32 v151, v135, v158
	ds_load_2addr_b64 v[132:135], v2 offset0:57 offset1:58
	s_waitcnt lgkmcnt(1)
	v_fmac_f32_e32 v151, v136, v128
	v_fmac_f32_e32 v151, v137, v129
	s_delay_alu instid0(VALU_DEP_1) | instskip(SKIP_1) | instid1(VALU_DEP_1)
	v_fmac_f32_e32 v151, v138, v130
	s_waitcnt vmcnt(2)
	v_fmac_f32_e32 v151, v139, v131
	ds_load_2addr_b64 v[128:131], v2 offset0:59 offset1:60
	s_waitcnt lgkmcnt(1)
	v_fmac_f32_e32 v151, v140, v132
	s_delay_alu instid0(VALU_DEP_1) | instskip(NEXT) | instid1(VALU_DEP_1)
	v_fmac_f32_e32 v151, v141, v133
	v_fmac_f32_e32 v151, v142, v134
	s_waitcnt vmcnt(1)
	s_delay_alu instid0(VALU_DEP_1) | instskip(SKIP_1) | instid1(VALU_DEP_1)
	v_fmac_f32_e32 v151, v143, v135
	s_waitcnt lgkmcnt(0)
	v_fmac_f32_e32 v151, v144, v128
	ds_load_b32 v128, v2 offset:496
	v_fmac_f32_e32 v151, v145, v129
	s_delay_alu instid0(VALU_DEP_1) | instskip(SKIP_1) | instid1(VALU_DEP_1)
	v_fmac_f32_e32 v151, v146, v130
	s_waitcnt vmcnt(0)
	v_fmac_f32_e32 v151, v147, v131
	s_delay_alu instid0(VALU_DEP_1) | instskip(NEXT) | instid1(VALU_DEP_1)
	v_fmac_f32_e32 v151, v148, v3
	v_fmac_f32_e32 v151, v149, v4
	s_waitcnt lgkmcnt(0)
	s_delay_alu instid0(VALU_DEP_1) | instskip(NEXT) | instid1(VALU_DEP_1)
	v_fmac_f32_e32 v151, v150, v128
	v_sub_f32_e32 v3, v127, v151
	scratch_store_b32 off, v3, off offset:148
	v_cmpx_lt_u32_e32 36, v0
	s_cbranch_execz .LBB60_301
; %bb.300:
	scratch_load_b32 v3, off, off offset:144
	scratch_store_b32 off, v2, off offset:144
	s_waitcnt vmcnt(0)
	ds_store_b32 v1, v3
.LBB60_301:
	s_or_b32 exec_lo, exec_lo, s0
	s_waitcnt lgkmcnt(0)
	s_waitcnt_vscnt null, 0x0
	s_barrier
	buffer_gl0_inv
	s_clause 0x6
	scratch_load_b128 v[127:130], off, off offset:144
	scratch_load_b128 v[131:134], off, off offset:160
	;; [unrolled: 1-line block ×6, first 2 shown]
	scratch_load_b32 v157, off, off offset:240
	ds_load_2addr_b32 v[3:4], v2 offset0:101 offset1:102
	ds_load_2addr_b32 v[151:152], v2 offset0:103 offset1:104
	;; [unrolled: 1-line block ×4, first 2 shown]
	s_mov_b32 s0, exec_lo
	s_waitcnt vmcnt(6) lgkmcnt(3)
	v_fma_f32 v158, v128, v3, 0
	s_delay_alu instid0(VALU_DEP_1)
	v_fmac_f32_e32 v158, v129, v4
	ds_load_2addr_b32 v[3:4], v2 offset0:109 offset1:110
	ds_load_2addr_b32 v[128:129], v2 offset0:111 offset1:112
	s_waitcnt lgkmcnt(4)
	v_fmac_f32_e32 v158, v130, v151
	s_waitcnt vmcnt(5)
	s_delay_alu instid0(VALU_DEP_1) | instskip(SKIP_1) | instid1(VALU_DEP_1)
	v_fmac_f32_e32 v158, v131, v152
	s_waitcnt lgkmcnt(3)
	v_fmac_f32_e32 v158, v132, v153
	s_delay_alu instid0(VALU_DEP_1)
	v_fmac_f32_e32 v158, v133, v154
	ds_load_2addr_b32 v[130:131], v2 offset0:113 offset1:114
	ds_load_2addr_b32 v[132:133], v2 offset0:115 offset1:116
	s_waitcnt lgkmcnt(4)
	v_fmac_f32_e32 v158, v134, v155
	s_waitcnt vmcnt(4)
	s_delay_alu instid0(VALU_DEP_1) | instskip(SKIP_1) | instid1(VALU_DEP_1)
	v_fmac_f32_e32 v158, v135, v156
	s_waitcnt lgkmcnt(3)
	v_fmac_f32_e32 v158, v136, v3
	s_delay_alu instid0(VALU_DEP_1) | instskip(SKIP_4) | instid1(VALU_DEP_1)
	v_fmac_f32_e32 v158, v137, v4
	ds_load_2addr_b32 v[3:4], v2 offset0:117 offset1:118
	s_waitcnt lgkmcnt(3)
	v_fmac_f32_e32 v158, v138, v128
	s_waitcnt vmcnt(3)
	v_fmac_f32_e32 v158, v139, v129
	ds_load_2addr_b32 v[128:129], v2 offset0:119 offset1:120
	s_waitcnt lgkmcnt(3)
	v_fmac_f32_e32 v158, v140, v130
	s_delay_alu instid0(VALU_DEP_1) | instskip(SKIP_1) | instid1(VALU_DEP_1)
	v_fmac_f32_e32 v158, v141, v131
	s_waitcnt lgkmcnt(2)
	v_fmac_f32_e32 v158, v142, v132
	s_waitcnt vmcnt(2)
	s_delay_alu instid0(VALU_DEP_1) | instskip(SKIP_4) | instid1(VALU_DEP_1)
	v_fmac_f32_e32 v158, v143, v133
	ds_load_2addr_b32 v[130:131], v2 offset0:121 offset1:122
	ds_load_2addr_b32 v[132:133], v2 offset0:123 offset1:124
	s_waitcnt lgkmcnt(3)
	v_fmac_f32_e32 v158, v144, v3
	v_fmac_f32_e32 v158, v145, v4
	s_waitcnt lgkmcnt(2)
	s_delay_alu instid0(VALU_DEP_1) | instskip(SKIP_1) | instid1(VALU_DEP_1)
	v_fmac_f32_e32 v158, v146, v128
	s_waitcnt vmcnt(1)
	v_fmac_f32_e32 v158, v147, v129
	s_waitcnt lgkmcnt(1)
	s_delay_alu instid0(VALU_DEP_1) | instskip(NEXT) | instid1(VALU_DEP_1)
	v_fmac_f32_e32 v158, v148, v130
	v_fmac_f32_e32 v158, v149, v131
	s_waitcnt lgkmcnt(0)
	s_delay_alu instid0(VALU_DEP_1) | instskip(SKIP_1) | instid1(VALU_DEP_1)
	v_fmac_f32_e32 v158, v150, v132
	s_waitcnt vmcnt(0)
	v_fmac_f32_e32 v158, v157, v133
	s_delay_alu instid0(VALU_DEP_1)
	v_sub_f32_e32 v2, v127, v158
	scratch_store_b32 off, v2, off offset:144
	v_cmpx_lt_u32_e32 35, v0
	s_cbranch_execz .LBB60_303
; %bb.302:
	scratch_load_b32 v2, off, off offset:140
	v_mov_b32_e32 v3, 0
	scratch_store_b32 off, v3, off offset:140
	s_waitcnt vmcnt(0)
	ds_store_b32 v1, v2
.LBB60_303:
	s_or_b32 exec_lo, exec_lo, s0
	s_waitcnt lgkmcnt(0)
	s_waitcnt_vscnt null, 0x0
	s_barrier
	buffer_gl0_inv
	s_clause 0x6
	scratch_load_b128 v[127:130], off, off offset:140
	scratch_load_b128 v[131:134], off, off offset:156
	;; [unrolled: 1-line block ×6, first 2 shown]
	scratch_load_b64 v[3:4], off, off offset:236
	v_mov_b32_e32 v2, 0
	ds_load_b128 v[151:154], v2 offset:400
	ds_load_b128 v[155:158], v2 offset:416
	s_mov_b32 s0, exec_lo
	s_waitcnt vmcnt(6) lgkmcnt(1)
	v_fma_f32 v151, v128, v151, 0
	s_delay_alu instid0(VALU_DEP_1) | instskip(NEXT) | instid1(VALU_DEP_1)
	v_fmac_f32_e32 v151, v129, v152
	v_fmac_f32_e32 v151, v130, v153
	s_waitcnt vmcnt(5)
	s_delay_alu instid0(VALU_DEP_1) | instskip(SKIP_3) | instid1(VALU_DEP_1)
	v_fmac_f32_e32 v151, v131, v154
	ds_load_b128 v[128:131], v2 offset:432
	s_waitcnt lgkmcnt(1)
	v_fmac_f32_e32 v151, v132, v155
	v_fmac_f32_e32 v151, v133, v156
	s_delay_alu instid0(VALU_DEP_1) | instskip(SKIP_1) | instid1(VALU_DEP_1)
	v_fmac_f32_e32 v151, v134, v157
	s_waitcnt vmcnt(4)
	v_fmac_f32_e32 v151, v135, v158
	ds_load_b128 v[132:135], v2 offset:448
	s_waitcnt lgkmcnt(1)
	v_fmac_f32_e32 v151, v136, v128
	s_delay_alu instid0(VALU_DEP_1) | instskip(NEXT) | instid1(VALU_DEP_1)
	v_fmac_f32_e32 v151, v137, v129
	v_fmac_f32_e32 v151, v138, v130
	s_waitcnt vmcnt(3)
	s_delay_alu instid0(VALU_DEP_1) | instskip(SKIP_3) | instid1(VALU_DEP_1)
	v_fmac_f32_e32 v151, v139, v131
	ds_load_b128 v[128:131], v2 offset:464
	s_waitcnt lgkmcnt(1)
	v_fmac_f32_e32 v151, v140, v132
	v_fmac_f32_e32 v151, v141, v133
	s_delay_alu instid0(VALU_DEP_1) | instskip(SKIP_1) | instid1(VALU_DEP_1)
	v_fmac_f32_e32 v151, v142, v134
	s_waitcnt vmcnt(2)
	v_fmac_f32_e32 v151, v143, v135
	ds_load_b128 v[132:135], v2 offset:480
	s_waitcnt lgkmcnt(1)
	v_fmac_f32_e32 v151, v144, v128
	ds_load_b32 v128, v2 offset:496
	v_fmac_f32_e32 v151, v145, v129
	s_delay_alu instid0(VALU_DEP_1) | instskip(SKIP_1) | instid1(VALU_DEP_1)
	v_fmac_f32_e32 v151, v146, v130
	s_waitcnt vmcnt(1)
	v_fmac_f32_e32 v151, v147, v131
	s_waitcnt lgkmcnt(1)
	s_delay_alu instid0(VALU_DEP_1) | instskip(NEXT) | instid1(VALU_DEP_1)
	v_fmac_f32_e32 v151, v148, v132
	v_fmac_f32_e32 v151, v149, v133
	s_delay_alu instid0(VALU_DEP_1) | instskip(SKIP_1) | instid1(VALU_DEP_1)
	v_fmac_f32_e32 v151, v150, v134
	s_waitcnt vmcnt(0)
	v_fmac_f32_e32 v151, v3, v135
	s_waitcnt lgkmcnt(0)
	s_delay_alu instid0(VALU_DEP_1) | instskip(NEXT) | instid1(VALU_DEP_1)
	v_fmac_f32_e32 v151, v4, v128
	v_sub_f32_e32 v3, v127, v151
	scratch_store_b32 off, v3, off offset:140
	v_cmpx_lt_u32_e32 34, v0
	s_cbranch_execz .LBB60_305
; %bb.304:
	scratch_load_b32 v3, off, off offset:136
	scratch_store_b32 off, v2, off offset:136
	s_waitcnt vmcnt(0)
	ds_store_b32 v1, v3
.LBB60_305:
	s_or_b32 exec_lo, exec_lo, s0
	s_waitcnt lgkmcnt(0)
	s_waitcnt_vscnt null, 0x0
	s_barrier
	buffer_gl0_inv
	s_clause 0x6
	scratch_load_b128 v[127:130], off, off offset:136
	scratch_load_b128 v[131:134], off, off offset:152
	;; [unrolled: 1-line block ×6, first 2 shown]
	scratch_load_b96 v[151:153], off, off offset:232
	ds_load_2addr_b32 v[3:4], v2 offset0:99 offset1:100
	ds_load_2addr_b32 v[154:155], v2 offset0:101 offset1:102
	;; [unrolled: 1-line block ×4, first 2 shown]
	s_mov_b32 s0, exec_lo
	s_waitcnt vmcnt(6) lgkmcnt(3)
	v_fma_f32 v160, v128, v3, 0
	s_delay_alu instid0(VALU_DEP_1)
	v_fmac_f32_e32 v160, v129, v4
	ds_load_2addr_b32 v[3:4], v2 offset0:107 offset1:108
	ds_load_2addr_b32 v[128:129], v2 offset0:109 offset1:110
	s_waitcnt lgkmcnt(4)
	v_fmac_f32_e32 v160, v130, v154
	s_waitcnt vmcnt(5)
	s_delay_alu instid0(VALU_DEP_1) | instskip(SKIP_1) | instid1(VALU_DEP_1)
	v_fmac_f32_e32 v160, v131, v155
	s_waitcnt lgkmcnt(3)
	v_fmac_f32_e32 v160, v132, v156
	s_delay_alu instid0(VALU_DEP_1)
	v_fmac_f32_e32 v160, v133, v157
	ds_load_2addr_b32 v[130:131], v2 offset0:111 offset1:112
	ds_load_2addr_b32 v[132:133], v2 offset0:113 offset1:114
	s_waitcnt lgkmcnt(4)
	v_fmac_f32_e32 v160, v134, v158
	s_waitcnt vmcnt(4)
	s_delay_alu instid0(VALU_DEP_1) | instskip(SKIP_1) | instid1(VALU_DEP_1)
	v_fmac_f32_e32 v160, v135, v159
	s_waitcnt lgkmcnt(3)
	v_fmac_f32_e32 v160, v136, v3
	s_delay_alu instid0(VALU_DEP_1) | instskip(SKIP_4) | instid1(VALU_DEP_1)
	v_fmac_f32_e32 v160, v137, v4
	ds_load_2addr_b32 v[3:4], v2 offset0:115 offset1:116
	s_waitcnt lgkmcnt(3)
	v_fmac_f32_e32 v160, v138, v128
	s_waitcnt vmcnt(3)
	v_fmac_f32_e32 v160, v139, v129
	ds_load_2addr_b32 v[128:129], v2 offset0:117 offset1:118
	s_waitcnt lgkmcnt(3)
	v_fmac_f32_e32 v160, v140, v130
	s_delay_alu instid0(VALU_DEP_1) | instskip(SKIP_1) | instid1(VALU_DEP_1)
	v_fmac_f32_e32 v160, v141, v131
	s_waitcnt lgkmcnt(2)
	v_fmac_f32_e32 v160, v142, v132
	s_waitcnt vmcnt(2)
	s_delay_alu instid0(VALU_DEP_1)
	v_fmac_f32_e32 v160, v143, v133
	ds_load_2addr_b32 v[130:131], v2 offset0:119 offset1:120
	ds_load_2addr_b32 v[132:133], v2 offset0:121 offset1:122
	s_waitcnt lgkmcnt(3)
	v_fmac_f32_e32 v160, v144, v3
	ds_load_2addr_b32 v[2:3], v2 offset0:123 offset1:124
	v_fmac_f32_e32 v160, v145, v4
	s_waitcnt lgkmcnt(3)
	s_delay_alu instid0(VALU_DEP_1) | instskip(SKIP_1) | instid1(VALU_DEP_1)
	v_fmac_f32_e32 v160, v146, v128
	s_waitcnt vmcnt(1)
	v_fmac_f32_e32 v160, v147, v129
	s_waitcnt lgkmcnt(2)
	s_delay_alu instid0(VALU_DEP_1) | instskip(NEXT) | instid1(VALU_DEP_1)
	v_fmac_f32_e32 v160, v148, v130
	v_fmac_f32_e32 v160, v149, v131
	s_waitcnt lgkmcnt(1)
	s_delay_alu instid0(VALU_DEP_1) | instskip(SKIP_1) | instid1(VALU_DEP_1)
	v_fmac_f32_e32 v160, v150, v132
	s_waitcnt vmcnt(0)
	v_fmac_f32_e32 v160, v151, v133
	s_waitcnt lgkmcnt(0)
	s_delay_alu instid0(VALU_DEP_1) | instskip(NEXT) | instid1(VALU_DEP_1)
	v_fmac_f32_e32 v160, v152, v2
	v_fmac_f32_e32 v160, v153, v3
	s_delay_alu instid0(VALU_DEP_1)
	v_sub_f32_e32 v2, v127, v160
	scratch_store_b32 off, v2, off offset:136
	v_cmpx_lt_u32_e32 33, v0
	s_cbranch_execz .LBB60_307
; %bb.306:
	scratch_load_b32 v2, off, off offset:132
	v_mov_b32_e32 v3, 0
	scratch_store_b32 off, v3, off offset:132
	s_waitcnt vmcnt(0)
	ds_store_b32 v1, v2
.LBB60_307:
	s_or_b32 exec_lo, exec_lo, s0
	s_waitcnt lgkmcnt(0)
	s_waitcnt_vscnt null, 0x0
	s_barrier
	buffer_gl0_inv
	s_clause 0x6
	scratch_load_b128 v[127:130], off, off offset:132
	scratch_load_b128 v[131:134], off, off offset:148
	;; [unrolled: 1-line block ×7, first 2 shown]
	v_mov_b32_e32 v2, 0
	ds_load_2addr_b64 v[155:158], v2 offset0:49 offset1:50
	ds_load_2addr_b64 v[159:162], v2 offset0:51 offset1:52
	s_mov_b32 s0, exec_lo
	s_waitcnt vmcnt(6) lgkmcnt(1)
	v_fma_f32 v155, v128, v155, 0
	s_delay_alu instid0(VALU_DEP_1) | instskip(SKIP_3) | instid1(VALU_DEP_1)
	v_fmac_f32_e32 v155, v129, v156
	ds_load_b64 v[3:4], v2 offset:488
	v_fmac_f32_e32 v155, v130, v157
	s_waitcnt vmcnt(5)
	v_fmac_f32_e32 v155, v131, v158
	ds_load_2addr_b64 v[128:131], v2 offset0:53 offset1:54
	s_waitcnt lgkmcnt(2)
	v_fmac_f32_e32 v155, v132, v159
	s_delay_alu instid0(VALU_DEP_1) | instskip(NEXT) | instid1(VALU_DEP_1)
	v_fmac_f32_e32 v155, v133, v160
	v_fmac_f32_e32 v155, v134, v161
	s_waitcnt vmcnt(4)
	s_delay_alu instid0(VALU_DEP_1) | instskip(SKIP_3) | instid1(VALU_DEP_1)
	v_fmac_f32_e32 v155, v135, v162
	ds_load_2addr_b64 v[132:135], v2 offset0:55 offset1:56
	s_waitcnt lgkmcnt(1)
	v_fmac_f32_e32 v155, v136, v128
	v_fmac_f32_e32 v155, v137, v129
	s_delay_alu instid0(VALU_DEP_1) | instskip(SKIP_1) | instid1(VALU_DEP_1)
	v_fmac_f32_e32 v155, v138, v130
	s_waitcnt vmcnt(3)
	v_fmac_f32_e32 v155, v139, v131
	ds_load_2addr_b64 v[128:131], v2 offset0:57 offset1:58
	s_waitcnt lgkmcnt(1)
	v_fmac_f32_e32 v155, v140, v132
	s_delay_alu instid0(VALU_DEP_1) | instskip(NEXT) | instid1(VALU_DEP_1)
	v_fmac_f32_e32 v155, v141, v133
	v_fmac_f32_e32 v155, v142, v134
	s_waitcnt vmcnt(2)
	s_delay_alu instid0(VALU_DEP_1)
	v_fmac_f32_e32 v155, v143, v135
	ds_load_2addr_b64 v[132:135], v2 offset0:59 offset1:60
	s_waitcnt lgkmcnt(1)
	v_fmac_f32_e32 v155, v144, v128
	ds_load_b32 v128, v2 offset:496
	v_fmac_f32_e32 v155, v145, v129
	s_delay_alu instid0(VALU_DEP_1) | instskip(SKIP_1) | instid1(VALU_DEP_1)
	v_fmac_f32_e32 v155, v146, v130
	s_waitcnt vmcnt(1)
	v_fmac_f32_e32 v155, v147, v131
	s_waitcnt lgkmcnt(1)
	s_delay_alu instid0(VALU_DEP_1) | instskip(NEXT) | instid1(VALU_DEP_1)
	v_fmac_f32_e32 v155, v148, v132
	v_fmac_f32_e32 v155, v149, v133
	s_delay_alu instid0(VALU_DEP_1) | instskip(SKIP_1) | instid1(VALU_DEP_1)
	v_fmac_f32_e32 v155, v150, v134
	s_waitcnt vmcnt(0)
	v_fmac_f32_e32 v155, v151, v135
	s_delay_alu instid0(VALU_DEP_1) | instskip(NEXT) | instid1(VALU_DEP_1)
	v_fmac_f32_e32 v155, v152, v3
	v_fmac_f32_e32 v155, v153, v4
	s_waitcnt lgkmcnt(0)
	s_delay_alu instid0(VALU_DEP_1) | instskip(NEXT) | instid1(VALU_DEP_1)
	v_fmac_f32_e32 v155, v154, v128
	v_sub_f32_e32 v3, v127, v155
	scratch_store_b32 off, v3, off offset:132
	v_cmpx_lt_u32_e32 32, v0
	s_cbranch_execz .LBB60_309
; %bb.308:
	scratch_load_b32 v3, off, off offset:128
	scratch_store_b32 off, v2, off offset:128
	s_waitcnt vmcnt(0)
	ds_store_b32 v1, v3
.LBB60_309:
	s_or_b32 exec_lo, exec_lo, s0
	s_waitcnt lgkmcnt(0)
	s_waitcnt_vscnt null, 0x0
	s_barrier
	buffer_gl0_inv
	s_clause 0x7
	scratch_load_b128 v[127:130], off, off offset:128
	scratch_load_b128 v[131:134], off, off offset:144
	;; [unrolled: 1-line block ×7, first 2 shown]
	scratch_load_b32 v161, off, off offset:240
	ds_load_2addr_b32 v[3:4], v2 offset0:97 offset1:98
	ds_load_2addr_b32 v[155:156], v2 offset0:99 offset1:100
	;; [unrolled: 1-line block ×4, first 2 shown]
	s_mov_b32 s0, exec_lo
	s_waitcnt vmcnt(7) lgkmcnt(3)
	v_fma_f32 v162, v128, v3, 0
	s_delay_alu instid0(VALU_DEP_1)
	v_fmac_f32_e32 v162, v129, v4
	ds_load_2addr_b32 v[3:4], v2 offset0:105 offset1:106
	ds_load_2addr_b32 v[128:129], v2 offset0:107 offset1:108
	s_waitcnt lgkmcnt(4)
	v_fmac_f32_e32 v162, v130, v155
	s_waitcnt vmcnt(6)
	s_delay_alu instid0(VALU_DEP_1) | instskip(SKIP_1) | instid1(VALU_DEP_1)
	v_fmac_f32_e32 v162, v131, v156
	s_waitcnt lgkmcnt(3)
	v_fmac_f32_e32 v162, v132, v157
	s_delay_alu instid0(VALU_DEP_1)
	v_fmac_f32_e32 v162, v133, v158
	ds_load_2addr_b32 v[130:131], v2 offset0:109 offset1:110
	ds_load_2addr_b32 v[132:133], v2 offset0:111 offset1:112
	s_waitcnt lgkmcnt(4)
	v_fmac_f32_e32 v162, v134, v159
	s_waitcnt vmcnt(5)
	s_delay_alu instid0(VALU_DEP_1) | instskip(SKIP_1) | instid1(VALU_DEP_1)
	v_fmac_f32_e32 v162, v135, v160
	s_waitcnt lgkmcnt(3)
	v_fmac_f32_e32 v162, v136, v3
	s_delay_alu instid0(VALU_DEP_1) | instskip(SKIP_4) | instid1(VALU_DEP_1)
	v_fmac_f32_e32 v162, v137, v4
	ds_load_2addr_b32 v[3:4], v2 offset0:113 offset1:114
	s_waitcnt lgkmcnt(3)
	v_fmac_f32_e32 v162, v138, v128
	s_waitcnt vmcnt(4)
	v_fmac_f32_e32 v162, v139, v129
	ds_load_2addr_b32 v[128:129], v2 offset0:115 offset1:116
	s_waitcnt lgkmcnt(3)
	v_fmac_f32_e32 v162, v140, v130
	s_delay_alu instid0(VALU_DEP_1) | instskip(SKIP_1) | instid1(VALU_DEP_1)
	v_fmac_f32_e32 v162, v141, v131
	s_waitcnt lgkmcnt(2)
	v_fmac_f32_e32 v162, v142, v132
	s_waitcnt vmcnt(3)
	s_delay_alu instid0(VALU_DEP_1) | instskip(SKIP_4) | instid1(VALU_DEP_1)
	v_fmac_f32_e32 v162, v143, v133
	ds_load_2addr_b32 v[130:131], v2 offset0:117 offset1:118
	ds_load_2addr_b32 v[132:133], v2 offset0:119 offset1:120
	s_waitcnt lgkmcnt(3)
	v_fmac_f32_e32 v162, v144, v3
	v_fmac_f32_e32 v162, v145, v4
	ds_load_2addr_b32 v[3:4], v2 offset0:121 offset1:122
	s_waitcnt lgkmcnt(3)
	v_fmac_f32_e32 v162, v146, v128
	s_waitcnt vmcnt(2)
	s_delay_alu instid0(VALU_DEP_1) | instskip(SKIP_3) | instid1(VALU_DEP_1)
	v_fmac_f32_e32 v162, v147, v129
	ds_load_2addr_b32 v[128:129], v2 offset0:123 offset1:124
	s_waitcnt lgkmcnt(3)
	v_fmac_f32_e32 v162, v148, v130
	v_fmac_f32_e32 v162, v149, v131
	s_waitcnt lgkmcnt(2)
	s_delay_alu instid0(VALU_DEP_1) | instskip(SKIP_1) | instid1(VALU_DEP_1)
	v_fmac_f32_e32 v162, v150, v132
	s_waitcnt vmcnt(1)
	v_fmac_f32_e32 v162, v151, v133
	s_waitcnt lgkmcnt(1)
	s_delay_alu instid0(VALU_DEP_1) | instskip(NEXT) | instid1(VALU_DEP_1)
	v_fmac_f32_e32 v162, v152, v3
	v_fmac_f32_e32 v162, v153, v4
	s_waitcnt lgkmcnt(0)
	s_delay_alu instid0(VALU_DEP_1) | instskip(SKIP_1) | instid1(VALU_DEP_1)
	v_fmac_f32_e32 v162, v154, v128
	s_waitcnt vmcnt(0)
	v_fmac_f32_e32 v162, v161, v129
	s_delay_alu instid0(VALU_DEP_1)
	v_sub_f32_e32 v2, v127, v162
	scratch_store_b32 off, v2, off offset:128
	v_cmpx_lt_u32_e32 31, v0
	s_cbranch_execz .LBB60_311
; %bb.310:
	scratch_load_b32 v2, off, off offset:124
	v_mov_b32_e32 v3, 0
	scratch_store_b32 off, v3, off offset:124
	s_waitcnt vmcnt(0)
	ds_store_b32 v1, v2
.LBB60_311:
	s_or_b32 exec_lo, exec_lo, s0
	s_waitcnt lgkmcnt(0)
	s_waitcnt_vscnt null, 0x0
	s_barrier
	buffer_gl0_inv
	s_clause 0x7
	scratch_load_b128 v[127:130], off, off offset:124
	scratch_load_b128 v[131:134], off, off offset:140
	;; [unrolled: 1-line block ×7, first 2 shown]
	scratch_load_b64 v[3:4], off, off offset:236
	v_mov_b32_e32 v2, 0
	ds_load_b128 v[155:158], v2 offset:384
	ds_load_b128 v[159:162], v2 offset:400
	s_mov_b32 s0, exec_lo
	s_waitcnt vmcnt(7) lgkmcnt(1)
	v_fma_f32 v155, v128, v155, 0
	s_delay_alu instid0(VALU_DEP_1) | instskip(NEXT) | instid1(VALU_DEP_1)
	v_fmac_f32_e32 v155, v129, v156
	v_fmac_f32_e32 v155, v130, v157
	s_waitcnt vmcnt(6)
	s_delay_alu instid0(VALU_DEP_1) | instskip(SKIP_3) | instid1(VALU_DEP_1)
	v_fmac_f32_e32 v155, v131, v158
	ds_load_b128 v[128:131], v2 offset:416
	s_waitcnt lgkmcnt(1)
	v_fmac_f32_e32 v155, v132, v159
	v_fmac_f32_e32 v155, v133, v160
	s_delay_alu instid0(VALU_DEP_1) | instskip(SKIP_1) | instid1(VALU_DEP_1)
	v_fmac_f32_e32 v155, v134, v161
	s_waitcnt vmcnt(5)
	v_fmac_f32_e32 v155, v135, v162
	ds_load_b128 v[132:135], v2 offset:432
	s_waitcnt lgkmcnt(1)
	v_fmac_f32_e32 v155, v136, v128
	s_delay_alu instid0(VALU_DEP_1) | instskip(NEXT) | instid1(VALU_DEP_1)
	v_fmac_f32_e32 v155, v137, v129
	v_fmac_f32_e32 v155, v138, v130
	s_waitcnt vmcnt(4)
	s_delay_alu instid0(VALU_DEP_1) | instskip(SKIP_3) | instid1(VALU_DEP_1)
	v_fmac_f32_e32 v155, v139, v131
	ds_load_b128 v[128:131], v2 offset:448
	s_waitcnt lgkmcnt(1)
	v_fmac_f32_e32 v155, v140, v132
	v_fmac_f32_e32 v155, v141, v133
	s_delay_alu instid0(VALU_DEP_1) | instskip(SKIP_1) | instid1(VALU_DEP_1)
	v_fmac_f32_e32 v155, v142, v134
	s_waitcnt vmcnt(3)
	v_fmac_f32_e32 v155, v143, v135
	ds_load_b128 v[132:135], v2 offset:464
	s_waitcnt lgkmcnt(1)
	v_fmac_f32_e32 v155, v144, v128
	s_delay_alu instid0(VALU_DEP_1) | instskip(NEXT) | instid1(VALU_DEP_1)
	v_fmac_f32_e32 v155, v145, v129
	v_fmac_f32_e32 v155, v146, v130
	s_waitcnt vmcnt(2)
	s_delay_alu instid0(VALU_DEP_1)
	v_fmac_f32_e32 v155, v147, v131
	ds_load_b128 v[128:131], v2 offset:480
	s_waitcnt lgkmcnt(1)
	v_fmac_f32_e32 v155, v148, v132
	ds_load_b32 v132, v2 offset:496
	v_fmac_f32_e32 v155, v149, v133
	s_delay_alu instid0(VALU_DEP_1) | instskip(SKIP_1) | instid1(VALU_DEP_1)
	v_fmac_f32_e32 v155, v150, v134
	s_waitcnt vmcnt(1)
	v_fmac_f32_e32 v155, v151, v135
	s_waitcnt lgkmcnt(1)
	s_delay_alu instid0(VALU_DEP_1) | instskip(NEXT) | instid1(VALU_DEP_1)
	v_fmac_f32_e32 v155, v152, v128
	v_fmac_f32_e32 v155, v153, v129
	s_delay_alu instid0(VALU_DEP_1) | instskip(SKIP_1) | instid1(VALU_DEP_1)
	v_fmac_f32_e32 v155, v154, v130
	s_waitcnt vmcnt(0)
	v_fmac_f32_e32 v155, v3, v131
	s_waitcnt lgkmcnt(0)
	s_delay_alu instid0(VALU_DEP_1) | instskip(NEXT) | instid1(VALU_DEP_1)
	v_fmac_f32_e32 v155, v4, v132
	v_sub_f32_e32 v3, v127, v155
	scratch_store_b32 off, v3, off offset:124
	v_cmpx_lt_u32_e32 30, v0
	s_cbranch_execz .LBB60_313
; %bb.312:
	scratch_load_b32 v3, off, off offset:120
	scratch_store_b32 off, v2, off offset:120
	s_waitcnt vmcnt(0)
	ds_store_b32 v1, v3
.LBB60_313:
	s_or_b32 exec_lo, exec_lo, s0
	s_waitcnt lgkmcnt(0)
	s_waitcnt_vscnt null, 0x0
	s_barrier
	buffer_gl0_inv
	s_clause 0x7
	scratch_load_b128 v[127:130], off, off offset:120
	scratch_load_b128 v[131:134], off, off offset:136
	;; [unrolled: 1-line block ×7, first 2 shown]
	scratch_load_b96 v[155:157], off, off offset:232
	ds_load_2addr_b32 v[3:4], v2 offset0:95 offset1:96
	ds_load_2addr_b32 v[158:159], v2 offset0:97 offset1:98
	;; [unrolled: 1-line block ×4, first 2 shown]
	s_mov_b32 s0, exec_lo
	s_waitcnt vmcnt(7) lgkmcnt(3)
	v_fma_f32 v164, v128, v3, 0
	s_delay_alu instid0(VALU_DEP_1)
	v_fmac_f32_e32 v164, v129, v4
	ds_load_2addr_b32 v[3:4], v2 offset0:103 offset1:104
	ds_load_2addr_b32 v[128:129], v2 offset0:105 offset1:106
	s_waitcnt lgkmcnt(4)
	v_fmac_f32_e32 v164, v130, v158
	s_waitcnt vmcnt(6)
	s_delay_alu instid0(VALU_DEP_1) | instskip(SKIP_1) | instid1(VALU_DEP_1)
	v_fmac_f32_e32 v164, v131, v159
	s_waitcnt lgkmcnt(3)
	v_fmac_f32_e32 v164, v132, v160
	s_delay_alu instid0(VALU_DEP_1)
	v_fmac_f32_e32 v164, v133, v161
	ds_load_2addr_b32 v[130:131], v2 offset0:107 offset1:108
	ds_load_2addr_b32 v[132:133], v2 offset0:109 offset1:110
	s_waitcnt lgkmcnt(4)
	v_fmac_f32_e32 v164, v134, v162
	s_waitcnt vmcnt(5)
	s_delay_alu instid0(VALU_DEP_1) | instskip(SKIP_1) | instid1(VALU_DEP_1)
	v_fmac_f32_e32 v164, v135, v163
	s_waitcnt lgkmcnt(3)
	v_fmac_f32_e32 v164, v136, v3
	s_delay_alu instid0(VALU_DEP_1) | instskip(SKIP_4) | instid1(VALU_DEP_1)
	v_fmac_f32_e32 v164, v137, v4
	ds_load_2addr_b32 v[3:4], v2 offset0:111 offset1:112
	s_waitcnt lgkmcnt(3)
	v_fmac_f32_e32 v164, v138, v128
	s_waitcnt vmcnt(4)
	v_fmac_f32_e32 v164, v139, v129
	ds_load_2addr_b32 v[128:129], v2 offset0:113 offset1:114
	s_waitcnt lgkmcnt(3)
	v_fmac_f32_e32 v164, v140, v130
	s_delay_alu instid0(VALU_DEP_1) | instskip(SKIP_1) | instid1(VALU_DEP_1)
	v_fmac_f32_e32 v164, v141, v131
	s_waitcnt lgkmcnt(2)
	v_fmac_f32_e32 v164, v142, v132
	s_waitcnt vmcnt(3)
	s_delay_alu instid0(VALU_DEP_1) | instskip(SKIP_4) | instid1(VALU_DEP_1)
	v_fmac_f32_e32 v164, v143, v133
	ds_load_2addr_b32 v[130:131], v2 offset0:115 offset1:116
	ds_load_2addr_b32 v[132:133], v2 offset0:117 offset1:118
	s_waitcnt lgkmcnt(3)
	v_fmac_f32_e32 v164, v144, v3
	v_fmac_f32_e32 v164, v145, v4
	ds_load_2addr_b32 v[3:4], v2 offset0:119 offset1:120
	s_waitcnt lgkmcnt(3)
	v_fmac_f32_e32 v164, v146, v128
	s_waitcnt vmcnt(2)
	s_delay_alu instid0(VALU_DEP_1) | instskip(SKIP_3) | instid1(VALU_DEP_1)
	v_fmac_f32_e32 v164, v147, v129
	ds_load_2addr_b32 v[128:129], v2 offset0:121 offset1:122
	s_waitcnt lgkmcnt(3)
	v_fmac_f32_e32 v164, v148, v130
	v_fmac_f32_e32 v164, v149, v131
	ds_load_2addr_b32 v[130:131], v2 offset0:123 offset1:124
	s_waitcnt lgkmcnt(3)
	v_fmac_f32_e32 v164, v150, v132
	s_waitcnt vmcnt(1)
	s_delay_alu instid0(VALU_DEP_1) | instskip(SKIP_1) | instid1(VALU_DEP_1)
	v_fmac_f32_e32 v164, v151, v133
	s_waitcnt lgkmcnt(2)
	v_fmac_f32_e32 v164, v152, v3
	s_delay_alu instid0(VALU_DEP_1) | instskip(SKIP_1) | instid1(VALU_DEP_1)
	v_fmac_f32_e32 v164, v153, v4
	s_waitcnt lgkmcnt(1)
	v_fmac_f32_e32 v164, v154, v128
	s_waitcnt vmcnt(0)
	s_delay_alu instid0(VALU_DEP_1) | instskip(SKIP_1) | instid1(VALU_DEP_1)
	v_fmac_f32_e32 v164, v155, v129
	s_waitcnt lgkmcnt(0)
	v_fmac_f32_e32 v164, v156, v130
	s_delay_alu instid0(VALU_DEP_1) | instskip(NEXT) | instid1(VALU_DEP_1)
	v_fmac_f32_e32 v164, v157, v131
	v_sub_f32_e32 v2, v127, v164
	scratch_store_b32 off, v2, off offset:120
	v_cmpx_lt_u32_e32 29, v0
	s_cbranch_execz .LBB60_315
; %bb.314:
	scratch_load_b32 v2, off, off offset:116
	v_mov_b32_e32 v3, 0
	scratch_store_b32 off, v3, off offset:116
	s_waitcnt vmcnt(0)
	ds_store_b32 v1, v2
.LBB60_315:
	s_or_b32 exec_lo, exec_lo, s0
	s_waitcnt lgkmcnt(0)
	s_waitcnt_vscnt null, 0x0
	s_barrier
	buffer_gl0_inv
	s_clause 0x7
	scratch_load_b128 v[127:130], off, off offset:116
	scratch_load_b128 v[131:134], off, off offset:132
	;; [unrolled: 1-line block ×8, first 2 shown]
	v_mov_b32_e32 v2, 0
	ds_load_2addr_b64 v[159:162], v2 offset0:47 offset1:48
	ds_load_2addr_b64 v[163:166], v2 offset0:49 offset1:50
	s_mov_b32 s0, exec_lo
	s_waitcnt vmcnt(7) lgkmcnt(1)
	v_fma_f32 v159, v128, v159, 0
	s_delay_alu instid0(VALU_DEP_1) | instskip(SKIP_3) | instid1(VALU_DEP_1)
	v_fmac_f32_e32 v159, v129, v160
	ds_load_b64 v[3:4], v2 offset:488
	v_fmac_f32_e32 v159, v130, v161
	s_waitcnt vmcnt(6)
	v_fmac_f32_e32 v159, v131, v162
	ds_load_2addr_b64 v[128:131], v2 offset0:51 offset1:52
	s_waitcnt lgkmcnt(2)
	v_fmac_f32_e32 v159, v132, v163
	s_delay_alu instid0(VALU_DEP_1) | instskip(NEXT) | instid1(VALU_DEP_1)
	v_fmac_f32_e32 v159, v133, v164
	v_fmac_f32_e32 v159, v134, v165
	s_waitcnt vmcnt(5)
	s_delay_alu instid0(VALU_DEP_1) | instskip(SKIP_3) | instid1(VALU_DEP_1)
	v_fmac_f32_e32 v159, v135, v166
	ds_load_2addr_b64 v[132:135], v2 offset0:53 offset1:54
	s_waitcnt lgkmcnt(1)
	v_fmac_f32_e32 v159, v136, v128
	v_fmac_f32_e32 v159, v137, v129
	s_delay_alu instid0(VALU_DEP_1) | instskip(SKIP_1) | instid1(VALU_DEP_1)
	v_fmac_f32_e32 v159, v138, v130
	s_waitcnt vmcnt(4)
	v_fmac_f32_e32 v159, v139, v131
	ds_load_2addr_b64 v[128:131], v2 offset0:55 offset1:56
	s_waitcnt lgkmcnt(1)
	v_fmac_f32_e32 v159, v140, v132
	s_delay_alu instid0(VALU_DEP_1) | instskip(NEXT) | instid1(VALU_DEP_1)
	v_fmac_f32_e32 v159, v141, v133
	v_fmac_f32_e32 v159, v142, v134
	s_waitcnt vmcnt(3)
	s_delay_alu instid0(VALU_DEP_1) | instskip(SKIP_3) | instid1(VALU_DEP_1)
	v_fmac_f32_e32 v159, v143, v135
	ds_load_2addr_b64 v[132:135], v2 offset0:57 offset1:58
	s_waitcnt lgkmcnt(1)
	v_fmac_f32_e32 v159, v144, v128
	v_fmac_f32_e32 v159, v145, v129
	s_delay_alu instid0(VALU_DEP_1) | instskip(SKIP_1) | instid1(VALU_DEP_1)
	v_fmac_f32_e32 v159, v146, v130
	s_waitcnt vmcnt(2)
	v_fmac_f32_e32 v159, v147, v131
	ds_load_2addr_b64 v[128:131], v2 offset0:59 offset1:60
	s_waitcnt lgkmcnt(1)
	v_fmac_f32_e32 v159, v148, v132
	s_delay_alu instid0(VALU_DEP_1) | instskip(NEXT) | instid1(VALU_DEP_1)
	v_fmac_f32_e32 v159, v149, v133
	v_fmac_f32_e32 v159, v150, v134
	s_waitcnt vmcnt(1)
	s_delay_alu instid0(VALU_DEP_1) | instskip(SKIP_1) | instid1(VALU_DEP_1)
	v_fmac_f32_e32 v159, v151, v135
	s_waitcnt lgkmcnt(0)
	v_fmac_f32_e32 v159, v152, v128
	ds_load_b32 v128, v2 offset:496
	v_fmac_f32_e32 v159, v153, v129
	s_delay_alu instid0(VALU_DEP_1) | instskip(SKIP_1) | instid1(VALU_DEP_1)
	v_fmac_f32_e32 v159, v154, v130
	s_waitcnt vmcnt(0)
	v_fmac_f32_e32 v159, v155, v131
	s_delay_alu instid0(VALU_DEP_1) | instskip(NEXT) | instid1(VALU_DEP_1)
	v_fmac_f32_e32 v159, v156, v3
	v_fmac_f32_e32 v159, v157, v4
	s_waitcnt lgkmcnt(0)
	s_delay_alu instid0(VALU_DEP_1) | instskip(NEXT) | instid1(VALU_DEP_1)
	v_fmac_f32_e32 v159, v158, v128
	v_sub_f32_e32 v3, v127, v159
	scratch_store_b32 off, v3, off offset:116
	v_cmpx_lt_u32_e32 28, v0
	s_cbranch_execz .LBB60_317
; %bb.316:
	scratch_load_b32 v3, off, off offset:112
	scratch_store_b32 off, v2, off offset:112
	s_waitcnt vmcnt(0)
	ds_store_b32 v1, v3
.LBB60_317:
	s_or_b32 exec_lo, exec_lo, s0
	s_waitcnt lgkmcnt(0)
	s_waitcnt_vscnt null, 0x0
	s_barrier
	buffer_gl0_inv
	s_clause 0x8
	scratch_load_b128 v[127:130], off, off offset:112
	scratch_load_b128 v[131:134], off, off offset:128
	;; [unrolled: 1-line block ×8, first 2 shown]
	scratch_load_b32 v165, off, off offset:240
	ds_load_2addr_b32 v[3:4], v2 offset0:93 offset1:94
	ds_load_2addr_b32 v[159:160], v2 offset0:95 offset1:96
	;; [unrolled: 1-line block ×4, first 2 shown]
	s_mov_b32 s0, exec_lo
	s_waitcnt vmcnt(8) lgkmcnt(3)
	v_fma_f32 v166, v128, v3, 0
	s_delay_alu instid0(VALU_DEP_1)
	v_fmac_f32_e32 v166, v129, v4
	ds_load_2addr_b32 v[3:4], v2 offset0:101 offset1:102
	ds_load_2addr_b32 v[128:129], v2 offset0:103 offset1:104
	s_waitcnt lgkmcnt(4)
	v_fmac_f32_e32 v166, v130, v159
	s_waitcnt vmcnt(7)
	s_delay_alu instid0(VALU_DEP_1) | instskip(SKIP_1) | instid1(VALU_DEP_1)
	v_fmac_f32_e32 v166, v131, v160
	s_waitcnt lgkmcnt(3)
	v_fmac_f32_e32 v166, v132, v161
	s_delay_alu instid0(VALU_DEP_1)
	v_fmac_f32_e32 v166, v133, v162
	ds_load_2addr_b32 v[130:131], v2 offset0:105 offset1:106
	ds_load_2addr_b32 v[132:133], v2 offset0:107 offset1:108
	s_waitcnt lgkmcnt(4)
	v_fmac_f32_e32 v166, v134, v163
	s_waitcnt vmcnt(6)
	s_delay_alu instid0(VALU_DEP_1) | instskip(SKIP_1) | instid1(VALU_DEP_1)
	v_fmac_f32_e32 v166, v135, v164
	s_waitcnt lgkmcnt(3)
	v_fmac_f32_e32 v166, v136, v3
	s_delay_alu instid0(VALU_DEP_1) | instskip(SKIP_4) | instid1(VALU_DEP_1)
	v_fmac_f32_e32 v166, v137, v4
	ds_load_2addr_b32 v[3:4], v2 offset0:109 offset1:110
	s_waitcnt lgkmcnt(3)
	v_fmac_f32_e32 v166, v138, v128
	s_waitcnt vmcnt(5)
	v_fmac_f32_e32 v166, v139, v129
	ds_load_2addr_b32 v[128:129], v2 offset0:111 offset1:112
	s_waitcnt lgkmcnt(3)
	v_fmac_f32_e32 v166, v140, v130
	s_delay_alu instid0(VALU_DEP_1) | instskip(SKIP_1) | instid1(VALU_DEP_1)
	v_fmac_f32_e32 v166, v141, v131
	s_waitcnt lgkmcnt(2)
	v_fmac_f32_e32 v166, v142, v132
	s_waitcnt vmcnt(4)
	s_delay_alu instid0(VALU_DEP_1) | instskip(SKIP_4) | instid1(VALU_DEP_1)
	v_fmac_f32_e32 v166, v143, v133
	ds_load_2addr_b32 v[130:131], v2 offset0:113 offset1:114
	ds_load_2addr_b32 v[132:133], v2 offset0:115 offset1:116
	s_waitcnt lgkmcnt(3)
	v_fmac_f32_e32 v166, v144, v3
	v_fmac_f32_e32 v166, v145, v4
	ds_load_2addr_b32 v[3:4], v2 offset0:117 offset1:118
	s_waitcnt lgkmcnt(3)
	v_fmac_f32_e32 v166, v146, v128
	s_waitcnt vmcnt(3)
	s_delay_alu instid0(VALU_DEP_1) | instskip(SKIP_3) | instid1(VALU_DEP_1)
	v_fmac_f32_e32 v166, v147, v129
	ds_load_2addr_b32 v[128:129], v2 offset0:119 offset1:120
	s_waitcnt lgkmcnt(3)
	v_fmac_f32_e32 v166, v148, v130
	v_fmac_f32_e32 v166, v149, v131
	s_waitcnt lgkmcnt(2)
	s_delay_alu instid0(VALU_DEP_1) | instskip(SKIP_1) | instid1(VALU_DEP_1)
	v_fmac_f32_e32 v166, v150, v132
	s_waitcnt vmcnt(2)
	v_fmac_f32_e32 v166, v151, v133
	ds_load_2addr_b32 v[130:131], v2 offset0:121 offset1:122
	ds_load_2addr_b32 v[132:133], v2 offset0:123 offset1:124
	s_waitcnt lgkmcnt(3)
	v_fmac_f32_e32 v166, v152, v3
	s_delay_alu instid0(VALU_DEP_1) | instskip(SKIP_1) | instid1(VALU_DEP_1)
	v_fmac_f32_e32 v166, v153, v4
	s_waitcnt lgkmcnt(2)
	v_fmac_f32_e32 v166, v154, v128
	s_waitcnt vmcnt(1)
	s_delay_alu instid0(VALU_DEP_1) | instskip(SKIP_1) | instid1(VALU_DEP_1)
	v_fmac_f32_e32 v166, v155, v129
	s_waitcnt lgkmcnt(1)
	v_fmac_f32_e32 v166, v156, v130
	s_delay_alu instid0(VALU_DEP_1) | instskip(SKIP_1) | instid1(VALU_DEP_1)
	v_fmac_f32_e32 v166, v157, v131
	s_waitcnt lgkmcnt(0)
	v_fmac_f32_e32 v166, v158, v132
	s_waitcnt vmcnt(0)
	s_delay_alu instid0(VALU_DEP_1) | instskip(NEXT) | instid1(VALU_DEP_1)
	v_fmac_f32_e32 v166, v165, v133
	v_sub_f32_e32 v2, v127, v166
	scratch_store_b32 off, v2, off offset:112
	v_cmpx_lt_u32_e32 27, v0
	s_cbranch_execz .LBB60_319
; %bb.318:
	scratch_load_b32 v2, off, off offset:108
	v_mov_b32_e32 v3, 0
	scratch_store_b32 off, v3, off offset:108
	s_waitcnt vmcnt(0)
	ds_store_b32 v1, v2
.LBB60_319:
	s_or_b32 exec_lo, exec_lo, s0
	s_waitcnt lgkmcnt(0)
	s_waitcnt_vscnt null, 0x0
	s_barrier
	buffer_gl0_inv
	s_clause 0x8
	scratch_load_b128 v[127:130], off, off offset:108
	scratch_load_b128 v[131:134], off, off offset:124
	;; [unrolled: 1-line block ×8, first 2 shown]
	scratch_load_b64 v[3:4], off, off offset:236
	v_mov_b32_e32 v2, 0
	ds_load_b128 v[159:162], v2 offset:368
	ds_load_b128 v[163:166], v2 offset:384
	s_mov_b32 s0, exec_lo
	s_waitcnt vmcnt(8) lgkmcnt(1)
	v_fma_f32 v159, v128, v159, 0
	s_delay_alu instid0(VALU_DEP_1) | instskip(NEXT) | instid1(VALU_DEP_1)
	v_fmac_f32_e32 v159, v129, v160
	v_fmac_f32_e32 v159, v130, v161
	s_waitcnt vmcnt(7)
	s_delay_alu instid0(VALU_DEP_1) | instskip(SKIP_3) | instid1(VALU_DEP_1)
	v_fmac_f32_e32 v159, v131, v162
	ds_load_b128 v[128:131], v2 offset:400
	s_waitcnt lgkmcnt(1)
	v_fmac_f32_e32 v159, v132, v163
	v_fmac_f32_e32 v159, v133, v164
	s_delay_alu instid0(VALU_DEP_1) | instskip(SKIP_1) | instid1(VALU_DEP_1)
	v_fmac_f32_e32 v159, v134, v165
	s_waitcnt vmcnt(6)
	v_fmac_f32_e32 v159, v135, v166
	ds_load_b128 v[132:135], v2 offset:416
	s_waitcnt lgkmcnt(1)
	v_fmac_f32_e32 v159, v136, v128
	s_delay_alu instid0(VALU_DEP_1) | instskip(NEXT) | instid1(VALU_DEP_1)
	v_fmac_f32_e32 v159, v137, v129
	v_fmac_f32_e32 v159, v138, v130
	s_waitcnt vmcnt(5)
	s_delay_alu instid0(VALU_DEP_1) | instskip(SKIP_3) | instid1(VALU_DEP_1)
	v_fmac_f32_e32 v159, v139, v131
	ds_load_b128 v[128:131], v2 offset:432
	s_waitcnt lgkmcnt(1)
	v_fmac_f32_e32 v159, v140, v132
	v_fmac_f32_e32 v159, v141, v133
	s_delay_alu instid0(VALU_DEP_1) | instskip(SKIP_1) | instid1(VALU_DEP_1)
	v_fmac_f32_e32 v159, v142, v134
	s_waitcnt vmcnt(4)
	v_fmac_f32_e32 v159, v143, v135
	ds_load_b128 v[132:135], v2 offset:448
	s_waitcnt lgkmcnt(1)
	v_fmac_f32_e32 v159, v144, v128
	;; [unrolled: 17-line block ×3, first 2 shown]
	ds_load_b32 v128, v2 offset:496
	v_fmac_f32_e32 v159, v153, v129
	s_delay_alu instid0(VALU_DEP_1) | instskip(SKIP_1) | instid1(VALU_DEP_1)
	v_fmac_f32_e32 v159, v154, v130
	s_waitcnt vmcnt(1)
	v_fmac_f32_e32 v159, v155, v131
	s_waitcnt lgkmcnt(1)
	s_delay_alu instid0(VALU_DEP_1) | instskip(NEXT) | instid1(VALU_DEP_1)
	v_fmac_f32_e32 v159, v156, v132
	v_fmac_f32_e32 v159, v157, v133
	s_delay_alu instid0(VALU_DEP_1) | instskip(SKIP_1) | instid1(VALU_DEP_1)
	v_fmac_f32_e32 v159, v158, v134
	s_waitcnt vmcnt(0)
	v_fmac_f32_e32 v159, v3, v135
	s_waitcnt lgkmcnt(0)
	s_delay_alu instid0(VALU_DEP_1) | instskip(NEXT) | instid1(VALU_DEP_1)
	v_fmac_f32_e32 v159, v4, v128
	v_sub_f32_e32 v3, v127, v159
	scratch_store_b32 off, v3, off offset:108
	v_cmpx_lt_u32_e32 26, v0
	s_cbranch_execz .LBB60_321
; %bb.320:
	scratch_load_b32 v3, off, off offset:104
	scratch_store_b32 off, v2, off offset:104
	s_waitcnt vmcnt(0)
	ds_store_b32 v1, v3
.LBB60_321:
	s_or_b32 exec_lo, exec_lo, s0
	s_waitcnt lgkmcnt(0)
	s_waitcnt_vscnt null, 0x0
	s_barrier
	buffer_gl0_inv
	s_clause 0x8
	scratch_load_b128 v[127:130], off, off offset:104
	scratch_load_b128 v[131:134], off, off offset:120
	;; [unrolled: 1-line block ×8, first 2 shown]
	scratch_load_b96 v[159:161], off, off offset:232
	ds_load_2addr_b32 v[3:4], v2 offset0:91 offset1:92
	ds_load_2addr_b32 v[162:163], v2 offset0:93 offset1:94
	;; [unrolled: 1-line block ×4, first 2 shown]
	s_mov_b32 s0, exec_lo
	s_waitcnt vmcnt(8) lgkmcnt(3)
	v_fma_f32 v168, v128, v3, 0
	s_delay_alu instid0(VALU_DEP_1)
	v_fmac_f32_e32 v168, v129, v4
	ds_load_2addr_b32 v[3:4], v2 offset0:99 offset1:100
	ds_load_2addr_b32 v[128:129], v2 offset0:101 offset1:102
	s_waitcnt lgkmcnt(4)
	v_fmac_f32_e32 v168, v130, v162
	s_waitcnt vmcnt(7)
	s_delay_alu instid0(VALU_DEP_1) | instskip(SKIP_1) | instid1(VALU_DEP_1)
	v_fmac_f32_e32 v168, v131, v163
	s_waitcnt lgkmcnt(3)
	v_fmac_f32_e32 v168, v132, v164
	s_delay_alu instid0(VALU_DEP_1)
	v_fmac_f32_e32 v168, v133, v165
	ds_load_2addr_b32 v[130:131], v2 offset0:103 offset1:104
	ds_load_2addr_b32 v[132:133], v2 offset0:105 offset1:106
	s_waitcnt lgkmcnt(4)
	v_fmac_f32_e32 v168, v134, v166
	s_waitcnt vmcnt(6)
	s_delay_alu instid0(VALU_DEP_1) | instskip(SKIP_1) | instid1(VALU_DEP_1)
	v_fmac_f32_e32 v168, v135, v167
	s_waitcnt lgkmcnt(3)
	v_fmac_f32_e32 v168, v136, v3
	s_delay_alu instid0(VALU_DEP_1) | instskip(SKIP_4) | instid1(VALU_DEP_1)
	v_fmac_f32_e32 v168, v137, v4
	ds_load_2addr_b32 v[3:4], v2 offset0:107 offset1:108
	s_waitcnt lgkmcnt(3)
	v_fmac_f32_e32 v168, v138, v128
	s_waitcnt vmcnt(5)
	v_fmac_f32_e32 v168, v139, v129
	ds_load_2addr_b32 v[128:129], v2 offset0:109 offset1:110
	s_waitcnt lgkmcnt(3)
	v_fmac_f32_e32 v168, v140, v130
	s_delay_alu instid0(VALU_DEP_1) | instskip(SKIP_1) | instid1(VALU_DEP_1)
	v_fmac_f32_e32 v168, v141, v131
	s_waitcnt lgkmcnt(2)
	v_fmac_f32_e32 v168, v142, v132
	s_waitcnt vmcnt(4)
	s_delay_alu instid0(VALU_DEP_1) | instskip(SKIP_4) | instid1(VALU_DEP_1)
	v_fmac_f32_e32 v168, v143, v133
	ds_load_2addr_b32 v[130:131], v2 offset0:111 offset1:112
	ds_load_2addr_b32 v[132:133], v2 offset0:113 offset1:114
	s_waitcnt lgkmcnt(3)
	v_fmac_f32_e32 v168, v144, v3
	v_fmac_f32_e32 v168, v145, v4
	ds_load_2addr_b32 v[3:4], v2 offset0:115 offset1:116
	s_waitcnt lgkmcnt(3)
	v_fmac_f32_e32 v168, v146, v128
	s_waitcnt vmcnt(3)
	s_delay_alu instid0(VALU_DEP_1) | instskip(SKIP_3) | instid1(VALU_DEP_1)
	v_fmac_f32_e32 v168, v147, v129
	ds_load_2addr_b32 v[128:129], v2 offset0:117 offset1:118
	s_waitcnt lgkmcnt(3)
	v_fmac_f32_e32 v168, v148, v130
	v_fmac_f32_e32 v168, v149, v131
	s_waitcnt lgkmcnt(2)
	s_delay_alu instid0(VALU_DEP_1) | instskip(SKIP_1) | instid1(VALU_DEP_1)
	v_fmac_f32_e32 v168, v150, v132
	s_waitcnt vmcnt(2)
	v_fmac_f32_e32 v168, v151, v133
	ds_load_2addr_b32 v[130:131], v2 offset0:119 offset1:120
	ds_load_2addr_b32 v[132:133], v2 offset0:121 offset1:122
	s_waitcnt lgkmcnt(3)
	v_fmac_f32_e32 v168, v152, v3
	ds_load_2addr_b32 v[2:3], v2 offset0:123 offset1:124
	v_fmac_f32_e32 v168, v153, v4
	s_waitcnt lgkmcnt(3)
	s_delay_alu instid0(VALU_DEP_1) | instskip(SKIP_1) | instid1(VALU_DEP_1)
	v_fmac_f32_e32 v168, v154, v128
	s_waitcnt vmcnt(1)
	v_fmac_f32_e32 v168, v155, v129
	s_waitcnt lgkmcnt(2)
	s_delay_alu instid0(VALU_DEP_1) | instskip(NEXT) | instid1(VALU_DEP_1)
	v_fmac_f32_e32 v168, v156, v130
	v_fmac_f32_e32 v168, v157, v131
	s_waitcnt lgkmcnt(1)
	s_delay_alu instid0(VALU_DEP_1) | instskip(SKIP_1) | instid1(VALU_DEP_1)
	v_fmac_f32_e32 v168, v158, v132
	s_waitcnt vmcnt(0)
	v_fmac_f32_e32 v168, v159, v133
	s_waitcnt lgkmcnt(0)
	s_delay_alu instid0(VALU_DEP_1) | instskip(NEXT) | instid1(VALU_DEP_1)
	v_fmac_f32_e32 v168, v160, v2
	v_fmac_f32_e32 v168, v161, v3
	s_delay_alu instid0(VALU_DEP_1)
	v_sub_f32_e32 v2, v127, v168
	scratch_store_b32 off, v2, off offset:104
	v_cmpx_lt_u32_e32 25, v0
	s_cbranch_execz .LBB60_323
; %bb.322:
	scratch_load_b32 v2, off, off offset:100
	v_mov_b32_e32 v3, 0
	scratch_store_b32 off, v3, off offset:100
	s_waitcnt vmcnt(0)
	ds_store_b32 v1, v2
.LBB60_323:
	s_or_b32 exec_lo, exec_lo, s0
	s_waitcnt lgkmcnt(0)
	s_waitcnt_vscnt null, 0x0
	s_barrier
	buffer_gl0_inv
	s_clause 0x8
	scratch_load_b128 v[127:130], off, off offset:100
	scratch_load_b128 v[131:134], off, off offset:116
	;; [unrolled: 1-line block ×9, first 2 shown]
	v_mov_b32_e32 v2, 0
	ds_load_2addr_b64 v[163:166], v2 offset0:45 offset1:46
	ds_load_2addr_b64 v[167:170], v2 offset0:47 offset1:48
	s_mov_b32 s0, exec_lo
	s_waitcnt vmcnt(8) lgkmcnt(1)
	v_fma_f32 v163, v128, v163, 0
	s_delay_alu instid0(VALU_DEP_1) | instskip(SKIP_3) | instid1(VALU_DEP_1)
	v_fmac_f32_e32 v163, v129, v164
	ds_load_b64 v[3:4], v2 offset:488
	v_fmac_f32_e32 v163, v130, v165
	s_waitcnt vmcnt(7)
	v_fmac_f32_e32 v163, v131, v166
	ds_load_2addr_b64 v[128:131], v2 offset0:49 offset1:50
	s_waitcnt lgkmcnt(2)
	v_fmac_f32_e32 v163, v132, v167
	s_delay_alu instid0(VALU_DEP_1) | instskip(NEXT) | instid1(VALU_DEP_1)
	v_fmac_f32_e32 v163, v133, v168
	v_fmac_f32_e32 v163, v134, v169
	s_waitcnt vmcnt(6)
	s_delay_alu instid0(VALU_DEP_1) | instskip(SKIP_3) | instid1(VALU_DEP_1)
	v_fmac_f32_e32 v163, v135, v170
	ds_load_2addr_b64 v[132:135], v2 offset0:51 offset1:52
	s_waitcnt lgkmcnt(1)
	v_fmac_f32_e32 v163, v136, v128
	v_fmac_f32_e32 v163, v137, v129
	s_delay_alu instid0(VALU_DEP_1) | instskip(SKIP_1) | instid1(VALU_DEP_1)
	v_fmac_f32_e32 v163, v138, v130
	s_waitcnt vmcnt(5)
	v_fmac_f32_e32 v163, v139, v131
	ds_load_2addr_b64 v[128:131], v2 offset0:53 offset1:54
	s_waitcnt lgkmcnt(1)
	v_fmac_f32_e32 v163, v140, v132
	s_delay_alu instid0(VALU_DEP_1) | instskip(NEXT) | instid1(VALU_DEP_1)
	v_fmac_f32_e32 v163, v141, v133
	v_fmac_f32_e32 v163, v142, v134
	s_waitcnt vmcnt(4)
	s_delay_alu instid0(VALU_DEP_1) | instskip(SKIP_3) | instid1(VALU_DEP_1)
	v_fmac_f32_e32 v163, v143, v135
	ds_load_2addr_b64 v[132:135], v2 offset0:55 offset1:56
	s_waitcnt lgkmcnt(1)
	v_fmac_f32_e32 v163, v144, v128
	v_fmac_f32_e32 v163, v145, v129
	s_delay_alu instid0(VALU_DEP_1) | instskip(SKIP_1) | instid1(VALU_DEP_1)
	v_fmac_f32_e32 v163, v146, v130
	s_waitcnt vmcnt(3)
	v_fmac_f32_e32 v163, v147, v131
	ds_load_2addr_b64 v[128:131], v2 offset0:57 offset1:58
	s_waitcnt lgkmcnt(1)
	v_fmac_f32_e32 v163, v148, v132
	s_delay_alu instid0(VALU_DEP_1) | instskip(NEXT) | instid1(VALU_DEP_1)
	v_fmac_f32_e32 v163, v149, v133
	v_fmac_f32_e32 v163, v150, v134
	s_waitcnt vmcnt(2)
	s_delay_alu instid0(VALU_DEP_1)
	v_fmac_f32_e32 v163, v151, v135
	ds_load_2addr_b64 v[132:135], v2 offset0:59 offset1:60
	s_waitcnt lgkmcnt(1)
	v_fmac_f32_e32 v163, v152, v128
	ds_load_b32 v128, v2 offset:496
	v_fmac_f32_e32 v163, v153, v129
	s_delay_alu instid0(VALU_DEP_1) | instskip(SKIP_1) | instid1(VALU_DEP_1)
	v_fmac_f32_e32 v163, v154, v130
	s_waitcnt vmcnt(1)
	v_fmac_f32_e32 v163, v155, v131
	s_waitcnt lgkmcnt(1)
	s_delay_alu instid0(VALU_DEP_1) | instskip(NEXT) | instid1(VALU_DEP_1)
	v_fmac_f32_e32 v163, v156, v132
	v_fmac_f32_e32 v163, v157, v133
	s_delay_alu instid0(VALU_DEP_1) | instskip(SKIP_1) | instid1(VALU_DEP_1)
	v_fmac_f32_e32 v163, v158, v134
	s_waitcnt vmcnt(0)
	v_fmac_f32_e32 v163, v159, v135
	s_delay_alu instid0(VALU_DEP_1) | instskip(NEXT) | instid1(VALU_DEP_1)
	v_fmac_f32_e32 v163, v160, v3
	v_fmac_f32_e32 v163, v161, v4
	s_waitcnt lgkmcnt(0)
	s_delay_alu instid0(VALU_DEP_1) | instskip(NEXT) | instid1(VALU_DEP_1)
	v_fmac_f32_e32 v163, v162, v128
	v_sub_f32_e32 v3, v127, v163
	scratch_store_b32 off, v3, off offset:100
	v_cmpx_lt_u32_e32 24, v0
	s_cbranch_execz .LBB60_325
; %bb.324:
	scratch_load_b32 v3, off, off offset:96
	scratch_store_b32 off, v2, off offset:96
	s_waitcnt vmcnt(0)
	ds_store_b32 v1, v3
.LBB60_325:
	s_or_b32 exec_lo, exec_lo, s0
	s_waitcnt lgkmcnt(0)
	s_waitcnt_vscnt null, 0x0
	s_barrier
	buffer_gl0_inv
	s_clause 0x9
	scratch_load_b128 v[127:130], off, off offset:96
	scratch_load_b128 v[131:134], off, off offset:112
	;; [unrolled: 1-line block ×9, first 2 shown]
	scratch_load_b32 v169, off, off offset:240
	ds_load_2addr_b32 v[3:4], v2 offset0:89 offset1:90
	ds_load_2addr_b32 v[163:164], v2 offset0:91 offset1:92
	;; [unrolled: 1-line block ×4, first 2 shown]
	s_mov_b32 s0, exec_lo
	s_waitcnt vmcnt(9) lgkmcnt(3)
	v_fma_f32 v170, v128, v3, 0
	s_delay_alu instid0(VALU_DEP_1)
	v_fmac_f32_e32 v170, v129, v4
	ds_load_2addr_b32 v[3:4], v2 offset0:97 offset1:98
	ds_load_2addr_b32 v[128:129], v2 offset0:99 offset1:100
	s_waitcnt lgkmcnt(4)
	v_fmac_f32_e32 v170, v130, v163
	s_waitcnt vmcnt(8)
	s_delay_alu instid0(VALU_DEP_1) | instskip(SKIP_1) | instid1(VALU_DEP_1)
	v_fmac_f32_e32 v170, v131, v164
	s_waitcnt lgkmcnt(3)
	v_fmac_f32_e32 v170, v132, v165
	s_delay_alu instid0(VALU_DEP_1)
	v_fmac_f32_e32 v170, v133, v166
	ds_load_2addr_b32 v[130:131], v2 offset0:101 offset1:102
	ds_load_2addr_b32 v[132:133], v2 offset0:103 offset1:104
	s_waitcnt lgkmcnt(4)
	v_fmac_f32_e32 v170, v134, v167
	s_waitcnt vmcnt(7)
	s_delay_alu instid0(VALU_DEP_1) | instskip(SKIP_1) | instid1(VALU_DEP_1)
	v_fmac_f32_e32 v170, v135, v168
	s_waitcnt lgkmcnt(3)
	v_fmac_f32_e32 v170, v136, v3
	s_delay_alu instid0(VALU_DEP_1) | instskip(SKIP_4) | instid1(VALU_DEP_1)
	v_fmac_f32_e32 v170, v137, v4
	ds_load_2addr_b32 v[3:4], v2 offset0:105 offset1:106
	s_waitcnt lgkmcnt(3)
	v_fmac_f32_e32 v170, v138, v128
	s_waitcnt vmcnt(6)
	v_fmac_f32_e32 v170, v139, v129
	ds_load_2addr_b32 v[128:129], v2 offset0:107 offset1:108
	s_waitcnt lgkmcnt(3)
	v_fmac_f32_e32 v170, v140, v130
	s_delay_alu instid0(VALU_DEP_1) | instskip(SKIP_1) | instid1(VALU_DEP_1)
	v_fmac_f32_e32 v170, v141, v131
	s_waitcnt lgkmcnt(2)
	v_fmac_f32_e32 v170, v142, v132
	s_waitcnt vmcnt(5)
	s_delay_alu instid0(VALU_DEP_1) | instskip(SKIP_4) | instid1(VALU_DEP_1)
	v_fmac_f32_e32 v170, v143, v133
	ds_load_2addr_b32 v[130:131], v2 offset0:109 offset1:110
	ds_load_2addr_b32 v[132:133], v2 offset0:111 offset1:112
	s_waitcnt lgkmcnt(3)
	v_fmac_f32_e32 v170, v144, v3
	v_fmac_f32_e32 v170, v145, v4
	ds_load_2addr_b32 v[3:4], v2 offset0:113 offset1:114
	s_waitcnt lgkmcnt(3)
	v_fmac_f32_e32 v170, v146, v128
	s_waitcnt vmcnt(4)
	s_delay_alu instid0(VALU_DEP_1) | instskip(SKIP_3) | instid1(VALU_DEP_1)
	v_fmac_f32_e32 v170, v147, v129
	ds_load_2addr_b32 v[128:129], v2 offset0:115 offset1:116
	s_waitcnt lgkmcnt(3)
	v_fmac_f32_e32 v170, v148, v130
	v_fmac_f32_e32 v170, v149, v131
	s_waitcnt lgkmcnt(2)
	s_delay_alu instid0(VALU_DEP_1) | instskip(SKIP_1) | instid1(VALU_DEP_1)
	v_fmac_f32_e32 v170, v150, v132
	s_waitcnt vmcnt(3)
	v_fmac_f32_e32 v170, v151, v133
	ds_load_2addr_b32 v[130:131], v2 offset0:117 offset1:118
	ds_load_2addr_b32 v[132:133], v2 offset0:119 offset1:120
	s_waitcnt lgkmcnt(3)
	v_fmac_f32_e32 v170, v152, v3
	s_delay_alu instid0(VALU_DEP_1) | instskip(SKIP_4) | instid1(VALU_DEP_1)
	v_fmac_f32_e32 v170, v153, v4
	ds_load_2addr_b32 v[3:4], v2 offset0:121 offset1:122
	s_waitcnt lgkmcnt(3)
	v_fmac_f32_e32 v170, v154, v128
	s_waitcnt vmcnt(2)
	v_fmac_f32_e32 v170, v155, v129
	ds_load_2addr_b32 v[128:129], v2 offset0:123 offset1:124
	s_waitcnt lgkmcnt(3)
	v_fmac_f32_e32 v170, v156, v130
	s_delay_alu instid0(VALU_DEP_1) | instskip(SKIP_1) | instid1(VALU_DEP_1)
	v_fmac_f32_e32 v170, v157, v131
	s_waitcnt lgkmcnt(2)
	v_fmac_f32_e32 v170, v158, v132
	s_waitcnt vmcnt(1)
	s_delay_alu instid0(VALU_DEP_1) | instskip(SKIP_1) | instid1(VALU_DEP_1)
	v_fmac_f32_e32 v170, v159, v133
	s_waitcnt lgkmcnt(1)
	v_fmac_f32_e32 v170, v160, v3
	s_delay_alu instid0(VALU_DEP_1) | instskip(SKIP_1) | instid1(VALU_DEP_1)
	v_fmac_f32_e32 v170, v161, v4
	s_waitcnt lgkmcnt(0)
	v_fmac_f32_e32 v170, v162, v128
	s_waitcnt vmcnt(0)
	s_delay_alu instid0(VALU_DEP_1) | instskip(NEXT) | instid1(VALU_DEP_1)
	v_fmac_f32_e32 v170, v169, v129
	v_sub_f32_e32 v2, v127, v170
	scratch_store_b32 off, v2, off offset:96
	v_cmpx_lt_u32_e32 23, v0
	s_cbranch_execz .LBB60_327
; %bb.326:
	scratch_load_b32 v2, off, off offset:92
	v_mov_b32_e32 v3, 0
	scratch_store_b32 off, v3, off offset:92
	s_waitcnt vmcnt(0)
	ds_store_b32 v1, v2
.LBB60_327:
	s_or_b32 exec_lo, exec_lo, s0
	s_waitcnt lgkmcnt(0)
	s_waitcnt_vscnt null, 0x0
	s_barrier
	buffer_gl0_inv
	s_clause 0x9
	scratch_load_b128 v[127:130], off, off offset:92
	scratch_load_b128 v[131:134], off, off offset:108
	scratch_load_b128 v[135:138], off, off offset:124
	scratch_load_b128 v[139:142], off, off offset:140
	scratch_load_b128 v[143:146], off, off offset:156
	scratch_load_b128 v[147:150], off, off offset:172
	scratch_load_b128 v[151:154], off, off offset:188
	scratch_load_b128 v[155:158], off, off offset:204
	scratch_load_b128 v[159:162], off, off offset:220
	scratch_load_b64 v[3:4], off, off offset:236
	v_mov_b32_e32 v2, 0
	ds_load_b128 v[163:166], v2 offset:352
	ds_load_b128 v[167:170], v2 offset:368
	s_mov_b32 s0, exec_lo
	s_waitcnt vmcnt(9) lgkmcnt(1)
	v_fma_f32 v163, v128, v163, 0
	s_delay_alu instid0(VALU_DEP_1) | instskip(NEXT) | instid1(VALU_DEP_1)
	v_fmac_f32_e32 v163, v129, v164
	v_fmac_f32_e32 v163, v130, v165
	s_waitcnt vmcnt(8)
	s_delay_alu instid0(VALU_DEP_1) | instskip(SKIP_3) | instid1(VALU_DEP_1)
	v_fmac_f32_e32 v163, v131, v166
	ds_load_b128 v[128:131], v2 offset:384
	s_waitcnt lgkmcnt(1)
	v_fmac_f32_e32 v163, v132, v167
	v_fmac_f32_e32 v163, v133, v168
	s_delay_alu instid0(VALU_DEP_1) | instskip(SKIP_1) | instid1(VALU_DEP_1)
	v_fmac_f32_e32 v163, v134, v169
	s_waitcnt vmcnt(7)
	v_fmac_f32_e32 v163, v135, v170
	ds_load_b128 v[132:135], v2 offset:400
	s_waitcnt lgkmcnt(1)
	v_fmac_f32_e32 v163, v136, v128
	s_delay_alu instid0(VALU_DEP_1) | instskip(NEXT) | instid1(VALU_DEP_1)
	v_fmac_f32_e32 v163, v137, v129
	v_fmac_f32_e32 v163, v138, v130
	s_waitcnt vmcnt(6)
	s_delay_alu instid0(VALU_DEP_1) | instskip(SKIP_3) | instid1(VALU_DEP_1)
	v_fmac_f32_e32 v163, v139, v131
	ds_load_b128 v[128:131], v2 offset:416
	s_waitcnt lgkmcnt(1)
	v_fmac_f32_e32 v163, v140, v132
	v_fmac_f32_e32 v163, v141, v133
	s_delay_alu instid0(VALU_DEP_1) | instskip(SKIP_1) | instid1(VALU_DEP_1)
	v_fmac_f32_e32 v163, v142, v134
	s_waitcnt vmcnt(5)
	v_fmac_f32_e32 v163, v143, v135
	ds_load_b128 v[132:135], v2 offset:432
	s_waitcnt lgkmcnt(1)
	v_fmac_f32_e32 v163, v144, v128
	s_delay_alu instid0(VALU_DEP_1) | instskip(NEXT) | instid1(VALU_DEP_1)
	v_fmac_f32_e32 v163, v145, v129
	v_fmac_f32_e32 v163, v146, v130
	s_waitcnt vmcnt(4)
	s_delay_alu instid0(VALU_DEP_1) | instskip(SKIP_3) | instid1(VALU_DEP_1)
	v_fmac_f32_e32 v163, v147, v131
	ds_load_b128 v[128:131], v2 offset:448
	s_waitcnt lgkmcnt(1)
	v_fmac_f32_e32 v163, v148, v132
	v_fmac_f32_e32 v163, v149, v133
	s_delay_alu instid0(VALU_DEP_1) | instskip(SKIP_1) | instid1(VALU_DEP_1)
	v_fmac_f32_e32 v163, v150, v134
	s_waitcnt vmcnt(3)
	v_fmac_f32_e32 v163, v151, v135
	ds_load_b128 v[132:135], v2 offset:464
	s_waitcnt lgkmcnt(1)
	v_fmac_f32_e32 v163, v152, v128
	s_delay_alu instid0(VALU_DEP_1) | instskip(NEXT) | instid1(VALU_DEP_1)
	v_fmac_f32_e32 v163, v153, v129
	v_fmac_f32_e32 v163, v154, v130
	s_waitcnt vmcnt(2)
	s_delay_alu instid0(VALU_DEP_1)
	v_fmac_f32_e32 v163, v155, v131
	ds_load_b128 v[128:131], v2 offset:480
	s_waitcnt lgkmcnt(1)
	v_fmac_f32_e32 v163, v156, v132
	ds_load_b32 v132, v2 offset:496
	v_fmac_f32_e32 v163, v157, v133
	s_delay_alu instid0(VALU_DEP_1) | instskip(SKIP_1) | instid1(VALU_DEP_1)
	v_fmac_f32_e32 v163, v158, v134
	s_waitcnt vmcnt(1)
	v_fmac_f32_e32 v163, v159, v135
	s_waitcnt lgkmcnt(1)
	s_delay_alu instid0(VALU_DEP_1) | instskip(NEXT) | instid1(VALU_DEP_1)
	v_fmac_f32_e32 v163, v160, v128
	v_fmac_f32_e32 v163, v161, v129
	s_delay_alu instid0(VALU_DEP_1) | instskip(SKIP_1) | instid1(VALU_DEP_1)
	v_fmac_f32_e32 v163, v162, v130
	s_waitcnt vmcnt(0)
	v_fmac_f32_e32 v163, v3, v131
	s_waitcnt lgkmcnt(0)
	s_delay_alu instid0(VALU_DEP_1) | instskip(NEXT) | instid1(VALU_DEP_1)
	v_fmac_f32_e32 v163, v4, v132
	v_sub_f32_e32 v3, v127, v163
	scratch_store_b32 off, v3, off offset:92
	v_cmpx_lt_u32_e32 22, v0
	s_cbranch_execz .LBB60_329
; %bb.328:
	scratch_load_b32 v3, off, off offset:88
	scratch_store_b32 off, v2, off offset:88
	s_waitcnt vmcnt(0)
	ds_store_b32 v1, v3
.LBB60_329:
	s_or_b32 exec_lo, exec_lo, s0
	s_waitcnt lgkmcnt(0)
	s_waitcnt_vscnt null, 0x0
	s_barrier
	buffer_gl0_inv
	s_clause 0x9
	scratch_load_b128 v[127:130], off, off offset:88
	scratch_load_b128 v[131:134], off, off offset:104
	;; [unrolled: 1-line block ×9, first 2 shown]
	scratch_load_b96 v[163:165], off, off offset:232
	ds_load_2addr_b32 v[3:4], v2 offset0:87 offset1:88
	ds_load_2addr_b32 v[166:167], v2 offset0:89 offset1:90
	;; [unrolled: 1-line block ×4, first 2 shown]
	s_mov_b32 s0, exec_lo
	s_waitcnt vmcnt(9) lgkmcnt(3)
	v_fma_f32 v172, v128, v3, 0
	s_delay_alu instid0(VALU_DEP_1)
	v_fmac_f32_e32 v172, v129, v4
	ds_load_2addr_b32 v[3:4], v2 offset0:95 offset1:96
	ds_load_2addr_b32 v[128:129], v2 offset0:97 offset1:98
	s_waitcnt lgkmcnt(4)
	v_fmac_f32_e32 v172, v130, v166
	s_waitcnt vmcnt(8)
	s_delay_alu instid0(VALU_DEP_1) | instskip(SKIP_1) | instid1(VALU_DEP_1)
	v_fmac_f32_e32 v172, v131, v167
	s_waitcnt lgkmcnt(3)
	v_fmac_f32_e32 v172, v132, v168
	s_delay_alu instid0(VALU_DEP_1)
	v_fmac_f32_e32 v172, v133, v169
	ds_load_2addr_b32 v[130:131], v2 offset0:99 offset1:100
	ds_load_2addr_b32 v[132:133], v2 offset0:101 offset1:102
	s_waitcnt lgkmcnt(4)
	v_fmac_f32_e32 v172, v134, v170
	s_waitcnt vmcnt(7)
	s_delay_alu instid0(VALU_DEP_1) | instskip(SKIP_1) | instid1(VALU_DEP_1)
	v_fmac_f32_e32 v172, v135, v171
	s_waitcnt lgkmcnt(3)
	v_fmac_f32_e32 v172, v136, v3
	s_delay_alu instid0(VALU_DEP_1) | instskip(SKIP_4) | instid1(VALU_DEP_1)
	v_fmac_f32_e32 v172, v137, v4
	ds_load_2addr_b32 v[3:4], v2 offset0:103 offset1:104
	s_waitcnt lgkmcnt(3)
	v_fmac_f32_e32 v172, v138, v128
	s_waitcnt vmcnt(6)
	v_fmac_f32_e32 v172, v139, v129
	ds_load_2addr_b32 v[128:129], v2 offset0:105 offset1:106
	s_waitcnt lgkmcnt(3)
	v_fmac_f32_e32 v172, v140, v130
	s_delay_alu instid0(VALU_DEP_1) | instskip(SKIP_1) | instid1(VALU_DEP_1)
	v_fmac_f32_e32 v172, v141, v131
	s_waitcnt lgkmcnt(2)
	v_fmac_f32_e32 v172, v142, v132
	s_waitcnt vmcnt(5)
	s_delay_alu instid0(VALU_DEP_1) | instskip(SKIP_4) | instid1(VALU_DEP_1)
	v_fmac_f32_e32 v172, v143, v133
	ds_load_2addr_b32 v[130:131], v2 offset0:107 offset1:108
	ds_load_2addr_b32 v[132:133], v2 offset0:109 offset1:110
	s_waitcnt lgkmcnt(3)
	v_fmac_f32_e32 v172, v144, v3
	v_fmac_f32_e32 v172, v145, v4
	ds_load_2addr_b32 v[3:4], v2 offset0:111 offset1:112
	s_waitcnt lgkmcnt(3)
	v_fmac_f32_e32 v172, v146, v128
	s_waitcnt vmcnt(4)
	s_delay_alu instid0(VALU_DEP_1) | instskip(SKIP_3) | instid1(VALU_DEP_1)
	v_fmac_f32_e32 v172, v147, v129
	ds_load_2addr_b32 v[128:129], v2 offset0:113 offset1:114
	s_waitcnt lgkmcnt(3)
	v_fmac_f32_e32 v172, v148, v130
	v_fmac_f32_e32 v172, v149, v131
	s_waitcnt lgkmcnt(2)
	s_delay_alu instid0(VALU_DEP_1) | instskip(SKIP_1) | instid1(VALU_DEP_1)
	v_fmac_f32_e32 v172, v150, v132
	s_waitcnt vmcnt(3)
	v_fmac_f32_e32 v172, v151, v133
	ds_load_2addr_b32 v[130:131], v2 offset0:115 offset1:116
	ds_load_2addr_b32 v[132:133], v2 offset0:117 offset1:118
	s_waitcnt lgkmcnt(3)
	v_fmac_f32_e32 v172, v152, v3
	s_delay_alu instid0(VALU_DEP_1) | instskip(SKIP_4) | instid1(VALU_DEP_1)
	v_fmac_f32_e32 v172, v153, v4
	ds_load_2addr_b32 v[3:4], v2 offset0:119 offset1:120
	s_waitcnt lgkmcnt(3)
	v_fmac_f32_e32 v172, v154, v128
	s_waitcnt vmcnt(2)
	v_fmac_f32_e32 v172, v155, v129
	ds_load_2addr_b32 v[128:129], v2 offset0:121 offset1:122
	s_waitcnt lgkmcnt(3)
	v_fmac_f32_e32 v172, v156, v130
	s_delay_alu instid0(VALU_DEP_1) | instskip(SKIP_4) | instid1(VALU_DEP_1)
	v_fmac_f32_e32 v172, v157, v131
	ds_load_2addr_b32 v[130:131], v2 offset0:123 offset1:124
	s_waitcnt lgkmcnt(3)
	v_fmac_f32_e32 v172, v158, v132
	s_waitcnt vmcnt(1)
	v_fmac_f32_e32 v172, v159, v133
	s_waitcnt lgkmcnt(2)
	s_delay_alu instid0(VALU_DEP_1) | instskip(NEXT) | instid1(VALU_DEP_1)
	v_fmac_f32_e32 v172, v160, v3
	v_fmac_f32_e32 v172, v161, v4
	s_waitcnt lgkmcnt(1)
	s_delay_alu instid0(VALU_DEP_1) | instskip(SKIP_1) | instid1(VALU_DEP_1)
	v_fmac_f32_e32 v172, v162, v128
	s_waitcnt vmcnt(0)
	v_fmac_f32_e32 v172, v163, v129
	s_waitcnt lgkmcnt(0)
	s_delay_alu instid0(VALU_DEP_1) | instskip(NEXT) | instid1(VALU_DEP_1)
	v_fmac_f32_e32 v172, v164, v130
	v_fmac_f32_e32 v172, v165, v131
	s_delay_alu instid0(VALU_DEP_1)
	v_sub_f32_e32 v2, v127, v172
	scratch_store_b32 off, v2, off offset:88
	v_cmpx_lt_u32_e32 21, v0
	s_cbranch_execz .LBB60_331
; %bb.330:
	scratch_load_b32 v2, off, off offset:84
	v_mov_b32_e32 v3, 0
	scratch_store_b32 off, v3, off offset:84
	s_waitcnt vmcnt(0)
	ds_store_b32 v1, v2
.LBB60_331:
	s_or_b32 exec_lo, exec_lo, s0
	s_waitcnt lgkmcnt(0)
	s_waitcnt_vscnt null, 0x0
	s_barrier
	buffer_gl0_inv
	s_clause 0x9
	scratch_load_b128 v[127:130], off, off offset:84
	scratch_load_b128 v[131:134], off, off offset:100
	;; [unrolled: 1-line block ×10, first 2 shown]
	v_mov_b32_e32 v2, 0
	ds_load_2addr_b64 v[167:170], v2 offset0:43 offset1:44
	ds_load_2addr_b64 v[171:174], v2 offset0:45 offset1:46
	s_mov_b32 s0, exec_lo
	s_waitcnt vmcnt(9) lgkmcnt(1)
	v_fma_f32 v167, v128, v167, 0
	s_delay_alu instid0(VALU_DEP_1) | instskip(SKIP_3) | instid1(VALU_DEP_1)
	v_fmac_f32_e32 v167, v129, v168
	ds_load_b64 v[3:4], v2 offset:488
	v_fmac_f32_e32 v167, v130, v169
	s_waitcnt vmcnt(8)
	v_fmac_f32_e32 v167, v131, v170
	ds_load_2addr_b64 v[128:131], v2 offset0:47 offset1:48
	s_waitcnt lgkmcnt(2)
	v_fmac_f32_e32 v167, v132, v171
	s_delay_alu instid0(VALU_DEP_1) | instskip(NEXT) | instid1(VALU_DEP_1)
	v_fmac_f32_e32 v167, v133, v172
	v_fmac_f32_e32 v167, v134, v173
	s_waitcnt vmcnt(7)
	s_delay_alu instid0(VALU_DEP_1) | instskip(SKIP_3) | instid1(VALU_DEP_1)
	v_fmac_f32_e32 v167, v135, v174
	ds_load_2addr_b64 v[132:135], v2 offset0:49 offset1:50
	s_waitcnt lgkmcnt(1)
	v_fmac_f32_e32 v167, v136, v128
	v_fmac_f32_e32 v167, v137, v129
	s_delay_alu instid0(VALU_DEP_1) | instskip(SKIP_1) | instid1(VALU_DEP_1)
	v_fmac_f32_e32 v167, v138, v130
	s_waitcnt vmcnt(6)
	v_fmac_f32_e32 v167, v139, v131
	ds_load_2addr_b64 v[128:131], v2 offset0:51 offset1:52
	s_waitcnt lgkmcnt(1)
	v_fmac_f32_e32 v167, v140, v132
	s_delay_alu instid0(VALU_DEP_1) | instskip(NEXT) | instid1(VALU_DEP_1)
	v_fmac_f32_e32 v167, v141, v133
	v_fmac_f32_e32 v167, v142, v134
	s_waitcnt vmcnt(5)
	s_delay_alu instid0(VALU_DEP_1) | instskip(SKIP_3) | instid1(VALU_DEP_1)
	v_fmac_f32_e32 v167, v143, v135
	ds_load_2addr_b64 v[132:135], v2 offset0:53 offset1:54
	s_waitcnt lgkmcnt(1)
	v_fmac_f32_e32 v167, v144, v128
	v_fmac_f32_e32 v167, v145, v129
	s_delay_alu instid0(VALU_DEP_1) | instskip(SKIP_1) | instid1(VALU_DEP_1)
	;; [unrolled: 17-line block ×3, first 2 shown]
	v_fmac_f32_e32 v167, v154, v130
	s_waitcnt vmcnt(2)
	v_fmac_f32_e32 v167, v155, v131
	ds_load_2addr_b64 v[128:131], v2 offset0:59 offset1:60
	s_waitcnt lgkmcnt(1)
	v_fmac_f32_e32 v167, v156, v132
	s_delay_alu instid0(VALU_DEP_1) | instskip(NEXT) | instid1(VALU_DEP_1)
	v_fmac_f32_e32 v167, v157, v133
	v_fmac_f32_e32 v167, v158, v134
	s_waitcnt vmcnt(1)
	s_delay_alu instid0(VALU_DEP_1) | instskip(SKIP_1) | instid1(VALU_DEP_1)
	v_fmac_f32_e32 v167, v159, v135
	s_waitcnt lgkmcnt(0)
	v_fmac_f32_e32 v167, v160, v128
	ds_load_b32 v128, v2 offset:496
	v_fmac_f32_e32 v167, v161, v129
	s_delay_alu instid0(VALU_DEP_1) | instskip(SKIP_1) | instid1(VALU_DEP_1)
	v_fmac_f32_e32 v167, v162, v130
	s_waitcnt vmcnt(0)
	v_fmac_f32_e32 v167, v163, v131
	s_delay_alu instid0(VALU_DEP_1) | instskip(NEXT) | instid1(VALU_DEP_1)
	v_fmac_f32_e32 v167, v164, v3
	v_fmac_f32_e32 v167, v165, v4
	s_waitcnt lgkmcnt(0)
	s_delay_alu instid0(VALU_DEP_1) | instskip(NEXT) | instid1(VALU_DEP_1)
	v_fmac_f32_e32 v167, v166, v128
	v_sub_f32_e32 v3, v127, v167
	scratch_store_b32 off, v3, off offset:84
	v_cmpx_lt_u32_e32 20, v0
	s_cbranch_execz .LBB60_333
; %bb.332:
	scratch_load_b32 v3, off, off offset:80
	scratch_store_b32 off, v2, off offset:80
	s_waitcnt vmcnt(0)
	ds_store_b32 v1, v3
.LBB60_333:
	s_or_b32 exec_lo, exec_lo, s0
	s_waitcnt lgkmcnt(0)
	s_waitcnt_vscnt null, 0x0
	s_barrier
	buffer_gl0_inv
	s_clause 0xa
	scratch_load_b128 v[127:130], off, off offset:80
	scratch_load_b128 v[131:134], off, off offset:96
	;; [unrolled: 1-line block ×10, first 2 shown]
	scratch_load_b32 v173, off, off offset:240
	ds_load_2addr_b32 v[3:4], v2 offset0:85 offset1:86
	ds_load_2addr_b32 v[167:168], v2 offset0:87 offset1:88
	;; [unrolled: 1-line block ×4, first 2 shown]
	s_mov_b32 s0, exec_lo
	s_waitcnt vmcnt(10) lgkmcnt(3)
	v_fma_f32 v174, v128, v3, 0
	s_delay_alu instid0(VALU_DEP_1)
	v_fmac_f32_e32 v174, v129, v4
	ds_load_2addr_b32 v[3:4], v2 offset0:93 offset1:94
	ds_load_2addr_b32 v[128:129], v2 offset0:95 offset1:96
	s_waitcnt lgkmcnt(4)
	v_fmac_f32_e32 v174, v130, v167
	s_waitcnt vmcnt(9)
	s_delay_alu instid0(VALU_DEP_1) | instskip(SKIP_1) | instid1(VALU_DEP_1)
	v_fmac_f32_e32 v174, v131, v168
	s_waitcnt lgkmcnt(3)
	v_fmac_f32_e32 v174, v132, v169
	s_delay_alu instid0(VALU_DEP_1)
	v_fmac_f32_e32 v174, v133, v170
	ds_load_2addr_b32 v[130:131], v2 offset0:97 offset1:98
	ds_load_2addr_b32 v[132:133], v2 offset0:99 offset1:100
	s_waitcnt lgkmcnt(4)
	v_fmac_f32_e32 v174, v134, v171
	s_waitcnt vmcnt(8)
	s_delay_alu instid0(VALU_DEP_1) | instskip(SKIP_1) | instid1(VALU_DEP_1)
	v_fmac_f32_e32 v174, v135, v172
	s_waitcnt lgkmcnt(3)
	v_fmac_f32_e32 v174, v136, v3
	s_delay_alu instid0(VALU_DEP_1) | instskip(SKIP_4) | instid1(VALU_DEP_1)
	v_fmac_f32_e32 v174, v137, v4
	ds_load_2addr_b32 v[3:4], v2 offset0:101 offset1:102
	s_waitcnt lgkmcnt(3)
	v_fmac_f32_e32 v174, v138, v128
	s_waitcnt vmcnt(7)
	v_fmac_f32_e32 v174, v139, v129
	ds_load_2addr_b32 v[128:129], v2 offset0:103 offset1:104
	s_waitcnt lgkmcnt(3)
	v_fmac_f32_e32 v174, v140, v130
	s_delay_alu instid0(VALU_DEP_1) | instskip(SKIP_1) | instid1(VALU_DEP_1)
	v_fmac_f32_e32 v174, v141, v131
	s_waitcnt lgkmcnt(2)
	v_fmac_f32_e32 v174, v142, v132
	s_waitcnt vmcnt(6)
	s_delay_alu instid0(VALU_DEP_1) | instskip(SKIP_4) | instid1(VALU_DEP_1)
	v_fmac_f32_e32 v174, v143, v133
	ds_load_2addr_b32 v[130:131], v2 offset0:105 offset1:106
	ds_load_2addr_b32 v[132:133], v2 offset0:107 offset1:108
	s_waitcnt lgkmcnt(3)
	v_fmac_f32_e32 v174, v144, v3
	v_fmac_f32_e32 v174, v145, v4
	ds_load_2addr_b32 v[3:4], v2 offset0:109 offset1:110
	s_waitcnt lgkmcnt(3)
	v_fmac_f32_e32 v174, v146, v128
	s_waitcnt vmcnt(5)
	s_delay_alu instid0(VALU_DEP_1) | instskip(SKIP_3) | instid1(VALU_DEP_1)
	v_fmac_f32_e32 v174, v147, v129
	ds_load_2addr_b32 v[128:129], v2 offset0:111 offset1:112
	s_waitcnt lgkmcnt(3)
	v_fmac_f32_e32 v174, v148, v130
	v_fmac_f32_e32 v174, v149, v131
	s_waitcnt lgkmcnt(2)
	s_delay_alu instid0(VALU_DEP_1) | instskip(SKIP_1) | instid1(VALU_DEP_1)
	v_fmac_f32_e32 v174, v150, v132
	s_waitcnt vmcnt(4)
	v_fmac_f32_e32 v174, v151, v133
	ds_load_2addr_b32 v[130:131], v2 offset0:113 offset1:114
	ds_load_2addr_b32 v[132:133], v2 offset0:115 offset1:116
	s_waitcnt lgkmcnt(3)
	v_fmac_f32_e32 v174, v152, v3
	s_delay_alu instid0(VALU_DEP_1) | instskip(SKIP_4) | instid1(VALU_DEP_1)
	v_fmac_f32_e32 v174, v153, v4
	ds_load_2addr_b32 v[3:4], v2 offset0:117 offset1:118
	s_waitcnt lgkmcnt(3)
	v_fmac_f32_e32 v174, v154, v128
	s_waitcnt vmcnt(3)
	v_fmac_f32_e32 v174, v155, v129
	ds_load_2addr_b32 v[128:129], v2 offset0:119 offset1:120
	s_waitcnt lgkmcnt(3)
	v_fmac_f32_e32 v174, v156, v130
	s_delay_alu instid0(VALU_DEP_1) | instskip(SKIP_1) | instid1(VALU_DEP_1)
	v_fmac_f32_e32 v174, v157, v131
	s_waitcnt lgkmcnt(2)
	v_fmac_f32_e32 v174, v158, v132
	s_waitcnt vmcnt(2)
	s_delay_alu instid0(VALU_DEP_1) | instskip(SKIP_4) | instid1(VALU_DEP_1)
	v_fmac_f32_e32 v174, v159, v133
	ds_load_2addr_b32 v[130:131], v2 offset0:121 offset1:122
	ds_load_2addr_b32 v[132:133], v2 offset0:123 offset1:124
	s_waitcnt lgkmcnt(3)
	v_fmac_f32_e32 v174, v160, v3
	v_fmac_f32_e32 v174, v161, v4
	s_waitcnt lgkmcnt(2)
	s_delay_alu instid0(VALU_DEP_1) | instskip(SKIP_1) | instid1(VALU_DEP_1)
	v_fmac_f32_e32 v174, v162, v128
	s_waitcnt vmcnt(1)
	v_fmac_f32_e32 v174, v163, v129
	s_waitcnt lgkmcnt(1)
	s_delay_alu instid0(VALU_DEP_1) | instskip(NEXT) | instid1(VALU_DEP_1)
	v_fmac_f32_e32 v174, v164, v130
	v_fmac_f32_e32 v174, v165, v131
	s_waitcnt lgkmcnt(0)
	s_delay_alu instid0(VALU_DEP_1) | instskip(SKIP_1) | instid1(VALU_DEP_1)
	v_fmac_f32_e32 v174, v166, v132
	s_waitcnt vmcnt(0)
	v_fmac_f32_e32 v174, v173, v133
	s_delay_alu instid0(VALU_DEP_1)
	v_sub_f32_e32 v2, v127, v174
	scratch_store_b32 off, v2, off offset:80
	v_cmpx_lt_u32_e32 19, v0
	s_cbranch_execz .LBB60_335
; %bb.334:
	scratch_load_b32 v2, off, off offset:76
	v_mov_b32_e32 v3, 0
	scratch_store_b32 off, v3, off offset:76
	s_waitcnt vmcnt(0)
	ds_store_b32 v1, v2
.LBB60_335:
	s_or_b32 exec_lo, exec_lo, s0
	s_waitcnt lgkmcnt(0)
	s_waitcnt_vscnt null, 0x0
	s_barrier
	buffer_gl0_inv
	s_clause 0xa
	scratch_load_b128 v[127:130], off, off offset:76
	scratch_load_b128 v[131:134], off, off offset:92
	scratch_load_b128 v[135:138], off, off offset:108
	scratch_load_b128 v[139:142], off, off offset:124
	scratch_load_b128 v[143:146], off, off offset:140
	scratch_load_b128 v[147:150], off, off offset:156
	scratch_load_b128 v[151:154], off, off offset:172
	scratch_load_b128 v[155:158], off, off offset:188
	scratch_load_b128 v[159:162], off, off offset:204
	scratch_load_b128 v[163:166], off, off offset:220
	scratch_load_b64 v[3:4], off, off offset:236
	v_mov_b32_e32 v2, 0
	ds_load_b128 v[167:170], v2 offset:336
	ds_load_b128 v[171:174], v2 offset:352
	s_mov_b32 s0, exec_lo
	s_waitcnt vmcnt(10) lgkmcnt(1)
	v_fma_f32 v167, v128, v167, 0
	s_delay_alu instid0(VALU_DEP_1) | instskip(NEXT) | instid1(VALU_DEP_1)
	v_fmac_f32_e32 v167, v129, v168
	v_fmac_f32_e32 v167, v130, v169
	s_waitcnt vmcnt(9)
	s_delay_alu instid0(VALU_DEP_1) | instskip(SKIP_3) | instid1(VALU_DEP_1)
	v_fmac_f32_e32 v167, v131, v170
	ds_load_b128 v[128:131], v2 offset:368
	s_waitcnt lgkmcnt(1)
	v_fmac_f32_e32 v167, v132, v171
	v_fmac_f32_e32 v167, v133, v172
	s_delay_alu instid0(VALU_DEP_1) | instskip(SKIP_1) | instid1(VALU_DEP_1)
	v_fmac_f32_e32 v167, v134, v173
	s_waitcnt vmcnt(8)
	v_fmac_f32_e32 v167, v135, v174
	ds_load_b128 v[132:135], v2 offset:384
	s_waitcnt lgkmcnt(1)
	v_fmac_f32_e32 v167, v136, v128
	s_delay_alu instid0(VALU_DEP_1) | instskip(NEXT) | instid1(VALU_DEP_1)
	v_fmac_f32_e32 v167, v137, v129
	v_fmac_f32_e32 v167, v138, v130
	s_waitcnt vmcnt(7)
	s_delay_alu instid0(VALU_DEP_1) | instskip(SKIP_3) | instid1(VALU_DEP_1)
	v_fmac_f32_e32 v167, v139, v131
	ds_load_b128 v[128:131], v2 offset:400
	s_waitcnt lgkmcnt(1)
	v_fmac_f32_e32 v167, v140, v132
	v_fmac_f32_e32 v167, v141, v133
	s_delay_alu instid0(VALU_DEP_1) | instskip(SKIP_1) | instid1(VALU_DEP_1)
	v_fmac_f32_e32 v167, v142, v134
	s_waitcnt vmcnt(6)
	v_fmac_f32_e32 v167, v143, v135
	ds_load_b128 v[132:135], v2 offset:416
	s_waitcnt lgkmcnt(1)
	v_fmac_f32_e32 v167, v144, v128
	;; [unrolled: 17-line block ×4, first 2 shown]
	ds_load_b32 v128, v2 offset:496
	v_fmac_f32_e32 v167, v161, v129
	s_delay_alu instid0(VALU_DEP_1) | instskip(SKIP_1) | instid1(VALU_DEP_1)
	v_fmac_f32_e32 v167, v162, v130
	s_waitcnt vmcnt(1)
	v_fmac_f32_e32 v167, v163, v131
	s_waitcnt lgkmcnt(1)
	s_delay_alu instid0(VALU_DEP_1) | instskip(NEXT) | instid1(VALU_DEP_1)
	v_fmac_f32_e32 v167, v164, v132
	v_fmac_f32_e32 v167, v165, v133
	s_delay_alu instid0(VALU_DEP_1) | instskip(SKIP_1) | instid1(VALU_DEP_1)
	v_fmac_f32_e32 v167, v166, v134
	s_waitcnt vmcnt(0)
	v_fmac_f32_e32 v167, v3, v135
	s_waitcnt lgkmcnt(0)
	s_delay_alu instid0(VALU_DEP_1) | instskip(NEXT) | instid1(VALU_DEP_1)
	v_fmac_f32_e32 v167, v4, v128
	v_sub_f32_e32 v3, v127, v167
	scratch_store_b32 off, v3, off offset:76
	v_cmpx_lt_u32_e32 18, v0
	s_cbranch_execz .LBB60_337
; %bb.336:
	scratch_load_b32 v3, off, off offset:72
	scratch_store_b32 off, v2, off offset:72
	s_waitcnt vmcnt(0)
	ds_store_b32 v1, v3
.LBB60_337:
	s_or_b32 exec_lo, exec_lo, s0
	s_waitcnt lgkmcnt(0)
	s_waitcnt_vscnt null, 0x0
	s_barrier
	buffer_gl0_inv
	s_clause 0xa
	scratch_load_b128 v[127:130], off, off offset:72
	scratch_load_b128 v[131:134], off, off offset:88
	;; [unrolled: 1-line block ×10, first 2 shown]
	scratch_load_b96 v[167:169], off, off offset:232
	ds_load_2addr_b32 v[3:4], v2 offset0:83 offset1:84
	ds_load_2addr_b32 v[170:171], v2 offset0:85 offset1:86
	;; [unrolled: 1-line block ×4, first 2 shown]
	s_mov_b32 s0, exec_lo
	s_waitcnt vmcnt(10) lgkmcnt(3)
	v_fma_f32 v176, v128, v3, 0
	s_delay_alu instid0(VALU_DEP_1)
	v_fmac_f32_e32 v176, v129, v4
	ds_load_2addr_b32 v[3:4], v2 offset0:91 offset1:92
	ds_load_2addr_b32 v[128:129], v2 offset0:93 offset1:94
	s_waitcnt lgkmcnt(4)
	v_fmac_f32_e32 v176, v130, v170
	s_waitcnt vmcnt(9)
	s_delay_alu instid0(VALU_DEP_1) | instskip(SKIP_1) | instid1(VALU_DEP_1)
	v_fmac_f32_e32 v176, v131, v171
	s_waitcnt lgkmcnt(3)
	v_fmac_f32_e32 v176, v132, v172
	s_delay_alu instid0(VALU_DEP_1)
	v_fmac_f32_e32 v176, v133, v173
	ds_load_2addr_b32 v[130:131], v2 offset0:95 offset1:96
	ds_load_2addr_b32 v[132:133], v2 offset0:97 offset1:98
	s_waitcnt lgkmcnt(4)
	v_fmac_f32_e32 v176, v134, v174
	s_waitcnt vmcnt(8)
	s_delay_alu instid0(VALU_DEP_1) | instskip(SKIP_1) | instid1(VALU_DEP_1)
	v_fmac_f32_e32 v176, v135, v175
	s_waitcnt lgkmcnt(3)
	v_fmac_f32_e32 v176, v136, v3
	s_delay_alu instid0(VALU_DEP_1) | instskip(SKIP_4) | instid1(VALU_DEP_1)
	v_fmac_f32_e32 v176, v137, v4
	ds_load_2addr_b32 v[3:4], v2 offset0:99 offset1:100
	s_waitcnt lgkmcnt(3)
	v_fmac_f32_e32 v176, v138, v128
	s_waitcnt vmcnt(7)
	v_fmac_f32_e32 v176, v139, v129
	ds_load_2addr_b32 v[128:129], v2 offset0:101 offset1:102
	s_waitcnt lgkmcnt(3)
	v_fmac_f32_e32 v176, v140, v130
	s_delay_alu instid0(VALU_DEP_1) | instskip(SKIP_1) | instid1(VALU_DEP_1)
	v_fmac_f32_e32 v176, v141, v131
	s_waitcnt lgkmcnt(2)
	v_fmac_f32_e32 v176, v142, v132
	s_waitcnt vmcnt(6)
	s_delay_alu instid0(VALU_DEP_1) | instskip(SKIP_4) | instid1(VALU_DEP_1)
	v_fmac_f32_e32 v176, v143, v133
	ds_load_2addr_b32 v[130:131], v2 offset0:103 offset1:104
	ds_load_2addr_b32 v[132:133], v2 offset0:105 offset1:106
	s_waitcnt lgkmcnt(3)
	v_fmac_f32_e32 v176, v144, v3
	v_fmac_f32_e32 v176, v145, v4
	ds_load_2addr_b32 v[3:4], v2 offset0:107 offset1:108
	s_waitcnt lgkmcnt(3)
	v_fmac_f32_e32 v176, v146, v128
	s_waitcnt vmcnt(5)
	s_delay_alu instid0(VALU_DEP_1) | instskip(SKIP_3) | instid1(VALU_DEP_1)
	v_fmac_f32_e32 v176, v147, v129
	ds_load_2addr_b32 v[128:129], v2 offset0:109 offset1:110
	s_waitcnt lgkmcnt(3)
	v_fmac_f32_e32 v176, v148, v130
	v_fmac_f32_e32 v176, v149, v131
	s_waitcnt lgkmcnt(2)
	s_delay_alu instid0(VALU_DEP_1) | instskip(SKIP_1) | instid1(VALU_DEP_1)
	v_fmac_f32_e32 v176, v150, v132
	s_waitcnt vmcnt(4)
	v_fmac_f32_e32 v176, v151, v133
	ds_load_2addr_b32 v[130:131], v2 offset0:111 offset1:112
	ds_load_2addr_b32 v[132:133], v2 offset0:113 offset1:114
	s_waitcnt lgkmcnt(3)
	v_fmac_f32_e32 v176, v152, v3
	s_delay_alu instid0(VALU_DEP_1) | instskip(SKIP_4) | instid1(VALU_DEP_1)
	v_fmac_f32_e32 v176, v153, v4
	ds_load_2addr_b32 v[3:4], v2 offset0:115 offset1:116
	s_waitcnt lgkmcnt(3)
	v_fmac_f32_e32 v176, v154, v128
	s_waitcnt vmcnt(3)
	v_fmac_f32_e32 v176, v155, v129
	ds_load_2addr_b32 v[128:129], v2 offset0:117 offset1:118
	s_waitcnt lgkmcnt(3)
	v_fmac_f32_e32 v176, v156, v130
	s_delay_alu instid0(VALU_DEP_1) | instskip(SKIP_1) | instid1(VALU_DEP_1)
	v_fmac_f32_e32 v176, v157, v131
	s_waitcnt lgkmcnt(2)
	v_fmac_f32_e32 v176, v158, v132
	s_waitcnt vmcnt(2)
	s_delay_alu instid0(VALU_DEP_1)
	v_fmac_f32_e32 v176, v159, v133
	ds_load_2addr_b32 v[130:131], v2 offset0:119 offset1:120
	ds_load_2addr_b32 v[132:133], v2 offset0:121 offset1:122
	s_waitcnt lgkmcnt(3)
	v_fmac_f32_e32 v176, v160, v3
	ds_load_2addr_b32 v[2:3], v2 offset0:123 offset1:124
	v_fmac_f32_e32 v176, v161, v4
	s_waitcnt lgkmcnt(3)
	s_delay_alu instid0(VALU_DEP_1) | instskip(SKIP_1) | instid1(VALU_DEP_1)
	v_fmac_f32_e32 v176, v162, v128
	s_waitcnt vmcnt(1)
	v_fmac_f32_e32 v176, v163, v129
	s_waitcnt lgkmcnt(2)
	s_delay_alu instid0(VALU_DEP_1) | instskip(NEXT) | instid1(VALU_DEP_1)
	v_fmac_f32_e32 v176, v164, v130
	v_fmac_f32_e32 v176, v165, v131
	s_waitcnt lgkmcnt(1)
	s_delay_alu instid0(VALU_DEP_1) | instskip(SKIP_1) | instid1(VALU_DEP_1)
	v_fmac_f32_e32 v176, v166, v132
	s_waitcnt vmcnt(0)
	v_fmac_f32_e32 v176, v167, v133
	s_waitcnt lgkmcnt(0)
	s_delay_alu instid0(VALU_DEP_1) | instskip(NEXT) | instid1(VALU_DEP_1)
	v_fmac_f32_e32 v176, v168, v2
	v_fmac_f32_e32 v176, v169, v3
	s_delay_alu instid0(VALU_DEP_1)
	v_sub_f32_e32 v2, v127, v176
	scratch_store_b32 off, v2, off offset:72
	v_cmpx_lt_u32_e32 17, v0
	s_cbranch_execz .LBB60_339
; %bb.338:
	scratch_load_b32 v2, off, off offset:68
	v_mov_b32_e32 v3, 0
	scratch_store_b32 off, v3, off offset:68
	s_waitcnt vmcnt(0)
	ds_store_b32 v1, v2
.LBB60_339:
	s_or_b32 exec_lo, exec_lo, s0
	s_waitcnt lgkmcnt(0)
	s_waitcnt_vscnt null, 0x0
	s_barrier
	buffer_gl0_inv
	s_clause 0xa
	scratch_load_b128 v[127:130], off, off offset:68
	scratch_load_b128 v[131:134], off, off offset:84
	scratch_load_b128 v[135:138], off, off offset:100
	scratch_load_b128 v[139:142], off, off offset:116
	scratch_load_b128 v[143:146], off, off offset:132
	scratch_load_b128 v[147:150], off, off offset:148
	scratch_load_b128 v[151:154], off, off offset:164
	scratch_load_b128 v[155:158], off, off offset:180
	scratch_load_b128 v[159:162], off, off offset:196
	scratch_load_b128 v[163:166], off, off offset:212
	scratch_load_b128 v[167:170], off, off offset:228
	v_mov_b32_e32 v2, 0
	ds_load_2addr_b64 v[171:174], v2 offset0:41 offset1:42
	ds_load_2addr_b64 v[175:178], v2 offset0:43 offset1:44
	s_mov_b32 s0, exec_lo
	s_waitcnt vmcnt(10) lgkmcnt(1)
	v_fma_f32 v171, v128, v171, 0
	s_delay_alu instid0(VALU_DEP_1) | instskip(SKIP_3) | instid1(VALU_DEP_1)
	v_fmac_f32_e32 v171, v129, v172
	ds_load_b64 v[3:4], v2 offset:488
	v_fmac_f32_e32 v171, v130, v173
	s_waitcnt vmcnt(9)
	v_fmac_f32_e32 v171, v131, v174
	ds_load_2addr_b64 v[128:131], v2 offset0:45 offset1:46
	s_waitcnt lgkmcnt(2)
	v_fmac_f32_e32 v171, v132, v175
	s_delay_alu instid0(VALU_DEP_1) | instskip(NEXT) | instid1(VALU_DEP_1)
	v_fmac_f32_e32 v171, v133, v176
	v_fmac_f32_e32 v171, v134, v177
	s_waitcnt vmcnt(8)
	s_delay_alu instid0(VALU_DEP_1) | instskip(SKIP_3) | instid1(VALU_DEP_1)
	v_fmac_f32_e32 v171, v135, v178
	ds_load_2addr_b64 v[132:135], v2 offset0:47 offset1:48
	s_waitcnt lgkmcnt(1)
	v_fmac_f32_e32 v171, v136, v128
	v_fmac_f32_e32 v171, v137, v129
	s_delay_alu instid0(VALU_DEP_1) | instskip(SKIP_1) | instid1(VALU_DEP_1)
	v_fmac_f32_e32 v171, v138, v130
	s_waitcnt vmcnt(7)
	v_fmac_f32_e32 v171, v139, v131
	ds_load_2addr_b64 v[128:131], v2 offset0:49 offset1:50
	s_waitcnt lgkmcnt(1)
	v_fmac_f32_e32 v171, v140, v132
	s_delay_alu instid0(VALU_DEP_1) | instskip(NEXT) | instid1(VALU_DEP_1)
	v_fmac_f32_e32 v171, v141, v133
	v_fmac_f32_e32 v171, v142, v134
	s_waitcnt vmcnt(6)
	s_delay_alu instid0(VALU_DEP_1) | instskip(SKIP_3) | instid1(VALU_DEP_1)
	v_fmac_f32_e32 v171, v143, v135
	ds_load_2addr_b64 v[132:135], v2 offset0:51 offset1:52
	s_waitcnt lgkmcnt(1)
	v_fmac_f32_e32 v171, v144, v128
	v_fmac_f32_e32 v171, v145, v129
	s_delay_alu instid0(VALU_DEP_1) | instskip(SKIP_1) | instid1(VALU_DEP_1)
	;; [unrolled: 17-line block ×3, first 2 shown]
	v_fmac_f32_e32 v171, v154, v130
	s_waitcnt vmcnt(3)
	v_fmac_f32_e32 v171, v155, v131
	ds_load_2addr_b64 v[128:131], v2 offset0:57 offset1:58
	s_waitcnt lgkmcnt(1)
	v_fmac_f32_e32 v171, v156, v132
	s_delay_alu instid0(VALU_DEP_1) | instskip(NEXT) | instid1(VALU_DEP_1)
	v_fmac_f32_e32 v171, v157, v133
	v_fmac_f32_e32 v171, v158, v134
	s_waitcnt vmcnt(2)
	s_delay_alu instid0(VALU_DEP_1)
	v_fmac_f32_e32 v171, v159, v135
	ds_load_2addr_b64 v[132:135], v2 offset0:59 offset1:60
	s_waitcnt lgkmcnt(1)
	v_fmac_f32_e32 v171, v160, v128
	ds_load_b32 v128, v2 offset:496
	v_fmac_f32_e32 v171, v161, v129
	s_delay_alu instid0(VALU_DEP_1) | instskip(SKIP_1) | instid1(VALU_DEP_1)
	v_fmac_f32_e32 v171, v162, v130
	s_waitcnt vmcnt(1)
	v_fmac_f32_e32 v171, v163, v131
	s_waitcnt lgkmcnt(1)
	s_delay_alu instid0(VALU_DEP_1) | instskip(NEXT) | instid1(VALU_DEP_1)
	v_fmac_f32_e32 v171, v164, v132
	v_fmac_f32_e32 v171, v165, v133
	s_delay_alu instid0(VALU_DEP_1) | instskip(SKIP_1) | instid1(VALU_DEP_1)
	v_fmac_f32_e32 v171, v166, v134
	s_waitcnt vmcnt(0)
	v_fmac_f32_e32 v171, v167, v135
	s_delay_alu instid0(VALU_DEP_1) | instskip(NEXT) | instid1(VALU_DEP_1)
	v_fmac_f32_e32 v171, v168, v3
	v_fmac_f32_e32 v171, v169, v4
	s_waitcnt lgkmcnt(0)
	s_delay_alu instid0(VALU_DEP_1) | instskip(NEXT) | instid1(VALU_DEP_1)
	v_fmac_f32_e32 v171, v170, v128
	v_sub_f32_e32 v3, v127, v171
	scratch_store_b32 off, v3, off offset:68
	v_cmpx_lt_u32_e32 16, v0
	s_cbranch_execz .LBB60_341
; %bb.340:
	scratch_load_b32 v3, off, off offset:64
	scratch_store_b32 off, v2, off offset:64
	s_waitcnt vmcnt(0)
	ds_store_b32 v1, v3
.LBB60_341:
	s_or_b32 exec_lo, exec_lo, s0
	s_waitcnt lgkmcnt(0)
	s_waitcnt_vscnt null, 0x0
	s_barrier
	buffer_gl0_inv
	s_clause 0xb
	scratch_load_b128 v[127:130], off, off offset:64
	scratch_load_b128 v[131:134], off, off offset:80
	;; [unrolled: 1-line block ×11, first 2 shown]
	scratch_load_b32 v177, off, off offset:240
	ds_load_2addr_b32 v[3:4], v2 offset0:81 offset1:82
	ds_load_2addr_b32 v[171:172], v2 offset0:83 offset1:84
	;; [unrolled: 1-line block ×4, first 2 shown]
	s_mov_b32 s0, exec_lo
	s_waitcnt vmcnt(11) lgkmcnt(3)
	v_fma_f32 v178, v128, v3, 0
	s_delay_alu instid0(VALU_DEP_1)
	v_fmac_f32_e32 v178, v129, v4
	ds_load_2addr_b32 v[3:4], v2 offset0:89 offset1:90
	ds_load_2addr_b32 v[128:129], v2 offset0:91 offset1:92
	s_waitcnt lgkmcnt(4)
	v_fmac_f32_e32 v178, v130, v171
	s_waitcnt vmcnt(10)
	s_delay_alu instid0(VALU_DEP_1) | instskip(SKIP_1) | instid1(VALU_DEP_1)
	v_fmac_f32_e32 v178, v131, v172
	s_waitcnt lgkmcnt(3)
	v_fmac_f32_e32 v178, v132, v173
	s_delay_alu instid0(VALU_DEP_1)
	v_fmac_f32_e32 v178, v133, v174
	ds_load_2addr_b32 v[130:131], v2 offset0:93 offset1:94
	ds_load_2addr_b32 v[132:133], v2 offset0:95 offset1:96
	s_waitcnt lgkmcnt(4)
	v_fmac_f32_e32 v178, v134, v175
	s_waitcnt vmcnt(9)
	s_delay_alu instid0(VALU_DEP_1) | instskip(SKIP_1) | instid1(VALU_DEP_1)
	v_fmac_f32_e32 v178, v135, v176
	s_waitcnt lgkmcnt(3)
	v_fmac_f32_e32 v178, v136, v3
	s_delay_alu instid0(VALU_DEP_1) | instskip(SKIP_4) | instid1(VALU_DEP_1)
	v_fmac_f32_e32 v178, v137, v4
	ds_load_2addr_b32 v[3:4], v2 offset0:97 offset1:98
	s_waitcnt lgkmcnt(3)
	v_fmac_f32_e32 v178, v138, v128
	s_waitcnt vmcnt(8)
	v_fmac_f32_e32 v178, v139, v129
	ds_load_2addr_b32 v[128:129], v2 offset0:99 offset1:100
	s_waitcnt lgkmcnt(3)
	v_fmac_f32_e32 v178, v140, v130
	s_delay_alu instid0(VALU_DEP_1) | instskip(SKIP_1) | instid1(VALU_DEP_1)
	v_fmac_f32_e32 v178, v141, v131
	s_waitcnt lgkmcnt(2)
	v_fmac_f32_e32 v178, v142, v132
	s_waitcnt vmcnt(7)
	s_delay_alu instid0(VALU_DEP_1) | instskip(SKIP_4) | instid1(VALU_DEP_1)
	v_fmac_f32_e32 v178, v143, v133
	ds_load_2addr_b32 v[130:131], v2 offset0:101 offset1:102
	ds_load_2addr_b32 v[132:133], v2 offset0:103 offset1:104
	s_waitcnt lgkmcnt(3)
	v_fmac_f32_e32 v178, v144, v3
	v_fmac_f32_e32 v178, v145, v4
	ds_load_2addr_b32 v[3:4], v2 offset0:105 offset1:106
	s_waitcnt lgkmcnt(3)
	v_fmac_f32_e32 v178, v146, v128
	s_waitcnt vmcnt(6)
	s_delay_alu instid0(VALU_DEP_1) | instskip(SKIP_3) | instid1(VALU_DEP_1)
	v_fmac_f32_e32 v178, v147, v129
	ds_load_2addr_b32 v[128:129], v2 offset0:107 offset1:108
	s_waitcnt lgkmcnt(3)
	v_fmac_f32_e32 v178, v148, v130
	v_fmac_f32_e32 v178, v149, v131
	s_waitcnt lgkmcnt(2)
	s_delay_alu instid0(VALU_DEP_1) | instskip(SKIP_1) | instid1(VALU_DEP_1)
	v_fmac_f32_e32 v178, v150, v132
	s_waitcnt vmcnt(5)
	v_fmac_f32_e32 v178, v151, v133
	ds_load_2addr_b32 v[130:131], v2 offset0:109 offset1:110
	ds_load_2addr_b32 v[132:133], v2 offset0:111 offset1:112
	s_waitcnt lgkmcnt(3)
	v_fmac_f32_e32 v178, v152, v3
	s_delay_alu instid0(VALU_DEP_1) | instskip(SKIP_4) | instid1(VALU_DEP_1)
	v_fmac_f32_e32 v178, v153, v4
	ds_load_2addr_b32 v[3:4], v2 offset0:113 offset1:114
	s_waitcnt lgkmcnt(3)
	v_fmac_f32_e32 v178, v154, v128
	s_waitcnt vmcnt(4)
	v_fmac_f32_e32 v178, v155, v129
	ds_load_2addr_b32 v[128:129], v2 offset0:115 offset1:116
	s_waitcnt lgkmcnt(3)
	v_fmac_f32_e32 v178, v156, v130
	s_delay_alu instid0(VALU_DEP_1) | instskip(SKIP_1) | instid1(VALU_DEP_1)
	v_fmac_f32_e32 v178, v157, v131
	s_waitcnt lgkmcnt(2)
	v_fmac_f32_e32 v178, v158, v132
	s_waitcnt vmcnt(3)
	s_delay_alu instid0(VALU_DEP_1) | instskip(SKIP_4) | instid1(VALU_DEP_1)
	v_fmac_f32_e32 v178, v159, v133
	ds_load_2addr_b32 v[130:131], v2 offset0:117 offset1:118
	ds_load_2addr_b32 v[132:133], v2 offset0:119 offset1:120
	s_waitcnt lgkmcnt(3)
	v_fmac_f32_e32 v178, v160, v3
	v_fmac_f32_e32 v178, v161, v4
	ds_load_2addr_b32 v[3:4], v2 offset0:121 offset1:122
	s_waitcnt lgkmcnt(3)
	v_fmac_f32_e32 v178, v162, v128
	s_waitcnt vmcnt(2)
	s_delay_alu instid0(VALU_DEP_1) | instskip(SKIP_3) | instid1(VALU_DEP_1)
	v_fmac_f32_e32 v178, v163, v129
	ds_load_2addr_b32 v[128:129], v2 offset0:123 offset1:124
	s_waitcnt lgkmcnt(3)
	v_fmac_f32_e32 v178, v164, v130
	v_fmac_f32_e32 v178, v165, v131
	s_waitcnt lgkmcnt(2)
	s_delay_alu instid0(VALU_DEP_1) | instskip(SKIP_1) | instid1(VALU_DEP_1)
	v_fmac_f32_e32 v178, v166, v132
	s_waitcnt vmcnt(1)
	v_fmac_f32_e32 v178, v167, v133
	s_waitcnt lgkmcnt(1)
	s_delay_alu instid0(VALU_DEP_1) | instskip(NEXT) | instid1(VALU_DEP_1)
	v_fmac_f32_e32 v178, v168, v3
	v_fmac_f32_e32 v178, v169, v4
	s_waitcnt lgkmcnt(0)
	s_delay_alu instid0(VALU_DEP_1) | instskip(SKIP_1) | instid1(VALU_DEP_1)
	v_fmac_f32_e32 v178, v170, v128
	s_waitcnt vmcnt(0)
	v_fmac_f32_e32 v178, v177, v129
	s_delay_alu instid0(VALU_DEP_1)
	v_sub_f32_e32 v2, v127, v178
	scratch_store_b32 off, v2, off offset:64
	v_cmpx_lt_u32_e32 15, v0
	s_cbranch_execz .LBB60_343
; %bb.342:
	scratch_load_b32 v2, off, off offset:60
	v_mov_b32_e32 v3, 0
	scratch_store_b32 off, v3, off offset:60
	s_waitcnt vmcnt(0)
	ds_store_b32 v1, v2
.LBB60_343:
	s_or_b32 exec_lo, exec_lo, s0
	s_waitcnt lgkmcnt(0)
	s_waitcnt_vscnt null, 0x0
	s_barrier
	buffer_gl0_inv
	s_clause 0xb
	scratch_load_b128 v[127:130], off, off offset:60
	scratch_load_b128 v[131:134], off, off offset:76
	;; [unrolled: 1-line block ×11, first 2 shown]
	scratch_load_b64 v[3:4], off, off offset:236
	v_mov_b32_e32 v2, 0
	ds_load_b128 v[171:174], v2 offset:320
	ds_load_b128 v[175:178], v2 offset:336
	s_mov_b32 s0, exec_lo
	s_waitcnt vmcnt(11) lgkmcnt(1)
	v_fma_f32 v171, v128, v171, 0
	s_delay_alu instid0(VALU_DEP_1) | instskip(NEXT) | instid1(VALU_DEP_1)
	v_fmac_f32_e32 v171, v129, v172
	v_fmac_f32_e32 v171, v130, v173
	s_waitcnt vmcnt(10)
	s_delay_alu instid0(VALU_DEP_1) | instskip(SKIP_3) | instid1(VALU_DEP_1)
	v_fmac_f32_e32 v171, v131, v174
	ds_load_b128 v[128:131], v2 offset:352
	s_waitcnt lgkmcnt(1)
	v_fmac_f32_e32 v171, v132, v175
	v_fmac_f32_e32 v171, v133, v176
	s_delay_alu instid0(VALU_DEP_1) | instskip(SKIP_1) | instid1(VALU_DEP_1)
	v_fmac_f32_e32 v171, v134, v177
	s_waitcnt vmcnt(9)
	v_fmac_f32_e32 v171, v135, v178
	ds_load_b128 v[132:135], v2 offset:368
	s_waitcnt lgkmcnt(1)
	v_fmac_f32_e32 v171, v136, v128
	s_delay_alu instid0(VALU_DEP_1) | instskip(NEXT) | instid1(VALU_DEP_1)
	v_fmac_f32_e32 v171, v137, v129
	v_fmac_f32_e32 v171, v138, v130
	s_waitcnt vmcnt(8)
	s_delay_alu instid0(VALU_DEP_1) | instskip(SKIP_3) | instid1(VALU_DEP_1)
	v_fmac_f32_e32 v171, v139, v131
	ds_load_b128 v[128:131], v2 offset:384
	s_waitcnt lgkmcnt(1)
	v_fmac_f32_e32 v171, v140, v132
	v_fmac_f32_e32 v171, v141, v133
	s_delay_alu instid0(VALU_DEP_1) | instskip(SKIP_1) | instid1(VALU_DEP_1)
	v_fmac_f32_e32 v171, v142, v134
	s_waitcnt vmcnt(7)
	v_fmac_f32_e32 v171, v143, v135
	ds_load_b128 v[132:135], v2 offset:400
	s_waitcnt lgkmcnt(1)
	v_fmac_f32_e32 v171, v144, v128
	;; [unrolled: 17-line block ×4, first 2 shown]
	s_delay_alu instid0(VALU_DEP_1) | instskip(NEXT) | instid1(VALU_DEP_1)
	v_fmac_f32_e32 v171, v161, v129
	v_fmac_f32_e32 v171, v162, v130
	s_waitcnt vmcnt(2)
	s_delay_alu instid0(VALU_DEP_1)
	v_fmac_f32_e32 v171, v163, v131
	ds_load_b128 v[128:131], v2 offset:480
	s_waitcnt lgkmcnt(1)
	v_fmac_f32_e32 v171, v164, v132
	ds_load_b32 v132, v2 offset:496
	v_fmac_f32_e32 v171, v165, v133
	s_delay_alu instid0(VALU_DEP_1) | instskip(SKIP_1) | instid1(VALU_DEP_1)
	v_fmac_f32_e32 v171, v166, v134
	s_waitcnt vmcnt(1)
	v_fmac_f32_e32 v171, v167, v135
	s_waitcnt lgkmcnt(1)
	s_delay_alu instid0(VALU_DEP_1) | instskip(NEXT) | instid1(VALU_DEP_1)
	v_fmac_f32_e32 v171, v168, v128
	v_fmac_f32_e32 v171, v169, v129
	s_delay_alu instid0(VALU_DEP_1) | instskip(SKIP_1) | instid1(VALU_DEP_1)
	v_fmac_f32_e32 v171, v170, v130
	s_waitcnt vmcnt(0)
	v_fmac_f32_e32 v171, v3, v131
	s_waitcnt lgkmcnt(0)
	s_delay_alu instid0(VALU_DEP_1) | instskip(NEXT) | instid1(VALU_DEP_1)
	v_fmac_f32_e32 v171, v4, v132
	v_sub_f32_e32 v3, v127, v171
	scratch_store_b32 off, v3, off offset:60
	v_cmpx_lt_u32_e32 14, v0
	s_cbranch_execz .LBB60_345
; %bb.344:
	scratch_load_b32 v3, off, off offset:56
	scratch_store_b32 off, v2, off offset:56
	s_waitcnt vmcnt(0)
	ds_store_b32 v1, v3
.LBB60_345:
	s_or_b32 exec_lo, exec_lo, s0
	s_waitcnt lgkmcnt(0)
	s_waitcnt_vscnt null, 0x0
	s_barrier
	buffer_gl0_inv
	s_clause 0xb
	scratch_load_b128 v[127:130], off, off offset:56
	scratch_load_b128 v[131:134], off, off offset:72
	;; [unrolled: 1-line block ×11, first 2 shown]
	scratch_load_b96 v[171:173], off, off offset:232
	ds_load_2addr_b32 v[3:4], v2 offset0:79 offset1:80
	ds_load_2addr_b32 v[174:175], v2 offset0:81 offset1:82
	ds_load_2addr_b32 v[176:177], v2 offset0:83 offset1:84
	ds_load_2addr_b32 v[178:179], v2 offset0:85 offset1:86
	s_mov_b32 s0, exec_lo
	s_waitcnt vmcnt(11) lgkmcnt(3)
	v_fma_f32 v180, v128, v3, 0
	s_delay_alu instid0(VALU_DEP_1)
	v_fmac_f32_e32 v180, v129, v4
	ds_load_2addr_b32 v[3:4], v2 offset0:87 offset1:88
	ds_load_2addr_b32 v[128:129], v2 offset0:89 offset1:90
	s_waitcnt lgkmcnt(4)
	v_fmac_f32_e32 v180, v130, v174
	s_waitcnt vmcnt(10)
	s_delay_alu instid0(VALU_DEP_1) | instskip(SKIP_1) | instid1(VALU_DEP_1)
	v_fmac_f32_e32 v180, v131, v175
	s_waitcnt lgkmcnt(3)
	v_fmac_f32_e32 v180, v132, v176
	s_delay_alu instid0(VALU_DEP_1)
	v_fmac_f32_e32 v180, v133, v177
	ds_load_2addr_b32 v[130:131], v2 offset0:91 offset1:92
	ds_load_2addr_b32 v[132:133], v2 offset0:93 offset1:94
	s_waitcnt lgkmcnt(4)
	v_fmac_f32_e32 v180, v134, v178
	s_waitcnt vmcnt(9)
	s_delay_alu instid0(VALU_DEP_1) | instskip(SKIP_1) | instid1(VALU_DEP_1)
	v_fmac_f32_e32 v180, v135, v179
	s_waitcnt lgkmcnt(3)
	v_fmac_f32_e32 v180, v136, v3
	s_delay_alu instid0(VALU_DEP_1) | instskip(SKIP_4) | instid1(VALU_DEP_1)
	v_fmac_f32_e32 v180, v137, v4
	ds_load_2addr_b32 v[3:4], v2 offset0:95 offset1:96
	s_waitcnt lgkmcnt(3)
	v_fmac_f32_e32 v180, v138, v128
	s_waitcnt vmcnt(8)
	v_fmac_f32_e32 v180, v139, v129
	ds_load_2addr_b32 v[128:129], v2 offset0:97 offset1:98
	s_waitcnt lgkmcnt(3)
	v_fmac_f32_e32 v180, v140, v130
	s_delay_alu instid0(VALU_DEP_1) | instskip(SKIP_1) | instid1(VALU_DEP_1)
	v_fmac_f32_e32 v180, v141, v131
	s_waitcnt lgkmcnt(2)
	v_fmac_f32_e32 v180, v142, v132
	s_waitcnt vmcnt(7)
	s_delay_alu instid0(VALU_DEP_1) | instskip(SKIP_4) | instid1(VALU_DEP_1)
	v_fmac_f32_e32 v180, v143, v133
	ds_load_2addr_b32 v[130:131], v2 offset0:99 offset1:100
	ds_load_2addr_b32 v[132:133], v2 offset0:101 offset1:102
	s_waitcnt lgkmcnt(3)
	v_fmac_f32_e32 v180, v144, v3
	v_fmac_f32_e32 v180, v145, v4
	ds_load_2addr_b32 v[3:4], v2 offset0:103 offset1:104
	s_waitcnt lgkmcnt(3)
	v_fmac_f32_e32 v180, v146, v128
	s_waitcnt vmcnt(6)
	s_delay_alu instid0(VALU_DEP_1) | instskip(SKIP_3) | instid1(VALU_DEP_1)
	v_fmac_f32_e32 v180, v147, v129
	ds_load_2addr_b32 v[128:129], v2 offset0:105 offset1:106
	s_waitcnt lgkmcnt(3)
	v_fmac_f32_e32 v180, v148, v130
	v_fmac_f32_e32 v180, v149, v131
	s_waitcnt lgkmcnt(2)
	s_delay_alu instid0(VALU_DEP_1) | instskip(SKIP_1) | instid1(VALU_DEP_1)
	v_fmac_f32_e32 v180, v150, v132
	s_waitcnt vmcnt(5)
	v_fmac_f32_e32 v180, v151, v133
	ds_load_2addr_b32 v[130:131], v2 offset0:107 offset1:108
	ds_load_2addr_b32 v[132:133], v2 offset0:109 offset1:110
	s_waitcnt lgkmcnt(3)
	v_fmac_f32_e32 v180, v152, v3
	s_delay_alu instid0(VALU_DEP_1) | instskip(SKIP_4) | instid1(VALU_DEP_1)
	v_fmac_f32_e32 v180, v153, v4
	ds_load_2addr_b32 v[3:4], v2 offset0:111 offset1:112
	s_waitcnt lgkmcnt(3)
	v_fmac_f32_e32 v180, v154, v128
	s_waitcnt vmcnt(4)
	v_fmac_f32_e32 v180, v155, v129
	ds_load_2addr_b32 v[128:129], v2 offset0:113 offset1:114
	s_waitcnt lgkmcnt(3)
	v_fmac_f32_e32 v180, v156, v130
	s_delay_alu instid0(VALU_DEP_1) | instskip(SKIP_1) | instid1(VALU_DEP_1)
	v_fmac_f32_e32 v180, v157, v131
	s_waitcnt lgkmcnt(2)
	v_fmac_f32_e32 v180, v158, v132
	s_waitcnt vmcnt(3)
	s_delay_alu instid0(VALU_DEP_1) | instskip(SKIP_4) | instid1(VALU_DEP_1)
	v_fmac_f32_e32 v180, v159, v133
	ds_load_2addr_b32 v[130:131], v2 offset0:115 offset1:116
	ds_load_2addr_b32 v[132:133], v2 offset0:117 offset1:118
	s_waitcnt lgkmcnt(3)
	v_fmac_f32_e32 v180, v160, v3
	v_fmac_f32_e32 v180, v161, v4
	ds_load_2addr_b32 v[3:4], v2 offset0:119 offset1:120
	s_waitcnt lgkmcnt(3)
	v_fmac_f32_e32 v180, v162, v128
	s_waitcnt vmcnt(2)
	s_delay_alu instid0(VALU_DEP_1) | instskip(SKIP_3) | instid1(VALU_DEP_1)
	v_fmac_f32_e32 v180, v163, v129
	ds_load_2addr_b32 v[128:129], v2 offset0:121 offset1:122
	s_waitcnt lgkmcnt(3)
	v_fmac_f32_e32 v180, v164, v130
	v_fmac_f32_e32 v180, v165, v131
	ds_load_2addr_b32 v[130:131], v2 offset0:123 offset1:124
	s_waitcnt lgkmcnt(3)
	v_fmac_f32_e32 v180, v166, v132
	s_waitcnt vmcnt(1)
	s_delay_alu instid0(VALU_DEP_1) | instskip(SKIP_1) | instid1(VALU_DEP_1)
	v_fmac_f32_e32 v180, v167, v133
	s_waitcnt lgkmcnt(2)
	v_fmac_f32_e32 v180, v168, v3
	s_delay_alu instid0(VALU_DEP_1) | instskip(SKIP_1) | instid1(VALU_DEP_1)
	v_fmac_f32_e32 v180, v169, v4
	s_waitcnt lgkmcnt(1)
	v_fmac_f32_e32 v180, v170, v128
	s_waitcnt vmcnt(0)
	s_delay_alu instid0(VALU_DEP_1) | instskip(SKIP_1) | instid1(VALU_DEP_1)
	v_fmac_f32_e32 v180, v171, v129
	s_waitcnt lgkmcnt(0)
	v_fmac_f32_e32 v180, v172, v130
	s_delay_alu instid0(VALU_DEP_1) | instskip(NEXT) | instid1(VALU_DEP_1)
	v_fmac_f32_e32 v180, v173, v131
	v_sub_f32_e32 v2, v127, v180
	scratch_store_b32 off, v2, off offset:56
	v_cmpx_lt_u32_e32 13, v0
	s_cbranch_execz .LBB60_347
; %bb.346:
	scratch_load_b32 v2, off, off offset:52
	v_mov_b32_e32 v3, 0
	scratch_store_b32 off, v3, off offset:52
	s_waitcnt vmcnt(0)
	ds_store_b32 v1, v2
.LBB60_347:
	s_or_b32 exec_lo, exec_lo, s0
	s_waitcnt lgkmcnt(0)
	s_waitcnt_vscnt null, 0x0
	s_barrier
	buffer_gl0_inv
	s_clause 0xb
	scratch_load_b128 v[127:130], off, off offset:52
	scratch_load_b128 v[131:134], off, off offset:68
	;; [unrolled: 1-line block ×12, first 2 shown]
	v_mov_b32_e32 v2, 0
	ds_load_2addr_b64 v[175:178], v2 offset0:39 offset1:40
	ds_load_2addr_b64 v[179:182], v2 offset0:41 offset1:42
	s_mov_b32 s0, exec_lo
	s_waitcnt vmcnt(11) lgkmcnt(1)
	v_fma_f32 v175, v128, v175, 0
	s_delay_alu instid0(VALU_DEP_1) | instskip(SKIP_3) | instid1(VALU_DEP_1)
	v_fmac_f32_e32 v175, v129, v176
	ds_load_b64 v[3:4], v2 offset:488
	v_fmac_f32_e32 v175, v130, v177
	s_waitcnt vmcnt(10)
	v_fmac_f32_e32 v175, v131, v178
	ds_load_2addr_b64 v[128:131], v2 offset0:43 offset1:44
	s_waitcnt lgkmcnt(2)
	v_fmac_f32_e32 v175, v132, v179
	s_delay_alu instid0(VALU_DEP_1) | instskip(NEXT) | instid1(VALU_DEP_1)
	v_fmac_f32_e32 v175, v133, v180
	v_fmac_f32_e32 v175, v134, v181
	s_waitcnt vmcnt(9)
	s_delay_alu instid0(VALU_DEP_1) | instskip(SKIP_3) | instid1(VALU_DEP_1)
	v_fmac_f32_e32 v175, v135, v182
	ds_load_2addr_b64 v[132:135], v2 offset0:45 offset1:46
	s_waitcnt lgkmcnt(1)
	v_fmac_f32_e32 v175, v136, v128
	v_fmac_f32_e32 v175, v137, v129
	s_delay_alu instid0(VALU_DEP_1) | instskip(SKIP_1) | instid1(VALU_DEP_1)
	v_fmac_f32_e32 v175, v138, v130
	s_waitcnt vmcnt(8)
	v_fmac_f32_e32 v175, v139, v131
	ds_load_2addr_b64 v[128:131], v2 offset0:47 offset1:48
	s_waitcnt lgkmcnt(1)
	v_fmac_f32_e32 v175, v140, v132
	s_delay_alu instid0(VALU_DEP_1) | instskip(NEXT) | instid1(VALU_DEP_1)
	v_fmac_f32_e32 v175, v141, v133
	v_fmac_f32_e32 v175, v142, v134
	s_waitcnt vmcnt(7)
	s_delay_alu instid0(VALU_DEP_1) | instskip(SKIP_3) | instid1(VALU_DEP_1)
	v_fmac_f32_e32 v175, v143, v135
	ds_load_2addr_b64 v[132:135], v2 offset0:49 offset1:50
	s_waitcnt lgkmcnt(1)
	v_fmac_f32_e32 v175, v144, v128
	v_fmac_f32_e32 v175, v145, v129
	s_delay_alu instid0(VALU_DEP_1) | instskip(SKIP_1) | instid1(VALU_DEP_1)
	;; [unrolled: 17-line block ×4, first 2 shown]
	v_fmac_f32_e32 v175, v162, v130
	s_waitcnt vmcnt(2)
	v_fmac_f32_e32 v175, v163, v131
	ds_load_2addr_b64 v[128:131], v2 offset0:59 offset1:60
	s_waitcnt lgkmcnt(1)
	v_fmac_f32_e32 v175, v164, v132
	s_delay_alu instid0(VALU_DEP_1) | instskip(NEXT) | instid1(VALU_DEP_1)
	v_fmac_f32_e32 v175, v165, v133
	v_fmac_f32_e32 v175, v166, v134
	s_waitcnt vmcnt(1)
	s_delay_alu instid0(VALU_DEP_1) | instskip(SKIP_1) | instid1(VALU_DEP_1)
	v_fmac_f32_e32 v175, v167, v135
	s_waitcnt lgkmcnt(0)
	v_fmac_f32_e32 v175, v168, v128
	ds_load_b32 v128, v2 offset:496
	v_fmac_f32_e32 v175, v169, v129
	s_delay_alu instid0(VALU_DEP_1) | instskip(SKIP_1) | instid1(VALU_DEP_1)
	v_fmac_f32_e32 v175, v170, v130
	s_waitcnt vmcnt(0)
	v_fmac_f32_e32 v175, v171, v131
	s_delay_alu instid0(VALU_DEP_1) | instskip(NEXT) | instid1(VALU_DEP_1)
	v_fmac_f32_e32 v175, v172, v3
	v_fmac_f32_e32 v175, v173, v4
	s_waitcnt lgkmcnt(0)
	s_delay_alu instid0(VALU_DEP_1) | instskip(NEXT) | instid1(VALU_DEP_1)
	v_fmac_f32_e32 v175, v174, v128
	v_sub_f32_e32 v3, v127, v175
	scratch_store_b32 off, v3, off offset:52
	v_cmpx_lt_u32_e32 12, v0
	s_cbranch_execz .LBB60_349
; %bb.348:
	scratch_load_b32 v3, off, off offset:48
	scratch_store_b32 off, v2, off offset:48
	s_waitcnt vmcnt(0)
	ds_store_b32 v1, v3
.LBB60_349:
	s_or_b32 exec_lo, exec_lo, s0
	s_waitcnt lgkmcnt(0)
	s_waitcnt_vscnt null, 0x0
	s_barrier
	buffer_gl0_inv
	s_clause 0xc
	scratch_load_b128 v[127:130], off, off offset:48
	scratch_load_b128 v[131:134], off, off offset:64
	;; [unrolled: 1-line block ×12, first 2 shown]
	scratch_load_b32 v181, off, off offset:240
	ds_load_2addr_b32 v[3:4], v2 offset0:77 offset1:78
	ds_load_2addr_b32 v[175:176], v2 offset0:79 offset1:80
	;; [unrolled: 1-line block ×4, first 2 shown]
	s_mov_b32 s0, exec_lo
	s_waitcnt vmcnt(12) lgkmcnt(3)
	v_fma_f32 v182, v128, v3, 0
	s_delay_alu instid0(VALU_DEP_1)
	v_fmac_f32_e32 v182, v129, v4
	ds_load_2addr_b32 v[3:4], v2 offset0:85 offset1:86
	ds_load_2addr_b32 v[128:129], v2 offset0:87 offset1:88
	s_waitcnt lgkmcnt(4)
	v_fmac_f32_e32 v182, v130, v175
	s_waitcnt vmcnt(11)
	s_delay_alu instid0(VALU_DEP_1) | instskip(SKIP_1) | instid1(VALU_DEP_1)
	v_fmac_f32_e32 v182, v131, v176
	s_waitcnt lgkmcnt(3)
	v_fmac_f32_e32 v182, v132, v177
	s_delay_alu instid0(VALU_DEP_1)
	v_fmac_f32_e32 v182, v133, v178
	ds_load_2addr_b32 v[130:131], v2 offset0:89 offset1:90
	ds_load_2addr_b32 v[132:133], v2 offset0:91 offset1:92
	s_waitcnt lgkmcnt(4)
	v_fmac_f32_e32 v182, v134, v179
	s_waitcnt vmcnt(10)
	s_delay_alu instid0(VALU_DEP_1) | instskip(SKIP_1) | instid1(VALU_DEP_1)
	v_fmac_f32_e32 v182, v135, v180
	s_waitcnt lgkmcnt(3)
	v_fmac_f32_e32 v182, v136, v3
	s_delay_alu instid0(VALU_DEP_1) | instskip(SKIP_4) | instid1(VALU_DEP_1)
	v_fmac_f32_e32 v182, v137, v4
	ds_load_2addr_b32 v[3:4], v2 offset0:93 offset1:94
	s_waitcnt lgkmcnt(3)
	v_fmac_f32_e32 v182, v138, v128
	s_waitcnt vmcnt(9)
	v_fmac_f32_e32 v182, v139, v129
	ds_load_2addr_b32 v[128:129], v2 offset0:95 offset1:96
	s_waitcnt lgkmcnt(3)
	v_fmac_f32_e32 v182, v140, v130
	s_delay_alu instid0(VALU_DEP_1) | instskip(SKIP_1) | instid1(VALU_DEP_1)
	v_fmac_f32_e32 v182, v141, v131
	s_waitcnt lgkmcnt(2)
	v_fmac_f32_e32 v182, v142, v132
	s_waitcnt vmcnt(8)
	s_delay_alu instid0(VALU_DEP_1) | instskip(SKIP_4) | instid1(VALU_DEP_1)
	v_fmac_f32_e32 v182, v143, v133
	ds_load_2addr_b32 v[130:131], v2 offset0:97 offset1:98
	ds_load_2addr_b32 v[132:133], v2 offset0:99 offset1:100
	s_waitcnt lgkmcnt(3)
	v_fmac_f32_e32 v182, v144, v3
	v_fmac_f32_e32 v182, v145, v4
	ds_load_2addr_b32 v[3:4], v2 offset0:101 offset1:102
	s_waitcnt lgkmcnt(3)
	v_fmac_f32_e32 v182, v146, v128
	s_waitcnt vmcnt(7)
	s_delay_alu instid0(VALU_DEP_1) | instskip(SKIP_3) | instid1(VALU_DEP_1)
	v_fmac_f32_e32 v182, v147, v129
	ds_load_2addr_b32 v[128:129], v2 offset0:103 offset1:104
	s_waitcnt lgkmcnt(3)
	v_fmac_f32_e32 v182, v148, v130
	v_fmac_f32_e32 v182, v149, v131
	s_waitcnt lgkmcnt(2)
	s_delay_alu instid0(VALU_DEP_1) | instskip(SKIP_1) | instid1(VALU_DEP_1)
	v_fmac_f32_e32 v182, v150, v132
	s_waitcnt vmcnt(6)
	v_fmac_f32_e32 v182, v151, v133
	ds_load_2addr_b32 v[130:131], v2 offset0:105 offset1:106
	ds_load_2addr_b32 v[132:133], v2 offset0:107 offset1:108
	s_waitcnt lgkmcnt(3)
	v_fmac_f32_e32 v182, v152, v3
	s_delay_alu instid0(VALU_DEP_1) | instskip(SKIP_4) | instid1(VALU_DEP_1)
	v_fmac_f32_e32 v182, v153, v4
	ds_load_2addr_b32 v[3:4], v2 offset0:109 offset1:110
	s_waitcnt lgkmcnt(3)
	v_fmac_f32_e32 v182, v154, v128
	s_waitcnt vmcnt(5)
	v_fmac_f32_e32 v182, v155, v129
	ds_load_2addr_b32 v[128:129], v2 offset0:111 offset1:112
	s_waitcnt lgkmcnt(3)
	v_fmac_f32_e32 v182, v156, v130
	s_delay_alu instid0(VALU_DEP_1) | instskip(SKIP_1) | instid1(VALU_DEP_1)
	v_fmac_f32_e32 v182, v157, v131
	s_waitcnt lgkmcnt(2)
	v_fmac_f32_e32 v182, v158, v132
	s_waitcnt vmcnt(4)
	s_delay_alu instid0(VALU_DEP_1) | instskip(SKIP_4) | instid1(VALU_DEP_1)
	v_fmac_f32_e32 v182, v159, v133
	ds_load_2addr_b32 v[130:131], v2 offset0:113 offset1:114
	ds_load_2addr_b32 v[132:133], v2 offset0:115 offset1:116
	s_waitcnt lgkmcnt(3)
	v_fmac_f32_e32 v182, v160, v3
	v_fmac_f32_e32 v182, v161, v4
	ds_load_2addr_b32 v[3:4], v2 offset0:117 offset1:118
	s_waitcnt lgkmcnt(3)
	v_fmac_f32_e32 v182, v162, v128
	s_waitcnt vmcnt(3)
	s_delay_alu instid0(VALU_DEP_1) | instskip(SKIP_3) | instid1(VALU_DEP_1)
	v_fmac_f32_e32 v182, v163, v129
	ds_load_2addr_b32 v[128:129], v2 offset0:119 offset1:120
	s_waitcnt lgkmcnt(3)
	v_fmac_f32_e32 v182, v164, v130
	v_fmac_f32_e32 v182, v165, v131
	s_waitcnt lgkmcnt(2)
	s_delay_alu instid0(VALU_DEP_1) | instskip(SKIP_1) | instid1(VALU_DEP_1)
	v_fmac_f32_e32 v182, v166, v132
	s_waitcnt vmcnt(2)
	v_fmac_f32_e32 v182, v167, v133
	ds_load_2addr_b32 v[130:131], v2 offset0:121 offset1:122
	ds_load_2addr_b32 v[132:133], v2 offset0:123 offset1:124
	s_waitcnt lgkmcnt(3)
	v_fmac_f32_e32 v182, v168, v3
	s_delay_alu instid0(VALU_DEP_1) | instskip(SKIP_1) | instid1(VALU_DEP_1)
	v_fmac_f32_e32 v182, v169, v4
	s_waitcnt lgkmcnt(2)
	v_fmac_f32_e32 v182, v170, v128
	s_waitcnt vmcnt(1)
	s_delay_alu instid0(VALU_DEP_1) | instskip(SKIP_1) | instid1(VALU_DEP_1)
	v_fmac_f32_e32 v182, v171, v129
	s_waitcnt lgkmcnt(1)
	v_fmac_f32_e32 v182, v172, v130
	s_delay_alu instid0(VALU_DEP_1) | instskip(SKIP_1) | instid1(VALU_DEP_1)
	v_fmac_f32_e32 v182, v173, v131
	s_waitcnt lgkmcnt(0)
	v_fmac_f32_e32 v182, v174, v132
	s_waitcnt vmcnt(0)
	s_delay_alu instid0(VALU_DEP_1) | instskip(NEXT) | instid1(VALU_DEP_1)
	v_fmac_f32_e32 v182, v181, v133
	v_sub_f32_e32 v2, v127, v182
	scratch_store_b32 off, v2, off offset:48
	v_cmpx_lt_u32_e32 11, v0
	s_cbranch_execz .LBB60_351
; %bb.350:
	scratch_load_b32 v2, off, off offset:44
	v_mov_b32_e32 v3, 0
	scratch_store_b32 off, v3, off offset:44
	s_waitcnt vmcnt(0)
	ds_store_b32 v1, v2
.LBB60_351:
	s_or_b32 exec_lo, exec_lo, s0
	s_waitcnt lgkmcnt(0)
	s_waitcnt_vscnt null, 0x0
	s_barrier
	buffer_gl0_inv
	s_clause 0xc
	scratch_load_b128 v[127:130], off, off offset:44
	scratch_load_b128 v[131:134], off, off offset:60
	scratch_load_b128 v[135:138], off, off offset:76
	scratch_load_b128 v[139:142], off, off offset:92
	scratch_load_b128 v[143:146], off, off offset:108
	scratch_load_b128 v[147:150], off, off offset:124
	scratch_load_b128 v[151:154], off, off offset:140
	scratch_load_b128 v[155:158], off, off offset:156
	scratch_load_b128 v[159:162], off, off offset:172
	scratch_load_b128 v[163:166], off, off offset:188
	scratch_load_b128 v[167:170], off, off offset:204
	scratch_load_b128 v[171:174], off, off offset:220
	scratch_load_b64 v[3:4], off, off offset:236
	v_mov_b32_e32 v2, 0
	ds_load_b128 v[175:178], v2 offset:304
	ds_load_b128 v[179:182], v2 offset:320
	s_mov_b32 s0, exec_lo
	s_waitcnt vmcnt(12) lgkmcnt(1)
	v_fma_f32 v175, v128, v175, 0
	s_delay_alu instid0(VALU_DEP_1) | instskip(NEXT) | instid1(VALU_DEP_1)
	v_fmac_f32_e32 v175, v129, v176
	v_fmac_f32_e32 v175, v130, v177
	s_waitcnt vmcnt(11)
	s_delay_alu instid0(VALU_DEP_1) | instskip(SKIP_3) | instid1(VALU_DEP_1)
	v_fmac_f32_e32 v175, v131, v178
	ds_load_b128 v[128:131], v2 offset:336
	s_waitcnt lgkmcnt(1)
	v_fmac_f32_e32 v175, v132, v179
	v_fmac_f32_e32 v175, v133, v180
	s_delay_alu instid0(VALU_DEP_1) | instskip(SKIP_1) | instid1(VALU_DEP_1)
	v_fmac_f32_e32 v175, v134, v181
	s_waitcnt vmcnt(10)
	v_fmac_f32_e32 v175, v135, v182
	ds_load_b128 v[132:135], v2 offset:352
	s_waitcnt lgkmcnt(1)
	v_fmac_f32_e32 v175, v136, v128
	s_delay_alu instid0(VALU_DEP_1) | instskip(NEXT) | instid1(VALU_DEP_1)
	v_fmac_f32_e32 v175, v137, v129
	v_fmac_f32_e32 v175, v138, v130
	s_waitcnt vmcnt(9)
	s_delay_alu instid0(VALU_DEP_1) | instskip(SKIP_3) | instid1(VALU_DEP_1)
	v_fmac_f32_e32 v175, v139, v131
	ds_load_b128 v[128:131], v2 offset:368
	s_waitcnt lgkmcnt(1)
	v_fmac_f32_e32 v175, v140, v132
	v_fmac_f32_e32 v175, v141, v133
	s_delay_alu instid0(VALU_DEP_1) | instskip(SKIP_1) | instid1(VALU_DEP_1)
	v_fmac_f32_e32 v175, v142, v134
	s_waitcnt vmcnt(8)
	v_fmac_f32_e32 v175, v143, v135
	ds_load_b128 v[132:135], v2 offset:384
	s_waitcnt lgkmcnt(1)
	v_fmac_f32_e32 v175, v144, v128
	;; [unrolled: 17-line block ×5, first 2 shown]
	ds_load_b32 v128, v2 offset:496
	v_fmac_f32_e32 v175, v169, v129
	s_delay_alu instid0(VALU_DEP_1) | instskip(SKIP_1) | instid1(VALU_DEP_1)
	v_fmac_f32_e32 v175, v170, v130
	s_waitcnt vmcnt(1)
	v_fmac_f32_e32 v175, v171, v131
	s_waitcnt lgkmcnt(1)
	s_delay_alu instid0(VALU_DEP_1) | instskip(NEXT) | instid1(VALU_DEP_1)
	v_fmac_f32_e32 v175, v172, v132
	v_fmac_f32_e32 v175, v173, v133
	s_delay_alu instid0(VALU_DEP_1) | instskip(SKIP_1) | instid1(VALU_DEP_1)
	v_fmac_f32_e32 v175, v174, v134
	s_waitcnt vmcnt(0)
	v_fmac_f32_e32 v175, v3, v135
	s_waitcnt lgkmcnt(0)
	s_delay_alu instid0(VALU_DEP_1) | instskip(NEXT) | instid1(VALU_DEP_1)
	v_fmac_f32_e32 v175, v4, v128
	v_sub_f32_e32 v3, v127, v175
	scratch_store_b32 off, v3, off offset:44
	v_cmpx_lt_u32_e32 10, v0
	s_cbranch_execz .LBB60_353
; %bb.352:
	scratch_load_b32 v3, off, off offset:40
	scratch_store_b32 off, v2, off offset:40
	s_waitcnt vmcnt(0)
	ds_store_b32 v1, v3
.LBB60_353:
	s_or_b32 exec_lo, exec_lo, s0
	s_waitcnt lgkmcnt(0)
	s_waitcnt_vscnt null, 0x0
	s_barrier
	buffer_gl0_inv
	s_clause 0xc
	scratch_load_b128 v[127:130], off, off offset:40
	scratch_load_b128 v[131:134], off, off offset:56
	;; [unrolled: 1-line block ×12, first 2 shown]
	scratch_load_b96 v[175:177], off, off offset:232
	ds_load_2addr_b32 v[3:4], v2 offset0:75 offset1:76
	ds_load_2addr_b32 v[178:179], v2 offset0:77 offset1:78
	;; [unrolled: 1-line block ×4, first 2 shown]
	s_mov_b32 s0, exec_lo
	s_waitcnt vmcnt(12) lgkmcnt(3)
	v_fma_f32 v184, v128, v3, 0
	s_delay_alu instid0(VALU_DEP_1)
	v_fmac_f32_e32 v184, v129, v4
	ds_load_2addr_b32 v[3:4], v2 offset0:83 offset1:84
	ds_load_2addr_b32 v[128:129], v2 offset0:85 offset1:86
	s_waitcnt lgkmcnt(4)
	v_fmac_f32_e32 v184, v130, v178
	s_waitcnt vmcnt(11)
	s_delay_alu instid0(VALU_DEP_1) | instskip(SKIP_1) | instid1(VALU_DEP_1)
	v_fmac_f32_e32 v184, v131, v179
	s_waitcnt lgkmcnt(3)
	v_fmac_f32_e32 v184, v132, v180
	s_delay_alu instid0(VALU_DEP_1)
	v_fmac_f32_e32 v184, v133, v181
	ds_load_2addr_b32 v[130:131], v2 offset0:87 offset1:88
	ds_load_2addr_b32 v[132:133], v2 offset0:89 offset1:90
	s_waitcnt lgkmcnt(4)
	v_fmac_f32_e32 v184, v134, v182
	s_waitcnt vmcnt(10)
	s_delay_alu instid0(VALU_DEP_1) | instskip(SKIP_1) | instid1(VALU_DEP_1)
	v_fmac_f32_e32 v184, v135, v183
	s_waitcnt lgkmcnt(3)
	v_fmac_f32_e32 v184, v136, v3
	s_delay_alu instid0(VALU_DEP_1) | instskip(SKIP_4) | instid1(VALU_DEP_1)
	v_fmac_f32_e32 v184, v137, v4
	ds_load_2addr_b32 v[3:4], v2 offset0:91 offset1:92
	s_waitcnt lgkmcnt(3)
	v_fmac_f32_e32 v184, v138, v128
	s_waitcnt vmcnt(9)
	v_fmac_f32_e32 v184, v139, v129
	ds_load_2addr_b32 v[128:129], v2 offset0:93 offset1:94
	s_waitcnt lgkmcnt(3)
	v_fmac_f32_e32 v184, v140, v130
	s_delay_alu instid0(VALU_DEP_1) | instskip(SKIP_1) | instid1(VALU_DEP_1)
	v_fmac_f32_e32 v184, v141, v131
	s_waitcnt lgkmcnt(2)
	v_fmac_f32_e32 v184, v142, v132
	s_waitcnt vmcnt(8)
	s_delay_alu instid0(VALU_DEP_1) | instskip(SKIP_4) | instid1(VALU_DEP_1)
	v_fmac_f32_e32 v184, v143, v133
	ds_load_2addr_b32 v[130:131], v2 offset0:95 offset1:96
	ds_load_2addr_b32 v[132:133], v2 offset0:97 offset1:98
	s_waitcnt lgkmcnt(3)
	v_fmac_f32_e32 v184, v144, v3
	v_fmac_f32_e32 v184, v145, v4
	ds_load_2addr_b32 v[3:4], v2 offset0:99 offset1:100
	s_waitcnt lgkmcnt(3)
	v_fmac_f32_e32 v184, v146, v128
	s_waitcnt vmcnt(7)
	s_delay_alu instid0(VALU_DEP_1) | instskip(SKIP_3) | instid1(VALU_DEP_1)
	v_fmac_f32_e32 v184, v147, v129
	ds_load_2addr_b32 v[128:129], v2 offset0:101 offset1:102
	s_waitcnt lgkmcnt(3)
	v_fmac_f32_e32 v184, v148, v130
	v_fmac_f32_e32 v184, v149, v131
	s_waitcnt lgkmcnt(2)
	s_delay_alu instid0(VALU_DEP_1) | instskip(SKIP_1) | instid1(VALU_DEP_1)
	v_fmac_f32_e32 v184, v150, v132
	s_waitcnt vmcnt(6)
	v_fmac_f32_e32 v184, v151, v133
	ds_load_2addr_b32 v[130:131], v2 offset0:103 offset1:104
	ds_load_2addr_b32 v[132:133], v2 offset0:105 offset1:106
	s_waitcnt lgkmcnt(3)
	v_fmac_f32_e32 v184, v152, v3
	s_delay_alu instid0(VALU_DEP_1) | instskip(SKIP_4) | instid1(VALU_DEP_1)
	v_fmac_f32_e32 v184, v153, v4
	ds_load_2addr_b32 v[3:4], v2 offset0:107 offset1:108
	s_waitcnt lgkmcnt(3)
	v_fmac_f32_e32 v184, v154, v128
	s_waitcnt vmcnt(5)
	v_fmac_f32_e32 v184, v155, v129
	ds_load_2addr_b32 v[128:129], v2 offset0:109 offset1:110
	s_waitcnt lgkmcnt(3)
	v_fmac_f32_e32 v184, v156, v130
	s_delay_alu instid0(VALU_DEP_1) | instskip(SKIP_1) | instid1(VALU_DEP_1)
	v_fmac_f32_e32 v184, v157, v131
	s_waitcnt lgkmcnt(2)
	v_fmac_f32_e32 v184, v158, v132
	s_waitcnt vmcnt(4)
	s_delay_alu instid0(VALU_DEP_1) | instskip(SKIP_4) | instid1(VALU_DEP_1)
	v_fmac_f32_e32 v184, v159, v133
	ds_load_2addr_b32 v[130:131], v2 offset0:111 offset1:112
	ds_load_2addr_b32 v[132:133], v2 offset0:113 offset1:114
	s_waitcnt lgkmcnt(3)
	v_fmac_f32_e32 v184, v160, v3
	v_fmac_f32_e32 v184, v161, v4
	ds_load_2addr_b32 v[3:4], v2 offset0:115 offset1:116
	s_waitcnt lgkmcnt(3)
	v_fmac_f32_e32 v184, v162, v128
	s_waitcnt vmcnt(3)
	s_delay_alu instid0(VALU_DEP_1) | instskip(SKIP_3) | instid1(VALU_DEP_1)
	v_fmac_f32_e32 v184, v163, v129
	ds_load_2addr_b32 v[128:129], v2 offset0:117 offset1:118
	s_waitcnt lgkmcnt(3)
	v_fmac_f32_e32 v184, v164, v130
	v_fmac_f32_e32 v184, v165, v131
	s_waitcnt lgkmcnt(2)
	s_delay_alu instid0(VALU_DEP_1) | instskip(SKIP_1) | instid1(VALU_DEP_1)
	v_fmac_f32_e32 v184, v166, v132
	s_waitcnt vmcnt(2)
	v_fmac_f32_e32 v184, v167, v133
	ds_load_2addr_b32 v[130:131], v2 offset0:119 offset1:120
	ds_load_2addr_b32 v[132:133], v2 offset0:121 offset1:122
	s_waitcnt lgkmcnt(3)
	v_fmac_f32_e32 v184, v168, v3
	ds_load_2addr_b32 v[2:3], v2 offset0:123 offset1:124
	v_fmac_f32_e32 v184, v169, v4
	s_waitcnt lgkmcnt(3)
	s_delay_alu instid0(VALU_DEP_1) | instskip(SKIP_1) | instid1(VALU_DEP_1)
	v_fmac_f32_e32 v184, v170, v128
	s_waitcnt vmcnt(1)
	v_fmac_f32_e32 v184, v171, v129
	s_waitcnt lgkmcnt(2)
	s_delay_alu instid0(VALU_DEP_1) | instskip(NEXT) | instid1(VALU_DEP_1)
	v_fmac_f32_e32 v184, v172, v130
	v_fmac_f32_e32 v184, v173, v131
	s_waitcnt lgkmcnt(1)
	s_delay_alu instid0(VALU_DEP_1) | instskip(SKIP_1) | instid1(VALU_DEP_1)
	v_fmac_f32_e32 v184, v174, v132
	s_waitcnt vmcnt(0)
	v_fmac_f32_e32 v184, v175, v133
	s_waitcnt lgkmcnt(0)
	s_delay_alu instid0(VALU_DEP_1) | instskip(NEXT) | instid1(VALU_DEP_1)
	v_fmac_f32_e32 v184, v176, v2
	v_fmac_f32_e32 v184, v177, v3
	s_delay_alu instid0(VALU_DEP_1)
	v_sub_f32_e32 v2, v127, v184
	scratch_store_b32 off, v2, off offset:40
	v_cmpx_lt_u32_e32 9, v0
	s_cbranch_execz .LBB60_355
; %bb.354:
	scratch_load_b32 v2, off, off offset:36
	v_mov_b32_e32 v3, 0
	scratch_store_b32 off, v3, off offset:36
	s_waitcnt vmcnt(0)
	ds_store_b32 v1, v2
.LBB60_355:
	s_or_b32 exec_lo, exec_lo, s0
	s_waitcnt lgkmcnt(0)
	s_waitcnt_vscnt null, 0x0
	s_barrier
	buffer_gl0_inv
	s_clause 0xc
	scratch_load_b128 v[127:130], off, off offset:36
	scratch_load_b128 v[131:134], off, off offset:52
	;; [unrolled: 1-line block ×13, first 2 shown]
	v_mov_b32_e32 v2, 0
	ds_load_2addr_b64 v[179:182], v2 offset0:37 offset1:38
	ds_load_2addr_b64 v[183:186], v2 offset0:39 offset1:40
	s_mov_b32 s0, exec_lo
	s_waitcnt vmcnt(12) lgkmcnt(1)
	v_fma_f32 v179, v128, v179, 0
	s_delay_alu instid0(VALU_DEP_1) | instskip(SKIP_3) | instid1(VALU_DEP_1)
	v_fmac_f32_e32 v179, v129, v180
	ds_load_b64 v[3:4], v2 offset:488
	v_fmac_f32_e32 v179, v130, v181
	s_waitcnt vmcnt(11)
	v_fmac_f32_e32 v179, v131, v182
	ds_load_2addr_b64 v[128:131], v2 offset0:41 offset1:42
	s_waitcnt lgkmcnt(2)
	v_fmac_f32_e32 v179, v132, v183
	s_delay_alu instid0(VALU_DEP_1) | instskip(NEXT) | instid1(VALU_DEP_1)
	v_fmac_f32_e32 v179, v133, v184
	v_fmac_f32_e32 v179, v134, v185
	s_waitcnt vmcnt(10)
	s_delay_alu instid0(VALU_DEP_1) | instskip(SKIP_3) | instid1(VALU_DEP_1)
	v_fmac_f32_e32 v179, v135, v186
	ds_load_2addr_b64 v[132:135], v2 offset0:43 offset1:44
	s_waitcnt lgkmcnt(1)
	v_fmac_f32_e32 v179, v136, v128
	v_fmac_f32_e32 v179, v137, v129
	s_delay_alu instid0(VALU_DEP_1) | instskip(SKIP_1) | instid1(VALU_DEP_1)
	v_fmac_f32_e32 v179, v138, v130
	s_waitcnt vmcnt(9)
	v_fmac_f32_e32 v179, v139, v131
	ds_load_2addr_b64 v[128:131], v2 offset0:45 offset1:46
	s_waitcnt lgkmcnt(1)
	v_fmac_f32_e32 v179, v140, v132
	s_delay_alu instid0(VALU_DEP_1) | instskip(NEXT) | instid1(VALU_DEP_1)
	v_fmac_f32_e32 v179, v141, v133
	v_fmac_f32_e32 v179, v142, v134
	s_waitcnt vmcnt(8)
	s_delay_alu instid0(VALU_DEP_1) | instskip(SKIP_3) | instid1(VALU_DEP_1)
	v_fmac_f32_e32 v179, v143, v135
	ds_load_2addr_b64 v[132:135], v2 offset0:47 offset1:48
	s_waitcnt lgkmcnt(1)
	v_fmac_f32_e32 v179, v144, v128
	v_fmac_f32_e32 v179, v145, v129
	s_delay_alu instid0(VALU_DEP_1) | instskip(SKIP_1) | instid1(VALU_DEP_1)
	;; [unrolled: 17-line block ×4, first 2 shown]
	v_fmac_f32_e32 v179, v162, v130
	s_waitcnt vmcnt(3)
	v_fmac_f32_e32 v179, v163, v131
	ds_load_2addr_b64 v[128:131], v2 offset0:57 offset1:58
	s_waitcnt lgkmcnt(1)
	v_fmac_f32_e32 v179, v164, v132
	s_delay_alu instid0(VALU_DEP_1) | instskip(NEXT) | instid1(VALU_DEP_1)
	v_fmac_f32_e32 v179, v165, v133
	v_fmac_f32_e32 v179, v166, v134
	s_waitcnt vmcnt(2)
	s_delay_alu instid0(VALU_DEP_1)
	v_fmac_f32_e32 v179, v167, v135
	ds_load_2addr_b64 v[132:135], v2 offset0:59 offset1:60
	s_waitcnt lgkmcnt(1)
	v_fmac_f32_e32 v179, v168, v128
	ds_load_b32 v128, v2 offset:496
	v_fmac_f32_e32 v179, v169, v129
	s_delay_alu instid0(VALU_DEP_1) | instskip(SKIP_1) | instid1(VALU_DEP_1)
	v_fmac_f32_e32 v179, v170, v130
	s_waitcnt vmcnt(1)
	v_fmac_f32_e32 v179, v171, v131
	s_waitcnt lgkmcnt(1)
	s_delay_alu instid0(VALU_DEP_1) | instskip(NEXT) | instid1(VALU_DEP_1)
	v_fmac_f32_e32 v179, v172, v132
	v_fmac_f32_e32 v179, v173, v133
	s_delay_alu instid0(VALU_DEP_1) | instskip(SKIP_1) | instid1(VALU_DEP_1)
	v_fmac_f32_e32 v179, v174, v134
	s_waitcnt vmcnt(0)
	v_fmac_f32_e32 v179, v175, v135
	s_delay_alu instid0(VALU_DEP_1) | instskip(NEXT) | instid1(VALU_DEP_1)
	v_fmac_f32_e32 v179, v176, v3
	v_fmac_f32_e32 v179, v177, v4
	s_waitcnt lgkmcnt(0)
	s_delay_alu instid0(VALU_DEP_1) | instskip(NEXT) | instid1(VALU_DEP_1)
	v_fmac_f32_e32 v179, v178, v128
	v_sub_f32_e32 v3, v127, v179
	scratch_store_b32 off, v3, off offset:36
	v_cmpx_lt_u32_e32 8, v0
	s_cbranch_execz .LBB60_357
; %bb.356:
	scratch_load_b32 v3, off, off offset:32
	scratch_store_b32 off, v2, off offset:32
	s_waitcnt vmcnt(0)
	ds_store_b32 v1, v3
.LBB60_357:
	s_or_b32 exec_lo, exec_lo, s0
	s_waitcnt lgkmcnt(0)
	s_waitcnt_vscnt null, 0x0
	s_barrier
	buffer_gl0_inv
	s_clause 0xd
	scratch_load_b128 v[127:130], off, off offset:32
	scratch_load_b128 v[131:134], off, off offset:48
	;; [unrolled: 1-line block ×13, first 2 shown]
	scratch_load_b32 v185, off, off offset:240
	ds_load_2addr_b32 v[3:4], v2 offset0:73 offset1:74
	ds_load_2addr_b32 v[179:180], v2 offset0:75 offset1:76
	;; [unrolled: 1-line block ×4, first 2 shown]
	s_mov_b32 s0, exec_lo
	s_waitcnt vmcnt(13) lgkmcnt(3)
	v_fma_f32 v186, v128, v3, 0
	s_delay_alu instid0(VALU_DEP_1)
	v_fmac_f32_e32 v186, v129, v4
	ds_load_2addr_b32 v[3:4], v2 offset0:81 offset1:82
	ds_load_2addr_b32 v[128:129], v2 offset0:83 offset1:84
	s_waitcnt lgkmcnt(4)
	v_fmac_f32_e32 v186, v130, v179
	s_waitcnt vmcnt(12)
	s_delay_alu instid0(VALU_DEP_1) | instskip(SKIP_1) | instid1(VALU_DEP_1)
	v_fmac_f32_e32 v186, v131, v180
	s_waitcnt lgkmcnt(3)
	v_fmac_f32_e32 v186, v132, v181
	s_delay_alu instid0(VALU_DEP_1)
	v_fmac_f32_e32 v186, v133, v182
	ds_load_2addr_b32 v[130:131], v2 offset0:85 offset1:86
	ds_load_2addr_b32 v[132:133], v2 offset0:87 offset1:88
	s_waitcnt lgkmcnt(4)
	v_fmac_f32_e32 v186, v134, v183
	s_waitcnt vmcnt(11)
	s_delay_alu instid0(VALU_DEP_1) | instskip(SKIP_1) | instid1(VALU_DEP_1)
	v_fmac_f32_e32 v186, v135, v184
	s_waitcnt lgkmcnt(3)
	v_fmac_f32_e32 v186, v136, v3
	s_delay_alu instid0(VALU_DEP_1) | instskip(SKIP_4) | instid1(VALU_DEP_1)
	v_fmac_f32_e32 v186, v137, v4
	ds_load_2addr_b32 v[3:4], v2 offset0:89 offset1:90
	s_waitcnt lgkmcnt(3)
	v_fmac_f32_e32 v186, v138, v128
	s_waitcnt vmcnt(10)
	v_fmac_f32_e32 v186, v139, v129
	ds_load_2addr_b32 v[128:129], v2 offset0:91 offset1:92
	s_waitcnt lgkmcnt(3)
	v_fmac_f32_e32 v186, v140, v130
	s_delay_alu instid0(VALU_DEP_1) | instskip(SKIP_1) | instid1(VALU_DEP_1)
	v_fmac_f32_e32 v186, v141, v131
	s_waitcnt lgkmcnt(2)
	v_fmac_f32_e32 v186, v142, v132
	s_waitcnt vmcnt(9)
	s_delay_alu instid0(VALU_DEP_1) | instskip(SKIP_4) | instid1(VALU_DEP_1)
	v_fmac_f32_e32 v186, v143, v133
	ds_load_2addr_b32 v[130:131], v2 offset0:93 offset1:94
	ds_load_2addr_b32 v[132:133], v2 offset0:95 offset1:96
	s_waitcnt lgkmcnt(3)
	v_fmac_f32_e32 v186, v144, v3
	v_fmac_f32_e32 v186, v145, v4
	ds_load_2addr_b32 v[3:4], v2 offset0:97 offset1:98
	s_waitcnt lgkmcnt(3)
	v_fmac_f32_e32 v186, v146, v128
	s_waitcnt vmcnt(8)
	s_delay_alu instid0(VALU_DEP_1) | instskip(SKIP_3) | instid1(VALU_DEP_1)
	v_fmac_f32_e32 v186, v147, v129
	ds_load_2addr_b32 v[128:129], v2 offset0:99 offset1:100
	s_waitcnt lgkmcnt(3)
	v_fmac_f32_e32 v186, v148, v130
	v_fmac_f32_e32 v186, v149, v131
	s_waitcnt lgkmcnt(2)
	s_delay_alu instid0(VALU_DEP_1) | instskip(SKIP_1) | instid1(VALU_DEP_1)
	v_fmac_f32_e32 v186, v150, v132
	s_waitcnt vmcnt(7)
	v_fmac_f32_e32 v186, v151, v133
	ds_load_2addr_b32 v[130:131], v2 offset0:101 offset1:102
	ds_load_2addr_b32 v[132:133], v2 offset0:103 offset1:104
	s_waitcnt lgkmcnt(3)
	v_fmac_f32_e32 v186, v152, v3
	s_delay_alu instid0(VALU_DEP_1) | instskip(SKIP_4) | instid1(VALU_DEP_1)
	v_fmac_f32_e32 v186, v153, v4
	ds_load_2addr_b32 v[3:4], v2 offset0:105 offset1:106
	s_waitcnt lgkmcnt(3)
	v_fmac_f32_e32 v186, v154, v128
	s_waitcnt vmcnt(6)
	v_fmac_f32_e32 v186, v155, v129
	ds_load_2addr_b32 v[128:129], v2 offset0:107 offset1:108
	s_waitcnt lgkmcnt(3)
	v_fmac_f32_e32 v186, v156, v130
	s_delay_alu instid0(VALU_DEP_1) | instskip(SKIP_1) | instid1(VALU_DEP_1)
	v_fmac_f32_e32 v186, v157, v131
	s_waitcnt lgkmcnt(2)
	v_fmac_f32_e32 v186, v158, v132
	s_waitcnt vmcnt(5)
	s_delay_alu instid0(VALU_DEP_1) | instskip(SKIP_4) | instid1(VALU_DEP_1)
	v_fmac_f32_e32 v186, v159, v133
	ds_load_2addr_b32 v[130:131], v2 offset0:109 offset1:110
	ds_load_2addr_b32 v[132:133], v2 offset0:111 offset1:112
	s_waitcnt lgkmcnt(3)
	v_fmac_f32_e32 v186, v160, v3
	v_fmac_f32_e32 v186, v161, v4
	ds_load_2addr_b32 v[3:4], v2 offset0:113 offset1:114
	s_waitcnt lgkmcnt(3)
	v_fmac_f32_e32 v186, v162, v128
	s_waitcnt vmcnt(4)
	s_delay_alu instid0(VALU_DEP_1) | instskip(SKIP_3) | instid1(VALU_DEP_1)
	v_fmac_f32_e32 v186, v163, v129
	ds_load_2addr_b32 v[128:129], v2 offset0:115 offset1:116
	s_waitcnt lgkmcnt(3)
	v_fmac_f32_e32 v186, v164, v130
	v_fmac_f32_e32 v186, v165, v131
	s_waitcnt lgkmcnt(2)
	s_delay_alu instid0(VALU_DEP_1) | instskip(SKIP_1) | instid1(VALU_DEP_1)
	v_fmac_f32_e32 v186, v166, v132
	s_waitcnt vmcnt(3)
	v_fmac_f32_e32 v186, v167, v133
	ds_load_2addr_b32 v[130:131], v2 offset0:117 offset1:118
	ds_load_2addr_b32 v[132:133], v2 offset0:119 offset1:120
	s_waitcnt lgkmcnt(3)
	v_fmac_f32_e32 v186, v168, v3
	s_delay_alu instid0(VALU_DEP_1) | instskip(SKIP_4) | instid1(VALU_DEP_1)
	v_fmac_f32_e32 v186, v169, v4
	ds_load_2addr_b32 v[3:4], v2 offset0:121 offset1:122
	s_waitcnt lgkmcnt(3)
	v_fmac_f32_e32 v186, v170, v128
	s_waitcnt vmcnt(2)
	v_fmac_f32_e32 v186, v171, v129
	ds_load_2addr_b32 v[128:129], v2 offset0:123 offset1:124
	s_waitcnt lgkmcnt(3)
	v_fmac_f32_e32 v186, v172, v130
	s_delay_alu instid0(VALU_DEP_1) | instskip(SKIP_1) | instid1(VALU_DEP_1)
	v_fmac_f32_e32 v186, v173, v131
	s_waitcnt lgkmcnt(2)
	v_fmac_f32_e32 v186, v174, v132
	s_waitcnt vmcnt(1)
	s_delay_alu instid0(VALU_DEP_1) | instskip(SKIP_1) | instid1(VALU_DEP_1)
	v_fmac_f32_e32 v186, v175, v133
	s_waitcnt lgkmcnt(1)
	v_fmac_f32_e32 v186, v176, v3
	s_delay_alu instid0(VALU_DEP_1) | instskip(SKIP_1) | instid1(VALU_DEP_1)
	v_fmac_f32_e32 v186, v177, v4
	s_waitcnt lgkmcnt(0)
	v_fmac_f32_e32 v186, v178, v128
	s_waitcnt vmcnt(0)
	s_delay_alu instid0(VALU_DEP_1) | instskip(NEXT) | instid1(VALU_DEP_1)
	v_fmac_f32_e32 v186, v185, v129
	v_sub_f32_e32 v2, v127, v186
	scratch_store_b32 off, v2, off offset:32
	v_cmpx_lt_u32_e32 7, v0
	s_cbranch_execz .LBB60_359
; %bb.358:
	scratch_load_b32 v2, off, off offset:28
	v_mov_b32_e32 v3, 0
	scratch_store_b32 off, v3, off offset:28
	s_waitcnt vmcnt(0)
	ds_store_b32 v1, v2
.LBB60_359:
	s_or_b32 exec_lo, exec_lo, s0
	s_waitcnt lgkmcnt(0)
	s_waitcnt_vscnt null, 0x0
	s_barrier
	buffer_gl0_inv
	s_clause 0xd
	scratch_load_b128 v[127:130], off, off offset:28
	scratch_load_b128 v[131:134], off, off offset:44
	;; [unrolled: 1-line block ×13, first 2 shown]
	scratch_load_b64 v[3:4], off, off offset:236
	v_mov_b32_e32 v2, 0
	ds_load_b128 v[179:182], v2 offset:288
	ds_load_b128 v[183:186], v2 offset:304
	s_mov_b32 s0, exec_lo
	s_waitcnt vmcnt(13) lgkmcnt(1)
	v_fma_f32 v179, v128, v179, 0
	s_delay_alu instid0(VALU_DEP_1) | instskip(NEXT) | instid1(VALU_DEP_1)
	v_fmac_f32_e32 v179, v129, v180
	v_fmac_f32_e32 v179, v130, v181
	s_waitcnt vmcnt(12)
	s_delay_alu instid0(VALU_DEP_1) | instskip(SKIP_3) | instid1(VALU_DEP_1)
	v_fmac_f32_e32 v179, v131, v182
	ds_load_b128 v[128:131], v2 offset:320
	s_waitcnt lgkmcnt(1)
	v_fmac_f32_e32 v179, v132, v183
	v_fmac_f32_e32 v179, v133, v184
	s_delay_alu instid0(VALU_DEP_1) | instskip(SKIP_1) | instid1(VALU_DEP_1)
	v_fmac_f32_e32 v179, v134, v185
	s_waitcnt vmcnt(11)
	v_fmac_f32_e32 v179, v135, v186
	ds_load_b128 v[132:135], v2 offset:336
	s_waitcnt lgkmcnt(1)
	v_fmac_f32_e32 v179, v136, v128
	s_delay_alu instid0(VALU_DEP_1) | instskip(NEXT) | instid1(VALU_DEP_1)
	v_fmac_f32_e32 v179, v137, v129
	v_fmac_f32_e32 v179, v138, v130
	s_waitcnt vmcnt(10)
	s_delay_alu instid0(VALU_DEP_1) | instskip(SKIP_3) | instid1(VALU_DEP_1)
	v_fmac_f32_e32 v179, v139, v131
	ds_load_b128 v[128:131], v2 offset:352
	s_waitcnt lgkmcnt(1)
	v_fmac_f32_e32 v179, v140, v132
	v_fmac_f32_e32 v179, v141, v133
	s_delay_alu instid0(VALU_DEP_1) | instskip(SKIP_1) | instid1(VALU_DEP_1)
	v_fmac_f32_e32 v179, v142, v134
	s_waitcnt vmcnt(9)
	v_fmac_f32_e32 v179, v143, v135
	ds_load_b128 v[132:135], v2 offset:368
	s_waitcnt lgkmcnt(1)
	v_fmac_f32_e32 v179, v144, v128
	;; [unrolled: 17-line block ×5, first 2 shown]
	s_delay_alu instid0(VALU_DEP_1) | instskip(NEXT) | instid1(VALU_DEP_1)
	v_fmac_f32_e32 v179, v169, v129
	v_fmac_f32_e32 v179, v170, v130
	s_waitcnt vmcnt(2)
	s_delay_alu instid0(VALU_DEP_1)
	v_fmac_f32_e32 v179, v171, v131
	ds_load_b128 v[128:131], v2 offset:480
	s_waitcnt lgkmcnt(1)
	v_fmac_f32_e32 v179, v172, v132
	ds_load_b32 v132, v2 offset:496
	v_fmac_f32_e32 v179, v173, v133
	s_delay_alu instid0(VALU_DEP_1) | instskip(SKIP_1) | instid1(VALU_DEP_1)
	v_fmac_f32_e32 v179, v174, v134
	s_waitcnt vmcnt(1)
	v_fmac_f32_e32 v179, v175, v135
	s_waitcnt lgkmcnt(1)
	s_delay_alu instid0(VALU_DEP_1) | instskip(NEXT) | instid1(VALU_DEP_1)
	v_fmac_f32_e32 v179, v176, v128
	v_fmac_f32_e32 v179, v177, v129
	s_delay_alu instid0(VALU_DEP_1) | instskip(SKIP_1) | instid1(VALU_DEP_1)
	v_fmac_f32_e32 v179, v178, v130
	s_waitcnt vmcnt(0)
	v_fmac_f32_e32 v179, v3, v131
	s_waitcnt lgkmcnt(0)
	s_delay_alu instid0(VALU_DEP_1) | instskip(NEXT) | instid1(VALU_DEP_1)
	v_fmac_f32_e32 v179, v4, v132
	v_sub_f32_e32 v3, v127, v179
	scratch_store_b32 off, v3, off offset:28
	v_cmpx_lt_u32_e32 6, v0
	s_cbranch_execz .LBB60_361
; %bb.360:
	scratch_load_b32 v3, off, off offset:24
	scratch_store_b32 off, v2, off offset:24
	s_waitcnt vmcnt(0)
	ds_store_b32 v1, v3
.LBB60_361:
	s_or_b32 exec_lo, exec_lo, s0
	s_waitcnt lgkmcnt(0)
	s_waitcnt_vscnt null, 0x0
	s_barrier
	buffer_gl0_inv
	s_clause 0xd
	scratch_load_b128 v[127:130], off, off offset:24
	scratch_load_b128 v[131:134], off, off offset:40
	;; [unrolled: 1-line block ×13, first 2 shown]
	scratch_load_b96 v[179:181], off, off offset:232
	ds_load_2addr_b32 v[3:4], v2 offset0:71 offset1:72
	ds_load_2addr_b32 v[182:183], v2 offset0:73 offset1:74
	;; [unrolled: 1-line block ×4, first 2 shown]
	s_mov_b32 s0, exec_lo
	s_waitcnt vmcnt(13) lgkmcnt(3)
	v_fma_f32 v188, v128, v3, 0
	s_delay_alu instid0(VALU_DEP_1)
	v_fmac_f32_e32 v188, v129, v4
	ds_load_2addr_b32 v[3:4], v2 offset0:79 offset1:80
	ds_load_2addr_b32 v[128:129], v2 offset0:81 offset1:82
	s_waitcnt lgkmcnt(4)
	v_fmac_f32_e32 v188, v130, v182
	s_waitcnt vmcnt(12)
	s_delay_alu instid0(VALU_DEP_1) | instskip(SKIP_1) | instid1(VALU_DEP_1)
	v_fmac_f32_e32 v188, v131, v183
	s_waitcnt lgkmcnt(3)
	v_fmac_f32_e32 v188, v132, v184
	s_delay_alu instid0(VALU_DEP_1)
	v_fmac_f32_e32 v188, v133, v185
	ds_load_2addr_b32 v[130:131], v2 offset0:83 offset1:84
	ds_load_2addr_b32 v[132:133], v2 offset0:85 offset1:86
	s_waitcnt lgkmcnt(4)
	v_fmac_f32_e32 v188, v134, v186
	s_waitcnt vmcnt(11)
	s_delay_alu instid0(VALU_DEP_1) | instskip(SKIP_1) | instid1(VALU_DEP_1)
	v_fmac_f32_e32 v188, v135, v187
	s_waitcnt lgkmcnt(3)
	v_fmac_f32_e32 v188, v136, v3
	s_delay_alu instid0(VALU_DEP_1) | instskip(SKIP_4) | instid1(VALU_DEP_1)
	v_fmac_f32_e32 v188, v137, v4
	ds_load_2addr_b32 v[3:4], v2 offset0:87 offset1:88
	s_waitcnt lgkmcnt(3)
	v_fmac_f32_e32 v188, v138, v128
	s_waitcnt vmcnt(10)
	v_fmac_f32_e32 v188, v139, v129
	ds_load_2addr_b32 v[128:129], v2 offset0:89 offset1:90
	s_waitcnt lgkmcnt(3)
	v_fmac_f32_e32 v188, v140, v130
	s_delay_alu instid0(VALU_DEP_1) | instskip(SKIP_1) | instid1(VALU_DEP_1)
	v_fmac_f32_e32 v188, v141, v131
	s_waitcnt lgkmcnt(2)
	v_fmac_f32_e32 v188, v142, v132
	s_waitcnt vmcnt(9)
	s_delay_alu instid0(VALU_DEP_1) | instskip(SKIP_4) | instid1(VALU_DEP_1)
	v_fmac_f32_e32 v188, v143, v133
	ds_load_2addr_b32 v[130:131], v2 offset0:91 offset1:92
	ds_load_2addr_b32 v[132:133], v2 offset0:93 offset1:94
	s_waitcnt lgkmcnt(3)
	v_fmac_f32_e32 v188, v144, v3
	v_fmac_f32_e32 v188, v145, v4
	ds_load_2addr_b32 v[3:4], v2 offset0:95 offset1:96
	s_waitcnt lgkmcnt(3)
	v_fmac_f32_e32 v188, v146, v128
	s_waitcnt vmcnt(8)
	s_delay_alu instid0(VALU_DEP_1) | instskip(SKIP_3) | instid1(VALU_DEP_1)
	v_fmac_f32_e32 v188, v147, v129
	ds_load_2addr_b32 v[128:129], v2 offset0:97 offset1:98
	s_waitcnt lgkmcnt(3)
	v_fmac_f32_e32 v188, v148, v130
	v_fmac_f32_e32 v188, v149, v131
	s_waitcnt lgkmcnt(2)
	s_delay_alu instid0(VALU_DEP_1) | instskip(SKIP_1) | instid1(VALU_DEP_1)
	v_fmac_f32_e32 v188, v150, v132
	s_waitcnt vmcnt(7)
	v_fmac_f32_e32 v188, v151, v133
	ds_load_2addr_b32 v[130:131], v2 offset0:99 offset1:100
	ds_load_2addr_b32 v[132:133], v2 offset0:101 offset1:102
	s_waitcnt lgkmcnt(3)
	v_fmac_f32_e32 v188, v152, v3
	s_delay_alu instid0(VALU_DEP_1) | instskip(SKIP_4) | instid1(VALU_DEP_1)
	v_fmac_f32_e32 v188, v153, v4
	ds_load_2addr_b32 v[3:4], v2 offset0:103 offset1:104
	s_waitcnt lgkmcnt(3)
	v_fmac_f32_e32 v188, v154, v128
	s_waitcnt vmcnt(6)
	v_fmac_f32_e32 v188, v155, v129
	ds_load_2addr_b32 v[128:129], v2 offset0:105 offset1:106
	s_waitcnt lgkmcnt(3)
	v_fmac_f32_e32 v188, v156, v130
	s_delay_alu instid0(VALU_DEP_1) | instskip(SKIP_1) | instid1(VALU_DEP_1)
	v_fmac_f32_e32 v188, v157, v131
	s_waitcnt lgkmcnt(2)
	v_fmac_f32_e32 v188, v158, v132
	s_waitcnt vmcnt(5)
	s_delay_alu instid0(VALU_DEP_1) | instskip(SKIP_4) | instid1(VALU_DEP_1)
	v_fmac_f32_e32 v188, v159, v133
	ds_load_2addr_b32 v[130:131], v2 offset0:107 offset1:108
	ds_load_2addr_b32 v[132:133], v2 offset0:109 offset1:110
	s_waitcnt lgkmcnt(3)
	v_fmac_f32_e32 v188, v160, v3
	v_fmac_f32_e32 v188, v161, v4
	ds_load_2addr_b32 v[3:4], v2 offset0:111 offset1:112
	s_waitcnt lgkmcnt(3)
	v_fmac_f32_e32 v188, v162, v128
	s_waitcnt vmcnt(4)
	s_delay_alu instid0(VALU_DEP_1) | instskip(SKIP_3) | instid1(VALU_DEP_1)
	v_fmac_f32_e32 v188, v163, v129
	ds_load_2addr_b32 v[128:129], v2 offset0:113 offset1:114
	s_waitcnt lgkmcnt(3)
	v_fmac_f32_e32 v188, v164, v130
	v_fmac_f32_e32 v188, v165, v131
	s_waitcnt lgkmcnt(2)
	s_delay_alu instid0(VALU_DEP_1) | instskip(SKIP_1) | instid1(VALU_DEP_1)
	v_fmac_f32_e32 v188, v166, v132
	s_waitcnt vmcnt(3)
	v_fmac_f32_e32 v188, v167, v133
	ds_load_2addr_b32 v[130:131], v2 offset0:115 offset1:116
	ds_load_2addr_b32 v[132:133], v2 offset0:117 offset1:118
	s_waitcnt lgkmcnt(3)
	v_fmac_f32_e32 v188, v168, v3
	s_delay_alu instid0(VALU_DEP_1) | instskip(SKIP_4) | instid1(VALU_DEP_1)
	v_fmac_f32_e32 v188, v169, v4
	ds_load_2addr_b32 v[3:4], v2 offset0:119 offset1:120
	s_waitcnt lgkmcnt(3)
	v_fmac_f32_e32 v188, v170, v128
	s_waitcnt vmcnt(2)
	v_fmac_f32_e32 v188, v171, v129
	ds_load_2addr_b32 v[128:129], v2 offset0:121 offset1:122
	s_waitcnt lgkmcnt(3)
	v_fmac_f32_e32 v188, v172, v130
	s_delay_alu instid0(VALU_DEP_1) | instskip(SKIP_4) | instid1(VALU_DEP_1)
	v_fmac_f32_e32 v188, v173, v131
	ds_load_2addr_b32 v[130:131], v2 offset0:123 offset1:124
	s_waitcnt lgkmcnt(3)
	v_fmac_f32_e32 v188, v174, v132
	s_waitcnt vmcnt(1)
	v_fmac_f32_e32 v188, v175, v133
	s_waitcnt lgkmcnt(2)
	s_delay_alu instid0(VALU_DEP_1) | instskip(NEXT) | instid1(VALU_DEP_1)
	v_fmac_f32_e32 v188, v176, v3
	v_fmac_f32_e32 v188, v177, v4
	s_waitcnt lgkmcnt(1)
	s_delay_alu instid0(VALU_DEP_1) | instskip(SKIP_1) | instid1(VALU_DEP_1)
	v_fmac_f32_e32 v188, v178, v128
	s_waitcnt vmcnt(0)
	v_fmac_f32_e32 v188, v179, v129
	s_waitcnt lgkmcnt(0)
	s_delay_alu instid0(VALU_DEP_1) | instskip(NEXT) | instid1(VALU_DEP_1)
	v_fmac_f32_e32 v188, v180, v130
	v_fmac_f32_e32 v188, v181, v131
	s_delay_alu instid0(VALU_DEP_1)
	v_sub_f32_e32 v2, v127, v188
	scratch_store_b32 off, v2, off offset:24
	v_cmpx_lt_u32_e32 5, v0
	s_cbranch_execz .LBB60_363
; %bb.362:
	scratch_load_b32 v2, off, off offset:20
	v_mov_b32_e32 v3, 0
	scratch_store_b32 off, v3, off offset:20
	s_waitcnt vmcnt(0)
	ds_store_b32 v1, v2
.LBB60_363:
	s_or_b32 exec_lo, exec_lo, s0
	s_waitcnt lgkmcnt(0)
	s_waitcnt_vscnt null, 0x0
	s_barrier
	buffer_gl0_inv
	s_clause 0xd
	scratch_load_b128 v[127:130], off, off offset:20
	scratch_load_b128 v[131:134], off, off offset:36
	;; [unrolled: 1-line block ×14, first 2 shown]
	v_mov_b32_e32 v2, 0
	ds_load_2addr_b64 v[183:186], v2 offset0:35 offset1:36
	ds_load_2addr_b64 v[187:190], v2 offset0:37 offset1:38
	s_mov_b32 s0, exec_lo
	s_waitcnt vmcnt(13) lgkmcnt(1)
	v_fma_f32 v183, v128, v183, 0
	s_delay_alu instid0(VALU_DEP_1) | instskip(SKIP_3) | instid1(VALU_DEP_1)
	v_fmac_f32_e32 v183, v129, v184
	ds_load_b64 v[3:4], v2 offset:488
	v_fmac_f32_e32 v183, v130, v185
	s_waitcnt vmcnt(12)
	v_fmac_f32_e32 v183, v131, v186
	ds_load_2addr_b64 v[128:131], v2 offset0:39 offset1:40
	s_waitcnt lgkmcnt(2)
	v_fmac_f32_e32 v183, v132, v187
	s_delay_alu instid0(VALU_DEP_1) | instskip(NEXT) | instid1(VALU_DEP_1)
	v_fmac_f32_e32 v183, v133, v188
	v_fmac_f32_e32 v183, v134, v189
	s_waitcnt vmcnt(11)
	s_delay_alu instid0(VALU_DEP_1) | instskip(SKIP_3) | instid1(VALU_DEP_1)
	v_fmac_f32_e32 v183, v135, v190
	ds_load_2addr_b64 v[132:135], v2 offset0:41 offset1:42
	s_waitcnt lgkmcnt(1)
	v_fmac_f32_e32 v183, v136, v128
	v_fmac_f32_e32 v183, v137, v129
	s_delay_alu instid0(VALU_DEP_1) | instskip(SKIP_1) | instid1(VALU_DEP_1)
	v_fmac_f32_e32 v183, v138, v130
	s_waitcnt vmcnt(10)
	v_fmac_f32_e32 v183, v139, v131
	ds_load_2addr_b64 v[128:131], v2 offset0:43 offset1:44
	s_waitcnt lgkmcnt(1)
	v_fmac_f32_e32 v183, v140, v132
	s_delay_alu instid0(VALU_DEP_1) | instskip(NEXT) | instid1(VALU_DEP_1)
	v_fmac_f32_e32 v183, v141, v133
	v_fmac_f32_e32 v183, v142, v134
	s_waitcnt vmcnt(9)
	s_delay_alu instid0(VALU_DEP_1) | instskip(SKIP_3) | instid1(VALU_DEP_1)
	v_fmac_f32_e32 v183, v143, v135
	ds_load_2addr_b64 v[132:135], v2 offset0:45 offset1:46
	s_waitcnt lgkmcnt(1)
	v_fmac_f32_e32 v183, v144, v128
	v_fmac_f32_e32 v183, v145, v129
	s_delay_alu instid0(VALU_DEP_1) | instskip(SKIP_1) | instid1(VALU_DEP_1)
	;; [unrolled: 17-line block ×5, first 2 shown]
	v_fmac_f32_e32 v183, v170, v130
	s_waitcnt vmcnt(2)
	v_fmac_f32_e32 v183, v171, v131
	ds_load_2addr_b64 v[128:131], v2 offset0:59 offset1:60
	s_waitcnt lgkmcnt(1)
	v_fmac_f32_e32 v183, v172, v132
	s_delay_alu instid0(VALU_DEP_1) | instskip(NEXT) | instid1(VALU_DEP_1)
	v_fmac_f32_e32 v183, v173, v133
	v_fmac_f32_e32 v183, v174, v134
	s_waitcnt vmcnt(1)
	s_delay_alu instid0(VALU_DEP_1) | instskip(SKIP_1) | instid1(VALU_DEP_1)
	v_fmac_f32_e32 v183, v175, v135
	s_waitcnt lgkmcnt(0)
	v_fmac_f32_e32 v183, v176, v128
	ds_load_b32 v128, v2 offset:496
	v_fmac_f32_e32 v183, v177, v129
	s_delay_alu instid0(VALU_DEP_1) | instskip(SKIP_1) | instid1(VALU_DEP_1)
	v_fmac_f32_e32 v183, v178, v130
	s_waitcnt vmcnt(0)
	v_fmac_f32_e32 v183, v179, v131
	s_delay_alu instid0(VALU_DEP_1) | instskip(NEXT) | instid1(VALU_DEP_1)
	v_fmac_f32_e32 v183, v180, v3
	v_fmac_f32_e32 v183, v181, v4
	s_waitcnt lgkmcnt(0)
	s_delay_alu instid0(VALU_DEP_1) | instskip(NEXT) | instid1(VALU_DEP_1)
	v_fmac_f32_e32 v183, v182, v128
	v_sub_f32_e32 v3, v127, v183
	scratch_store_b32 off, v3, off offset:20
	v_cmpx_lt_u32_e32 4, v0
	s_cbranch_execz .LBB60_365
; %bb.364:
	scratch_load_b32 v3, off, off offset:16
	scratch_store_b32 off, v2, off offset:16
	s_waitcnt vmcnt(0)
	ds_store_b32 v1, v3
.LBB60_365:
	s_or_b32 exec_lo, exec_lo, s0
	s_waitcnt lgkmcnt(0)
	s_waitcnt_vscnt null, 0x0
	s_barrier
	buffer_gl0_inv
	s_clause 0xe
	scratch_load_b128 v[127:130], off, off offset:16
	scratch_load_b128 v[131:134], off, off offset:32
	;; [unrolled: 1-line block ×14, first 2 shown]
	scratch_load_b32 v189, off, off offset:240
	ds_load_2addr_b32 v[3:4], v2 offset0:69 offset1:70
	ds_load_2addr_b32 v[183:184], v2 offset0:71 offset1:72
	;; [unrolled: 1-line block ×4, first 2 shown]
	s_mov_b32 s0, exec_lo
	s_waitcnt vmcnt(14) lgkmcnt(3)
	v_fma_f32 v190, v128, v3, 0
	s_delay_alu instid0(VALU_DEP_1)
	v_fmac_f32_e32 v190, v129, v4
	ds_load_2addr_b32 v[3:4], v2 offset0:77 offset1:78
	ds_load_2addr_b32 v[128:129], v2 offset0:79 offset1:80
	s_waitcnt lgkmcnt(4)
	v_fmac_f32_e32 v190, v130, v183
	s_waitcnt vmcnt(13)
	s_delay_alu instid0(VALU_DEP_1) | instskip(SKIP_1) | instid1(VALU_DEP_1)
	v_fmac_f32_e32 v190, v131, v184
	s_waitcnt lgkmcnt(3)
	v_fmac_f32_e32 v190, v132, v185
	s_delay_alu instid0(VALU_DEP_1)
	v_fmac_f32_e32 v190, v133, v186
	ds_load_2addr_b32 v[130:131], v2 offset0:81 offset1:82
	ds_load_2addr_b32 v[132:133], v2 offset0:83 offset1:84
	s_waitcnt lgkmcnt(4)
	v_fmac_f32_e32 v190, v134, v187
	s_waitcnt vmcnt(12)
	s_delay_alu instid0(VALU_DEP_1) | instskip(SKIP_1) | instid1(VALU_DEP_1)
	v_fmac_f32_e32 v190, v135, v188
	s_waitcnt lgkmcnt(3)
	v_fmac_f32_e32 v190, v136, v3
	s_delay_alu instid0(VALU_DEP_1) | instskip(SKIP_4) | instid1(VALU_DEP_1)
	v_fmac_f32_e32 v190, v137, v4
	ds_load_2addr_b32 v[3:4], v2 offset0:85 offset1:86
	s_waitcnt lgkmcnt(3)
	v_fmac_f32_e32 v190, v138, v128
	s_waitcnt vmcnt(11)
	v_fmac_f32_e32 v190, v139, v129
	ds_load_2addr_b32 v[128:129], v2 offset0:87 offset1:88
	s_waitcnt lgkmcnt(3)
	v_fmac_f32_e32 v190, v140, v130
	s_delay_alu instid0(VALU_DEP_1) | instskip(SKIP_1) | instid1(VALU_DEP_1)
	v_fmac_f32_e32 v190, v141, v131
	s_waitcnt lgkmcnt(2)
	v_fmac_f32_e32 v190, v142, v132
	s_waitcnt vmcnt(10)
	s_delay_alu instid0(VALU_DEP_1) | instskip(SKIP_4) | instid1(VALU_DEP_1)
	v_fmac_f32_e32 v190, v143, v133
	ds_load_2addr_b32 v[130:131], v2 offset0:89 offset1:90
	ds_load_2addr_b32 v[132:133], v2 offset0:91 offset1:92
	s_waitcnt lgkmcnt(3)
	v_fmac_f32_e32 v190, v144, v3
	v_fmac_f32_e32 v190, v145, v4
	ds_load_2addr_b32 v[3:4], v2 offset0:93 offset1:94
	s_waitcnt lgkmcnt(3)
	v_fmac_f32_e32 v190, v146, v128
	s_waitcnt vmcnt(9)
	s_delay_alu instid0(VALU_DEP_1) | instskip(SKIP_3) | instid1(VALU_DEP_1)
	v_fmac_f32_e32 v190, v147, v129
	ds_load_2addr_b32 v[128:129], v2 offset0:95 offset1:96
	s_waitcnt lgkmcnt(3)
	v_fmac_f32_e32 v190, v148, v130
	v_fmac_f32_e32 v190, v149, v131
	s_waitcnt lgkmcnt(2)
	s_delay_alu instid0(VALU_DEP_1) | instskip(SKIP_1) | instid1(VALU_DEP_1)
	v_fmac_f32_e32 v190, v150, v132
	s_waitcnt vmcnt(8)
	v_fmac_f32_e32 v190, v151, v133
	ds_load_2addr_b32 v[130:131], v2 offset0:97 offset1:98
	ds_load_2addr_b32 v[132:133], v2 offset0:99 offset1:100
	s_waitcnt lgkmcnt(3)
	v_fmac_f32_e32 v190, v152, v3
	s_delay_alu instid0(VALU_DEP_1) | instskip(SKIP_4) | instid1(VALU_DEP_1)
	v_fmac_f32_e32 v190, v153, v4
	ds_load_2addr_b32 v[3:4], v2 offset0:101 offset1:102
	s_waitcnt lgkmcnt(3)
	v_fmac_f32_e32 v190, v154, v128
	s_waitcnt vmcnt(7)
	v_fmac_f32_e32 v190, v155, v129
	ds_load_2addr_b32 v[128:129], v2 offset0:103 offset1:104
	s_waitcnt lgkmcnt(3)
	v_fmac_f32_e32 v190, v156, v130
	s_delay_alu instid0(VALU_DEP_1) | instskip(SKIP_1) | instid1(VALU_DEP_1)
	v_fmac_f32_e32 v190, v157, v131
	s_waitcnt lgkmcnt(2)
	v_fmac_f32_e32 v190, v158, v132
	s_waitcnt vmcnt(6)
	s_delay_alu instid0(VALU_DEP_1) | instskip(SKIP_4) | instid1(VALU_DEP_1)
	v_fmac_f32_e32 v190, v159, v133
	ds_load_2addr_b32 v[130:131], v2 offset0:105 offset1:106
	ds_load_2addr_b32 v[132:133], v2 offset0:107 offset1:108
	s_waitcnt lgkmcnt(3)
	v_fmac_f32_e32 v190, v160, v3
	v_fmac_f32_e32 v190, v161, v4
	ds_load_2addr_b32 v[3:4], v2 offset0:109 offset1:110
	s_waitcnt lgkmcnt(3)
	v_fmac_f32_e32 v190, v162, v128
	s_waitcnt vmcnt(5)
	s_delay_alu instid0(VALU_DEP_1) | instskip(SKIP_3) | instid1(VALU_DEP_1)
	v_fmac_f32_e32 v190, v163, v129
	ds_load_2addr_b32 v[128:129], v2 offset0:111 offset1:112
	s_waitcnt lgkmcnt(3)
	v_fmac_f32_e32 v190, v164, v130
	v_fmac_f32_e32 v190, v165, v131
	s_waitcnt lgkmcnt(2)
	s_delay_alu instid0(VALU_DEP_1) | instskip(SKIP_1) | instid1(VALU_DEP_1)
	v_fmac_f32_e32 v190, v166, v132
	s_waitcnt vmcnt(4)
	v_fmac_f32_e32 v190, v167, v133
	ds_load_2addr_b32 v[130:131], v2 offset0:113 offset1:114
	ds_load_2addr_b32 v[132:133], v2 offset0:115 offset1:116
	s_waitcnt lgkmcnt(3)
	v_fmac_f32_e32 v190, v168, v3
	s_delay_alu instid0(VALU_DEP_1) | instskip(SKIP_4) | instid1(VALU_DEP_1)
	v_fmac_f32_e32 v190, v169, v4
	ds_load_2addr_b32 v[3:4], v2 offset0:117 offset1:118
	s_waitcnt lgkmcnt(3)
	v_fmac_f32_e32 v190, v170, v128
	s_waitcnt vmcnt(3)
	v_fmac_f32_e32 v190, v171, v129
	ds_load_2addr_b32 v[128:129], v2 offset0:119 offset1:120
	s_waitcnt lgkmcnt(3)
	v_fmac_f32_e32 v190, v172, v130
	s_delay_alu instid0(VALU_DEP_1) | instskip(SKIP_1) | instid1(VALU_DEP_1)
	v_fmac_f32_e32 v190, v173, v131
	s_waitcnt lgkmcnt(2)
	v_fmac_f32_e32 v190, v174, v132
	s_waitcnt vmcnt(2)
	s_delay_alu instid0(VALU_DEP_1) | instskip(SKIP_4) | instid1(VALU_DEP_1)
	v_fmac_f32_e32 v190, v175, v133
	ds_load_2addr_b32 v[130:131], v2 offset0:121 offset1:122
	ds_load_2addr_b32 v[132:133], v2 offset0:123 offset1:124
	s_waitcnt lgkmcnt(3)
	v_fmac_f32_e32 v190, v176, v3
	v_fmac_f32_e32 v190, v177, v4
	s_waitcnt lgkmcnt(2)
	s_delay_alu instid0(VALU_DEP_1) | instskip(SKIP_1) | instid1(VALU_DEP_1)
	v_fmac_f32_e32 v190, v178, v128
	s_waitcnt vmcnt(1)
	v_fmac_f32_e32 v190, v179, v129
	s_waitcnt lgkmcnt(1)
	s_delay_alu instid0(VALU_DEP_1) | instskip(NEXT) | instid1(VALU_DEP_1)
	v_fmac_f32_e32 v190, v180, v130
	v_fmac_f32_e32 v190, v181, v131
	s_waitcnt lgkmcnt(0)
	s_delay_alu instid0(VALU_DEP_1) | instskip(SKIP_1) | instid1(VALU_DEP_1)
	v_fmac_f32_e32 v190, v182, v132
	s_waitcnt vmcnt(0)
	v_fmac_f32_e32 v190, v189, v133
	s_delay_alu instid0(VALU_DEP_1)
	v_sub_f32_e32 v2, v127, v190
	scratch_store_b32 off, v2, off offset:16
	v_cmpx_lt_u32_e32 3, v0
	s_cbranch_execz .LBB60_367
; %bb.366:
	scratch_load_b32 v2, off, off offset:12
	v_mov_b32_e32 v3, 0
	scratch_store_b32 off, v3, off offset:12
	s_waitcnt vmcnt(0)
	ds_store_b32 v1, v2
.LBB60_367:
	s_or_b32 exec_lo, exec_lo, s0
	s_waitcnt lgkmcnt(0)
	s_waitcnt_vscnt null, 0x0
	s_barrier
	buffer_gl0_inv
	s_clause 0xe
	scratch_load_b128 v[127:130], off, off offset:12
	scratch_load_b128 v[131:134], off, off offset:28
	;; [unrolled: 1-line block ×14, first 2 shown]
	scratch_load_b64 v[3:4], off, off offset:236
	v_mov_b32_e32 v2, 0
	ds_load_b128 v[183:186], v2 offset:272
	ds_load_b128 v[187:190], v2 offset:288
	s_mov_b32 s0, exec_lo
	s_waitcnt vmcnt(14) lgkmcnt(1)
	v_fma_f32 v183, v128, v183, 0
	s_delay_alu instid0(VALU_DEP_1) | instskip(NEXT) | instid1(VALU_DEP_1)
	v_fmac_f32_e32 v183, v129, v184
	v_fmac_f32_e32 v183, v130, v185
	s_waitcnt vmcnt(13)
	s_delay_alu instid0(VALU_DEP_1) | instskip(SKIP_3) | instid1(VALU_DEP_1)
	v_fmac_f32_e32 v183, v131, v186
	ds_load_b128 v[128:131], v2 offset:304
	s_waitcnt lgkmcnt(1)
	v_fmac_f32_e32 v183, v132, v187
	v_fmac_f32_e32 v183, v133, v188
	s_delay_alu instid0(VALU_DEP_1) | instskip(SKIP_1) | instid1(VALU_DEP_1)
	v_fmac_f32_e32 v183, v134, v189
	s_waitcnt vmcnt(12)
	v_fmac_f32_e32 v183, v135, v190
	ds_load_b128 v[132:135], v2 offset:320
	s_waitcnt lgkmcnt(1)
	v_fmac_f32_e32 v183, v136, v128
	s_delay_alu instid0(VALU_DEP_1) | instskip(NEXT) | instid1(VALU_DEP_1)
	v_fmac_f32_e32 v183, v137, v129
	v_fmac_f32_e32 v183, v138, v130
	s_waitcnt vmcnt(11)
	s_delay_alu instid0(VALU_DEP_1) | instskip(SKIP_3) | instid1(VALU_DEP_1)
	v_fmac_f32_e32 v183, v139, v131
	ds_load_b128 v[128:131], v2 offset:336
	s_waitcnt lgkmcnt(1)
	v_fmac_f32_e32 v183, v140, v132
	v_fmac_f32_e32 v183, v141, v133
	s_delay_alu instid0(VALU_DEP_1) | instskip(SKIP_1) | instid1(VALU_DEP_1)
	v_fmac_f32_e32 v183, v142, v134
	s_waitcnt vmcnt(10)
	v_fmac_f32_e32 v183, v143, v135
	ds_load_b128 v[132:135], v2 offset:352
	s_waitcnt lgkmcnt(1)
	v_fmac_f32_e32 v183, v144, v128
	;; [unrolled: 17-line block ×6, first 2 shown]
	ds_load_b32 v128, v2 offset:496
	v_fmac_f32_e32 v183, v177, v129
	s_delay_alu instid0(VALU_DEP_1) | instskip(SKIP_1) | instid1(VALU_DEP_1)
	v_fmac_f32_e32 v183, v178, v130
	s_waitcnt vmcnt(1)
	v_fmac_f32_e32 v183, v179, v131
	s_waitcnt lgkmcnt(1)
	s_delay_alu instid0(VALU_DEP_1) | instskip(NEXT) | instid1(VALU_DEP_1)
	v_fmac_f32_e32 v183, v180, v132
	v_fmac_f32_e32 v183, v181, v133
	s_delay_alu instid0(VALU_DEP_1) | instskip(SKIP_1) | instid1(VALU_DEP_1)
	v_fmac_f32_e32 v183, v182, v134
	s_waitcnt vmcnt(0)
	v_fmac_f32_e32 v183, v3, v135
	s_waitcnt lgkmcnt(0)
	s_delay_alu instid0(VALU_DEP_1) | instskip(NEXT) | instid1(VALU_DEP_1)
	v_fmac_f32_e32 v183, v4, v128
	v_sub_f32_e32 v3, v127, v183
	scratch_store_b32 off, v3, off offset:12
	v_cmpx_lt_u32_e32 2, v0
	s_cbranch_execz .LBB60_369
; %bb.368:
	scratch_load_b32 v3, off, off offset:8
	scratch_store_b32 off, v2, off offset:8
	s_waitcnt vmcnt(0)
	ds_store_b32 v1, v3
.LBB60_369:
	s_or_b32 exec_lo, exec_lo, s0
	s_waitcnt lgkmcnt(0)
	s_waitcnt_vscnt null, 0x0
	s_barrier
	buffer_gl0_inv
	s_clause 0xe
	scratch_load_b128 v[127:130], off, off offset:8
	scratch_load_b128 v[131:134], off, off offset:24
	;; [unrolled: 1-line block ×14, first 2 shown]
	scratch_load_b96 v[183:185], off, off offset:232
	ds_load_2addr_b32 v[3:4], v2 offset0:67 offset1:68
	ds_load_2addr_b32 v[186:187], v2 offset0:69 offset1:70
	;; [unrolled: 1-line block ×3, first 2 shown]
	s_mov_b32 s0, exec_lo
	s_waitcnt vmcnt(14) lgkmcnt(2)
	v_fma_f32 v190, v128, v3, 0
	s_delay_alu instid0(VALU_DEP_1)
	v_fmac_f32_e32 v190, v129, v4
	ds_load_2addr_b32 v[3:4], v2 offset0:73 offset1:74
	ds_load_2addr_b32 v[128:129], v2 offset0:75 offset1:76
	s_waitcnt lgkmcnt(3)
	v_fmac_f32_e32 v190, v130, v186
	s_waitcnt vmcnt(13)
	s_delay_alu instid0(VALU_DEP_1) | instskip(SKIP_3) | instid1(VALU_DEP_1)
	v_fmac_f32_e32 v190, v131, v187
	ds_load_2addr_b32 v[130:131], v2 offset0:77 offset1:78
	s_waitcnt lgkmcnt(3)
	v_fmac_f32_e32 v190, v132, v188
	v_fmac_f32_e32 v190, v133, v189
	s_waitcnt lgkmcnt(2)
	s_delay_alu instid0(VALU_DEP_1) | instskip(SKIP_1) | instid1(VALU_DEP_1)
	v_fmac_f32_e32 v190, v134, v3
	s_waitcnt vmcnt(12)
	v_fmac_f32_e32 v190, v135, v4
	ds_load_2addr_b32 v[3:4], v2 offset0:79 offset1:80
	s_waitcnt lgkmcnt(2)
	v_fmac_f32_e32 v190, v136, v128
	s_delay_alu instid0(VALU_DEP_1) | instskip(SKIP_4) | instid1(VALU_DEP_1)
	v_fmac_f32_e32 v190, v137, v129
	ds_load_2addr_b32 v[128:129], v2 offset0:81 offset1:82
	s_waitcnt lgkmcnt(2)
	v_fmac_f32_e32 v190, v138, v130
	s_waitcnt vmcnt(11)
	v_fmac_f32_e32 v190, v139, v131
	ds_load_2addr_b32 v[130:131], v2 offset0:83 offset1:84
	s_waitcnt lgkmcnt(2)
	v_fmac_f32_e32 v190, v140, v3
	s_delay_alu instid0(VALU_DEP_1) | instskip(SKIP_4) | instid1(VALU_DEP_1)
	v_fmac_f32_e32 v190, v141, v4
	ds_load_2addr_b32 v[3:4], v2 offset0:85 offset1:86
	s_waitcnt lgkmcnt(2)
	v_fmac_f32_e32 v190, v142, v128
	s_waitcnt vmcnt(10)
	v_fmac_f32_e32 v190, v143, v129
	ds_load_2addr_b32 v[128:129], v2 offset0:87 offset1:88
	s_waitcnt lgkmcnt(2)
	v_fmac_f32_e32 v190, v144, v130
	s_delay_alu instid0(VALU_DEP_1) | instskip(SKIP_4) | instid1(VALU_DEP_1)
	v_fmac_f32_e32 v190, v145, v131
	ds_load_2addr_b32 v[130:131], v2 offset0:89 offset1:90
	s_waitcnt lgkmcnt(2)
	v_fmac_f32_e32 v190, v146, v3
	s_waitcnt vmcnt(9)
	v_fmac_f32_e32 v190, v147, v4
	ds_load_2addr_b32 v[3:4], v2 offset0:91 offset1:92
	s_waitcnt lgkmcnt(2)
	v_fmac_f32_e32 v190, v148, v128
	s_delay_alu instid0(VALU_DEP_1) | instskip(SKIP_4) | instid1(VALU_DEP_1)
	v_fmac_f32_e32 v190, v149, v129
	ds_load_2addr_b32 v[128:129], v2 offset0:93 offset1:94
	s_waitcnt lgkmcnt(2)
	v_fmac_f32_e32 v190, v150, v130
	s_waitcnt vmcnt(8)
	v_fmac_f32_e32 v190, v151, v131
	ds_load_2addr_b32 v[130:131], v2 offset0:95 offset1:96
	s_waitcnt lgkmcnt(2)
	v_fmac_f32_e32 v190, v152, v3
	s_delay_alu instid0(VALU_DEP_1) | instskip(SKIP_4) | instid1(VALU_DEP_1)
	v_fmac_f32_e32 v190, v153, v4
	ds_load_2addr_b32 v[3:4], v2 offset0:97 offset1:98
	s_waitcnt lgkmcnt(2)
	v_fmac_f32_e32 v190, v154, v128
	s_waitcnt vmcnt(7)
	v_fmac_f32_e32 v190, v155, v129
	ds_load_2addr_b32 v[128:129], v2 offset0:99 offset1:100
	s_waitcnt lgkmcnt(2)
	v_fmac_f32_e32 v190, v156, v130
	s_delay_alu instid0(VALU_DEP_1) | instskip(SKIP_4) | instid1(VALU_DEP_1)
	v_fmac_f32_e32 v190, v157, v131
	ds_load_2addr_b32 v[130:131], v2 offset0:101 offset1:102
	s_waitcnt lgkmcnt(2)
	v_fmac_f32_e32 v190, v158, v3
	s_waitcnt vmcnt(6)
	v_fmac_f32_e32 v190, v159, v4
	ds_load_2addr_b32 v[3:4], v2 offset0:103 offset1:104
	s_waitcnt lgkmcnt(2)
	v_fmac_f32_e32 v190, v160, v128
	s_delay_alu instid0(VALU_DEP_1) | instskip(SKIP_4) | instid1(VALU_DEP_1)
	v_fmac_f32_e32 v190, v161, v129
	ds_load_2addr_b32 v[128:129], v2 offset0:105 offset1:106
	s_waitcnt lgkmcnt(2)
	v_fmac_f32_e32 v190, v162, v130
	s_waitcnt vmcnt(5)
	v_fmac_f32_e32 v190, v163, v131
	ds_load_2addr_b32 v[130:131], v2 offset0:107 offset1:108
	s_waitcnt lgkmcnt(2)
	v_fmac_f32_e32 v190, v164, v3
	s_delay_alu instid0(VALU_DEP_1) | instskip(SKIP_4) | instid1(VALU_DEP_1)
	v_fmac_f32_e32 v190, v165, v4
	ds_load_2addr_b32 v[3:4], v2 offset0:109 offset1:110
	s_waitcnt lgkmcnt(2)
	v_fmac_f32_e32 v190, v166, v128
	s_waitcnt vmcnt(4)
	v_fmac_f32_e32 v190, v167, v129
	ds_load_2addr_b32 v[128:129], v2 offset0:111 offset1:112
	s_waitcnt lgkmcnt(2)
	v_fmac_f32_e32 v190, v168, v130
	s_delay_alu instid0(VALU_DEP_1) | instskip(SKIP_4) | instid1(VALU_DEP_1)
	v_fmac_f32_e32 v190, v169, v131
	ds_load_2addr_b32 v[130:131], v2 offset0:113 offset1:114
	s_waitcnt lgkmcnt(2)
	v_fmac_f32_e32 v190, v170, v3
	s_waitcnt vmcnt(3)
	v_fmac_f32_e32 v190, v171, v4
	ds_load_2addr_b32 v[3:4], v2 offset0:115 offset1:116
	s_waitcnt lgkmcnt(2)
	v_fmac_f32_e32 v190, v172, v128
	s_delay_alu instid0(VALU_DEP_1) | instskip(SKIP_4) | instid1(VALU_DEP_1)
	v_fmac_f32_e32 v190, v173, v129
	ds_load_2addr_b32 v[128:129], v2 offset0:117 offset1:118
	s_waitcnt lgkmcnt(2)
	v_fmac_f32_e32 v190, v174, v130
	s_waitcnt vmcnt(2)
	v_fmac_f32_e32 v190, v175, v131
	ds_load_2addr_b32 v[130:131], v2 offset0:119 offset1:120
	s_waitcnt lgkmcnt(2)
	v_fmac_f32_e32 v190, v176, v3
	s_delay_alu instid0(VALU_DEP_1) | instskip(SKIP_4) | instid1(VALU_DEP_1)
	v_fmac_f32_e32 v190, v177, v4
	ds_load_2addr_b32 v[3:4], v2 offset0:121 offset1:122
	s_waitcnt lgkmcnt(2)
	v_fmac_f32_e32 v190, v178, v128
	s_waitcnt vmcnt(1)
	v_fmac_f32_e32 v190, v179, v129
	ds_load_2addr_b32 v[128:129], v2 offset0:123 offset1:124
	s_waitcnt lgkmcnt(2)
	v_fmac_f32_e32 v190, v180, v130
	s_delay_alu instid0(VALU_DEP_1) | instskip(SKIP_1) | instid1(VALU_DEP_1)
	v_fmac_f32_e32 v190, v181, v131
	s_waitcnt lgkmcnt(1)
	v_fmac_f32_e32 v190, v182, v3
	s_waitcnt vmcnt(0)
	s_delay_alu instid0(VALU_DEP_1) | instskip(SKIP_1) | instid1(VALU_DEP_1)
	v_fmac_f32_e32 v190, v183, v4
	s_waitcnt lgkmcnt(0)
	v_fmac_f32_e32 v190, v184, v128
	s_delay_alu instid0(VALU_DEP_1) | instskip(NEXT) | instid1(VALU_DEP_1)
	v_fmac_f32_e32 v190, v185, v129
	v_sub_f32_e32 v2, v127, v190
	scratch_store_b32 off, v2, off offset:8
	v_cmpx_lt_u32_e32 1, v0
	s_cbranch_execz .LBB60_371
; %bb.370:
	scratch_load_b32 v2, off, off offset:4
	v_mov_b32_e32 v3, 0
	scratch_store_b32 off, v3, off offset:4
	s_waitcnt vmcnt(0)
	ds_store_b32 v1, v2
.LBB60_371:
	s_or_b32 exec_lo, exec_lo, s0
	s_waitcnt lgkmcnt(0)
	s_waitcnt_vscnt null, 0x0
	s_barrier
	buffer_gl0_inv
	s_clause 0xe
	scratch_load_b128 v[127:130], off, off offset:4
	scratch_load_b128 v[131:134], off, off offset:20
	;; [unrolled: 1-line block ×15, first 2 shown]
	v_mov_b32_e32 v4, 0
	ds_load_2addr_b64 v[187:190], v4 offset0:33 offset1:34
	ds_load_2addr_b64 v[191:194], v4 offset0:35 offset1:36
	s_mov_b32 s0, exec_lo
	s_waitcnt vmcnt(14) lgkmcnt(1)
	v_fma_f32 v187, v128, v187, 0
	s_delay_alu instid0(VALU_DEP_1) | instskip(SKIP_3) | instid1(VALU_DEP_1)
	v_fmac_f32_e32 v187, v129, v188
	ds_load_b64 v[2:3], v4 offset:488
	v_fmac_f32_e32 v187, v130, v189
	s_waitcnt vmcnt(13)
	v_fmac_f32_e32 v187, v131, v190
	ds_load_2addr_b64 v[128:131], v4 offset0:37 offset1:38
	s_waitcnt lgkmcnt(2)
	v_fmac_f32_e32 v187, v132, v191
	s_delay_alu instid0(VALU_DEP_1) | instskip(NEXT) | instid1(VALU_DEP_1)
	v_fmac_f32_e32 v187, v133, v192
	v_fmac_f32_e32 v187, v134, v193
	s_waitcnt vmcnt(12)
	s_delay_alu instid0(VALU_DEP_1) | instskip(SKIP_3) | instid1(VALU_DEP_1)
	v_fmac_f32_e32 v187, v135, v194
	ds_load_2addr_b64 v[132:135], v4 offset0:39 offset1:40
	s_waitcnt lgkmcnt(1)
	v_fmac_f32_e32 v187, v136, v128
	v_fmac_f32_e32 v187, v137, v129
	s_delay_alu instid0(VALU_DEP_1) | instskip(SKIP_1) | instid1(VALU_DEP_1)
	v_fmac_f32_e32 v187, v138, v130
	s_waitcnt vmcnt(11)
	v_fmac_f32_e32 v187, v139, v131
	ds_load_2addr_b64 v[128:131], v4 offset0:41 offset1:42
	s_waitcnt lgkmcnt(1)
	v_fmac_f32_e32 v187, v140, v132
	s_delay_alu instid0(VALU_DEP_1) | instskip(NEXT) | instid1(VALU_DEP_1)
	v_fmac_f32_e32 v187, v141, v133
	v_fmac_f32_e32 v187, v142, v134
	s_waitcnt vmcnt(10)
	s_delay_alu instid0(VALU_DEP_1) | instskip(SKIP_3) | instid1(VALU_DEP_1)
	v_fmac_f32_e32 v187, v143, v135
	ds_load_2addr_b64 v[132:135], v4 offset0:43 offset1:44
	s_waitcnt lgkmcnt(1)
	v_fmac_f32_e32 v187, v144, v128
	v_fmac_f32_e32 v187, v145, v129
	s_delay_alu instid0(VALU_DEP_1) | instskip(SKIP_1) | instid1(VALU_DEP_1)
	;; [unrolled: 17-line block ×5, first 2 shown]
	v_fmac_f32_e32 v187, v170, v130
	s_waitcnt vmcnt(3)
	v_fmac_f32_e32 v187, v171, v131
	ds_load_2addr_b64 v[128:131], v4 offset0:57 offset1:58
	s_waitcnt lgkmcnt(1)
	v_fmac_f32_e32 v187, v172, v132
	s_delay_alu instid0(VALU_DEP_1) | instskip(NEXT) | instid1(VALU_DEP_1)
	v_fmac_f32_e32 v187, v173, v133
	v_fmac_f32_e32 v187, v174, v134
	s_waitcnt vmcnt(2)
	s_delay_alu instid0(VALU_DEP_1)
	v_fmac_f32_e32 v187, v175, v135
	ds_load_2addr_b64 v[132:135], v4 offset0:59 offset1:60
	s_waitcnt lgkmcnt(1)
	v_fmac_f32_e32 v187, v176, v128
	ds_load_b32 v128, v4 offset:496
	v_fmac_f32_e32 v187, v177, v129
	s_delay_alu instid0(VALU_DEP_1) | instskip(SKIP_1) | instid1(VALU_DEP_1)
	v_fmac_f32_e32 v187, v178, v130
	s_waitcnt vmcnt(1)
	v_fmac_f32_e32 v187, v179, v131
	s_waitcnt lgkmcnt(1)
	s_delay_alu instid0(VALU_DEP_1) | instskip(NEXT) | instid1(VALU_DEP_1)
	v_fmac_f32_e32 v187, v180, v132
	v_fmac_f32_e32 v187, v181, v133
	s_delay_alu instid0(VALU_DEP_1) | instskip(SKIP_1) | instid1(VALU_DEP_1)
	v_fmac_f32_e32 v187, v182, v134
	s_waitcnt vmcnt(0)
	v_fmac_f32_e32 v187, v183, v135
	s_delay_alu instid0(VALU_DEP_1) | instskip(NEXT) | instid1(VALU_DEP_1)
	v_fmac_f32_e32 v187, v184, v2
	v_fmac_f32_e32 v187, v185, v3
	s_waitcnt lgkmcnt(0)
	s_delay_alu instid0(VALU_DEP_1) | instskip(NEXT) | instid1(VALU_DEP_1)
	v_fmac_f32_e32 v187, v186, v128
	v_sub_f32_e32 v2, v127, v187
	scratch_store_b32 off, v2, off offset:4
	v_cmpx_ne_u32_e32 0, v0
	s_cbranch_execz .LBB60_373
; %bb.372:
	scratch_load_b32 v0, off, off
	scratch_store_b32 off, v4, off
	s_waitcnt vmcnt(0)
	ds_store_b32 v1, v0
.LBB60_373:
	s_or_b32 exec_lo, exec_lo, s0
	s_waitcnt lgkmcnt(0)
	s_waitcnt_vscnt null, 0x0
	s_barrier
	buffer_gl0_inv
	s_clause 0xf
	scratch_load_b128 v[127:130], off, off
	scratch_load_b128 v[131:134], off, off offset:16
	scratch_load_b128 v[135:138], off, off offset:32
	;; [unrolled: 1-line block ×14, first 2 shown]
	scratch_load_b32 v191, off, off offset:240
	ds_load_2addr_b32 v[183:184], v4 offset0:65 offset1:66
	ds_load_2addr_b32 v[185:186], v4 offset0:67 offset1:68
	ds_load_2addr_b32 v[187:188], v4 offset0:69 offset1:70
	ds_load_2addr_b32 v[189:190], v4 offset0:71 offset1:72
	s_and_b32 vcc_lo, exec_lo, s16
	s_waitcnt vmcnt(15) lgkmcnt(3)
	v_fma_f32 v183, v128, v183, 0
	s_delay_alu instid0(VALU_DEP_1) | instskip(SKIP_4) | instid1(VALU_DEP_1)
	v_fmac_f32_e32 v183, v129, v184
	ds_load_2addr_b32 v[128:129], v4 offset0:73 offset1:74
	s_waitcnt lgkmcnt(3)
	v_fmac_f32_e32 v183, v130, v185
	s_waitcnt vmcnt(14)
	v_fmac_f32_e32 v183, v131, v186
	ds_load_2addr_b32 v[130:131], v4 offset0:75 offset1:76
	s_waitcnt lgkmcnt(3)
	v_fmac_f32_e32 v183, v132, v187
	s_delay_alu instid0(VALU_DEP_1) | instskip(SKIP_1) | instid1(VALU_DEP_1)
	v_fmac_f32_e32 v183, v133, v188
	s_waitcnt lgkmcnt(2)
	v_fmac_f32_e32 v183, v134, v189
	s_waitcnt vmcnt(13)
	s_delay_alu instid0(VALU_DEP_1) | instskip(SKIP_4) | instid1(VALU_DEP_1)
	v_fmac_f32_e32 v183, v135, v190
	ds_load_2addr_b32 v[132:133], v4 offset0:77 offset1:78
	ds_load_2addr_b32 v[134:135], v4 offset0:79 offset1:80
	s_waitcnt lgkmcnt(3)
	v_fmac_f32_e32 v183, v136, v128
	v_fmac_f32_e32 v183, v137, v129
	ds_load_2addr_b32 v[128:129], v4 offset0:81 offset1:82
	s_waitcnt lgkmcnt(3)
	v_fmac_f32_e32 v183, v138, v130
	s_waitcnt vmcnt(12)
	s_delay_alu instid0(VALU_DEP_1) | instskip(SKIP_3) | instid1(VALU_DEP_1)
	v_fmac_f32_e32 v183, v139, v131
	ds_load_2addr_b32 v[130:131], v4 offset0:83 offset1:84
	s_waitcnt lgkmcnt(3)
	v_fmac_f32_e32 v183, v140, v132
	v_fmac_f32_e32 v183, v141, v133
	s_waitcnt lgkmcnt(2)
	s_delay_alu instid0(VALU_DEP_1) | instskip(SKIP_1) | instid1(VALU_DEP_1)
	v_fmac_f32_e32 v183, v142, v134
	s_waitcnt vmcnt(11)
	v_fmac_f32_e32 v183, v143, v135
	ds_load_2addr_b32 v[132:133], v4 offset0:85 offset1:86
	ds_load_2addr_b32 v[134:135], v4 offset0:87 offset1:88
	s_waitcnt lgkmcnt(3)
	v_fmac_f32_e32 v183, v144, v128
	s_delay_alu instid0(VALU_DEP_1) | instskip(SKIP_4) | instid1(VALU_DEP_1)
	v_fmac_f32_e32 v183, v145, v129
	ds_load_2addr_b32 v[128:129], v4 offset0:89 offset1:90
	s_waitcnt lgkmcnt(3)
	v_fmac_f32_e32 v183, v146, v130
	s_waitcnt vmcnt(10)
	v_fmac_f32_e32 v183, v147, v131
	ds_load_2addr_b32 v[130:131], v4 offset0:91 offset1:92
	s_waitcnt lgkmcnt(3)
	v_fmac_f32_e32 v183, v148, v132
	s_delay_alu instid0(VALU_DEP_1) | instskip(SKIP_1) | instid1(VALU_DEP_1)
	v_fmac_f32_e32 v183, v149, v133
	s_waitcnt lgkmcnt(2)
	v_fmac_f32_e32 v183, v150, v134
	s_waitcnt vmcnt(9)
	s_delay_alu instid0(VALU_DEP_1) | instskip(SKIP_4) | instid1(VALU_DEP_1)
	v_fmac_f32_e32 v183, v151, v135
	ds_load_2addr_b32 v[132:133], v4 offset0:93 offset1:94
	ds_load_2addr_b32 v[134:135], v4 offset0:95 offset1:96
	s_waitcnt lgkmcnt(3)
	v_fmac_f32_e32 v183, v152, v128
	v_fmac_f32_e32 v183, v153, v129
	ds_load_2addr_b32 v[128:129], v4 offset0:97 offset1:98
	s_waitcnt lgkmcnt(3)
	v_fmac_f32_e32 v183, v154, v130
	s_waitcnt vmcnt(8)
	s_delay_alu instid0(VALU_DEP_1) | instskip(SKIP_3) | instid1(VALU_DEP_1)
	v_fmac_f32_e32 v183, v155, v131
	ds_load_2addr_b32 v[130:131], v4 offset0:99 offset1:100
	s_waitcnt lgkmcnt(3)
	v_fmac_f32_e32 v183, v156, v132
	v_fmac_f32_e32 v183, v157, v133
	s_waitcnt lgkmcnt(2)
	s_delay_alu instid0(VALU_DEP_1) | instskip(SKIP_1) | instid1(VALU_DEP_1)
	v_fmac_f32_e32 v183, v158, v134
	s_waitcnt vmcnt(7)
	v_fmac_f32_e32 v183, v159, v135
	ds_load_2addr_b32 v[132:133], v4 offset0:101 offset1:102
	ds_load_2addr_b32 v[134:135], v4 offset0:103 offset1:104
	s_waitcnt lgkmcnt(3)
	v_fmac_f32_e32 v183, v160, v128
	;; [unrolled: 41-line block ×3, first 2 shown]
	s_delay_alu instid0(VALU_DEP_1) | instskip(SKIP_4) | instid1(VALU_DEP_1)
	v_fmac_f32_e32 v183, v177, v129
	ds_load_2addr_b32 v[128:129], v4 offset0:121 offset1:122
	s_waitcnt lgkmcnt(3)
	v_fmac_f32_e32 v183, v178, v130
	s_waitcnt vmcnt(2)
	v_fmac_f32_e32 v183, v179, v131
	ds_load_2addr_b32 v[130:131], v4 offset0:123 offset1:124
	s_waitcnt lgkmcnt(3)
	v_fmac_f32_e32 v183, v180, v132
	s_delay_alu instid0(VALU_DEP_1) | instskip(SKIP_1) | instid1(VALU_DEP_1)
	v_fmac_f32_e32 v183, v181, v133
	s_waitcnt lgkmcnt(2)
	v_fmac_f32_e32 v183, v182, v134
	s_waitcnt vmcnt(1)
	s_delay_alu instid0(VALU_DEP_1) | instskip(SKIP_1) | instid1(VALU_DEP_1)
	v_fmac_f32_e32 v183, v0, v135
	s_waitcnt lgkmcnt(1)
	v_fmac_f32_e32 v183, v1, v128
	s_delay_alu instid0(VALU_DEP_1) | instskip(SKIP_1) | instid1(VALU_DEP_1)
	v_fmac_f32_e32 v183, v2, v129
	s_waitcnt lgkmcnt(0)
	v_fmac_f32_e32 v183, v3, v130
	s_waitcnt vmcnt(0)
	s_delay_alu instid0(VALU_DEP_1) | instskip(NEXT) | instid1(VALU_DEP_1)
	v_fmac_f32_e32 v183, v191, v131
	v_sub_f32_e32 v0, v127, v183
	scratch_store_b32 off, v0, off
	s_cbranch_vccz .LBB60_495
; %bb.374:
	v_dual_mov_b32 v0, s12 :: v_dual_mov_b32 v1, s13
	s_mov_b32 s0, exec_lo
	flat_load_b32 v0, v[0:1] offset:236
	s_waitcnt vmcnt(0) lgkmcnt(0)
	v_cmpx_ne_u32_e32 60, v0
	s_cbranch_execz .LBB60_376
; %bb.375:
	v_lshl_add_u32 v0, v0, 2, 0
	scratch_load_b32 v1, v0, off offset:-4
	s_waitcnt vmcnt(0)
	scratch_store_b32 off, v1, off offset:236
	scratch_store_b32 v0, v3, off offset:-4
.LBB60_376:
	s_or_b32 exec_lo, exec_lo, s0
	v_dual_mov_b32 v0, s12 :: v_dual_mov_b32 v1, s13
	s_mov_b32 s0, exec_lo
	flat_load_b32 v0, v[0:1] offset:232
	s_waitcnt vmcnt(0) lgkmcnt(0)
	v_cmpx_ne_u32_e32 59, v0
	s_cbranch_execz .LBB60_378
; %bb.377:
	v_lshl_add_u32 v0, v0, 2, 0
	scratch_load_b32 v1, v0, off offset:-4
	scratch_load_b32 v2, off, off offset:232
	s_waitcnt vmcnt(1)
	scratch_store_b32 off, v1, off offset:232
	s_waitcnt vmcnt(0)
	scratch_store_b32 v0, v2, off offset:-4
.LBB60_378:
	s_or_b32 exec_lo, exec_lo, s0
	v_dual_mov_b32 v0, s12 :: v_dual_mov_b32 v1, s13
	s_mov_b32 s0, exec_lo
	flat_load_b32 v0, v[0:1] offset:228
	s_waitcnt vmcnt(0) lgkmcnt(0)
	v_cmpx_ne_u32_e32 58, v0
	s_cbranch_execz .LBB60_380
; %bb.379:
	v_lshl_add_u32 v0, v0, 2, 0
	scratch_load_b32 v1, v0, off offset:-4
	scratch_load_b32 v2, off, off offset:228
	s_waitcnt vmcnt(1)
	scratch_store_b32 off, v1, off offset:228
	s_waitcnt vmcnt(0)
	scratch_store_b32 v0, v2, off offset:-4
.LBB60_380:
	;; [unrolled: 16-line block ×58, first 2 shown]
	s_or_b32 exec_lo, exec_lo, s0
	v_dual_mov_b32 v0, s12 :: v_dual_mov_b32 v1, s13
	s_mov_b32 s0, exec_lo
	flat_load_b32 v1, v[0:1]
	scratch_load_b32 v0, off, off
	s_waitcnt vmcnt(1) lgkmcnt(0)
	v_cmpx_ne_u32_e32 1, v1
	s_cbranch_execz .LBB60_494
; %bb.493:
	v_lshl_add_u32 v1, v1, 2, 0
	scratch_load_b32 v2, v1, off offset:-4
	s_waitcnt vmcnt(0)
	scratch_store_b32 off, v2, off
	scratch_store_b32 v1, v0, off offset:-4
	scratch_load_b32 v0, off, off
.LBB60_494:
	s_or_b32 exec_lo, exec_lo, s0
.LBB60_495:
	s_clause 0xe
	scratch_load_b128 v[1:4], off, off offset:4
	scratch_load_b128 v[127:130], off, off offset:20
	;; [unrolled: 1-line block ×15, first 2 shown]
	s_waitcnt vmcnt(15)
	global_store_b32 v[5:6], v0, off
	s_waitcnt vmcnt(14)
	s_clause 0x3
	global_store_b32 v[7:8], v1, off
	global_store_b32 v[9:10], v2, off
	global_store_b32 v[11:12], v3, off
	global_store_b32 v[13:14], v4, off
	s_waitcnt vmcnt(13)
	s_clause 0x3
	global_store_b32 v[15:16], v127, off
	global_store_b32 v[17:18], v128, off
	global_store_b32 v[19:20], v129, off
	;; [unrolled: 6-line block ×15, first 2 shown]
	global_store_b32 v[69:70], v182, off
	s_endpgm
	.section	.rodata,"a",@progbits
	.p2align	6, 0x0
	.amdhsa_kernel _ZN9rocsolver6v33100L18getri_kernel_smallILi61EfPfEEvT1_iilPiilS4_bb
		.amdhsa_group_segment_fixed_size 500
		.amdhsa_private_segment_fixed_size 256
		.amdhsa_kernarg_size 60
		.amdhsa_user_sgpr_count 15
		.amdhsa_user_sgpr_dispatch_ptr 0
		.amdhsa_user_sgpr_queue_ptr 0
		.amdhsa_user_sgpr_kernarg_segment_ptr 1
		.amdhsa_user_sgpr_dispatch_id 0
		.amdhsa_user_sgpr_private_segment_size 0
		.amdhsa_wavefront_size32 1
		.amdhsa_uses_dynamic_stack 0
		.amdhsa_enable_private_segment 1
		.amdhsa_system_sgpr_workgroup_id_x 1
		.amdhsa_system_sgpr_workgroup_id_y 0
		.amdhsa_system_sgpr_workgroup_id_z 0
		.amdhsa_system_sgpr_workgroup_info 0
		.amdhsa_system_vgpr_workitem_id 0
		.amdhsa_next_free_vgpr 195
		.amdhsa_next_free_sgpr 18
		.amdhsa_reserve_vcc 1
		.amdhsa_float_round_mode_32 0
		.amdhsa_float_round_mode_16_64 0
		.amdhsa_float_denorm_mode_32 3
		.amdhsa_float_denorm_mode_16_64 3
		.amdhsa_dx10_clamp 1
		.amdhsa_ieee_mode 1
		.amdhsa_fp16_overflow 0
		.amdhsa_workgroup_processor_mode 1
		.amdhsa_memory_ordered 1
		.amdhsa_forward_progress 0
		.amdhsa_shared_vgpr_count 0
		.amdhsa_exception_fp_ieee_invalid_op 0
		.amdhsa_exception_fp_denorm_src 0
		.amdhsa_exception_fp_ieee_div_zero 0
		.amdhsa_exception_fp_ieee_overflow 0
		.amdhsa_exception_fp_ieee_underflow 0
		.amdhsa_exception_fp_ieee_inexact 0
		.amdhsa_exception_int_div_zero 0
	.end_amdhsa_kernel
	.section	.text._ZN9rocsolver6v33100L18getri_kernel_smallILi61EfPfEEvT1_iilPiilS4_bb,"axG",@progbits,_ZN9rocsolver6v33100L18getri_kernel_smallILi61EfPfEEvT1_iilPiilS4_bb,comdat
.Lfunc_end60:
	.size	_ZN9rocsolver6v33100L18getri_kernel_smallILi61EfPfEEvT1_iilPiilS4_bb, .Lfunc_end60-_ZN9rocsolver6v33100L18getri_kernel_smallILi61EfPfEEvT1_iilPiilS4_bb
                                        ; -- End function
	.section	.AMDGPU.csdata,"",@progbits
; Kernel info:
; codeLenInByte = 49496
; NumSgprs: 20
; NumVgprs: 195
; ScratchSize: 256
; MemoryBound: 0
; FloatMode: 240
; IeeeMode: 1
; LDSByteSize: 500 bytes/workgroup (compile time only)
; SGPRBlocks: 2
; VGPRBlocks: 24
; NumSGPRsForWavesPerEU: 20
; NumVGPRsForWavesPerEU: 195
; Occupancy: 7
; WaveLimiterHint : 1
; COMPUTE_PGM_RSRC2:SCRATCH_EN: 1
; COMPUTE_PGM_RSRC2:USER_SGPR: 15
; COMPUTE_PGM_RSRC2:TRAP_HANDLER: 0
; COMPUTE_PGM_RSRC2:TGID_X_EN: 1
; COMPUTE_PGM_RSRC2:TGID_Y_EN: 0
; COMPUTE_PGM_RSRC2:TGID_Z_EN: 0
; COMPUTE_PGM_RSRC2:TIDIG_COMP_CNT: 0
	.section	.text._ZN9rocsolver6v33100L18getri_kernel_smallILi62EfPfEEvT1_iilPiilS4_bb,"axG",@progbits,_ZN9rocsolver6v33100L18getri_kernel_smallILi62EfPfEEvT1_iilPiilS4_bb,comdat
	.globl	_ZN9rocsolver6v33100L18getri_kernel_smallILi62EfPfEEvT1_iilPiilS4_bb ; -- Begin function _ZN9rocsolver6v33100L18getri_kernel_smallILi62EfPfEEvT1_iilPiilS4_bb
	.p2align	8
	.type	_ZN9rocsolver6v33100L18getri_kernel_smallILi62EfPfEEvT1_iilPiilS4_bb,@function
_ZN9rocsolver6v33100L18getri_kernel_smallILi62EfPfEEvT1_iilPiilS4_bb: ; @_ZN9rocsolver6v33100L18getri_kernel_smallILi62EfPfEEvT1_iilPiilS4_bb
; %bb.0:
	s_mov_b32 s2, exec_lo
	v_cmpx_gt_u32_e32 62, v0
	s_cbranch_execz .LBB61_256
; %bb.1:
	s_clause 0x2
	s_load_b32 s17, s[0:1], 0x38
	s_load_b128 s[8:11], s[0:1], 0x10
	s_load_b128 s[4:7], s[0:1], 0x28
	s_mov_b32 s14, s15
                                        ; implicit-def: $sgpr12_sgpr13
	s_waitcnt lgkmcnt(0)
	s_bitcmp1_b32 s17, 8
	s_cselect_b32 s16, -1, 0
	s_bfe_u32 s2, s17, 0x10008
	s_ashr_i32 s15, s15, 31
	s_cmp_eq_u32 s2, 0
	s_cbranch_scc1 .LBB61_3
; %bb.2:
	s_load_b32 s2, s[0:1], 0x20
	s_mul_i32 s3, s14, s5
	s_mul_hi_u32 s5, s14, s4
	s_mul_i32 s12, s15, s4
	s_add_i32 s3, s5, s3
	s_mul_i32 s4, s14, s4
	s_add_i32 s5, s3, s12
	s_delay_alu instid0(SALU_CYCLE_1)
	s_lshl_b64 s[4:5], s[4:5], 2
	s_waitcnt lgkmcnt(0)
	s_ashr_i32 s3, s2, 31
	s_add_u32 s4, s10, s4
	s_addc_u32 s5, s11, s5
	s_lshl_b64 s[2:3], s[2:3], 2
	s_delay_alu instid0(SALU_CYCLE_1)
	s_add_u32 s12, s4, s2
	s_addc_u32 s13, s5, s3
.LBB61_3:
	s_load_b128 s[0:3], s[0:1], 0x0
	s_mul_i32 s4, s14, s9
	s_mul_hi_u32 s5, s14, s8
	s_mul_i32 s9, s15, s8
	s_add_i32 s5, s5, s4
	s_mul_i32 s4, s14, s8
	s_add_i32 s5, s5, s9
	v_lshlrev_b32_e32 v129, 2, v0
	s_lshl_b64 s[4:5], s[4:5], 2
	s_waitcnt lgkmcnt(0)
	v_add3_u32 v2, s3, s3, v0
	s_ashr_i32 s9, s2, 31
	s_mov_b32 s8, s2
	s_add_u32 s2, s0, s4
	s_addc_u32 s4, s1, s5
	v_add_nc_u32_e32 v9, s3, v2
	s_lshl_b64 s[0:1], s[8:9], 2
	v_ashrrev_i32_e32 v3, 31, v2
	s_add_u32 s0, s2, s0
	s_addc_u32 s1, s4, s1
	v_add_nc_u32_e32 v11, s3, v9
	v_add_co_u32 v5, s2, s0, v129
	v_ashrrev_i32_e32 v10, 31, v9
	s_mov_b32 s10, s3
	s_delay_alu instid0(VALU_DEP_3) | instskip(SKIP_3) | instid1(VALU_DEP_3)
	v_add_nc_u32_e32 v13, s3, v11
	s_ashr_i32 s11, s3, 31
	v_add_co_ci_u32_e64 v6, null, s1, 0, s2
	v_lshlrev_b64 v[2:3], 2, v[2:3]
	v_add_nc_u32_e32 v15, s3, v13
	s_lshl_b64 s[4:5], s[10:11], 2
	v_lshlrev_b64 v[56:57], 2, v[9:10]
	v_add_co_u32 v7, vcc_lo, v5, s4
	s_delay_alu instid0(VALU_DEP_3) | instskip(SKIP_3) | instid1(VALU_DEP_4)
	v_add_nc_u32_e32 v17, s3, v15
	v_ashrrev_i32_e32 v12, 31, v11
	v_add_co_ci_u32_e32 v8, vcc_lo, s5, v6, vcc_lo
	v_add_co_u32 v9, vcc_lo, s0, v2
	v_add_nc_u32_e32 v19, s3, v17
	v_ashrrev_i32_e32 v14, 31, v13
	v_add_co_ci_u32_e32 v10, vcc_lo, s1, v3, vcc_lo
	v_lshlrev_b64 v[2:3], 2, v[11:12]
	s_delay_alu instid0(VALU_DEP_4) | instskip(SKIP_2) | instid1(VALU_DEP_3)
	v_add_nc_u32_e32 v21, s3, v19
	v_add_co_u32 v11, vcc_lo, s0, v56
	v_add_co_ci_u32_e32 v12, vcc_lo, s1, v57, vcc_lo
	v_add_nc_u32_e32 v23, s3, v21
	v_lshlrev_b64 v[56:57], 2, v[13:14]
	v_ashrrev_i32_e32 v16, 31, v15
	v_add_co_u32 v13, vcc_lo, s0, v2
	s_delay_alu instid0(VALU_DEP_4) | instskip(SKIP_3) | instid1(VALU_DEP_4)
	v_add_nc_u32_e32 v25, s3, v23
	v_ashrrev_i32_e32 v18, 31, v17
	v_add_co_ci_u32_e32 v14, vcc_lo, s1, v3, vcc_lo
	v_lshlrev_b64 v[2:3], 2, v[15:16]
	v_add_nc_u32_e32 v27, s3, v25
	v_add_co_u32 v15, vcc_lo, s0, v56
	v_add_co_ci_u32_e32 v16, vcc_lo, s1, v57, vcc_lo
	s_delay_alu instid0(VALU_DEP_3) | instskip(SKIP_3) | instid1(VALU_DEP_4)
	v_add_nc_u32_e32 v29, s3, v27
	v_lshlrev_b64 v[56:57], 2, v[17:18]
	v_ashrrev_i32_e32 v20, 31, v19
	v_add_co_u32 v17, vcc_lo, s0, v2
	v_add_nc_u32_e32 v31, s3, v29
	v_ashrrev_i32_e32 v22, 31, v21
	v_add_co_ci_u32_e32 v18, vcc_lo, s1, v3, vcc_lo
	v_lshlrev_b64 v[2:3], 2, v[19:20]
	s_delay_alu instid0(VALU_DEP_4) | instskip(SKIP_3) | instid1(VALU_DEP_4)
	v_add_nc_u32_e32 v33, s3, v31
	v_add_co_u32 v19, vcc_lo, s0, v56
	v_ashrrev_i32_e32 v24, 31, v23
	v_add_co_ci_u32_e32 v20, vcc_lo, s1, v57, vcc_lo
	v_add_nc_u32_e32 v35, s3, v33
	v_lshlrev_b64 v[56:57], 2, v[21:22]
	v_add_co_u32 v21, vcc_lo, s0, v2
	v_lshlrev_b64 v[71:72], 2, v[23:24]
	s_delay_alu instid0(VALU_DEP_4) | instskip(SKIP_3) | instid1(VALU_DEP_4)
	v_add_nc_u32_e32 v37, s3, v35
	v_ashrrev_i32_e32 v26, 31, v25
	v_add_co_ci_u32_e32 v22, vcc_lo, s1, v3, vcc_lo
	v_add_co_u32 v23, vcc_lo, s0, v56
	v_add_nc_u32_e32 v39, s3, v37
	v_ashrrev_i32_e32 v28, 31, v27
	v_add_co_ci_u32_e32 v24, vcc_lo, s1, v57, vcc_lo
	v_lshlrev_b64 v[56:57], 2, v[25:26]
	s_delay_alu instid0(VALU_DEP_4) | instskip(SKIP_2) | instid1(VALU_DEP_3)
	v_add_nc_u32_e32 v41, s3, v39
	v_add_co_u32 v25, vcc_lo, s0, v71
	v_add_co_ci_u32_e32 v26, vcc_lo, s1, v72, vcc_lo
	v_add_nc_u32_e32 v43, s3, v41
	v_lshlrev_b64 v[71:72], 2, v[27:28]
	v_ashrrev_i32_e32 v30, 31, v29
	v_add_co_u32 v27, vcc_lo, s0, v56
	s_delay_alu instid0(VALU_DEP_4) | instskip(SKIP_3) | instid1(VALU_DEP_4)
	v_add_nc_u32_e32 v45, s3, v43
	v_ashrrev_i32_e32 v32, 31, v31
	v_add_co_ci_u32_e32 v28, vcc_lo, s1, v57, vcc_lo
	v_lshlrev_b64 v[56:57], 2, v[29:30]
	v_add_nc_u32_e32 v47, s3, v45
	v_add_co_u32 v29, vcc_lo, s0, v71
	v_add_co_ci_u32_e32 v30, vcc_lo, s1, v72, vcc_lo
	s_delay_alu instid0(VALU_DEP_3) | instskip(SKIP_3) | instid1(VALU_DEP_4)
	v_add_nc_u32_e32 v49, s3, v47
	v_lshlrev_b64 v[71:72], 2, v[31:32]
	v_ashrrev_i32_e32 v34, 31, v33
	v_add_co_u32 v31, vcc_lo, s0, v56
	v_add_nc_u32_e32 v51, s3, v49
	v_ashrrev_i32_e32 v36, 31, v35
	v_add_co_ci_u32_e32 v32, vcc_lo, s1, v57, vcc_lo
	v_lshlrev_b64 v[56:57], 2, v[33:34]
	s_delay_alu instid0(VALU_DEP_4) | instskip(SKIP_2) | instid1(VALU_DEP_3)
	v_add_nc_u32_e32 v53, s3, v51
	v_add_co_u32 v33, vcc_lo, s0, v71
	v_add_co_ci_u32_e32 v34, vcc_lo, s1, v72, vcc_lo
	v_add_nc_u32_e32 v55, s3, v53
	v_lshlrev_b64 v[71:72], 2, v[35:36]
	v_ashrrev_i32_e32 v38, 31, v37
	v_add_co_u32 v35, vcc_lo, s0, v56
	s_delay_alu instid0(VALU_DEP_4) | instskip(SKIP_3) | instid1(VALU_DEP_4)
	v_add_nc_u32_e32 v58, s3, v55
	v_ashrrev_i32_e32 v40, 31, v39
	v_add_co_ci_u32_e32 v36, vcc_lo, s1, v57, vcc_lo
	v_lshlrev_b64 v[56:57], 2, v[37:38]
	v_add_nc_u32_e32 v60, s3, v58
	v_add_co_u32 v37, vcc_lo, s0, v71
	v_add_co_ci_u32_e32 v38, vcc_lo, s1, v72, vcc_lo
	s_delay_alu instid0(VALU_DEP_3) | instskip(SKIP_3) | instid1(VALU_DEP_4)
	v_add_nc_u32_e32 v62, s3, v60
	v_lshlrev_b64 v[71:72], 2, v[39:40]
	v_ashrrev_i32_e32 v42, 31, v41
	;; [unrolled: 25-line block ×3, first 2 shown]
	v_add_co_u32 v47, vcc_lo, s0, v56
	v_add_nc_u32_e32 v77, s3, v75
	v_ashrrev_i32_e32 v52, 31, v51
	v_add_co_ci_u32_e32 v48, vcc_lo, s1, v57, vcc_lo
	v_lshlrev_b64 v[56:57], 2, v[49:50]
	s_delay_alu instid0(VALU_DEP_4) | instskip(SKIP_3) | instid1(VALU_DEP_4)
	v_add_nc_u32_e32 v79, s3, v77
	v_add_co_u32 v49, vcc_lo, s0, v71
	v_ashrrev_i32_e32 v54, 31, v53
	v_add_co_ci_u32_e32 v50, vcc_lo, s1, v72, vcc_lo
	v_add_nc_u32_e32 v81, s3, v79
	v_lshlrev_b64 v[71:72], 2, v[51:52]
	v_add_co_u32 v51, vcc_lo, s0, v56
	v_lshlrev_b64 v[86:87], 2, v[53:54]
	s_delay_alu instid0(VALU_DEP_4) | instskip(SKIP_3) | instid1(VALU_DEP_4)
	v_add_nc_u32_e32 v83, s3, v81
	v_ashrrev_i32_e32 v56, 31, v55
	v_add_co_ci_u32_e32 v52, vcc_lo, s1, v57, vcc_lo
	v_add_co_u32 v53, vcc_lo, s0, v71
	v_add_nc_u32_e32 v85, s3, v83
	v_ashrrev_i32_e32 v59, 31, v58
	v_add_co_ci_u32_e32 v54, vcc_lo, s1, v72, vcc_lo
	v_lshlrev_b64 v[71:72], 2, v[55:56]
	s_delay_alu instid0(VALU_DEP_4) | instskip(SKIP_2) | instid1(VALU_DEP_3)
	v_add_nc_u32_e32 v89, s3, v85
	v_add_co_u32 v55, vcc_lo, s0, v86
	v_add_co_ci_u32_e32 v56, vcc_lo, s1, v87, vcc_lo
	v_add_nc_u32_e32 v91, s3, v89
	v_lshlrev_b64 v[86:87], 2, v[58:59]
	v_ashrrev_i32_e32 v61, 31, v60
	v_add_co_u32 v57, vcc_lo, s0, v71
	s_delay_alu instid0(VALU_DEP_4) | instskip(SKIP_3) | instid1(VALU_DEP_4)
	v_add_nc_u32_e32 v93, s3, v91
	v_ashrrev_i32_e32 v63, 31, v62
	v_add_co_ci_u32_e32 v58, vcc_lo, s1, v72, vcc_lo
	v_lshlrev_b64 v[71:72], 2, v[60:61]
	v_add_nc_u32_e32 v95, s3, v93
	v_add_co_u32 v59, vcc_lo, s0, v86
	v_add_co_ci_u32_e32 v60, vcc_lo, s1, v87, vcc_lo
	s_delay_alu instid0(VALU_DEP_3) | instskip(SKIP_3) | instid1(VALU_DEP_4)
	v_add_nc_u32_e32 v97, s3, v95
	v_lshlrev_b64 v[86:87], 2, v[62:63]
	v_ashrrev_i32_e32 v65, 31, v64
	v_add_co_u32 v61, vcc_lo, s0, v71
	v_add_nc_u32_e32 v99, s3, v97
	v_ashrrev_i32_e32 v67, 31, v66
	v_add_co_ci_u32_e32 v62, vcc_lo, s1, v72, vcc_lo
	v_lshlrev_b64 v[71:72], 2, v[64:65]
	s_delay_alu instid0(VALU_DEP_4) | instskip(SKIP_3) | instid1(VALU_DEP_4)
	v_add_nc_u32_e32 v101, s3, v99
	v_add_co_u32 v63, vcc_lo, s0, v86
	v_ashrrev_i32_e32 v69, 31, v68
	v_add_co_ci_u32_e32 v64, vcc_lo, s1, v87, vcc_lo
	v_add_nc_u32_e32 v103, s3, v101
	v_lshlrev_b64 v[86:87], 2, v[66:67]
	v_add_co_u32 v65, vcc_lo, s0, v71
	v_lshlrev_b64 v[124:125], 2, v[68:69]
	s_delay_alu instid0(VALU_DEP_4) | instskip(SKIP_3) | instid1(VALU_DEP_4)
	v_add_nc_u32_e32 v105, s3, v103
	v_add_co_ci_u32_e32 v66, vcc_lo, s1, v72, vcc_lo
	v_ashrrev_i32_e32 v71, 31, v70
	v_add_co_u32 v67, vcc_lo, s0, v86
	v_add_nc_u32_e32 v107, s3, v105
	v_add_co_ci_u32_e32 v68, vcc_lo, s1, v87, vcc_lo
	v_add_co_u32 v69, vcc_lo, s0, v124
	s_delay_alu instid0(VALU_DEP_3) | instskip(SKIP_3) | instid1(VALU_DEP_4)
	v_add_nc_u32_e32 v109, s3, v107
	v_lshlrev_b64 v[71:72], 2, v[70:71]
	v_ashrrev_i32_e32 v74, 31, v73
	v_add_co_ci_u32_e32 v70, vcc_lo, s1, v125, vcc_lo
	v_add_nc_u32_e32 v111, s3, v109
	v_ashrrev_i32_e32 v76, 31, v75
	s_delay_alu instid0(VALU_DEP_4) | instskip(SKIP_1) | instid1(VALU_DEP_4)
	v_lshlrev_b64 v[86:87], 2, v[73:74]
	v_add_co_u32 v73, vcc_lo, s0, v71
	v_add_nc_u32_e32 v113, s3, v111
	v_add_co_ci_u32_e32 v74, vcc_lo, s1, v72, vcc_lo
	v_ashrrev_i32_e32 v78, 31, v77
	v_lshlrev_b64 v[127:128], 2, v[75:76]
	s_delay_alu instid0(VALU_DEP_4) | instskip(SKIP_2) | instid1(VALU_DEP_3)
	v_add_nc_u32_e32 v115, s3, v113
	v_add_co_u32 v75, vcc_lo, s0, v86
	v_add_co_ci_u32_e32 v76, vcc_lo, s1, v87, vcc_lo
	v_add_nc_u32_e32 v117, s3, v115
	v_lshlrev_b64 v[86:87], 2, v[77:78]
	v_ashrrev_i32_e32 v80, 31, v79
	v_ashrrev_i32_e32 v82, 31, v81
	;; [unrolled: 1-line block ×3, first 2 shown]
	v_add_nc_u32_e32 v119, s3, v117
	v_ashrrev_i32_e32 v90, 31, v89
	v_ashrrev_i32_e32 v92, 31, v91
	;; [unrolled: 1-line block ×4, first 2 shown]
	v_add_nc_u32_e32 v121, s3, v119
	v_lshlrev_b64 v[89:90], 2, v[89:90]
	v_lshlrev_b64 v[91:92], 2, v[91:92]
	;; [unrolled: 1-line block ×3, first 2 shown]
	v_ashrrev_i32_e32 v98, 31, v97
	v_add_nc_u32_e32 v123, s3, v121
	v_lshlrev_b64 v[95:96], 2, v[95:96]
	v_ashrrev_i32_e32 v100, 31, v99
	v_ashrrev_i32_e32 v102, 31, v101
	v_lshlrev_b64 v[97:98], 2, v[97:98]
	v_add_nc_u32_e32 v126, s3, v123
	v_ashrrev_i32_e32 v104, 31, v103
	v_lshlrev_b64 v[99:100], 2, v[99:100]
	v_lshlrev_b64 v[101:102], 2, v[101:102]
	v_ashrrev_i32_e32 v106, 31, v105
	v_add_nc_u32_e32 v183, s3, v126
	v_lshlrev_b64 v[103:104], 2, v[103:104]
	v_ashrrev_i32_e32 v108, 31, v107
	v_ashrrev_i32_e32 v110, 31, v109
	v_lshlrev_b64 v[105:106], 2, v[105:106]
	v_add_nc_u32_e32 v124, s3, v183
	v_ashrrev_i32_e32 v112, 31, v111
	v_lshlrev_b64 v[107:108], 2, v[107:108]
	v_lshlrev_b64 v[109:110], 2, v[109:110]
	v_ashrrev_i32_e32 v114, 31, v113
	v_ashrrev_i32_e32 v125, 31, v124
	v_lshlrev_b64 v[111:112], 2, v[111:112]
	v_ashrrev_i32_e32 v116, 31, v115
	v_ashrrev_i32_e32 v118, 31, v117
	v_lshlrev_b64 v[113:114], 2, v[113:114]
	v_lshlrev_b64 v[71:72], 2, v[124:125]
	;; [unrolled: 1-line block ×4, first 2 shown]
	v_ashrrev_i32_e32 v120, 31, v119
	v_lshlrev_b64 v[117:118], 2, v[117:118]
	v_ashrrev_i32_e32 v122, 31, v121
	v_add_co_u32 v71, vcc_lo, s0, v71
	v_add_co_ci_u32_e32 v72, vcc_lo, s1, v72, vcc_lo
	v_add_co_u32 v77, vcc_lo, s0, v127
	v_add_co_ci_u32_e32 v78, vcc_lo, s1, v128, vcc_lo
	;; [unrolled: 2-line block ×3, first 2 shown]
	v_lshlrev_b64 v[87:88], 2, v[81:82]
	v_add_co_u32 v81, vcc_lo, s0, v124
	v_ashrrev_i32_e32 v86, 31, v85
	v_add_co_ci_u32_e32 v82, vcc_lo, s1, v125, vcc_lo
	v_lshlrev_b64 v[124:125], 2, v[83:84]
	v_add_co_u32 v83, vcc_lo, s0, v87
	v_add_co_ci_u32_e32 v84, vcc_lo, s1, v88, vcc_lo
	v_lshlrev_b64 v[87:88], 2, v[85:86]
	s_delay_alu instid0(VALU_DEP_4) | instskip(SKIP_2) | instid1(VALU_DEP_4)
	v_add_co_u32 v85, vcc_lo, s0, v124
	v_add_co_ci_u32_e32 v86, vcc_lo, s1, v125, vcc_lo
	v_lshlrev_b64 v[119:120], 2, v[119:120]
	v_add_co_u32 v87, vcc_lo, s0, v87
	v_add_co_ci_u32_e32 v88, vcc_lo, s1, v88, vcc_lo
	v_add_co_u32 v89, vcc_lo, s0, v89
	v_add_co_ci_u32_e32 v90, vcc_lo, s1, v90, vcc_lo
	v_add_co_u32 v91, vcc_lo, s0, v91
	v_add_co_ci_u32_e32 v92, vcc_lo, s1, v92, vcc_lo
	v_add_co_u32 v93, vcc_lo, s0, v93
	v_add_co_ci_u32_e32 v94, vcc_lo, s1, v94, vcc_lo
	v_add_co_u32 v95, vcc_lo, s0, v95
	v_add_co_ci_u32_e32 v96, vcc_lo, s1, v96, vcc_lo
	v_add_co_u32 v97, vcc_lo, s0, v97
	v_add_co_ci_u32_e32 v98, vcc_lo, s1, v98, vcc_lo
	v_add_co_u32 v99, vcc_lo, s0, v99
	v_add_co_ci_u32_e32 v100, vcc_lo, s1, v100, vcc_lo
	v_add_co_u32 v101, vcc_lo, s0, v101
	v_add_co_ci_u32_e32 v102, vcc_lo, s1, v102, vcc_lo
	v_add_co_u32 v103, vcc_lo, s0, v103
	v_add_co_ci_u32_e32 v104, vcc_lo, s1, v104, vcc_lo
	v_add_co_u32 v105, vcc_lo, s0, v105
	v_add_co_ci_u32_e32 v106, vcc_lo, s1, v106, vcc_lo
	v_add_co_u32 v107, vcc_lo, s0, v107
	v_add_co_ci_u32_e32 v108, vcc_lo, s1, v108, vcc_lo
	v_add_co_u32 v109, vcc_lo, s0, v109
	v_add_co_ci_u32_e32 v110, vcc_lo, s1, v110, vcc_lo
	v_add_co_u32 v111, vcc_lo, s0, v111
	v_add_co_ci_u32_e32 v112, vcc_lo, s1, v112, vcc_lo
	v_add_co_u32 v113, vcc_lo, s0, v113
	v_add_co_ci_u32_e32 v114, vcc_lo, s1, v114, vcc_lo
	v_add_co_u32 v115, vcc_lo, s0, v115
	v_ashrrev_i32_e32 v124, 31, v123
	v_add_co_ci_u32_e32 v116, vcc_lo, s1, v116, vcc_lo
	v_add_co_u32 v117, vcc_lo, s0, v117
	v_lshlrev_b64 v[121:122], 2, v[121:122]
	v_ashrrev_i32_e32 v127, 31, v126
	v_add_co_ci_u32_e32 v118, vcc_lo, s1, v118, vcc_lo
	v_add_co_u32 v119, vcc_lo, s0, v119
	v_lshlrev_b64 v[123:124], 2, v[123:124]
	;; [unrolled: 4-line block ×3, first 2 shown]
	v_add_co_ci_u32_e32 v122, vcc_lo, s1, v122, vcc_lo
	v_add_co_u32 v123, vcc_lo, s0, v123
	v_lshlrev_b64 v[127:128], 2, v[183:184]
	v_add_co_ci_u32_e32 v124, vcc_lo, s1, v124, vcc_lo
	v_add_co_u32 v125, vcc_lo, s0, v125
	v_add_co_ci_u32_e32 v126, vcc_lo, s1, v126, vcc_lo
	s_delay_alu instid0(VALU_DEP_4)
	v_add_co_u32 v127, vcc_lo, s0, v127
	v_add_co_ci_u32_e32 v128, vcc_lo, s1, v128, vcc_lo
	s_clause 0x1f
	global_load_b32 v1, v129, s[0:1]
	global_load_b32 v2, v[7:8], off
	global_load_b32 v3, v[9:10], off
	;; [unrolled: 1-line block ×31, first 2 shown]
	s_clause 0x1d
	global_load_b32 v158, v[69:70], off
	global_load_b32 v159, v[73:74], off
	;; [unrolled: 1-line block ×30, first 2 shown]
	s_bitcmp0_b32 s17, 0
	s_mov_b32 s1, -1
	s_waitcnt vmcnt(58)
	scratch_store_b128 off, v[1:4], off
	s_waitcnt vmcnt(54)
	scratch_store_b128 off, v[130:133], off offset:16
	s_waitcnt vmcnt(50)
	scratch_store_b128 off, v[134:137], off offset:32
	;; [unrolled: 2-line block ×14, first 2 shown]
	s_waitcnt vmcnt(0)
	scratch_store_b64 off, v[186:187], off offset:240
	s_cbranch_scc1 .LBB61_254
; %bb.4:
	v_cmp_eq_u32_e64 s0, 0, v0
	s_delay_alu instid0(VALU_DEP_1)
	s_and_saveexec_b32 s1, s0
	s_cbranch_execz .LBB61_6
; %bb.5:
	v_mov_b32_e32 v1, 0
	ds_store_b32 v1, v1 offset:248
.LBB61_6:
	s_or_b32 exec_lo, exec_lo, s1
	s_waitcnt lgkmcnt(0)
	s_waitcnt_vscnt null, 0x0
	s_barrier
	buffer_gl0_inv
	scratch_load_b32 v1, v129, off
	s_mov_b32 s2, exec_lo
	s_waitcnt vmcnt(0)
	v_cmpx_eq_f32_e32 0, v1
	s_cbranch_execz .LBB61_10
; %bb.7:
	v_mov_b32_e32 v1, 0
	s_mov_b32 s3, 0
	ds_load_b32 v2, v1 offset:248
	s_waitcnt lgkmcnt(0)
	v_readfirstlane_b32 s1, v2
	v_add_nc_u32_e32 v2, 1, v0
	s_delay_alu instid0(VALU_DEP_2) | instskip(NEXT) | instid1(VALU_DEP_1)
	s_cmp_eq_u32 s1, 0
	v_cmp_gt_i32_e32 vcc_lo, s1, v2
	s_cselect_b32 s4, -1, 0
	s_delay_alu instid0(SALU_CYCLE_1) | instskip(NEXT) | instid1(SALU_CYCLE_1)
	s_or_b32 s4, s4, vcc_lo
	s_and_b32 exec_lo, exec_lo, s4
	s_cbranch_execz .LBB61_10
; %bb.8:
	v_mov_b32_e32 v3, s1
.LBB61_9:                               ; =>This Inner Loop Header: Depth=1
	ds_cmpstore_rtn_b32 v3, v1, v2, v3 offset:248
	s_waitcnt lgkmcnt(0)
	v_cmp_ne_u32_e32 vcc_lo, 0, v3
	v_cmp_le_i32_e64 s1, v3, v2
	s_delay_alu instid0(VALU_DEP_1) | instskip(NEXT) | instid1(SALU_CYCLE_1)
	s_and_b32 s1, vcc_lo, s1
	s_and_b32 s1, exec_lo, s1
	s_delay_alu instid0(SALU_CYCLE_1) | instskip(NEXT) | instid1(SALU_CYCLE_1)
	s_or_b32 s3, s1, s3
	s_and_not1_b32 exec_lo, exec_lo, s3
	s_cbranch_execnz .LBB61_9
.LBB61_10:
	s_or_b32 exec_lo, exec_lo, s2
	v_mov_b32_e32 v1, 0
	s_barrier
	buffer_gl0_inv
	ds_load_b32 v2, v1 offset:248
	s_and_saveexec_b32 s1, s0
	s_cbranch_execz .LBB61_12
; %bb.11:
	s_lshl_b64 s[2:3], s[14:15], 2
	s_delay_alu instid0(SALU_CYCLE_1)
	s_add_u32 s2, s6, s2
	s_addc_u32 s3, s7, s3
	s_waitcnt lgkmcnt(0)
	global_store_b32 v1, v2, s[2:3]
.LBB61_12:
	s_or_b32 exec_lo, exec_lo, s1
	s_waitcnt lgkmcnt(0)
	v_cmp_ne_u32_e32 vcc_lo, 0, v2
	s_mov_b32 s1, 0
	s_cbranch_vccnz .LBB61_254
; %bb.13:
	v_add_nc_u32_e32 v1, 0, v129
	scratch_load_b32 v2, v1, off
	s_waitcnt vmcnt(0)
	v_div_scale_f32 v3, null, v2, v2, 1.0
	v_div_scale_f32 v131, vcc_lo, 1.0, v2, 1.0
	s_delay_alu instid0(VALU_DEP_2) | instskip(SKIP_2) | instid1(VALU_DEP_1)
	v_rcp_f32_e32 v4, v3
	s_waitcnt_depctr 0xfff
	v_fma_f32 v130, -v3, v4, 1.0
	v_fmac_f32_e32 v4, v130, v4
	s_delay_alu instid0(VALU_DEP_1) | instskip(NEXT) | instid1(VALU_DEP_1)
	v_mul_f32_e32 v130, v131, v4
	v_fma_f32 v132, -v3, v130, v131
	s_delay_alu instid0(VALU_DEP_1) | instskip(NEXT) | instid1(VALU_DEP_1)
	v_fmac_f32_e32 v130, v132, v4
	v_fma_f32 v3, -v3, v130, v131
	s_delay_alu instid0(VALU_DEP_1) | instskip(NEXT) | instid1(VALU_DEP_1)
	v_div_fmas_f32 v3, v3, v4, v130
	v_div_fixup_f32 v2, v3, v2, 1.0
	scratch_store_b32 v1, v2, off
	scratch_load_b32 v3, off, off offset:4
	v_xor_b32_e32 v4, 0x80000000, v2
	v_or_b32_e32 v2, 0x100, v129
	s_waitcnt vmcnt(0)
	ds_store_2addr_stride64_b32 v129, v4, v3 offset1:1
	s_waitcnt lgkmcnt(0)
	s_waitcnt_vscnt null, 0x0
	s_barrier
	buffer_gl0_inv
	s_and_saveexec_b32 s1, s0
	s_cbranch_execz .LBB61_15
; %bb.14:
	scratch_load_b32 v3, v1, off
	ds_load_b32 v4, v2
	v_mov_b32_e32 v130, 0
	ds_load_b32 v130, v130 offset:4
	s_waitcnt vmcnt(0) lgkmcnt(1)
	v_fma_f32 v3, v3, v4, 0
	s_waitcnt lgkmcnt(0)
	s_delay_alu instid0(VALU_DEP_1)
	v_mul_f32_e32 v3, v3, v130
	scratch_store_b32 off, v3, off offset:4
.LBB61_15:
	s_or_b32 exec_lo, exec_lo, s1
	s_waitcnt_vscnt null, 0x0
	s_barrier
	buffer_gl0_inv
	scratch_load_b32 v3, off, off offset:8
	s_mov_b32 s1, exec_lo
	s_waitcnt vmcnt(0)
	ds_store_b32 v2, v3
	s_waitcnt lgkmcnt(0)
	s_barrier
	buffer_gl0_inv
	v_cmpx_gt_u32_e32 2, v0
	s_cbranch_execz .LBB61_17
; %bb.16:
	scratch_load_b32 v130, v1, off
	scratch_load_b32 v131, off, off offset:4
	ds_load_b32 v132, v2
	v_mov_b32_e32 v3, 0
	ds_load_2addr_b32 v[3:4], v3 offset0:2 offset1:65
	s_waitcnt vmcnt(1) lgkmcnt(1)
	v_fma_f32 v130, v130, v132, 0
	s_waitcnt vmcnt(0) lgkmcnt(0)
	s_delay_alu instid0(VALU_DEP_1) | instskip(NEXT) | instid1(VALU_DEP_1)
	v_fma_f32 v4, v131, v4, v130
	v_cndmask_b32_e64 v4, v130, v4, s0
	s_delay_alu instid0(VALU_DEP_1)
	v_mul_f32_e32 v3, v4, v3
	scratch_store_b32 off, v3, off offset:8
.LBB61_17:
	s_or_b32 exec_lo, exec_lo, s1
	s_waitcnt_vscnt null, 0x0
	s_barrier
	buffer_gl0_inv
	scratch_load_b32 v4, off, off offset:12
	v_add_nc_u32_e32 v3, -1, v0
	s_mov_b32 s0, exec_lo
	s_waitcnt vmcnt(0)
	ds_store_b32 v2, v4
	s_waitcnt lgkmcnt(0)
	s_barrier
	buffer_gl0_inv
	v_cmpx_gt_u32_e32 3, v0
	s_cbranch_execz .LBB61_21
; %bb.18:
	v_add_nc_u32_e32 v130, -1, v0
	v_or_b32_e32 v131, 0x100, v129
	v_add_nc_u32_e32 v132, 0, v129
	v_mov_b32_e32 v4, 0
	s_mov_b32 s1, 0
.LBB61_19:                              ; =>This Inner Loop Header: Depth=1
	scratch_load_b32 v133, v132, off
	ds_load_b32 v134, v131
	v_add_nc_u32_e32 v130, 1, v130
	v_add_nc_u32_e32 v131, 4, v131
	v_add_nc_u32_e32 v132, 4, v132
	s_delay_alu instid0(VALU_DEP_3)
	v_cmp_lt_u32_e32 vcc_lo, 1, v130
	s_or_b32 s1, vcc_lo, s1
	s_waitcnt vmcnt(0) lgkmcnt(0)
	v_fmac_f32_e32 v4, v133, v134
	s_and_not1_b32 exec_lo, exec_lo, s1
	s_cbranch_execnz .LBB61_19
; %bb.20:
	s_or_b32 exec_lo, exec_lo, s1
	v_mov_b32_e32 v130, 0
	ds_load_b32 v130, v130 offset:12
	s_waitcnt lgkmcnt(0)
	v_mul_f32_e32 v4, v4, v130
	scratch_store_b32 off, v4, off offset:12
.LBB61_21:
	s_or_b32 exec_lo, exec_lo, s0
	s_waitcnt_vscnt null, 0x0
	s_barrier
	buffer_gl0_inv
	scratch_load_b32 v4, off, off offset:16
	s_mov_b32 s0, exec_lo
	s_waitcnt vmcnt(0)
	ds_store_b32 v2, v4
	s_waitcnt lgkmcnt(0)
	s_barrier
	buffer_gl0_inv
	v_cmpx_gt_u32_e32 4, v0
	s_cbranch_execz .LBB61_25
; %bb.22:
	v_add_nc_u32_e32 v130, -1, v0
	v_or_b32_e32 v131, 0x100, v129
	v_add_nc_u32_e32 v132, 0, v129
	v_mov_b32_e32 v4, 0
	s_mov_b32 s1, 0
.LBB61_23:                              ; =>This Inner Loop Header: Depth=1
	scratch_load_b32 v133, v132, off
	ds_load_b32 v134, v131
	v_add_nc_u32_e32 v130, 1, v130
	v_add_nc_u32_e32 v131, 4, v131
	v_add_nc_u32_e32 v132, 4, v132
	s_delay_alu instid0(VALU_DEP_3)
	v_cmp_lt_u32_e32 vcc_lo, 2, v130
	s_or_b32 s1, vcc_lo, s1
	s_waitcnt vmcnt(0) lgkmcnt(0)
	v_fmac_f32_e32 v4, v133, v134
	s_and_not1_b32 exec_lo, exec_lo, s1
	s_cbranch_execnz .LBB61_23
; %bb.24:
	s_or_b32 exec_lo, exec_lo, s1
	v_mov_b32_e32 v130, 0
	ds_load_b32 v130, v130 offset:16
	s_waitcnt lgkmcnt(0)
	v_mul_f32_e32 v4, v4, v130
	scratch_store_b32 off, v4, off offset:16
.LBB61_25:
	s_or_b32 exec_lo, exec_lo, s0
	s_waitcnt_vscnt null, 0x0
	s_barrier
	buffer_gl0_inv
	scratch_load_b32 v4, off, off offset:20
	;; [unrolled: 40-line block ×21, first 2 shown]
	s_mov_b32 s0, exec_lo
	s_waitcnt vmcnt(0)
	ds_store_b32 v2, v4
	s_waitcnt lgkmcnt(0)
	s_barrier
	buffer_gl0_inv
	v_cmpx_gt_u32_e32 24, v0
	s_cbranch_execz .LBB61_105
; %bb.102:
	v_add_nc_u32_e32 v130, -1, v0
	v_or_b32_e32 v131, 0x100, v129
	v_add_nc_u32_e32 v132, 0, v129
	v_mov_b32_e32 v4, 0
	s_mov_b32 s1, 0
.LBB61_103:                             ; =>This Inner Loop Header: Depth=1
	scratch_load_b32 v133, v132, off
	ds_load_b32 v134, v131
	v_add_nc_u32_e32 v130, 1, v130
	v_add_nc_u32_e32 v131, 4, v131
	v_add_nc_u32_e32 v132, 4, v132
	s_delay_alu instid0(VALU_DEP_3)
	v_cmp_lt_u32_e32 vcc_lo, 22, v130
	s_or_b32 s1, vcc_lo, s1
	s_waitcnt vmcnt(0) lgkmcnt(0)
	v_fmac_f32_e32 v4, v133, v134
	s_and_not1_b32 exec_lo, exec_lo, s1
	s_cbranch_execnz .LBB61_103
; %bb.104:
	s_or_b32 exec_lo, exec_lo, s1
	v_mov_b32_e32 v130, 0
	ds_load_b32 v130, v130 offset:96
	s_waitcnt lgkmcnt(0)
	v_mul_f32_e32 v4, v4, v130
	scratch_store_b32 off, v4, off offset:96
.LBB61_105:
	s_or_b32 exec_lo, exec_lo, s0
	s_waitcnt_vscnt null, 0x0
	s_barrier
	buffer_gl0_inv
	scratch_load_b32 v4, off, off offset:100
	s_mov_b32 s0, exec_lo
	s_waitcnt vmcnt(0)
	ds_store_b32 v2, v4
	s_waitcnt lgkmcnt(0)
	s_barrier
	buffer_gl0_inv
	v_cmpx_gt_u32_e32 25, v0
	s_cbranch_execz .LBB61_109
; %bb.106:
	v_add_nc_u32_e32 v130, -1, v0
	v_or_b32_e32 v131, 0x100, v129
	v_add_nc_u32_e32 v132, 0, v129
	v_mov_b32_e32 v4, 0
	s_mov_b32 s1, 0
.LBB61_107:                             ; =>This Inner Loop Header: Depth=1
	scratch_load_b32 v133, v132, off
	ds_load_b32 v134, v131
	v_add_nc_u32_e32 v130, 1, v130
	v_add_nc_u32_e32 v131, 4, v131
	v_add_nc_u32_e32 v132, 4, v132
	s_delay_alu instid0(VALU_DEP_3)
	v_cmp_lt_u32_e32 vcc_lo, 23, v130
	s_or_b32 s1, vcc_lo, s1
	s_waitcnt vmcnt(0) lgkmcnt(0)
	v_fmac_f32_e32 v4, v133, v134
	s_and_not1_b32 exec_lo, exec_lo, s1
	s_cbranch_execnz .LBB61_107
; %bb.108:
	s_or_b32 exec_lo, exec_lo, s1
	v_mov_b32_e32 v130, 0
	ds_load_b32 v130, v130 offset:100
	s_waitcnt lgkmcnt(0)
	v_mul_f32_e32 v4, v4, v130
	scratch_store_b32 off, v4, off offset:100
.LBB61_109:
	s_or_b32 exec_lo, exec_lo, s0
	s_waitcnt_vscnt null, 0x0
	s_barrier
	buffer_gl0_inv
	scratch_load_b32 v4, off, off offset:104
	;; [unrolled: 40-line block ×36, first 2 shown]
	s_mov_b32 s0, exec_lo
	s_waitcnt vmcnt(0)
	ds_store_b32 v2, v4
	s_waitcnt lgkmcnt(0)
	s_barrier
	buffer_gl0_inv
	v_cmpx_gt_u32_e32 60, v0
	s_cbranch_execz .LBB61_249
; %bb.246:
	v_add_nc_u32_e32 v130, -1, v0
	v_or_b32_e32 v131, 0x100, v129
	v_dual_mov_b32 v4, 0 :: v_dual_add_nc_u32 v129, 0, v129
	s_mov_b32 s1, 0
.LBB61_247:                             ; =>This Inner Loop Header: Depth=1
	scratch_load_b32 v132, v129, off
	ds_load_b32 v133, v131
	v_add_nc_u32_e32 v130, 1, v130
	v_add_nc_u32_e32 v131, 4, v131
	;; [unrolled: 1-line block ×3, first 2 shown]
	s_delay_alu instid0(VALU_DEP_3)
	v_cmp_lt_u32_e32 vcc_lo, 58, v130
	s_or_b32 s1, vcc_lo, s1
	s_waitcnt vmcnt(0) lgkmcnt(0)
	v_fmac_f32_e32 v4, v132, v133
	s_and_not1_b32 exec_lo, exec_lo, s1
	s_cbranch_execnz .LBB61_247
; %bb.248:
	s_or_b32 exec_lo, exec_lo, s1
	v_mov_b32_e32 v129, 0
	ds_load_b32 v129, v129 offset:240
	s_waitcnt lgkmcnt(0)
	v_mul_f32_e32 v4, v4, v129
	scratch_store_b32 off, v4, off offset:240
.LBB61_249:
	s_or_b32 exec_lo, exec_lo, s0
	s_waitcnt_vscnt null, 0x0
	s_barrier
	buffer_gl0_inv
	scratch_load_b32 v4, off, off offset:244
	s_mov_b32 s0, exec_lo
	s_waitcnt vmcnt(0)
	ds_store_b32 v2, v4
	s_waitcnt lgkmcnt(0)
	s_barrier
	buffer_gl0_inv
	v_cmpx_ne_u32_e32 61, v0
	s_cbranch_execz .LBB61_253
; %bb.250:
	v_mov_b32_e32 v4, 0
	s_mov_b32 s1, 0
.LBB61_251:                             ; =>This Inner Loop Header: Depth=1
	scratch_load_b32 v129, v1, off
	ds_load_b32 v130, v2
	v_add_nc_u32_e32 v3, 1, v3
	v_add_nc_u32_e32 v2, 4, v2
	s_waitcnt vmcnt(0) lgkmcnt(0)
	v_dual_fmac_f32 v4, v129, v130 :: v_dual_add_nc_u32 v1, 4, v1
	s_delay_alu instid0(VALU_DEP_3) | instskip(SKIP_1) | instid1(SALU_CYCLE_1)
	v_cmp_lt_u32_e32 vcc_lo, 59, v3
	s_or_b32 s1, vcc_lo, s1
	s_and_not1_b32 exec_lo, exec_lo, s1
	s_cbranch_execnz .LBB61_251
; %bb.252:
	s_or_b32 exec_lo, exec_lo, s1
	v_mov_b32_e32 v1, 0
	ds_load_b32 v1, v1 offset:244
	s_waitcnt lgkmcnt(0)
	v_mul_f32_e32 v1, v4, v1
	scratch_store_b32 off, v1, off offset:244
.LBB61_253:
	s_or_b32 exec_lo, exec_lo, s0
	s_mov_b32 s1, -1
	s_waitcnt_vscnt null, 0x0
	s_barrier
	buffer_gl0_inv
.LBB61_254:
	s_and_b32 vcc_lo, exec_lo, s1
	s_cbranch_vccz .LBB61_256
; %bb.255:
	s_lshl_b64 s[0:1], s[14:15], 2
	v_mov_b32_e32 v1, 0
	s_add_u32 s0, s6, s0
	s_addc_u32 s1, s7, s1
	global_load_b32 v1, v1, s[0:1]
	s_waitcnt vmcnt(0)
	v_cmp_ne_u32_e32 vcc_lo, 0, v1
	s_cbranch_vccz .LBB61_257
.LBB61_256:
	s_endpgm
.LBB61_257:
	v_lshl_or_b32 v1, v0, 2, 0x100
	s_mov_b32 s0, exec_lo
	v_cmpx_eq_u32_e32 61, v0
	s_cbranch_execz .LBB61_259
; %bb.258:
	scratch_load_b32 v2, off, off offset:240
	v_mov_b32_e32 v3, 0
	scratch_store_b32 off, v3, off offset:240
	s_waitcnt vmcnt(0)
	ds_store_b32 v1, v2
.LBB61_259:
	s_or_b32 exec_lo, exec_lo, s0
	s_waitcnt lgkmcnt(0)
	s_waitcnt_vscnt null, 0x0
	s_barrier
	buffer_gl0_inv
	scratch_load_b64 v[3:4], off, off offset:240
	v_mov_b32_e32 v2, 0
	s_mov_b32 s0, exec_lo
	ds_load_b32 v129, v2 offset:500
	s_waitcnt vmcnt(0) lgkmcnt(0)
	v_fma_f32 v4, v4, v129, 0
	s_delay_alu instid0(VALU_DEP_1)
	v_sub_f32_e32 v3, v3, v4
	scratch_store_b32 off, v3, off offset:240
	v_cmpx_lt_u32_e32 59, v0
	s_cbranch_execz .LBB61_261
; %bb.260:
	scratch_load_b32 v3, off, off offset:236
	scratch_store_b32 off, v2, off offset:236
	s_waitcnt vmcnt(0)
	ds_store_b32 v1, v3
.LBB61_261:
	s_or_b32 exec_lo, exec_lo, s0
	s_waitcnt lgkmcnt(0)
	s_waitcnt_vscnt null, 0x0
	s_barrier
	buffer_gl0_inv
	scratch_load_b96 v[129:131], off, off offset:236
	ds_load_b64 v[2:3], v2 offset:496
	s_mov_b32 s0, exec_lo
	s_waitcnt vmcnt(0) lgkmcnt(0)
	v_fma_f32 v2, v130, v2, 0
	s_delay_alu instid0(VALU_DEP_1) | instskip(NEXT) | instid1(VALU_DEP_1)
	v_fmac_f32_e32 v2, v131, v3
	v_sub_f32_e32 v2, v129, v2
	scratch_store_b32 off, v2, off offset:236
	v_cmpx_lt_u32_e32 58, v0
	s_cbranch_execz .LBB61_263
; %bb.262:
	scratch_load_b32 v2, off, off offset:232
	v_mov_b32_e32 v3, 0
	scratch_store_b32 off, v3, off offset:232
	s_waitcnt vmcnt(0)
	ds_store_b32 v1, v2
.LBB61_263:
	s_or_b32 exec_lo, exec_lo, s0
	s_waitcnt lgkmcnt(0)
	s_waitcnt_vscnt null, 0x0
	s_barrier
	buffer_gl0_inv
	scratch_load_b128 v[129:132], off, off offset:232
	v_mov_b32_e32 v2, 0
	ds_load_2addr_b32 v[3:4], v2 offset0:123 offset1:124
	ds_load_b32 v133, v2 offset:500
	s_mov_b32 s0, exec_lo
	s_waitcnt vmcnt(0) lgkmcnt(1)
	v_fma_f32 v3, v130, v3, 0
	s_delay_alu instid0(VALU_DEP_1) | instskip(SKIP_1) | instid1(VALU_DEP_1)
	v_fmac_f32_e32 v3, v131, v4
	s_waitcnt lgkmcnt(0)
	v_fmac_f32_e32 v3, v132, v133
	s_delay_alu instid0(VALU_DEP_1)
	v_sub_f32_e32 v3, v129, v3
	scratch_store_b32 off, v3, off offset:232
	v_cmpx_lt_u32_e32 57, v0
	s_cbranch_execz .LBB61_265
; %bb.264:
	scratch_load_b32 v3, off, off offset:228
	scratch_store_b32 off, v2, off offset:228
	s_waitcnt vmcnt(0)
	ds_store_b32 v1, v3
.LBB61_265:
	s_or_b32 exec_lo, exec_lo, s0
	s_waitcnt lgkmcnt(0)
	s_waitcnt_vscnt null, 0x0
	s_barrier
	buffer_gl0_inv
	s_clause 0x1
	scratch_load_b128 v[129:132], off, off offset:228
	scratch_load_b32 v3, off, off offset:244
	ds_load_2addr_b64 v[133:136], v2 offset0:61 offset1:62
	s_mov_b32 s0, exec_lo
	s_waitcnt vmcnt(1) lgkmcnt(0)
	v_fma_f32 v2, v130, v133, 0
	s_delay_alu instid0(VALU_DEP_1) | instskip(NEXT) | instid1(VALU_DEP_1)
	v_fmac_f32_e32 v2, v131, v134
	v_fmac_f32_e32 v2, v132, v135
	s_waitcnt vmcnt(0)
	s_delay_alu instid0(VALU_DEP_1) | instskip(NEXT) | instid1(VALU_DEP_1)
	v_fmac_f32_e32 v2, v3, v136
	v_sub_f32_e32 v2, v129, v2
	scratch_store_b32 off, v2, off offset:228
	v_cmpx_lt_u32_e32 56, v0
	s_cbranch_execz .LBB61_267
; %bb.266:
	scratch_load_b32 v2, off, off offset:224
	v_mov_b32_e32 v3, 0
	scratch_store_b32 off, v3, off offset:224
	s_waitcnt vmcnt(0)
	ds_store_b32 v1, v2
.LBB61_267:
	s_or_b32 exec_lo, exec_lo, s0
	s_waitcnt lgkmcnt(0)
	s_waitcnt_vscnt null, 0x0
	s_barrier
	buffer_gl0_inv
	s_clause 0x1
	scratch_load_b128 v[129:132], off, off offset:224
	scratch_load_b64 v[3:4], off, off offset:240
	v_mov_b32_e32 v2, 0
	ds_load_2addr_b32 v[133:134], v2 offset0:121 offset1:122
	ds_load_2addr_b32 v[135:136], v2 offset0:123 offset1:124
	ds_load_b32 v137, v2 offset:500
	s_mov_b32 s0, exec_lo
	s_waitcnt vmcnt(1) lgkmcnt(2)
	v_fma_f32 v130, v130, v133, 0
	s_delay_alu instid0(VALU_DEP_1) | instskip(SKIP_1) | instid1(VALU_DEP_1)
	v_fmac_f32_e32 v130, v131, v134
	s_waitcnt lgkmcnt(1)
	v_fmac_f32_e32 v130, v132, v135
	s_waitcnt vmcnt(0)
	s_delay_alu instid0(VALU_DEP_1) | instskip(SKIP_1) | instid1(VALU_DEP_1)
	v_fmac_f32_e32 v130, v3, v136
	s_waitcnt lgkmcnt(0)
	v_fmac_f32_e32 v130, v4, v137
	s_delay_alu instid0(VALU_DEP_1)
	v_sub_f32_e32 v3, v129, v130
	scratch_store_b32 off, v3, off offset:224
	v_cmpx_lt_u32_e32 55, v0
	s_cbranch_execz .LBB61_269
; %bb.268:
	scratch_load_b32 v3, off, off offset:220
	scratch_store_b32 off, v2, off offset:220
	s_waitcnt vmcnt(0)
	ds_store_b32 v1, v3
.LBB61_269:
	s_or_b32 exec_lo, exec_lo, s0
	s_waitcnt lgkmcnt(0)
	s_waitcnt_vscnt null, 0x0
	s_barrier
	buffer_gl0_inv
	s_clause 0x1
	scratch_load_b128 v[129:132], off, off offset:220
	scratch_load_b96 v[137:139], off, off offset:236
	ds_load_b128 v[133:136], v2 offset:480
	ds_load_b64 v[2:3], v2 offset:496
	s_mov_b32 s0, exec_lo
	s_waitcnt vmcnt(1) lgkmcnt(1)
	v_fma_f32 v4, v130, v133, 0
	s_delay_alu instid0(VALU_DEP_1) | instskip(NEXT) | instid1(VALU_DEP_1)
	v_fmac_f32_e32 v4, v131, v134
	v_fmac_f32_e32 v4, v132, v135
	s_waitcnt vmcnt(0)
	s_delay_alu instid0(VALU_DEP_1) | instskip(SKIP_1) | instid1(VALU_DEP_1)
	v_fmac_f32_e32 v4, v137, v136
	s_waitcnt lgkmcnt(0)
	v_fmac_f32_e32 v4, v138, v2
	s_delay_alu instid0(VALU_DEP_1) | instskip(NEXT) | instid1(VALU_DEP_1)
	v_fmac_f32_e32 v4, v139, v3
	v_sub_f32_e32 v2, v129, v4
	scratch_store_b32 off, v2, off offset:220
	v_cmpx_lt_u32_e32 54, v0
	s_cbranch_execz .LBB61_271
; %bb.270:
	scratch_load_b32 v2, off, off offset:216
	v_mov_b32_e32 v3, 0
	scratch_store_b32 off, v3, off offset:216
	s_waitcnt vmcnt(0)
	ds_store_b32 v1, v2
.LBB61_271:
	s_or_b32 exec_lo, exec_lo, s0
	s_waitcnt lgkmcnt(0)
	s_waitcnt_vscnt null, 0x0
	s_barrier
	buffer_gl0_inv
	s_clause 0x1
	scratch_load_b128 v[129:132], off, off offset:216
	scratch_load_b128 v[133:136], off, off offset:232
	v_mov_b32_e32 v2, 0
	ds_load_2addr_b32 v[3:4], v2 offset0:119 offset1:120
	ds_load_2addr_b32 v[137:138], v2 offset0:121 offset1:122
	;; [unrolled: 1-line block ×3, first 2 shown]
	ds_load_b32 v141, v2 offset:500
	s_mov_b32 s0, exec_lo
	s_waitcnt vmcnt(1) lgkmcnt(3)
	v_fma_f32 v3, v130, v3, 0
	s_delay_alu instid0(VALU_DEP_1) | instskip(SKIP_1) | instid1(VALU_DEP_1)
	v_fmac_f32_e32 v3, v131, v4
	s_waitcnt lgkmcnt(2)
	v_fmac_f32_e32 v3, v132, v137
	s_waitcnt vmcnt(0)
	s_delay_alu instid0(VALU_DEP_1) | instskip(SKIP_1) | instid1(VALU_DEP_1)
	v_fmac_f32_e32 v3, v133, v138
	s_waitcnt lgkmcnt(1)
	v_fmac_f32_e32 v3, v134, v139
	s_delay_alu instid0(VALU_DEP_1) | instskip(SKIP_1) | instid1(VALU_DEP_1)
	v_fmac_f32_e32 v3, v135, v140
	s_waitcnt lgkmcnt(0)
	v_fmac_f32_e32 v3, v136, v141
	s_delay_alu instid0(VALU_DEP_1)
	v_sub_f32_e32 v3, v129, v3
	scratch_store_b32 off, v3, off offset:216
	v_cmpx_lt_u32_e32 53, v0
	s_cbranch_execz .LBB61_273
; %bb.272:
	scratch_load_b32 v3, off, off offset:212
	scratch_store_b32 off, v2, off offset:212
	s_waitcnt vmcnt(0)
	ds_store_b32 v1, v3
.LBB61_273:
	s_or_b32 exec_lo, exec_lo, s0
	s_waitcnt lgkmcnt(0)
	s_waitcnt_vscnt null, 0x0
	s_barrier
	buffer_gl0_inv
	s_clause 0x2
	scratch_load_b128 v[129:132], off, off offset:212
	scratch_load_b128 v[133:136], off, off offset:228
	scratch_load_b32 v3, off, off offset:244
	ds_load_2addr_b64 v[137:140], v2 offset0:59 offset1:60
	ds_load_2addr_b64 v[141:144], v2 offset0:61 offset1:62
	s_mov_b32 s0, exec_lo
	s_waitcnt vmcnt(2) lgkmcnt(1)
	v_fma_f32 v2, v130, v137, 0
	s_delay_alu instid0(VALU_DEP_1) | instskip(NEXT) | instid1(VALU_DEP_1)
	v_fmac_f32_e32 v2, v131, v138
	v_fmac_f32_e32 v2, v132, v139
	s_waitcnt vmcnt(1)
	s_delay_alu instid0(VALU_DEP_1) | instskip(SKIP_1) | instid1(VALU_DEP_1)
	v_fmac_f32_e32 v2, v133, v140
	s_waitcnt lgkmcnt(0)
	v_fmac_f32_e32 v2, v134, v141
	s_delay_alu instid0(VALU_DEP_1) | instskip(NEXT) | instid1(VALU_DEP_1)
	v_fmac_f32_e32 v2, v135, v142
	v_fmac_f32_e32 v2, v136, v143
	s_waitcnt vmcnt(0)
	s_delay_alu instid0(VALU_DEP_1) | instskip(NEXT) | instid1(VALU_DEP_1)
	v_fmac_f32_e32 v2, v3, v144
	v_sub_f32_e32 v2, v129, v2
	scratch_store_b32 off, v2, off offset:212
	v_cmpx_lt_u32_e32 52, v0
	s_cbranch_execz .LBB61_275
; %bb.274:
	scratch_load_b32 v2, off, off offset:208
	v_mov_b32_e32 v3, 0
	scratch_store_b32 off, v3, off offset:208
	s_waitcnt vmcnt(0)
	ds_store_b32 v1, v2
.LBB61_275:
	s_or_b32 exec_lo, exec_lo, s0
	s_waitcnt lgkmcnt(0)
	s_waitcnt_vscnt null, 0x0
	s_barrier
	buffer_gl0_inv
	s_clause 0x2
	scratch_load_b128 v[129:132], off, off offset:208
	scratch_load_b128 v[133:136], off, off offset:224
	scratch_load_b64 v[3:4], off, off offset:240
	v_mov_b32_e32 v2, 0
	ds_load_2addr_b32 v[137:138], v2 offset0:117 offset1:118
	ds_load_2addr_b32 v[139:140], v2 offset0:119 offset1:120
	;; [unrolled: 1-line block ×4, first 2 shown]
	s_mov_b32 s0, exec_lo
	s_waitcnt vmcnt(2) lgkmcnt(3)
	v_fma_f32 v130, v130, v137, 0
	s_delay_alu instid0(VALU_DEP_1) | instskip(SKIP_4) | instid1(VALU_DEP_1)
	v_fmac_f32_e32 v130, v131, v138
	ds_load_b32 v131, v2 offset:500
	s_waitcnt lgkmcnt(3)
	v_fmac_f32_e32 v130, v132, v139
	s_waitcnt vmcnt(1)
	v_fmac_f32_e32 v130, v133, v140
	s_waitcnt lgkmcnt(2)
	s_delay_alu instid0(VALU_DEP_1) | instskip(NEXT) | instid1(VALU_DEP_1)
	v_fmac_f32_e32 v130, v134, v141
	v_fmac_f32_e32 v130, v135, v142
	s_waitcnt lgkmcnt(1)
	s_delay_alu instid0(VALU_DEP_1) | instskip(SKIP_1) | instid1(VALU_DEP_1)
	v_fmac_f32_e32 v130, v136, v143
	s_waitcnt vmcnt(0)
	v_fmac_f32_e32 v130, v3, v144
	s_waitcnt lgkmcnt(0)
	s_delay_alu instid0(VALU_DEP_1) | instskip(NEXT) | instid1(VALU_DEP_1)
	v_fmac_f32_e32 v130, v4, v131
	v_sub_f32_e32 v3, v129, v130
	scratch_store_b32 off, v3, off offset:208
	v_cmpx_lt_u32_e32 51, v0
	s_cbranch_execz .LBB61_277
; %bb.276:
	scratch_load_b32 v3, off, off offset:204
	scratch_store_b32 off, v2, off offset:204
	s_waitcnt vmcnt(0)
	ds_store_b32 v1, v3
.LBB61_277:
	s_or_b32 exec_lo, exec_lo, s0
	s_waitcnt lgkmcnt(0)
	s_waitcnt_vscnt null, 0x0
	s_barrier
	buffer_gl0_inv
	s_clause 0x2
	scratch_load_b128 v[129:132], off, off offset:204
	scratch_load_b128 v[133:136], off, off offset:220
	scratch_load_b96 v[145:147], off, off offset:236
	ds_load_b128 v[137:140], v2 offset:464
	ds_load_b128 v[141:144], v2 offset:480
	ds_load_b64 v[2:3], v2 offset:496
	s_mov_b32 s0, exec_lo
	s_waitcnt vmcnt(2) lgkmcnt(2)
	v_fma_f32 v4, v130, v137, 0
	s_delay_alu instid0(VALU_DEP_1) | instskip(NEXT) | instid1(VALU_DEP_1)
	v_fmac_f32_e32 v4, v131, v138
	v_fmac_f32_e32 v4, v132, v139
	s_waitcnt vmcnt(1)
	s_delay_alu instid0(VALU_DEP_1) | instskip(SKIP_1) | instid1(VALU_DEP_1)
	v_fmac_f32_e32 v4, v133, v140
	s_waitcnt lgkmcnt(1)
	v_fmac_f32_e32 v4, v134, v141
	s_delay_alu instid0(VALU_DEP_1) | instskip(NEXT) | instid1(VALU_DEP_1)
	v_fmac_f32_e32 v4, v135, v142
	v_fmac_f32_e32 v4, v136, v143
	s_waitcnt vmcnt(0)
	s_delay_alu instid0(VALU_DEP_1) | instskip(SKIP_1) | instid1(VALU_DEP_1)
	v_fmac_f32_e32 v4, v145, v144
	s_waitcnt lgkmcnt(0)
	v_fmac_f32_e32 v4, v146, v2
	s_delay_alu instid0(VALU_DEP_1) | instskip(NEXT) | instid1(VALU_DEP_1)
	v_fmac_f32_e32 v4, v147, v3
	v_sub_f32_e32 v2, v129, v4
	scratch_store_b32 off, v2, off offset:204
	v_cmpx_lt_u32_e32 50, v0
	s_cbranch_execz .LBB61_279
; %bb.278:
	scratch_load_b32 v2, off, off offset:200
	v_mov_b32_e32 v3, 0
	scratch_store_b32 off, v3, off offset:200
	s_waitcnt vmcnt(0)
	ds_store_b32 v1, v2
.LBB61_279:
	s_or_b32 exec_lo, exec_lo, s0
	s_waitcnt lgkmcnt(0)
	s_waitcnt_vscnt null, 0x0
	s_barrier
	buffer_gl0_inv
	s_clause 0x2
	scratch_load_b128 v[129:132], off, off offset:200
	scratch_load_b128 v[133:136], off, off offset:216
	;; [unrolled: 1-line block ×3, first 2 shown]
	v_mov_b32_e32 v2, 0
	ds_load_2addr_b32 v[3:4], v2 offset0:115 offset1:116
	ds_load_2addr_b32 v[141:142], v2 offset0:117 offset1:118
	;; [unrolled: 1-line block ×4, first 2 shown]
	s_mov_b32 s0, exec_lo
	s_waitcnt vmcnt(2) lgkmcnt(3)
	v_fma_f32 v130, v130, v3, 0
	s_delay_alu instid0(VALU_DEP_1)
	v_fmac_f32_e32 v130, v131, v4
	ds_load_2addr_b32 v[3:4], v2 offset0:123 offset1:124
	ds_load_b32 v131, v2 offset:500
	s_waitcnt lgkmcnt(4)
	v_fmac_f32_e32 v130, v132, v141
	s_waitcnt vmcnt(1)
	s_delay_alu instid0(VALU_DEP_1) | instskip(SKIP_1) | instid1(VALU_DEP_1)
	v_fmac_f32_e32 v130, v133, v142
	s_waitcnt lgkmcnt(3)
	v_fmac_f32_e32 v130, v134, v143
	s_delay_alu instid0(VALU_DEP_1) | instskip(SKIP_1) | instid1(VALU_DEP_1)
	v_fmac_f32_e32 v130, v135, v144
	s_waitcnt lgkmcnt(2)
	v_fmac_f32_e32 v130, v136, v145
	s_waitcnt vmcnt(0)
	s_delay_alu instid0(VALU_DEP_1) | instskip(SKIP_1) | instid1(VALU_DEP_1)
	v_fmac_f32_e32 v130, v137, v146
	s_waitcnt lgkmcnt(1)
	v_fmac_f32_e32 v130, v138, v3
	s_delay_alu instid0(VALU_DEP_1) | instskip(SKIP_1) | instid1(VALU_DEP_1)
	v_fmac_f32_e32 v130, v139, v4
	s_waitcnt lgkmcnt(0)
	v_fmac_f32_e32 v130, v140, v131
	s_delay_alu instid0(VALU_DEP_1)
	v_sub_f32_e32 v3, v129, v130
	scratch_store_b32 off, v3, off offset:200
	v_cmpx_lt_u32_e32 49, v0
	s_cbranch_execz .LBB61_281
; %bb.280:
	scratch_load_b32 v3, off, off offset:196
	scratch_store_b32 off, v2, off offset:196
	s_waitcnt vmcnt(0)
	ds_store_b32 v1, v3
.LBB61_281:
	s_or_b32 exec_lo, exec_lo, s0
	s_waitcnt lgkmcnt(0)
	s_waitcnt_vscnt null, 0x0
	s_barrier
	buffer_gl0_inv
	s_clause 0x3
	scratch_load_b128 v[129:132], off, off offset:196
	scratch_load_b128 v[133:136], off, off offset:212
	;; [unrolled: 1-line block ×3, first 2 shown]
	scratch_load_b32 v3, off, off offset:244
	ds_load_2addr_b64 v[141:144], v2 offset0:57 offset1:58
	ds_load_2addr_b64 v[145:148], v2 offset0:59 offset1:60
	s_mov_b32 s0, exec_lo
	s_waitcnt vmcnt(3) lgkmcnt(1)
	v_fma_f32 v4, v130, v141, 0
	s_delay_alu instid0(VALU_DEP_1) | instskip(NEXT) | instid1(VALU_DEP_1)
	v_fmac_f32_e32 v4, v131, v142
	v_fmac_f32_e32 v4, v132, v143
	s_waitcnt vmcnt(2)
	s_delay_alu instid0(VALU_DEP_1) | instskip(SKIP_3) | instid1(VALU_DEP_1)
	v_fmac_f32_e32 v4, v133, v144
	ds_load_2addr_b64 v[130:133], v2 offset0:61 offset1:62
	s_waitcnt lgkmcnt(1)
	v_fmac_f32_e32 v4, v134, v145
	v_fmac_f32_e32 v4, v135, v146
	s_delay_alu instid0(VALU_DEP_1) | instskip(SKIP_1) | instid1(VALU_DEP_1)
	v_fmac_f32_e32 v4, v136, v147
	s_waitcnt vmcnt(1)
	v_fmac_f32_e32 v4, v137, v148
	s_waitcnt lgkmcnt(0)
	s_delay_alu instid0(VALU_DEP_1) | instskip(NEXT) | instid1(VALU_DEP_1)
	v_fmac_f32_e32 v4, v138, v130
	v_fmac_f32_e32 v4, v139, v131
	s_delay_alu instid0(VALU_DEP_1) | instskip(SKIP_1) | instid1(VALU_DEP_1)
	v_fmac_f32_e32 v4, v140, v132
	s_waitcnt vmcnt(0)
	v_fmac_f32_e32 v4, v3, v133
	s_delay_alu instid0(VALU_DEP_1)
	v_sub_f32_e32 v2, v129, v4
	scratch_store_b32 off, v2, off offset:196
	v_cmpx_lt_u32_e32 48, v0
	s_cbranch_execz .LBB61_283
; %bb.282:
	scratch_load_b32 v2, off, off offset:192
	v_mov_b32_e32 v3, 0
	scratch_store_b32 off, v3, off offset:192
	s_waitcnt vmcnt(0)
	ds_store_b32 v1, v2
.LBB61_283:
	s_or_b32 exec_lo, exec_lo, s0
	s_waitcnt lgkmcnt(0)
	s_waitcnt_vscnt null, 0x0
	s_barrier
	buffer_gl0_inv
	s_clause 0x3
	scratch_load_b128 v[129:132], off, off offset:192
	scratch_load_b128 v[133:136], off, off offset:208
	;; [unrolled: 1-line block ×3, first 2 shown]
	scratch_load_b64 v[3:4], off, off offset:240
	v_mov_b32_e32 v2, 0
	ds_load_2addr_b32 v[141:142], v2 offset0:113 offset1:114
	ds_load_2addr_b32 v[143:144], v2 offset0:115 offset1:116
	;; [unrolled: 1-line block ×4, first 2 shown]
	s_mov_b32 s0, exec_lo
	s_waitcnt vmcnt(3) lgkmcnt(3)
	v_fma_f32 v141, v130, v141, 0
	s_delay_alu instid0(VALU_DEP_1) | instskip(SKIP_4) | instid1(VALU_DEP_1)
	v_fmac_f32_e32 v141, v131, v142
	ds_load_2addr_b32 v[130:131], v2 offset0:121 offset1:122
	s_waitcnt lgkmcnt(3)
	v_fmac_f32_e32 v141, v132, v143
	s_waitcnt vmcnt(2)
	v_fmac_f32_e32 v141, v133, v144
	ds_load_2addr_b32 v[132:133], v2 offset0:123 offset1:124
	s_waitcnt lgkmcnt(3)
	v_fmac_f32_e32 v141, v134, v145
	ds_load_b32 v134, v2 offset:500
	v_fmac_f32_e32 v141, v135, v146
	s_waitcnt lgkmcnt(3)
	s_delay_alu instid0(VALU_DEP_1) | instskip(SKIP_1) | instid1(VALU_DEP_1)
	v_fmac_f32_e32 v141, v136, v147
	s_waitcnt vmcnt(1)
	v_fmac_f32_e32 v141, v137, v148
	s_waitcnt lgkmcnt(2)
	s_delay_alu instid0(VALU_DEP_1) | instskip(NEXT) | instid1(VALU_DEP_1)
	v_fmac_f32_e32 v141, v138, v130
	v_fmac_f32_e32 v141, v139, v131
	s_waitcnt lgkmcnt(1)
	s_delay_alu instid0(VALU_DEP_1) | instskip(SKIP_1) | instid1(VALU_DEP_1)
	v_fmac_f32_e32 v141, v140, v132
	s_waitcnt vmcnt(0)
	v_fmac_f32_e32 v141, v3, v133
	s_waitcnt lgkmcnt(0)
	s_delay_alu instid0(VALU_DEP_1) | instskip(NEXT) | instid1(VALU_DEP_1)
	v_fmac_f32_e32 v141, v4, v134
	v_sub_f32_e32 v3, v129, v141
	scratch_store_b32 off, v3, off offset:192
	v_cmpx_lt_u32_e32 47, v0
	s_cbranch_execz .LBB61_285
; %bb.284:
	scratch_load_b32 v3, off, off offset:188
	scratch_store_b32 off, v2, off offset:188
	s_waitcnt vmcnt(0)
	ds_store_b32 v1, v3
.LBB61_285:
	s_or_b32 exec_lo, exec_lo, s0
	s_waitcnt lgkmcnt(0)
	s_waitcnt_vscnt null, 0x0
	s_barrier
	buffer_gl0_inv
	s_clause 0x3
	scratch_load_b128 v[129:132], off, off offset:188
	scratch_load_b128 v[133:136], off, off offset:204
	;; [unrolled: 1-line block ×3, first 2 shown]
	scratch_load_b96 v[149:151], off, off offset:236
	ds_load_b128 v[141:144], v2 offset:448
	ds_load_b128 v[145:148], v2 offset:464
	s_mov_b32 s0, exec_lo
	s_waitcnt vmcnt(3) lgkmcnt(1)
	v_fma_f32 v4, v130, v141, 0
	s_delay_alu instid0(VALU_DEP_1) | instskip(NEXT) | instid1(VALU_DEP_1)
	v_fmac_f32_e32 v4, v131, v142
	v_fmac_f32_e32 v4, v132, v143
	s_waitcnt vmcnt(2)
	s_delay_alu instid0(VALU_DEP_1) | instskip(SKIP_4) | instid1(VALU_DEP_1)
	v_fmac_f32_e32 v4, v133, v144
	ds_load_b128 v[130:133], v2 offset:480
	ds_load_b64 v[2:3], v2 offset:496
	s_waitcnt lgkmcnt(2)
	v_fmac_f32_e32 v4, v134, v145
	v_fmac_f32_e32 v4, v135, v146
	s_delay_alu instid0(VALU_DEP_1) | instskip(SKIP_1) | instid1(VALU_DEP_1)
	v_fmac_f32_e32 v4, v136, v147
	s_waitcnt vmcnt(1)
	v_fmac_f32_e32 v4, v137, v148
	s_waitcnt lgkmcnt(1)
	s_delay_alu instid0(VALU_DEP_1) | instskip(NEXT) | instid1(VALU_DEP_1)
	v_fmac_f32_e32 v4, v138, v130
	v_fmac_f32_e32 v4, v139, v131
	s_delay_alu instid0(VALU_DEP_1) | instskip(SKIP_1) | instid1(VALU_DEP_1)
	v_fmac_f32_e32 v4, v140, v132
	s_waitcnt vmcnt(0)
	v_fmac_f32_e32 v4, v149, v133
	s_waitcnt lgkmcnt(0)
	s_delay_alu instid0(VALU_DEP_1) | instskip(NEXT) | instid1(VALU_DEP_1)
	v_fmac_f32_e32 v4, v150, v2
	v_fmac_f32_e32 v4, v151, v3
	s_delay_alu instid0(VALU_DEP_1)
	v_sub_f32_e32 v2, v129, v4
	scratch_store_b32 off, v2, off offset:188
	v_cmpx_lt_u32_e32 46, v0
	s_cbranch_execz .LBB61_287
; %bb.286:
	scratch_load_b32 v2, off, off offset:184
	v_mov_b32_e32 v3, 0
	scratch_store_b32 off, v3, off offset:184
	s_waitcnt vmcnt(0)
	ds_store_b32 v1, v2
.LBB61_287:
	s_or_b32 exec_lo, exec_lo, s0
	s_waitcnt lgkmcnt(0)
	s_waitcnt_vscnt null, 0x0
	s_barrier
	buffer_gl0_inv
	s_clause 0x3
	scratch_load_b128 v[129:132], off, off offset:184
	scratch_load_b128 v[133:136], off, off offset:200
	scratch_load_b128 v[137:140], off, off offset:216
	scratch_load_b128 v[141:144], off, off offset:232
	v_mov_b32_e32 v2, 0
	ds_load_2addr_b32 v[3:4], v2 offset0:111 offset1:112
	ds_load_2addr_b32 v[145:146], v2 offset0:113 offset1:114
	;; [unrolled: 1-line block ×4, first 2 shown]
	s_mov_b32 s0, exec_lo
	s_waitcnt vmcnt(3) lgkmcnt(3)
	v_fma_f32 v151, v130, v3, 0
	s_delay_alu instid0(VALU_DEP_1)
	v_fmac_f32_e32 v151, v131, v4
	ds_load_2addr_b32 v[3:4], v2 offset0:119 offset1:120
	ds_load_2addr_b32 v[130:131], v2 offset0:121 offset1:122
	s_waitcnt lgkmcnt(4)
	v_fmac_f32_e32 v151, v132, v145
	s_waitcnt vmcnt(2)
	s_delay_alu instid0(VALU_DEP_1) | instskip(SKIP_1) | instid1(VALU_DEP_1)
	v_fmac_f32_e32 v151, v133, v146
	s_waitcnt lgkmcnt(3)
	v_fmac_f32_e32 v151, v134, v147
	ds_load_2addr_b32 v[132:133], v2 offset0:123 offset1:124
	ds_load_b32 v134, v2 offset:500
	v_fmac_f32_e32 v151, v135, v148
	s_waitcnt lgkmcnt(4)
	s_delay_alu instid0(VALU_DEP_1) | instskip(SKIP_1) | instid1(VALU_DEP_1)
	v_fmac_f32_e32 v151, v136, v149
	s_waitcnt vmcnt(1)
	v_fmac_f32_e32 v151, v137, v150
	s_waitcnt lgkmcnt(3)
	s_delay_alu instid0(VALU_DEP_1) | instskip(NEXT) | instid1(VALU_DEP_1)
	v_fmac_f32_e32 v151, v138, v3
	v_fmac_f32_e32 v151, v139, v4
	s_waitcnt lgkmcnt(2)
	s_delay_alu instid0(VALU_DEP_1) | instskip(SKIP_1) | instid1(VALU_DEP_1)
	v_fmac_f32_e32 v151, v140, v130
	s_waitcnt vmcnt(0)
	v_fmac_f32_e32 v151, v141, v131
	s_waitcnt lgkmcnt(1)
	s_delay_alu instid0(VALU_DEP_1) | instskip(NEXT) | instid1(VALU_DEP_1)
	v_fmac_f32_e32 v151, v142, v132
	v_fmac_f32_e32 v151, v143, v133
	s_waitcnt lgkmcnt(0)
	s_delay_alu instid0(VALU_DEP_1) | instskip(NEXT) | instid1(VALU_DEP_1)
	v_fmac_f32_e32 v151, v144, v134
	v_sub_f32_e32 v3, v129, v151
	scratch_store_b32 off, v3, off offset:184
	v_cmpx_lt_u32_e32 45, v0
	s_cbranch_execz .LBB61_289
; %bb.288:
	scratch_load_b32 v3, off, off offset:180
	scratch_store_b32 off, v2, off offset:180
	s_waitcnt vmcnt(0)
	ds_store_b32 v1, v3
.LBB61_289:
	s_or_b32 exec_lo, exec_lo, s0
	s_waitcnt lgkmcnt(0)
	s_waitcnt_vscnt null, 0x0
	s_barrier
	buffer_gl0_inv
	s_clause 0x4
	scratch_load_b128 v[129:132], off, off offset:180
	scratch_load_b128 v[133:136], off, off offset:196
	scratch_load_b128 v[137:140], off, off offset:212
	scratch_load_b128 v[141:144], off, off offset:228
	scratch_load_b32 v3, off, off offset:244
	ds_load_2addr_b64 v[145:148], v2 offset0:55 offset1:56
	ds_load_2addr_b64 v[149:152], v2 offset0:57 offset1:58
	s_mov_b32 s0, exec_lo
	s_waitcnt vmcnt(4) lgkmcnt(1)
	v_fma_f32 v4, v130, v145, 0
	s_delay_alu instid0(VALU_DEP_1) | instskip(NEXT) | instid1(VALU_DEP_1)
	v_fmac_f32_e32 v4, v131, v146
	v_fmac_f32_e32 v4, v132, v147
	s_waitcnt vmcnt(3)
	s_delay_alu instid0(VALU_DEP_1) | instskip(SKIP_3) | instid1(VALU_DEP_1)
	v_fmac_f32_e32 v4, v133, v148
	ds_load_2addr_b64 v[130:133], v2 offset0:59 offset1:60
	s_waitcnt lgkmcnt(1)
	v_fmac_f32_e32 v4, v134, v149
	v_fmac_f32_e32 v4, v135, v150
	s_delay_alu instid0(VALU_DEP_1) | instskip(SKIP_1) | instid1(VALU_DEP_1)
	v_fmac_f32_e32 v4, v136, v151
	s_waitcnt vmcnt(2)
	v_fmac_f32_e32 v4, v137, v152
	ds_load_2addr_b64 v[134:137], v2 offset0:61 offset1:62
	s_waitcnt lgkmcnt(1)
	v_fmac_f32_e32 v4, v138, v130
	s_delay_alu instid0(VALU_DEP_1) | instskip(NEXT) | instid1(VALU_DEP_1)
	v_fmac_f32_e32 v4, v139, v131
	v_fmac_f32_e32 v4, v140, v132
	s_waitcnt vmcnt(1)
	s_delay_alu instid0(VALU_DEP_1) | instskip(SKIP_1) | instid1(VALU_DEP_1)
	v_fmac_f32_e32 v4, v141, v133
	s_waitcnt lgkmcnt(0)
	v_fmac_f32_e32 v4, v142, v134
	s_delay_alu instid0(VALU_DEP_1) | instskip(NEXT) | instid1(VALU_DEP_1)
	v_fmac_f32_e32 v4, v143, v135
	v_fmac_f32_e32 v4, v144, v136
	s_waitcnt vmcnt(0)
	s_delay_alu instid0(VALU_DEP_1) | instskip(NEXT) | instid1(VALU_DEP_1)
	v_fmac_f32_e32 v4, v3, v137
	v_sub_f32_e32 v2, v129, v4
	scratch_store_b32 off, v2, off offset:180
	v_cmpx_lt_u32_e32 44, v0
	s_cbranch_execz .LBB61_291
; %bb.290:
	scratch_load_b32 v2, off, off offset:176
	v_mov_b32_e32 v3, 0
	scratch_store_b32 off, v3, off offset:176
	s_waitcnt vmcnt(0)
	ds_store_b32 v1, v2
.LBB61_291:
	s_or_b32 exec_lo, exec_lo, s0
	s_waitcnt lgkmcnt(0)
	s_waitcnt_vscnt null, 0x0
	s_barrier
	buffer_gl0_inv
	s_clause 0x4
	scratch_load_b128 v[129:132], off, off offset:176
	scratch_load_b128 v[133:136], off, off offset:192
	scratch_load_b128 v[137:140], off, off offset:208
	scratch_load_b128 v[141:144], off, off offset:224
	scratch_load_b64 v[3:4], off, off offset:240
	v_mov_b32_e32 v2, 0
	ds_load_2addr_b32 v[145:146], v2 offset0:109 offset1:110
	ds_load_2addr_b32 v[147:148], v2 offset0:111 offset1:112
	;; [unrolled: 1-line block ×4, first 2 shown]
	s_mov_b32 s0, exec_lo
	s_waitcnt vmcnt(4) lgkmcnt(3)
	v_fma_f32 v145, v130, v145, 0
	s_delay_alu instid0(VALU_DEP_1) | instskip(SKIP_4) | instid1(VALU_DEP_1)
	v_fmac_f32_e32 v145, v131, v146
	ds_load_2addr_b32 v[130:131], v2 offset0:117 offset1:118
	s_waitcnt lgkmcnt(3)
	v_fmac_f32_e32 v145, v132, v147
	s_waitcnt vmcnt(3)
	v_fmac_f32_e32 v145, v133, v148
	ds_load_2addr_b32 v[132:133], v2 offset0:119 offset1:120
	s_waitcnt lgkmcnt(3)
	v_fmac_f32_e32 v145, v134, v149
	s_delay_alu instid0(VALU_DEP_1) | instskip(SKIP_1) | instid1(VALU_DEP_1)
	v_fmac_f32_e32 v145, v135, v150
	s_waitcnt lgkmcnt(2)
	v_fmac_f32_e32 v145, v136, v151
	s_waitcnt vmcnt(2)
	s_delay_alu instid0(VALU_DEP_1)
	v_fmac_f32_e32 v145, v137, v152
	ds_load_2addr_b32 v[134:135], v2 offset0:121 offset1:122
	ds_load_2addr_b32 v[136:137], v2 offset0:123 offset1:124
	s_waitcnt lgkmcnt(3)
	v_fmac_f32_e32 v145, v138, v130
	ds_load_b32 v130, v2 offset:500
	v_fmac_f32_e32 v145, v139, v131
	s_waitcnt lgkmcnt(3)
	s_delay_alu instid0(VALU_DEP_1) | instskip(SKIP_1) | instid1(VALU_DEP_1)
	v_fmac_f32_e32 v145, v140, v132
	s_waitcnt vmcnt(1)
	v_fmac_f32_e32 v145, v141, v133
	s_waitcnt lgkmcnt(2)
	s_delay_alu instid0(VALU_DEP_1) | instskip(NEXT) | instid1(VALU_DEP_1)
	v_fmac_f32_e32 v145, v142, v134
	v_fmac_f32_e32 v145, v143, v135
	s_waitcnt lgkmcnt(1)
	s_delay_alu instid0(VALU_DEP_1) | instskip(SKIP_1) | instid1(VALU_DEP_1)
	v_fmac_f32_e32 v145, v144, v136
	s_waitcnt vmcnt(0)
	v_fmac_f32_e32 v145, v3, v137
	s_waitcnt lgkmcnt(0)
	s_delay_alu instid0(VALU_DEP_1) | instskip(NEXT) | instid1(VALU_DEP_1)
	v_fmac_f32_e32 v145, v4, v130
	v_sub_f32_e32 v3, v129, v145
	scratch_store_b32 off, v3, off offset:176
	v_cmpx_lt_u32_e32 43, v0
	s_cbranch_execz .LBB61_293
; %bb.292:
	scratch_load_b32 v3, off, off offset:172
	scratch_store_b32 off, v2, off offset:172
	s_waitcnt vmcnt(0)
	ds_store_b32 v1, v3
.LBB61_293:
	s_or_b32 exec_lo, exec_lo, s0
	s_waitcnt lgkmcnt(0)
	s_waitcnt_vscnt null, 0x0
	s_barrier
	buffer_gl0_inv
	s_clause 0x4
	scratch_load_b128 v[129:132], off, off offset:172
	scratch_load_b128 v[133:136], off, off offset:188
	;; [unrolled: 1-line block ×4, first 2 shown]
	scratch_load_b96 v[153:155], off, off offset:236
	ds_load_b128 v[145:148], v2 offset:432
	ds_load_b128 v[149:152], v2 offset:448
	s_mov_b32 s0, exec_lo
	s_waitcnt vmcnt(4) lgkmcnt(1)
	v_fma_f32 v4, v130, v145, 0
	s_delay_alu instid0(VALU_DEP_1) | instskip(NEXT) | instid1(VALU_DEP_1)
	v_fmac_f32_e32 v4, v131, v146
	v_fmac_f32_e32 v4, v132, v147
	s_waitcnt vmcnt(3)
	s_delay_alu instid0(VALU_DEP_1) | instskip(SKIP_3) | instid1(VALU_DEP_1)
	v_fmac_f32_e32 v4, v133, v148
	ds_load_b128 v[130:133], v2 offset:464
	s_waitcnt lgkmcnt(1)
	v_fmac_f32_e32 v4, v134, v149
	v_fmac_f32_e32 v4, v135, v150
	s_delay_alu instid0(VALU_DEP_1) | instskip(SKIP_1) | instid1(VALU_DEP_1)
	v_fmac_f32_e32 v4, v136, v151
	s_waitcnt vmcnt(2)
	v_fmac_f32_e32 v4, v137, v152
	ds_load_b128 v[134:137], v2 offset:480
	ds_load_b64 v[2:3], v2 offset:496
	s_waitcnt lgkmcnt(2)
	v_fmac_f32_e32 v4, v138, v130
	s_delay_alu instid0(VALU_DEP_1) | instskip(NEXT) | instid1(VALU_DEP_1)
	v_fmac_f32_e32 v4, v139, v131
	v_fmac_f32_e32 v4, v140, v132
	s_waitcnt vmcnt(1)
	s_delay_alu instid0(VALU_DEP_1) | instskip(SKIP_1) | instid1(VALU_DEP_1)
	v_fmac_f32_e32 v4, v141, v133
	s_waitcnt lgkmcnt(1)
	v_fmac_f32_e32 v4, v142, v134
	s_delay_alu instid0(VALU_DEP_1) | instskip(NEXT) | instid1(VALU_DEP_1)
	v_fmac_f32_e32 v4, v143, v135
	v_fmac_f32_e32 v4, v144, v136
	s_waitcnt vmcnt(0)
	s_delay_alu instid0(VALU_DEP_1) | instskip(SKIP_1) | instid1(VALU_DEP_1)
	v_fmac_f32_e32 v4, v153, v137
	s_waitcnt lgkmcnt(0)
	v_fmac_f32_e32 v4, v154, v2
	s_delay_alu instid0(VALU_DEP_1) | instskip(NEXT) | instid1(VALU_DEP_1)
	v_fmac_f32_e32 v4, v155, v3
	v_sub_f32_e32 v2, v129, v4
	scratch_store_b32 off, v2, off offset:172
	v_cmpx_lt_u32_e32 42, v0
	s_cbranch_execz .LBB61_295
; %bb.294:
	scratch_load_b32 v2, off, off offset:168
	v_mov_b32_e32 v3, 0
	scratch_store_b32 off, v3, off offset:168
	s_waitcnt vmcnt(0)
	ds_store_b32 v1, v2
.LBB61_295:
	s_or_b32 exec_lo, exec_lo, s0
	s_waitcnt lgkmcnt(0)
	s_waitcnt_vscnt null, 0x0
	s_barrier
	buffer_gl0_inv
	s_clause 0x4
	scratch_load_b128 v[129:132], off, off offset:168
	scratch_load_b128 v[133:136], off, off offset:184
	;; [unrolled: 1-line block ×5, first 2 shown]
	v_mov_b32_e32 v2, 0
	ds_load_2addr_b32 v[3:4], v2 offset0:107 offset1:108
	ds_load_2addr_b32 v[149:150], v2 offset0:109 offset1:110
	ds_load_2addr_b32 v[151:152], v2 offset0:111 offset1:112
	ds_load_2addr_b32 v[153:154], v2 offset0:113 offset1:114
	s_mov_b32 s0, exec_lo
	s_waitcnt vmcnt(4) lgkmcnt(3)
	v_fma_f32 v155, v130, v3, 0
	s_delay_alu instid0(VALU_DEP_1)
	v_fmac_f32_e32 v155, v131, v4
	ds_load_2addr_b32 v[3:4], v2 offset0:115 offset1:116
	ds_load_2addr_b32 v[130:131], v2 offset0:117 offset1:118
	s_waitcnt lgkmcnt(4)
	v_fmac_f32_e32 v155, v132, v149
	s_waitcnt vmcnt(3)
	s_delay_alu instid0(VALU_DEP_1) | instskip(SKIP_1) | instid1(VALU_DEP_1)
	v_fmac_f32_e32 v155, v133, v150
	s_waitcnt lgkmcnt(3)
	v_fmac_f32_e32 v155, v134, v151
	s_delay_alu instid0(VALU_DEP_1)
	v_fmac_f32_e32 v155, v135, v152
	ds_load_2addr_b32 v[132:133], v2 offset0:119 offset1:120
	ds_load_2addr_b32 v[134:135], v2 offset0:121 offset1:122
	s_waitcnt lgkmcnt(4)
	v_fmac_f32_e32 v155, v136, v153
	s_waitcnt vmcnt(2)
	s_delay_alu instid0(VALU_DEP_1) | instskip(SKIP_1) | instid1(VALU_DEP_1)
	v_fmac_f32_e32 v155, v137, v154
	s_waitcnt lgkmcnt(3)
	v_fmac_f32_e32 v155, v138, v3
	s_delay_alu instid0(VALU_DEP_1)
	v_fmac_f32_e32 v155, v139, v4
	ds_load_2addr_b32 v[3:4], v2 offset0:123 offset1:124
	s_waitcnt lgkmcnt(3)
	v_fmac_f32_e32 v155, v140, v130
	ds_load_b32 v130, v2 offset:500
	s_waitcnt vmcnt(1)
	v_fmac_f32_e32 v155, v141, v131
	s_waitcnt lgkmcnt(3)
	s_delay_alu instid0(VALU_DEP_1) | instskip(NEXT) | instid1(VALU_DEP_1)
	v_fmac_f32_e32 v155, v142, v132
	v_fmac_f32_e32 v155, v143, v133
	s_waitcnt lgkmcnt(2)
	s_delay_alu instid0(VALU_DEP_1) | instskip(SKIP_1) | instid1(VALU_DEP_1)
	v_fmac_f32_e32 v155, v144, v134
	s_waitcnt vmcnt(0)
	v_fmac_f32_e32 v155, v145, v135
	s_waitcnt lgkmcnt(1)
	s_delay_alu instid0(VALU_DEP_1) | instskip(NEXT) | instid1(VALU_DEP_1)
	v_fmac_f32_e32 v155, v146, v3
	v_fmac_f32_e32 v155, v147, v4
	s_waitcnt lgkmcnt(0)
	s_delay_alu instid0(VALU_DEP_1) | instskip(NEXT) | instid1(VALU_DEP_1)
	v_fmac_f32_e32 v155, v148, v130
	v_sub_f32_e32 v3, v129, v155
	scratch_store_b32 off, v3, off offset:168
	v_cmpx_lt_u32_e32 41, v0
	s_cbranch_execz .LBB61_297
; %bb.296:
	scratch_load_b32 v3, off, off offset:164
	scratch_store_b32 off, v2, off offset:164
	s_waitcnt vmcnt(0)
	ds_store_b32 v1, v3
.LBB61_297:
	s_or_b32 exec_lo, exec_lo, s0
	s_waitcnt lgkmcnt(0)
	s_waitcnt_vscnt null, 0x0
	s_barrier
	buffer_gl0_inv
	s_clause 0x5
	scratch_load_b128 v[129:132], off, off offset:164
	scratch_load_b128 v[133:136], off, off offset:180
	;; [unrolled: 1-line block ×5, first 2 shown]
	scratch_load_b32 v3, off, off offset:244
	ds_load_2addr_b64 v[149:152], v2 offset0:53 offset1:54
	ds_load_2addr_b64 v[153:156], v2 offset0:55 offset1:56
	s_mov_b32 s0, exec_lo
	s_waitcnt vmcnt(5) lgkmcnt(1)
	v_fma_f32 v4, v130, v149, 0
	s_delay_alu instid0(VALU_DEP_1) | instskip(NEXT) | instid1(VALU_DEP_1)
	v_fmac_f32_e32 v4, v131, v150
	v_fmac_f32_e32 v4, v132, v151
	s_waitcnt vmcnt(4)
	s_delay_alu instid0(VALU_DEP_1) | instskip(SKIP_3) | instid1(VALU_DEP_1)
	v_fmac_f32_e32 v4, v133, v152
	ds_load_2addr_b64 v[130:133], v2 offset0:57 offset1:58
	s_waitcnt lgkmcnt(1)
	v_fmac_f32_e32 v4, v134, v153
	v_fmac_f32_e32 v4, v135, v154
	s_delay_alu instid0(VALU_DEP_1) | instskip(SKIP_1) | instid1(VALU_DEP_1)
	v_fmac_f32_e32 v4, v136, v155
	s_waitcnt vmcnt(3)
	v_fmac_f32_e32 v4, v137, v156
	ds_load_2addr_b64 v[134:137], v2 offset0:59 offset1:60
	s_waitcnt lgkmcnt(1)
	v_fmac_f32_e32 v4, v138, v130
	s_delay_alu instid0(VALU_DEP_1) | instskip(NEXT) | instid1(VALU_DEP_1)
	v_fmac_f32_e32 v4, v139, v131
	v_fmac_f32_e32 v4, v140, v132
	s_waitcnt vmcnt(2)
	s_delay_alu instid0(VALU_DEP_1) | instskip(SKIP_3) | instid1(VALU_DEP_1)
	v_fmac_f32_e32 v4, v141, v133
	ds_load_2addr_b64 v[130:133], v2 offset0:61 offset1:62
	s_waitcnt lgkmcnt(1)
	v_fmac_f32_e32 v4, v142, v134
	v_fmac_f32_e32 v4, v143, v135
	s_delay_alu instid0(VALU_DEP_1) | instskip(SKIP_1) | instid1(VALU_DEP_1)
	v_fmac_f32_e32 v4, v144, v136
	s_waitcnt vmcnt(1)
	v_fmac_f32_e32 v4, v145, v137
	s_waitcnt lgkmcnt(0)
	s_delay_alu instid0(VALU_DEP_1) | instskip(NEXT) | instid1(VALU_DEP_1)
	v_fmac_f32_e32 v4, v146, v130
	v_fmac_f32_e32 v4, v147, v131
	s_delay_alu instid0(VALU_DEP_1) | instskip(SKIP_1) | instid1(VALU_DEP_1)
	v_fmac_f32_e32 v4, v148, v132
	s_waitcnt vmcnt(0)
	v_fmac_f32_e32 v4, v3, v133
	s_delay_alu instid0(VALU_DEP_1)
	v_sub_f32_e32 v2, v129, v4
	scratch_store_b32 off, v2, off offset:164
	v_cmpx_lt_u32_e32 40, v0
	s_cbranch_execz .LBB61_299
; %bb.298:
	scratch_load_b32 v2, off, off offset:160
	v_mov_b32_e32 v3, 0
	scratch_store_b32 off, v3, off offset:160
	s_waitcnt vmcnt(0)
	ds_store_b32 v1, v2
.LBB61_299:
	s_or_b32 exec_lo, exec_lo, s0
	s_waitcnt lgkmcnt(0)
	s_waitcnt_vscnt null, 0x0
	s_barrier
	buffer_gl0_inv
	s_clause 0x5
	scratch_load_b128 v[129:132], off, off offset:160
	scratch_load_b128 v[133:136], off, off offset:176
	scratch_load_b128 v[137:140], off, off offset:192
	scratch_load_b128 v[141:144], off, off offset:208
	scratch_load_b128 v[145:148], off, off offset:224
	scratch_load_b64 v[3:4], off, off offset:240
	v_mov_b32_e32 v2, 0
	ds_load_2addr_b32 v[149:150], v2 offset0:105 offset1:106
	ds_load_2addr_b32 v[151:152], v2 offset0:107 offset1:108
	;; [unrolled: 1-line block ×4, first 2 shown]
	s_mov_b32 s0, exec_lo
	s_waitcnt vmcnt(5) lgkmcnt(3)
	v_fma_f32 v149, v130, v149, 0
	s_delay_alu instid0(VALU_DEP_1) | instskip(SKIP_4) | instid1(VALU_DEP_1)
	v_fmac_f32_e32 v149, v131, v150
	ds_load_2addr_b32 v[130:131], v2 offset0:113 offset1:114
	s_waitcnt lgkmcnt(3)
	v_fmac_f32_e32 v149, v132, v151
	s_waitcnt vmcnt(4)
	v_fmac_f32_e32 v149, v133, v152
	ds_load_2addr_b32 v[132:133], v2 offset0:115 offset1:116
	s_waitcnt lgkmcnt(3)
	v_fmac_f32_e32 v149, v134, v153
	s_delay_alu instid0(VALU_DEP_1) | instskip(SKIP_1) | instid1(VALU_DEP_1)
	v_fmac_f32_e32 v149, v135, v154
	s_waitcnt lgkmcnt(2)
	v_fmac_f32_e32 v149, v136, v155
	s_waitcnt vmcnt(3)
	s_delay_alu instid0(VALU_DEP_1) | instskip(SKIP_4) | instid1(VALU_DEP_1)
	v_fmac_f32_e32 v149, v137, v156
	ds_load_2addr_b32 v[134:135], v2 offset0:117 offset1:118
	ds_load_2addr_b32 v[136:137], v2 offset0:119 offset1:120
	s_waitcnt lgkmcnt(3)
	v_fmac_f32_e32 v149, v138, v130
	v_fmac_f32_e32 v149, v139, v131
	ds_load_2addr_b32 v[130:131], v2 offset0:121 offset1:122
	s_waitcnt lgkmcnt(3)
	v_fmac_f32_e32 v149, v140, v132
	s_waitcnt vmcnt(2)
	s_delay_alu instid0(VALU_DEP_1)
	v_fmac_f32_e32 v149, v141, v133
	ds_load_2addr_b32 v[132:133], v2 offset0:123 offset1:124
	s_waitcnt lgkmcnt(3)
	v_fmac_f32_e32 v149, v142, v134
	ds_load_b32 v134, v2 offset:500
	v_fmac_f32_e32 v149, v143, v135
	s_waitcnt lgkmcnt(3)
	s_delay_alu instid0(VALU_DEP_1) | instskip(SKIP_1) | instid1(VALU_DEP_1)
	v_fmac_f32_e32 v149, v144, v136
	s_waitcnt vmcnt(1)
	v_fmac_f32_e32 v149, v145, v137
	s_waitcnt lgkmcnt(2)
	s_delay_alu instid0(VALU_DEP_1) | instskip(NEXT) | instid1(VALU_DEP_1)
	v_fmac_f32_e32 v149, v146, v130
	v_fmac_f32_e32 v149, v147, v131
	s_waitcnt lgkmcnt(1)
	s_delay_alu instid0(VALU_DEP_1) | instskip(SKIP_1) | instid1(VALU_DEP_1)
	v_fmac_f32_e32 v149, v148, v132
	s_waitcnt vmcnt(0)
	v_fmac_f32_e32 v149, v3, v133
	s_waitcnt lgkmcnt(0)
	s_delay_alu instid0(VALU_DEP_1) | instskip(NEXT) | instid1(VALU_DEP_1)
	v_fmac_f32_e32 v149, v4, v134
	v_sub_f32_e32 v3, v129, v149
	scratch_store_b32 off, v3, off offset:160
	v_cmpx_lt_u32_e32 39, v0
	s_cbranch_execz .LBB61_301
; %bb.300:
	scratch_load_b32 v3, off, off offset:156
	scratch_store_b32 off, v2, off offset:156
	s_waitcnt vmcnt(0)
	ds_store_b32 v1, v3
.LBB61_301:
	s_or_b32 exec_lo, exec_lo, s0
	s_waitcnt lgkmcnt(0)
	s_waitcnt_vscnt null, 0x0
	s_barrier
	buffer_gl0_inv
	s_clause 0x5
	scratch_load_b128 v[129:132], off, off offset:156
	scratch_load_b128 v[133:136], off, off offset:172
	;; [unrolled: 1-line block ×5, first 2 shown]
	scratch_load_b96 v[157:159], off, off offset:236
	ds_load_b128 v[149:152], v2 offset:416
	ds_load_b128 v[153:156], v2 offset:432
	s_mov_b32 s0, exec_lo
	s_waitcnt vmcnt(5) lgkmcnt(1)
	v_fma_f32 v4, v130, v149, 0
	s_delay_alu instid0(VALU_DEP_1) | instskip(NEXT) | instid1(VALU_DEP_1)
	v_fmac_f32_e32 v4, v131, v150
	v_fmac_f32_e32 v4, v132, v151
	s_waitcnt vmcnt(4)
	s_delay_alu instid0(VALU_DEP_1) | instskip(SKIP_3) | instid1(VALU_DEP_1)
	v_fmac_f32_e32 v4, v133, v152
	ds_load_b128 v[130:133], v2 offset:448
	s_waitcnt lgkmcnt(1)
	v_fmac_f32_e32 v4, v134, v153
	v_fmac_f32_e32 v4, v135, v154
	s_delay_alu instid0(VALU_DEP_1) | instskip(SKIP_1) | instid1(VALU_DEP_1)
	v_fmac_f32_e32 v4, v136, v155
	s_waitcnt vmcnt(3)
	v_fmac_f32_e32 v4, v137, v156
	ds_load_b128 v[134:137], v2 offset:464
	s_waitcnt lgkmcnt(1)
	v_fmac_f32_e32 v4, v138, v130
	s_delay_alu instid0(VALU_DEP_1) | instskip(NEXT) | instid1(VALU_DEP_1)
	v_fmac_f32_e32 v4, v139, v131
	v_fmac_f32_e32 v4, v140, v132
	s_waitcnt vmcnt(2)
	s_delay_alu instid0(VALU_DEP_1) | instskip(SKIP_4) | instid1(VALU_DEP_1)
	v_fmac_f32_e32 v4, v141, v133
	ds_load_b128 v[130:133], v2 offset:480
	ds_load_b64 v[2:3], v2 offset:496
	s_waitcnt lgkmcnt(2)
	v_fmac_f32_e32 v4, v142, v134
	v_fmac_f32_e32 v4, v143, v135
	s_delay_alu instid0(VALU_DEP_1) | instskip(SKIP_1) | instid1(VALU_DEP_1)
	v_fmac_f32_e32 v4, v144, v136
	s_waitcnt vmcnt(1)
	v_fmac_f32_e32 v4, v145, v137
	s_waitcnt lgkmcnt(1)
	s_delay_alu instid0(VALU_DEP_1) | instskip(NEXT) | instid1(VALU_DEP_1)
	v_fmac_f32_e32 v4, v146, v130
	v_fmac_f32_e32 v4, v147, v131
	s_delay_alu instid0(VALU_DEP_1) | instskip(SKIP_1) | instid1(VALU_DEP_1)
	v_fmac_f32_e32 v4, v148, v132
	s_waitcnt vmcnt(0)
	v_fmac_f32_e32 v4, v157, v133
	s_waitcnt lgkmcnt(0)
	s_delay_alu instid0(VALU_DEP_1) | instskip(NEXT) | instid1(VALU_DEP_1)
	v_fmac_f32_e32 v4, v158, v2
	v_fmac_f32_e32 v4, v159, v3
	s_delay_alu instid0(VALU_DEP_1)
	v_sub_f32_e32 v2, v129, v4
	scratch_store_b32 off, v2, off offset:156
	v_cmpx_lt_u32_e32 38, v0
	s_cbranch_execz .LBB61_303
; %bb.302:
	scratch_load_b32 v2, off, off offset:152
	v_mov_b32_e32 v3, 0
	scratch_store_b32 off, v3, off offset:152
	s_waitcnt vmcnt(0)
	ds_store_b32 v1, v2
.LBB61_303:
	s_or_b32 exec_lo, exec_lo, s0
	s_waitcnt lgkmcnt(0)
	s_waitcnt_vscnt null, 0x0
	s_barrier
	buffer_gl0_inv
	s_clause 0x5
	scratch_load_b128 v[129:132], off, off offset:152
	scratch_load_b128 v[133:136], off, off offset:168
	;; [unrolled: 1-line block ×6, first 2 shown]
	v_mov_b32_e32 v2, 0
	ds_load_2addr_b32 v[3:4], v2 offset0:103 offset1:104
	ds_load_2addr_b32 v[153:154], v2 offset0:105 offset1:106
	;; [unrolled: 1-line block ×4, first 2 shown]
	s_mov_b32 s0, exec_lo
	s_waitcnt vmcnt(5) lgkmcnt(3)
	v_fma_f32 v159, v130, v3, 0
	s_delay_alu instid0(VALU_DEP_1)
	v_fmac_f32_e32 v159, v131, v4
	ds_load_2addr_b32 v[3:4], v2 offset0:111 offset1:112
	ds_load_2addr_b32 v[130:131], v2 offset0:113 offset1:114
	s_waitcnt lgkmcnt(4)
	v_fmac_f32_e32 v159, v132, v153
	s_waitcnt vmcnt(4)
	s_delay_alu instid0(VALU_DEP_1) | instskip(SKIP_1) | instid1(VALU_DEP_1)
	v_fmac_f32_e32 v159, v133, v154
	s_waitcnt lgkmcnt(3)
	v_fmac_f32_e32 v159, v134, v155
	s_delay_alu instid0(VALU_DEP_1)
	v_fmac_f32_e32 v159, v135, v156
	ds_load_2addr_b32 v[132:133], v2 offset0:115 offset1:116
	ds_load_2addr_b32 v[134:135], v2 offset0:117 offset1:118
	s_waitcnt lgkmcnt(4)
	v_fmac_f32_e32 v159, v136, v157
	s_waitcnt vmcnt(3)
	s_delay_alu instid0(VALU_DEP_1) | instskip(SKIP_1) | instid1(VALU_DEP_1)
	v_fmac_f32_e32 v159, v137, v158
	s_waitcnt lgkmcnt(3)
	v_fmac_f32_e32 v159, v138, v3
	s_delay_alu instid0(VALU_DEP_1) | instskip(SKIP_4) | instid1(VALU_DEP_1)
	v_fmac_f32_e32 v159, v139, v4
	ds_load_2addr_b32 v[3:4], v2 offset0:119 offset1:120
	s_waitcnt lgkmcnt(3)
	v_fmac_f32_e32 v159, v140, v130
	s_waitcnt vmcnt(2)
	v_fmac_f32_e32 v159, v141, v131
	ds_load_2addr_b32 v[130:131], v2 offset0:121 offset1:122
	s_waitcnt lgkmcnt(3)
	v_fmac_f32_e32 v159, v142, v132
	s_delay_alu instid0(VALU_DEP_1) | instskip(SKIP_1) | instid1(VALU_DEP_1)
	v_fmac_f32_e32 v159, v143, v133
	s_waitcnt lgkmcnt(2)
	v_fmac_f32_e32 v159, v144, v134
	ds_load_2addr_b32 v[132:133], v2 offset0:123 offset1:124
	ds_load_b32 v134, v2 offset:500
	s_waitcnt vmcnt(1)
	v_fmac_f32_e32 v159, v145, v135
	s_waitcnt lgkmcnt(3)
	s_delay_alu instid0(VALU_DEP_1) | instskip(NEXT) | instid1(VALU_DEP_1)
	v_fmac_f32_e32 v159, v146, v3
	v_fmac_f32_e32 v159, v147, v4
	s_waitcnt lgkmcnt(2)
	s_delay_alu instid0(VALU_DEP_1) | instskip(SKIP_1) | instid1(VALU_DEP_1)
	v_fmac_f32_e32 v159, v148, v130
	s_waitcnt vmcnt(0)
	v_fmac_f32_e32 v159, v149, v131
	s_waitcnt lgkmcnt(1)
	s_delay_alu instid0(VALU_DEP_1) | instskip(NEXT) | instid1(VALU_DEP_1)
	v_fmac_f32_e32 v159, v150, v132
	v_fmac_f32_e32 v159, v151, v133
	s_waitcnt lgkmcnt(0)
	s_delay_alu instid0(VALU_DEP_1) | instskip(NEXT) | instid1(VALU_DEP_1)
	v_fmac_f32_e32 v159, v152, v134
	v_sub_f32_e32 v3, v129, v159
	scratch_store_b32 off, v3, off offset:152
	v_cmpx_lt_u32_e32 37, v0
	s_cbranch_execz .LBB61_305
; %bb.304:
	scratch_load_b32 v3, off, off offset:148
	scratch_store_b32 off, v2, off offset:148
	s_waitcnt vmcnt(0)
	ds_store_b32 v1, v3
.LBB61_305:
	s_or_b32 exec_lo, exec_lo, s0
	s_waitcnt lgkmcnt(0)
	s_waitcnt_vscnt null, 0x0
	s_barrier
	buffer_gl0_inv
	s_clause 0x6
	scratch_load_b128 v[129:132], off, off offset:148
	scratch_load_b128 v[133:136], off, off offset:164
	;; [unrolled: 1-line block ×6, first 2 shown]
	scratch_load_b32 v3, off, off offset:244
	ds_load_2addr_b64 v[153:156], v2 offset0:51 offset1:52
	ds_load_2addr_b64 v[157:160], v2 offset0:53 offset1:54
	s_mov_b32 s0, exec_lo
	s_waitcnt vmcnt(6) lgkmcnt(1)
	v_fma_f32 v4, v130, v153, 0
	s_delay_alu instid0(VALU_DEP_1) | instskip(NEXT) | instid1(VALU_DEP_1)
	v_fmac_f32_e32 v4, v131, v154
	v_fmac_f32_e32 v4, v132, v155
	s_waitcnt vmcnt(5)
	s_delay_alu instid0(VALU_DEP_1) | instskip(SKIP_3) | instid1(VALU_DEP_1)
	v_fmac_f32_e32 v4, v133, v156
	ds_load_2addr_b64 v[130:133], v2 offset0:55 offset1:56
	s_waitcnt lgkmcnt(1)
	v_fmac_f32_e32 v4, v134, v157
	v_fmac_f32_e32 v4, v135, v158
	s_delay_alu instid0(VALU_DEP_1) | instskip(SKIP_1) | instid1(VALU_DEP_1)
	v_fmac_f32_e32 v4, v136, v159
	s_waitcnt vmcnt(4)
	v_fmac_f32_e32 v4, v137, v160
	ds_load_2addr_b64 v[134:137], v2 offset0:57 offset1:58
	s_waitcnt lgkmcnt(1)
	v_fmac_f32_e32 v4, v138, v130
	s_delay_alu instid0(VALU_DEP_1) | instskip(NEXT) | instid1(VALU_DEP_1)
	v_fmac_f32_e32 v4, v139, v131
	v_fmac_f32_e32 v4, v140, v132
	s_waitcnt vmcnt(3)
	s_delay_alu instid0(VALU_DEP_1) | instskip(SKIP_3) | instid1(VALU_DEP_1)
	v_fmac_f32_e32 v4, v141, v133
	ds_load_2addr_b64 v[130:133], v2 offset0:59 offset1:60
	s_waitcnt lgkmcnt(1)
	v_fmac_f32_e32 v4, v142, v134
	v_fmac_f32_e32 v4, v143, v135
	s_delay_alu instid0(VALU_DEP_1) | instskip(SKIP_1) | instid1(VALU_DEP_1)
	v_fmac_f32_e32 v4, v144, v136
	s_waitcnt vmcnt(2)
	v_fmac_f32_e32 v4, v145, v137
	ds_load_2addr_b64 v[134:137], v2 offset0:61 offset1:62
	s_waitcnt lgkmcnt(1)
	v_fmac_f32_e32 v4, v146, v130
	s_delay_alu instid0(VALU_DEP_1) | instskip(NEXT) | instid1(VALU_DEP_1)
	v_fmac_f32_e32 v4, v147, v131
	v_fmac_f32_e32 v4, v148, v132
	s_waitcnt vmcnt(1)
	s_delay_alu instid0(VALU_DEP_1) | instskip(SKIP_1) | instid1(VALU_DEP_1)
	v_fmac_f32_e32 v4, v149, v133
	s_waitcnt lgkmcnt(0)
	v_fmac_f32_e32 v4, v150, v134
	s_delay_alu instid0(VALU_DEP_1) | instskip(NEXT) | instid1(VALU_DEP_1)
	v_fmac_f32_e32 v4, v151, v135
	v_fmac_f32_e32 v4, v152, v136
	s_waitcnt vmcnt(0)
	s_delay_alu instid0(VALU_DEP_1) | instskip(NEXT) | instid1(VALU_DEP_1)
	v_fmac_f32_e32 v4, v3, v137
	v_sub_f32_e32 v2, v129, v4
	scratch_store_b32 off, v2, off offset:148
	v_cmpx_lt_u32_e32 36, v0
	s_cbranch_execz .LBB61_307
; %bb.306:
	scratch_load_b32 v2, off, off offset:144
	v_mov_b32_e32 v3, 0
	scratch_store_b32 off, v3, off offset:144
	s_waitcnt vmcnt(0)
	ds_store_b32 v1, v2
.LBB61_307:
	s_or_b32 exec_lo, exec_lo, s0
	s_waitcnt lgkmcnt(0)
	s_waitcnt_vscnt null, 0x0
	s_barrier
	buffer_gl0_inv
	s_clause 0x6
	scratch_load_b128 v[129:132], off, off offset:144
	scratch_load_b128 v[133:136], off, off offset:160
	;; [unrolled: 1-line block ×6, first 2 shown]
	scratch_load_b64 v[3:4], off, off offset:240
	v_mov_b32_e32 v2, 0
	ds_load_2addr_b32 v[153:154], v2 offset0:101 offset1:102
	ds_load_2addr_b32 v[155:156], v2 offset0:103 offset1:104
	;; [unrolled: 1-line block ×4, first 2 shown]
	s_mov_b32 s0, exec_lo
	s_waitcnt vmcnt(6) lgkmcnt(3)
	v_fma_f32 v153, v130, v153, 0
	s_delay_alu instid0(VALU_DEP_1) | instskip(SKIP_4) | instid1(VALU_DEP_1)
	v_fmac_f32_e32 v153, v131, v154
	ds_load_2addr_b32 v[130:131], v2 offset0:109 offset1:110
	s_waitcnt lgkmcnt(3)
	v_fmac_f32_e32 v153, v132, v155
	s_waitcnt vmcnt(5)
	v_fmac_f32_e32 v153, v133, v156
	ds_load_2addr_b32 v[132:133], v2 offset0:111 offset1:112
	s_waitcnt lgkmcnt(3)
	v_fmac_f32_e32 v153, v134, v157
	s_delay_alu instid0(VALU_DEP_1) | instskip(SKIP_1) | instid1(VALU_DEP_1)
	v_fmac_f32_e32 v153, v135, v158
	s_waitcnt lgkmcnt(2)
	v_fmac_f32_e32 v153, v136, v159
	s_waitcnt vmcnt(4)
	s_delay_alu instid0(VALU_DEP_1) | instskip(SKIP_4) | instid1(VALU_DEP_1)
	v_fmac_f32_e32 v153, v137, v160
	ds_load_2addr_b32 v[134:135], v2 offset0:113 offset1:114
	ds_load_2addr_b32 v[136:137], v2 offset0:115 offset1:116
	s_waitcnt lgkmcnt(3)
	v_fmac_f32_e32 v153, v138, v130
	v_fmac_f32_e32 v153, v139, v131
	ds_load_2addr_b32 v[130:131], v2 offset0:117 offset1:118
	s_waitcnt lgkmcnt(3)
	v_fmac_f32_e32 v153, v140, v132
	s_waitcnt vmcnt(3)
	s_delay_alu instid0(VALU_DEP_1) | instskip(SKIP_3) | instid1(VALU_DEP_1)
	v_fmac_f32_e32 v153, v141, v133
	ds_load_2addr_b32 v[132:133], v2 offset0:119 offset1:120
	s_waitcnt lgkmcnt(3)
	v_fmac_f32_e32 v153, v142, v134
	v_fmac_f32_e32 v153, v143, v135
	s_waitcnt lgkmcnt(2)
	s_delay_alu instid0(VALU_DEP_1) | instskip(SKIP_1) | instid1(VALU_DEP_1)
	v_fmac_f32_e32 v153, v144, v136
	s_waitcnt vmcnt(2)
	v_fmac_f32_e32 v153, v145, v137
	ds_load_2addr_b32 v[134:135], v2 offset0:121 offset1:122
	ds_load_2addr_b32 v[136:137], v2 offset0:123 offset1:124
	s_waitcnt lgkmcnt(3)
	v_fmac_f32_e32 v153, v146, v130
	ds_load_b32 v130, v2 offset:500
	v_fmac_f32_e32 v153, v147, v131
	s_waitcnt lgkmcnt(3)
	s_delay_alu instid0(VALU_DEP_1) | instskip(SKIP_1) | instid1(VALU_DEP_1)
	v_fmac_f32_e32 v153, v148, v132
	s_waitcnt vmcnt(1)
	v_fmac_f32_e32 v153, v149, v133
	s_waitcnt lgkmcnt(2)
	s_delay_alu instid0(VALU_DEP_1) | instskip(NEXT) | instid1(VALU_DEP_1)
	v_fmac_f32_e32 v153, v150, v134
	v_fmac_f32_e32 v153, v151, v135
	s_waitcnt lgkmcnt(1)
	s_delay_alu instid0(VALU_DEP_1) | instskip(SKIP_1) | instid1(VALU_DEP_1)
	v_fmac_f32_e32 v153, v152, v136
	s_waitcnt vmcnt(0)
	v_fmac_f32_e32 v153, v3, v137
	s_waitcnt lgkmcnt(0)
	s_delay_alu instid0(VALU_DEP_1) | instskip(NEXT) | instid1(VALU_DEP_1)
	v_fmac_f32_e32 v153, v4, v130
	v_sub_f32_e32 v3, v129, v153
	scratch_store_b32 off, v3, off offset:144
	v_cmpx_lt_u32_e32 35, v0
	s_cbranch_execz .LBB61_309
; %bb.308:
	scratch_load_b32 v3, off, off offset:140
	scratch_store_b32 off, v2, off offset:140
	s_waitcnt vmcnt(0)
	ds_store_b32 v1, v3
.LBB61_309:
	s_or_b32 exec_lo, exec_lo, s0
	s_waitcnt lgkmcnt(0)
	s_waitcnt_vscnt null, 0x0
	s_barrier
	buffer_gl0_inv
	s_clause 0x6
	scratch_load_b128 v[129:132], off, off offset:140
	scratch_load_b128 v[133:136], off, off offset:156
	;; [unrolled: 1-line block ×6, first 2 shown]
	scratch_load_b96 v[161:163], off, off offset:236
	ds_load_b128 v[153:156], v2 offset:400
	ds_load_b128 v[157:160], v2 offset:416
	s_mov_b32 s0, exec_lo
	s_waitcnt vmcnt(6) lgkmcnt(1)
	v_fma_f32 v4, v130, v153, 0
	s_delay_alu instid0(VALU_DEP_1) | instskip(NEXT) | instid1(VALU_DEP_1)
	v_fmac_f32_e32 v4, v131, v154
	v_fmac_f32_e32 v4, v132, v155
	s_waitcnt vmcnt(5)
	s_delay_alu instid0(VALU_DEP_1) | instskip(SKIP_3) | instid1(VALU_DEP_1)
	v_fmac_f32_e32 v4, v133, v156
	ds_load_b128 v[130:133], v2 offset:432
	s_waitcnt lgkmcnt(1)
	v_fmac_f32_e32 v4, v134, v157
	v_fmac_f32_e32 v4, v135, v158
	s_delay_alu instid0(VALU_DEP_1) | instskip(SKIP_1) | instid1(VALU_DEP_1)
	v_fmac_f32_e32 v4, v136, v159
	s_waitcnt vmcnt(4)
	v_fmac_f32_e32 v4, v137, v160
	ds_load_b128 v[134:137], v2 offset:448
	s_waitcnt lgkmcnt(1)
	v_fmac_f32_e32 v4, v138, v130
	s_delay_alu instid0(VALU_DEP_1) | instskip(NEXT) | instid1(VALU_DEP_1)
	v_fmac_f32_e32 v4, v139, v131
	v_fmac_f32_e32 v4, v140, v132
	s_waitcnt vmcnt(3)
	s_delay_alu instid0(VALU_DEP_1) | instskip(SKIP_3) | instid1(VALU_DEP_1)
	v_fmac_f32_e32 v4, v141, v133
	ds_load_b128 v[130:133], v2 offset:464
	s_waitcnt lgkmcnt(1)
	v_fmac_f32_e32 v4, v142, v134
	v_fmac_f32_e32 v4, v143, v135
	s_delay_alu instid0(VALU_DEP_1) | instskip(SKIP_1) | instid1(VALU_DEP_1)
	v_fmac_f32_e32 v4, v144, v136
	s_waitcnt vmcnt(2)
	v_fmac_f32_e32 v4, v145, v137
	ds_load_b128 v[134:137], v2 offset:480
	ds_load_b64 v[2:3], v2 offset:496
	s_waitcnt lgkmcnt(2)
	v_fmac_f32_e32 v4, v146, v130
	s_delay_alu instid0(VALU_DEP_1) | instskip(NEXT) | instid1(VALU_DEP_1)
	v_fmac_f32_e32 v4, v147, v131
	v_fmac_f32_e32 v4, v148, v132
	s_waitcnt vmcnt(1)
	s_delay_alu instid0(VALU_DEP_1) | instskip(SKIP_1) | instid1(VALU_DEP_1)
	v_fmac_f32_e32 v4, v149, v133
	s_waitcnt lgkmcnt(1)
	v_fmac_f32_e32 v4, v150, v134
	s_delay_alu instid0(VALU_DEP_1) | instskip(NEXT) | instid1(VALU_DEP_1)
	v_fmac_f32_e32 v4, v151, v135
	v_fmac_f32_e32 v4, v152, v136
	s_waitcnt vmcnt(0)
	s_delay_alu instid0(VALU_DEP_1) | instskip(SKIP_1) | instid1(VALU_DEP_1)
	v_fmac_f32_e32 v4, v161, v137
	s_waitcnt lgkmcnt(0)
	v_fmac_f32_e32 v4, v162, v2
	s_delay_alu instid0(VALU_DEP_1) | instskip(NEXT) | instid1(VALU_DEP_1)
	v_fmac_f32_e32 v4, v163, v3
	v_sub_f32_e32 v2, v129, v4
	scratch_store_b32 off, v2, off offset:140
	v_cmpx_lt_u32_e32 34, v0
	s_cbranch_execz .LBB61_311
; %bb.310:
	scratch_load_b32 v2, off, off offset:136
	v_mov_b32_e32 v3, 0
	scratch_store_b32 off, v3, off offset:136
	s_waitcnt vmcnt(0)
	ds_store_b32 v1, v2
.LBB61_311:
	s_or_b32 exec_lo, exec_lo, s0
	s_waitcnt lgkmcnt(0)
	s_waitcnt_vscnt null, 0x0
	s_barrier
	buffer_gl0_inv
	s_clause 0x6
	scratch_load_b128 v[129:132], off, off offset:136
	scratch_load_b128 v[133:136], off, off offset:152
	;; [unrolled: 1-line block ×7, first 2 shown]
	v_mov_b32_e32 v2, 0
	ds_load_2addr_b32 v[3:4], v2 offset0:99 offset1:100
	ds_load_2addr_b32 v[157:158], v2 offset0:101 offset1:102
	;; [unrolled: 1-line block ×4, first 2 shown]
	s_mov_b32 s0, exec_lo
	s_waitcnt vmcnt(6) lgkmcnt(3)
	v_fma_f32 v163, v130, v3, 0
	s_delay_alu instid0(VALU_DEP_1)
	v_fmac_f32_e32 v163, v131, v4
	ds_load_2addr_b32 v[3:4], v2 offset0:107 offset1:108
	ds_load_2addr_b32 v[130:131], v2 offset0:109 offset1:110
	s_waitcnt lgkmcnt(4)
	v_fmac_f32_e32 v163, v132, v157
	s_waitcnt vmcnt(5)
	s_delay_alu instid0(VALU_DEP_1) | instskip(SKIP_1) | instid1(VALU_DEP_1)
	v_fmac_f32_e32 v163, v133, v158
	s_waitcnt lgkmcnt(3)
	v_fmac_f32_e32 v163, v134, v159
	s_delay_alu instid0(VALU_DEP_1)
	v_fmac_f32_e32 v163, v135, v160
	ds_load_2addr_b32 v[132:133], v2 offset0:111 offset1:112
	ds_load_2addr_b32 v[134:135], v2 offset0:113 offset1:114
	s_waitcnt lgkmcnt(4)
	v_fmac_f32_e32 v163, v136, v161
	s_waitcnt vmcnt(4)
	s_delay_alu instid0(VALU_DEP_1) | instskip(SKIP_1) | instid1(VALU_DEP_1)
	v_fmac_f32_e32 v163, v137, v162
	s_waitcnt lgkmcnt(3)
	v_fmac_f32_e32 v163, v138, v3
	s_delay_alu instid0(VALU_DEP_1) | instskip(SKIP_4) | instid1(VALU_DEP_1)
	v_fmac_f32_e32 v163, v139, v4
	ds_load_2addr_b32 v[3:4], v2 offset0:115 offset1:116
	s_waitcnt lgkmcnt(3)
	v_fmac_f32_e32 v163, v140, v130
	s_waitcnt vmcnt(3)
	v_fmac_f32_e32 v163, v141, v131
	ds_load_2addr_b32 v[130:131], v2 offset0:117 offset1:118
	s_waitcnt lgkmcnt(3)
	v_fmac_f32_e32 v163, v142, v132
	s_delay_alu instid0(VALU_DEP_1) | instskip(SKIP_1) | instid1(VALU_DEP_1)
	v_fmac_f32_e32 v163, v143, v133
	s_waitcnt lgkmcnt(2)
	v_fmac_f32_e32 v163, v144, v134
	s_waitcnt vmcnt(2)
	s_delay_alu instid0(VALU_DEP_1) | instskip(SKIP_4) | instid1(VALU_DEP_1)
	v_fmac_f32_e32 v163, v145, v135
	ds_load_2addr_b32 v[132:133], v2 offset0:119 offset1:120
	ds_load_2addr_b32 v[134:135], v2 offset0:121 offset1:122
	s_waitcnt lgkmcnt(3)
	v_fmac_f32_e32 v163, v146, v3
	v_fmac_f32_e32 v163, v147, v4
	ds_load_2addr_b32 v[3:4], v2 offset0:123 offset1:124
	s_waitcnt lgkmcnt(3)
	v_fmac_f32_e32 v163, v148, v130
	ds_load_b32 v130, v2 offset:500
	s_waitcnt vmcnt(1)
	v_fmac_f32_e32 v163, v149, v131
	s_waitcnt lgkmcnt(3)
	s_delay_alu instid0(VALU_DEP_1) | instskip(NEXT) | instid1(VALU_DEP_1)
	v_fmac_f32_e32 v163, v150, v132
	v_fmac_f32_e32 v163, v151, v133
	s_waitcnt lgkmcnt(2)
	s_delay_alu instid0(VALU_DEP_1) | instskip(SKIP_1) | instid1(VALU_DEP_1)
	v_fmac_f32_e32 v163, v152, v134
	s_waitcnt vmcnt(0)
	v_fmac_f32_e32 v163, v153, v135
	s_waitcnt lgkmcnt(1)
	s_delay_alu instid0(VALU_DEP_1) | instskip(NEXT) | instid1(VALU_DEP_1)
	v_fmac_f32_e32 v163, v154, v3
	v_fmac_f32_e32 v163, v155, v4
	s_waitcnt lgkmcnt(0)
	s_delay_alu instid0(VALU_DEP_1) | instskip(NEXT) | instid1(VALU_DEP_1)
	v_fmac_f32_e32 v163, v156, v130
	v_sub_f32_e32 v3, v129, v163
	scratch_store_b32 off, v3, off offset:136
	v_cmpx_lt_u32_e32 33, v0
	s_cbranch_execz .LBB61_313
; %bb.312:
	scratch_load_b32 v3, off, off offset:132
	scratch_store_b32 off, v2, off offset:132
	s_waitcnt vmcnt(0)
	ds_store_b32 v1, v3
.LBB61_313:
	s_or_b32 exec_lo, exec_lo, s0
	s_waitcnt lgkmcnt(0)
	s_waitcnt_vscnt null, 0x0
	s_barrier
	buffer_gl0_inv
	s_clause 0x7
	scratch_load_b128 v[129:132], off, off offset:132
	scratch_load_b128 v[133:136], off, off offset:148
	;; [unrolled: 1-line block ×7, first 2 shown]
	scratch_load_b32 v3, off, off offset:244
	ds_load_2addr_b64 v[157:160], v2 offset0:49 offset1:50
	ds_load_2addr_b64 v[161:164], v2 offset0:51 offset1:52
	s_mov_b32 s0, exec_lo
	s_waitcnt vmcnt(7) lgkmcnt(1)
	v_fma_f32 v4, v130, v157, 0
	s_delay_alu instid0(VALU_DEP_1) | instskip(NEXT) | instid1(VALU_DEP_1)
	v_fmac_f32_e32 v4, v131, v158
	v_fmac_f32_e32 v4, v132, v159
	s_waitcnt vmcnt(6)
	s_delay_alu instid0(VALU_DEP_1) | instskip(SKIP_3) | instid1(VALU_DEP_1)
	v_fmac_f32_e32 v4, v133, v160
	ds_load_2addr_b64 v[130:133], v2 offset0:53 offset1:54
	s_waitcnt lgkmcnt(1)
	v_fmac_f32_e32 v4, v134, v161
	v_fmac_f32_e32 v4, v135, v162
	s_delay_alu instid0(VALU_DEP_1) | instskip(SKIP_1) | instid1(VALU_DEP_1)
	v_fmac_f32_e32 v4, v136, v163
	s_waitcnt vmcnt(5)
	v_fmac_f32_e32 v4, v137, v164
	ds_load_2addr_b64 v[134:137], v2 offset0:55 offset1:56
	s_waitcnt lgkmcnt(1)
	v_fmac_f32_e32 v4, v138, v130
	s_delay_alu instid0(VALU_DEP_1) | instskip(NEXT) | instid1(VALU_DEP_1)
	v_fmac_f32_e32 v4, v139, v131
	v_fmac_f32_e32 v4, v140, v132
	s_waitcnt vmcnt(4)
	s_delay_alu instid0(VALU_DEP_1) | instskip(SKIP_3) | instid1(VALU_DEP_1)
	v_fmac_f32_e32 v4, v141, v133
	ds_load_2addr_b64 v[130:133], v2 offset0:57 offset1:58
	s_waitcnt lgkmcnt(1)
	v_fmac_f32_e32 v4, v142, v134
	v_fmac_f32_e32 v4, v143, v135
	s_delay_alu instid0(VALU_DEP_1) | instskip(SKIP_1) | instid1(VALU_DEP_1)
	v_fmac_f32_e32 v4, v144, v136
	s_waitcnt vmcnt(3)
	v_fmac_f32_e32 v4, v145, v137
	ds_load_2addr_b64 v[134:137], v2 offset0:59 offset1:60
	s_waitcnt lgkmcnt(1)
	v_fmac_f32_e32 v4, v146, v130
	s_delay_alu instid0(VALU_DEP_1) | instskip(NEXT) | instid1(VALU_DEP_1)
	v_fmac_f32_e32 v4, v147, v131
	v_fmac_f32_e32 v4, v148, v132
	s_waitcnt vmcnt(2)
	s_delay_alu instid0(VALU_DEP_1) | instskip(SKIP_3) | instid1(VALU_DEP_1)
	v_fmac_f32_e32 v4, v149, v133
	ds_load_2addr_b64 v[130:133], v2 offset0:61 offset1:62
	s_waitcnt lgkmcnt(1)
	v_fmac_f32_e32 v4, v150, v134
	v_fmac_f32_e32 v4, v151, v135
	s_delay_alu instid0(VALU_DEP_1) | instskip(SKIP_1) | instid1(VALU_DEP_1)
	v_fmac_f32_e32 v4, v152, v136
	s_waitcnt vmcnt(1)
	v_fmac_f32_e32 v4, v153, v137
	s_waitcnt lgkmcnt(0)
	s_delay_alu instid0(VALU_DEP_1) | instskip(NEXT) | instid1(VALU_DEP_1)
	v_fmac_f32_e32 v4, v154, v130
	v_fmac_f32_e32 v4, v155, v131
	s_delay_alu instid0(VALU_DEP_1) | instskip(SKIP_1) | instid1(VALU_DEP_1)
	v_fmac_f32_e32 v4, v156, v132
	s_waitcnt vmcnt(0)
	v_fmac_f32_e32 v4, v3, v133
	s_delay_alu instid0(VALU_DEP_1)
	v_sub_f32_e32 v2, v129, v4
	scratch_store_b32 off, v2, off offset:132
	v_cmpx_lt_u32_e32 32, v0
	s_cbranch_execz .LBB61_315
; %bb.314:
	scratch_load_b32 v2, off, off offset:128
	v_mov_b32_e32 v3, 0
	scratch_store_b32 off, v3, off offset:128
	s_waitcnt vmcnt(0)
	ds_store_b32 v1, v2
.LBB61_315:
	s_or_b32 exec_lo, exec_lo, s0
	s_waitcnt lgkmcnt(0)
	s_waitcnt_vscnt null, 0x0
	s_barrier
	buffer_gl0_inv
	s_clause 0x7
	scratch_load_b128 v[129:132], off, off offset:128
	scratch_load_b128 v[133:136], off, off offset:144
	;; [unrolled: 1-line block ×7, first 2 shown]
	scratch_load_b64 v[3:4], off, off offset:240
	v_mov_b32_e32 v2, 0
	ds_load_2addr_b32 v[157:158], v2 offset0:97 offset1:98
	ds_load_2addr_b32 v[159:160], v2 offset0:99 offset1:100
	;; [unrolled: 1-line block ×4, first 2 shown]
	s_mov_b32 s0, exec_lo
	s_waitcnt vmcnt(7) lgkmcnt(3)
	v_fma_f32 v157, v130, v157, 0
	s_delay_alu instid0(VALU_DEP_1) | instskip(SKIP_4) | instid1(VALU_DEP_1)
	v_fmac_f32_e32 v157, v131, v158
	ds_load_2addr_b32 v[130:131], v2 offset0:105 offset1:106
	s_waitcnt lgkmcnt(3)
	v_fmac_f32_e32 v157, v132, v159
	s_waitcnt vmcnt(6)
	v_fmac_f32_e32 v157, v133, v160
	ds_load_2addr_b32 v[132:133], v2 offset0:107 offset1:108
	s_waitcnt lgkmcnt(3)
	v_fmac_f32_e32 v157, v134, v161
	s_delay_alu instid0(VALU_DEP_1) | instskip(SKIP_1) | instid1(VALU_DEP_1)
	v_fmac_f32_e32 v157, v135, v162
	s_waitcnt lgkmcnt(2)
	v_fmac_f32_e32 v157, v136, v163
	s_waitcnt vmcnt(5)
	s_delay_alu instid0(VALU_DEP_1) | instskip(SKIP_4) | instid1(VALU_DEP_1)
	v_fmac_f32_e32 v157, v137, v164
	ds_load_2addr_b32 v[134:135], v2 offset0:109 offset1:110
	ds_load_2addr_b32 v[136:137], v2 offset0:111 offset1:112
	s_waitcnt lgkmcnt(3)
	v_fmac_f32_e32 v157, v138, v130
	v_fmac_f32_e32 v157, v139, v131
	ds_load_2addr_b32 v[130:131], v2 offset0:113 offset1:114
	s_waitcnt lgkmcnt(3)
	v_fmac_f32_e32 v157, v140, v132
	s_waitcnt vmcnt(4)
	s_delay_alu instid0(VALU_DEP_1) | instskip(SKIP_3) | instid1(VALU_DEP_1)
	v_fmac_f32_e32 v157, v141, v133
	ds_load_2addr_b32 v[132:133], v2 offset0:115 offset1:116
	s_waitcnt lgkmcnt(3)
	v_fmac_f32_e32 v157, v142, v134
	v_fmac_f32_e32 v157, v143, v135
	s_waitcnt lgkmcnt(2)
	s_delay_alu instid0(VALU_DEP_1) | instskip(SKIP_1) | instid1(VALU_DEP_1)
	v_fmac_f32_e32 v157, v144, v136
	s_waitcnt vmcnt(3)
	v_fmac_f32_e32 v157, v145, v137
	ds_load_2addr_b32 v[134:135], v2 offset0:117 offset1:118
	ds_load_2addr_b32 v[136:137], v2 offset0:119 offset1:120
	s_waitcnt lgkmcnt(3)
	v_fmac_f32_e32 v157, v146, v130
	s_delay_alu instid0(VALU_DEP_1) | instskip(SKIP_4) | instid1(VALU_DEP_1)
	v_fmac_f32_e32 v157, v147, v131
	ds_load_2addr_b32 v[130:131], v2 offset0:121 offset1:122
	s_waitcnt lgkmcnt(3)
	v_fmac_f32_e32 v157, v148, v132
	s_waitcnt vmcnt(2)
	v_fmac_f32_e32 v157, v149, v133
	ds_load_2addr_b32 v[132:133], v2 offset0:123 offset1:124
	s_waitcnt lgkmcnt(3)
	v_fmac_f32_e32 v157, v150, v134
	ds_load_b32 v134, v2 offset:500
	v_fmac_f32_e32 v157, v151, v135
	s_waitcnt lgkmcnt(3)
	s_delay_alu instid0(VALU_DEP_1) | instskip(SKIP_1) | instid1(VALU_DEP_1)
	v_fmac_f32_e32 v157, v152, v136
	s_waitcnt vmcnt(1)
	v_fmac_f32_e32 v157, v153, v137
	s_waitcnt lgkmcnt(2)
	s_delay_alu instid0(VALU_DEP_1) | instskip(NEXT) | instid1(VALU_DEP_1)
	v_fmac_f32_e32 v157, v154, v130
	v_fmac_f32_e32 v157, v155, v131
	s_waitcnt lgkmcnt(1)
	s_delay_alu instid0(VALU_DEP_1) | instskip(SKIP_1) | instid1(VALU_DEP_1)
	v_fmac_f32_e32 v157, v156, v132
	s_waitcnt vmcnt(0)
	v_fmac_f32_e32 v157, v3, v133
	s_waitcnt lgkmcnt(0)
	s_delay_alu instid0(VALU_DEP_1) | instskip(NEXT) | instid1(VALU_DEP_1)
	v_fmac_f32_e32 v157, v4, v134
	v_sub_f32_e32 v3, v129, v157
	scratch_store_b32 off, v3, off offset:128
	v_cmpx_lt_u32_e32 31, v0
	s_cbranch_execz .LBB61_317
; %bb.316:
	scratch_load_b32 v3, off, off offset:124
	scratch_store_b32 off, v2, off offset:124
	s_waitcnt vmcnt(0)
	ds_store_b32 v1, v3
.LBB61_317:
	s_or_b32 exec_lo, exec_lo, s0
	s_waitcnt lgkmcnt(0)
	s_waitcnt_vscnt null, 0x0
	s_barrier
	buffer_gl0_inv
	s_clause 0x7
	scratch_load_b128 v[129:132], off, off offset:124
	scratch_load_b128 v[133:136], off, off offset:140
	;; [unrolled: 1-line block ×7, first 2 shown]
	scratch_load_b96 v[165:167], off, off offset:236
	ds_load_b128 v[157:160], v2 offset:384
	ds_load_b128 v[161:164], v2 offset:400
	s_mov_b32 s0, exec_lo
	s_waitcnt vmcnt(7) lgkmcnt(1)
	v_fma_f32 v4, v130, v157, 0
	s_delay_alu instid0(VALU_DEP_1) | instskip(NEXT) | instid1(VALU_DEP_1)
	v_fmac_f32_e32 v4, v131, v158
	v_fmac_f32_e32 v4, v132, v159
	s_waitcnt vmcnt(6)
	s_delay_alu instid0(VALU_DEP_1) | instskip(SKIP_3) | instid1(VALU_DEP_1)
	v_fmac_f32_e32 v4, v133, v160
	ds_load_b128 v[130:133], v2 offset:416
	s_waitcnt lgkmcnt(1)
	v_fmac_f32_e32 v4, v134, v161
	v_fmac_f32_e32 v4, v135, v162
	s_delay_alu instid0(VALU_DEP_1) | instskip(SKIP_1) | instid1(VALU_DEP_1)
	v_fmac_f32_e32 v4, v136, v163
	s_waitcnt vmcnt(5)
	v_fmac_f32_e32 v4, v137, v164
	ds_load_b128 v[134:137], v2 offset:432
	s_waitcnt lgkmcnt(1)
	v_fmac_f32_e32 v4, v138, v130
	s_delay_alu instid0(VALU_DEP_1) | instskip(NEXT) | instid1(VALU_DEP_1)
	v_fmac_f32_e32 v4, v139, v131
	v_fmac_f32_e32 v4, v140, v132
	s_waitcnt vmcnt(4)
	s_delay_alu instid0(VALU_DEP_1) | instskip(SKIP_3) | instid1(VALU_DEP_1)
	v_fmac_f32_e32 v4, v141, v133
	ds_load_b128 v[130:133], v2 offset:448
	s_waitcnt lgkmcnt(1)
	v_fmac_f32_e32 v4, v142, v134
	v_fmac_f32_e32 v4, v143, v135
	s_delay_alu instid0(VALU_DEP_1) | instskip(SKIP_1) | instid1(VALU_DEP_1)
	v_fmac_f32_e32 v4, v144, v136
	s_waitcnt vmcnt(3)
	v_fmac_f32_e32 v4, v145, v137
	ds_load_b128 v[134:137], v2 offset:464
	s_waitcnt lgkmcnt(1)
	v_fmac_f32_e32 v4, v146, v130
	s_delay_alu instid0(VALU_DEP_1) | instskip(NEXT) | instid1(VALU_DEP_1)
	v_fmac_f32_e32 v4, v147, v131
	v_fmac_f32_e32 v4, v148, v132
	s_waitcnt vmcnt(2)
	s_delay_alu instid0(VALU_DEP_1) | instskip(SKIP_4) | instid1(VALU_DEP_1)
	v_fmac_f32_e32 v4, v149, v133
	ds_load_b128 v[130:133], v2 offset:480
	ds_load_b64 v[2:3], v2 offset:496
	s_waitcnt lgkmcnt(2)
	v_fmac_f32_e32 v4, v150, v134
	v_fmac_f32_e32 v4, v151, v135
	s_delay_alu instid0(VALU_DEP_1) | instskip(SKIP_1) | instid1(VALU_DEP_1)
	v_fmac_f32_e32 v4, v152, v136
	s_waitcnt vmcnt(1)
	v_fmac_f32_e32 v4, v153, v137
	s_waitcnt lgkmcnt(1)
	s_delay_alu instid0(VALU_DEP_1) | instskip(NEXT) | instid1(VALU_DEP_1)
	v_fmac_f32_e32 v4, v154, v130
	v_fmac_f32_e32 v4, v155, v131
	s_delay_alu instid0(VALU_DEP_1) | instskip(SKIP_1) | instid1(VALU_DEP_1)
	v_fmac_f32_e32 v4, v156, v132
	s_waitcnt vmcnt(0)
	v_fmac_f32_e32 v4, v165, v133
	s_waitcnt lgkmcnt(0)
	s_delay_alu instid0(VALU_DEP_1) | instskip(NEXT) | instid1(VALU_DEP_1)
	v_fmac_f32_e32 v4, v166, v2
	v_fmac_f32_e32 v4, v167, v3
	s_delay_alu instid0(VALU_DEP_1)
	v_sub_f32_e32 v2, v129, v4
	scratch_store_b32 off, v2, off offset:124
	v_cmpx_lt_u32_e32 30, v0
	s_cbranch_execz .LBB61_319
; %bb.318:
	scratch_load_b32 v2, off, off offset:120
	v_mov_b32_e32 v3, 0
	scratch_store_b32 off, v3, off offset:120
	s_waitcnt vmcnt(0)
	ds_store_b32 v1, v2
.LBB61_319:
	s_or_b32 exec_lo, exec_lo, s0
	s_waitcnt lgkmcnt(0)
	s_waitcnt_vscnt null, 0x0
	s_barrier
	buffer_gl0_inv
	s_clause 0x7
	scratch_load_b128 v[129:132], off, off offset:120
	scratch_load_b128 v[133:136], off, off offset:136
	;; [unrolled: 1-line block ×8, first 2 shown]
	v_mov_b32_e32 v2, 0
	ds_load_2addr_b32 v[3:4], v2 offset0:95 offset1:96
	ds_load_2addr_b32 v[161:162], v2 offset0:97 offset1:98
	;; [unrolled: 1-line block ×4, first 2 shown]
	s_mov_b32 s0, exec_lo
	s_waitcnt vmcnt(7) lgkmcnt(3)
	v_fma_f32 v167, v130, v3, 0
	s_delay_alu instid0(VALU_DEP_1)
	v_fmac_f32_e32 v167, v131, v4
	ds_load_2addr_b32 v[3:4], v2 offset0:103 offset1:104
	ds_load_2addr_b32 v[130:131], v2 offset0:105 offset1:106
	s_waitcnt lgkmcnt(4)
	v_fmac_f32_e32 v167, v132, v161
	s_waitcnt vmcnt(6)
	s_delay_alu instid0(VALU_DEP_1) | instskip(SKIP_1) | instid1(VALU_DEP_1)
	v_fmac_f32_e32 v167, v133, v162
	s_waitcnt lgkmcnt(3)
	v_fmac_f32_e32 v167, v134, v163
	s_delay_alu instid0(VALU_DEP_1)
	v_fmac_f32_e32 v167, v135, v164
	ds_load_2addr_b32 v[132:133], v2 offset0:107 offset1:108
	ds_load_2addr_b32 v[134:135], v2 offset0:109 offset1:110
	s_waitcnt lgkmcnt(4)
	v_fmac_f32_e32 v167, v136, v165
	s_waitcnt vmcnt(5)
	s_delay_alu instid0(VALU_DEP_1) | instskip(SKIP_1) | instid1(VALU_DEP_1)
	v_fmac_f32_e32 v167, v137, v166
	s_waitcnt lgkmcnt(3)
	v_fmac_f32_e32 v167, v138, v3
	s_delay_alu instid0(VALU_DEP_1) | instskip(SKIP_4) | instid1(VALU_DEP_1)
	v_fmac_f32_e32 v167, v139, v4
	ds_load_2addr_b32 v[3:4], v2 offset0:111 offset1:112
	s_waitcnt lgkmcnt(3)
	v_fmac_f32_e32 v167, v140, v130
	s_waitcnt vmcnt(4)
	v_fmac_f32_e32 v167, v141, v131
	ds_load_2addr_b32 v[130:131], v2 offset0:113 offset1:114
	s_waitcnt lgkmcnt(3)
	v_fmac_f32_e32 v167, v142, v132
	s_delay_alu instid0(VALU_DEP_1) | instskip(SKIP_1) | instid1(VALU_DEP_1)
	v_fmac_f32_e32 v167, v143, v133
	s_waitcnt lgkmcnt(2)
	v_fmac_f32_e32 v167, v144, v134
	s_waitcnt vmcnt(3)
	s_delay_alu instid0(VALU_DEP_1) | instskip(SKIP_4) | instid1(VALU_DEP_1)
	v_fmac_f32_e32 v167, v145, v135
	ds_load_2addr_b32 v[132:133], v2 offset0:115 offset1:116
	ds_load_2addr_b32 v[134:135], v2 offset0:117 offset1:118
	s_waitcnt lgkmcnt(3)
	v_fmac_f32_e32 v167, v146, v3
	v_fmac_f32_e32 v167, v147, v4
	ds_load_2addr_b32 v[3:4], v2 offset0:119 offset1:120
	s_waitcnt lgkmcnt(3)
	v_fmac_f32_e32 v167, v148, v130
	s_waitcnt vmcnt(2)
	s_delay_alu instid0(VALU_DEP_1) | instskip(SKIP_3) | instid1(VALU_DEP_1)
	v_fmac_f32_e32 v167, v149, v131
	ds_load_2addr_b32 v[130:131], v2 offset0:121 offset1:122
	s_waitcnt lgkmcnt(3)
	v_fmac_f32_e32 v167, v150, v132
	v_fmac_f32_e32 v167, v151, v133
	s_waitcnt lgkmcnt(2)
	s_delay_alu instid0(VALU_DEP_1)
	v_fmac_f32_e32 v167, v152, v134
	ds_load_2addr_b32 v[132:133], v2 offset0:123 offset1:124
	ds_load_b32 v134, v2 offset:500
	s_waitcnt vmcnt(1)
	v_fmac_f32_e32 v167, v153, v135
	s_waitcnt lgkmcnt(3)
	s_delay_alu instid0(VALU_DEP_1) | instskip(NEXT) | instid1(VALU_DEP_1)
	v_fmac_f32_e32 v167, v154, v3
	v_fmac_f32_e32 v167, v155, v4
	s_waitcnt lgkmcnt(2)
	s_delay_alu instid0(VALU_DEP_1) | instskip(SKIP_1) | instid1(VALU_DEP_1)
	v_fmac_f32_e32 v167, v156, v130
	s_waitcnt vmcnt(0)
	v_fmac_f32_e32 v167, v157, v131
	s_waitcnt lgkmcnt(1)
	s_delay_alu instid0(VALU_DEP_1) | instskip(NEXT) | instid1(VALU_DEP_1)
	v_fmac_f32_e32 v167, v158, v132
	v_fmac_f32_e32 v167, v159, v133
	s_waitcnt lgkmcnt(0)
	s_delay_alu instid0(VALU_DEP_1) | instskip(NEXT) | instid1(VALU_DEP_1)
	v_fmac_f32_e32 v167, v160, v134
	v_sub_f32_e32 v3, v129, v167
	scratch_store_b32 off, v3, off offset:120
	v_cmpx_lt_u32_e32 29, v0
	s_cbranch_execz .LBB61_321
; %bb.320:
	scratch_load_b32 v3, off, off offset:116
	scratch_store_b32 off, v2, off offset:116
	s_waitcnt vmcnt(0)
	ds_store_b32 v1, v3
.LBB61_321:
	s_or_b32 exec_lo, exec_lo, s0
	s_waitcnt lgkmcnt(0)
	s_waitcnt_vscnt null, 0x0
	s_barrier
	buffer_gl0_inv
	s_clause 0x8
	scratch_load_b128 v[129:132], off, off offset:116
	scratch_load_b128 v[133:136], off, off offset:132
	;; [unrolled: 1-line block ×8, first 2 shown]
	scratch_load_b32 v3, off, off offset:244
	ds_load_2addr_b64 v[161:164], v2 offset0:47 offset1:48
	ds_load_2addr_b64 v[165:168], v2 offset0:49 offset1:50
	s_mov_b32 s0, exec_lo
	s_waitcnt vmcnt(8) lgkmcnt(1)
	v_fma_f32 v4, v130, v161, 0
	s_delay_alu instid0(VALU_DEP_1) | instskip(NEXT) | instid1(VALU_DEP_1)
	v_fmac_f32_e32 v4, v131, v162
	v_fmac_f32_e32 v4, v132, v163
	s_waitcnt vmcnt(7)
	s_delay_alu instid0(VALU_DEP_1) | instskip(SKIP_3) | instid1(VALU_DEP_1)
	v_fmac_f32_e32 v4, v133, v164
	ds_load_2addr_b64 v[130:133], v2 offset0:51 offset1:52
	s_waitcnt lgkmcnt(1)
	v_fmac_f32_e32 v4, v134, v165
	v_fmac_f32_e32 v4, v135, v166
	s_delay_alu instid0(VALU_DEP_1) | instskip(SKIP_1) | instid1(VALU_DEP_1)
	v_fmac_f32_e32 v4, v136, v167
	s_waitcnt vmcnt(6)
	v_fmac_f32_e32 v4, v137, v168
	ds_load_2addr_b64 v[134:137], v2 offset0:53 offset1:54
	s_waitcnt lgkmcnt(1)
	v_fmac_f32_e32 v4, v138, v130
	s_delay_alu instid0(VALU_DEP_1) | instskip(NEXT) | instid1(VALU_DEP_1)
	v_fmac_f32_e32 v4, v139, v131
	v_fmac_f32_e32 v4, v140, v132
	s_waitcnt vmcnt(5)
	s_delay_alu instid0(VALU_DEP_1) | instskip(SKIP_3) | instid1(VALU_DEP_1)
	v_fmac_f32_e32 v4, v141, v133
	ds_load_2addr_b64 v[130:133], v2 offset0:55 offset1:56
	s_waitcnt lgkmcnt(1)
	v_fmac_f32_e32 v4, v142, v134
	v_fmac_f32_e32 v4, v143, v135
	s_delay_alu instid0(VALU_DEP_1) | instskip(SKIP_1) | instid1(VALU_DEP_1)
	v_fmac_f32_e32 v4, v144, v136
	s_waitcnt vmcnt(4)
	v_fmac_f32_e32 v4, v145, v137
	ds_load_2addr_b64 v[134:137], v2 offset0:57 offset1:58
	s_waitcnt lgkmcnt(1)
	v_fmac_f32_e32 v4, v146, v130
	;; [unrolled: 17-line block ×3, first 2 shown]
	s_delay_alu instid0(VALU_DEP_1) | instskip(NEXT) | instid1(VALU_DEP_1)
	v_fmac_f32_e32 v4, v155, v131
	v_fmac_f32_e32 v4, v156, v132
	s_waitcnt vmcnt(1)
	s_delay_alu instid0(VALU_DEP_1) | instskip(SKIP_1) | instid1(VALU_DEP_1)
	v_fmac_f32_e32 v4, v157, v133
	s_waitcnt lgkmcnt(0)
	v_fmac_f32_e32 v4, v158, v134
	s_delay_alu instid0(VALU_DEP_1) | instskip(NEXT) | instid1(VALU_DEP_1)
	v_fmac_f32_e32 v4, v159, v135
	v_fmac_f32_e32 v4, v160, v136
	s_waitcnt vmcnt(0)
	s_delay_alu instid0(VALU_DEP_1) | instskip(NEXT) | instid1(VALU_DEP_1)
	v_fmac_f32_e32 v4, v3, v137
	v_sub_f32_e32 v2, v129, v4
	scratch_store_b32 off, v2, off offset:116
	v_cmpx_lt_u32_e32 28, v0
	s_cbranch_execz .LBB61_323
; %bb.322:
	scratch_load_b32 v2, off, off offset:112
	v_mov_b32_e32 v3, 0
	scratch_store_b32 off, v3, off offset:112
	s_waitcnt vmcnt(0)
	ds_store_b32 v1, v2
.LBB61_323:
	s_or_b32 exec_lo, exec_lo, s0
	s_waitcnt lgkmcnt(0)
	s_waitcnt_vscnt null, 0x0
	s_barrier
	buffer_gl0_inv
	s_clause 0x8
	scratch_load_b128 v[129:132], off, off offset:112
	scratch_load_b128 v[133:136], off, off offset:128
	;; [unrolled: 1-line block ×8, first 2 shown]
	scratch_load_b64 v[3:4], off, off offset:240
	v_mov_b32_e32 v2, 0
	ds_load_2addr_b32 v[161:162], v2 offset0:93 offset1:94
	ds_load_2addr_b32 v[163:164], v2 offset0:95 offset1:96
	;; [unrolled: 1-line block ×4, first 2 shown]
	s_mov_b32 s0, exec_lo
	s_waitcnt vmcnt(8) lgkmcnt(3)
	v_fma_f32 v161, v130, v161, 0
	s_delay_alu instid0(VALU_DEP_1) | instskip(SKIP_4) | instid1(VALU_DEP_1)
	v_fmac_f32_e32 v161, v131, v162
	ds_load_2addr_b32 v[130:131], v2 offset0:101 offset1:102
	s_waitcnt lgkmcnt(3)
	v_fmac_f32_e32 v161, v132, v163
	s_waitcnt vmcnt(7)
	v_fmac_f32_e32 v161, v133, v164
	ds_load_2addr_b32 v[132:133], v2 offset0:103 offset1:104
	s_waitcnt lgkmcnt(3)
	v_fmac_f32_e32 v161, v134, v165
	s_delay_alu instid0(VALU_DEP_1) | instskip(SKIP_1) | instid1(VALU_DEP_1)
	v_fmac_f32_e32 v161, v135, v166
	s_waitcnt lgkmcnt(2)
	v_fmac_f32_e32 v161, v136, v167
	s_waitcnt vmcnt(6)
	s_delay_alu instid0(VALU_DEP_1) | instskip(SKIP_4) | instid1(VALU_DEP_1)
	v_fmac_f32_e32 v161, v137, v168
	ds_load_2addr_b32 v[134:135], v2 offset0:105 offset1:106
	ds_load_2addr_b32 v[136:137], v2 offset0:107 offset1:108
	s_waitcnt lgkmcnt(3)
	v_fmac_f32_e32 v161, v138, v130
	v_fmac_f32_e32 v161, v139, v131
	ds_load_2addr_b32 v[130:131], v2 offset0:109 offset1:110
	s_waitcnt lgkmcnt(3)
	v_fmac_f32_e32 v161, v140, v132
	s_waitcnt vmcnt(5)
	s_delay_alu instid0(VALU_DEP_1) | instskip(SKIP_3) | instid1(VALU_DEP_1)
	v_fmac_f32_e32 v161, v141, v133
	ds_load_2addr_b32 v[132:133], v2 offset0:111 offset1:112
	s_waitcnt lgkmcnt(3)
	v_fmac_f32_e32 v161, v142, v134
	v_fmac_f32_e32 v161, v143, v135
	s_waitcnt lgkmcnt(2)
	s_delay_alu instid0(VALU_DEP_1) | instskip(SKIP_1) | instid1(VALU_DEP_1)
	v_fmac_f32_e32 v161, v144, v136
	s_waitcnt vmcnt(4)
	v_fmac_f32_e32 v161, v145, v137
	ds_load_2addr_b32 v[134:135], v2 offset0:113 offset1:114
	ds_load_2addr_b32 v[136:137], v2 offset0:115 offset1:116
	s_waitcnt lgkmcnt(3)
	v_fmac_f32_e32 v161, v146, v130
	s_delay_alu instid0(VALU_DEP_1) | instskip(SKIP_4) | instid1(VALU_DEP_1)
	v_fmac_f32_e32 v161, v147, v131
	ds_load_2addr_b32 v[130:131], v2 offset0:117 offset1:118
	s_waitcnt lgkmcnt(3)
	v_fmac_f32_e32 v161, v148, v132
	s_waitcnt vmcnt(3)
	v_fmac_f32_e32 v161, v149, v133
	ds_load_2addr_b32 v[132:133], v2 offset0:119 offset1:120
	s_waitcnt lgkmcnt(3)
	v_fmac_f32_e32 v161, v150, v134
	s_delay_alu instid0(VALU_DEP_1) | instskip(SKIP_1) | instid1(VALU_DEP_1)
	v_fmac_f32_e32 v161, v151, v135
	s_waitcnt lgkmcnt(2)
	v_fmac_f32_e32 v161, v152, v136
	s_waitcnt vmcnt(2)
	s_delay_alu instid0(VALU_DEP_1)
	v_fmac_f32_e32 v161, v153, v137
	ds_load_2addr_b32 v[134:135], v2 offset0:121 offset1:122
	ds_load_2addr_b32 v[136:137], v2 offset0:123 offset1:124
	s_waitcnt lgkmcnt(3)
	v_fmac_f32_e32 v161, v154, v130
	ds_load_b32 v130, v2 offset:500
	v_fmac_f32_e32 v161, v155, v131
	s_waitcnt lgkmcnt(3)
	s_delay_alu instid0(VALU_DEP_1) | instskip(SKIP_1) | instid1(VALU_DEP_1)
	v_fmac_f32_e32 v161, v156, v132
	s_waitcnt vmcnt(1)
	v_fmac_f32_e32 v161, v157, v133
	s_waitcnt lgkmcnt(2)
	s_delay_alu instid0(VALU_DEP_1) | instskip(NEXT) | instid1(VALU_DEP_1)
	v_fmac_f32_e32 v161, v158, v134
	v_fmac_f32_e32 v161, v159, v135
	s_waitcnt lgkmcnt(1)
	s_delay_alu instid0(VALU_DEP_1) | instskip(SKIP_1) | instid1(VALU_DEP_1)
	v_fmac_f32_e32 v161, v160, v136
	s_waitcnt vmcnt(0)
	v_fmac_f32_e32 v161, v3, v137
	s_waitcnt lgkmcnt(0)
	s_delay_alu instid0(VALU_DEP_1) | instskip(NEXT) | instid1(VALU_DEP_1)
	v_fmac_f32_e32 v161, v4, v130
	v_sub_f32_e32 v3, v129, v161
	scratch_store_b32 off, v3, off offset:112
	v_cmpx_lt_u32_e32 27, v0
	s_cbranch_execz .LBB61_325
; %bb.324:
	scratch_load_b32 v3, off, off offset:108
	scratch_store_b32 off, v2, off offset:108
	s_waitcnt vmcnt(0)
	ds_store_b32 v1, v3
.LBB61_325:
	s_or_b32 exec_lo, exec_lo, s0
	s_waitcnt lgkmcnt(0)
	s_waitcnt_vscnt null, 0x0
	s_barrier
	buffer_gl0_inv
	s_clause 0x8
	scratch_load_b128 v[129:132], off, off offset:108
	scratch_load_b128 v[133:136], off, off offset:124
	;; [unrolled: 1-line block ×8, first 2 shown]
	scratch_load_b96 v[169:171], off, off offset:236
	ds_load_b128 v[161:164], v2 offset:368
	ds_load_b128 v[165:168], v2 offset:384
	s_mov_b32 s0, exec_lo
	s_waitcnt vmcnt(8) lgkmcnt(1)
	v_fma_f32 v4, v130, v161, 0
	s_delay_alu instid0(VALU_DEP_1) | instskip(NEXT) | instid1(VALU_DEP_1)
	v_fmac_f32_e32 v4, v131, v162
	v_fmac_f32_e32 v4, v132, v163
	s_waitcnt vmcnt(7)
	s_delay_alu instid0(VALU_DEP_1) | instskip(SKIP_3) | instid1(VALU_DEP_1)
	v_fmac_f32_e32 v4, v133, v164
	ds_load_b128 v[130:133], v2 offset:400
	s_waitcnt lgkmcnt(1)
	v_fmac_f32_e32 v4, v134, v165
	v_fmac_f32_e32 v4, v135, v166
	s_delay_alu instid0(VALU_DEP_1) | instskip(SKIP_1) | instid1(VALU_DEP_1)
	v_fmac_f32_e32 v4, v136, v167
	s_waitcnt vmcnt(6)
	v_fmac_f32_e32 v4, v137, v168
	ds_load_b128 v[134:137], v2 offset:416
	s_waitcnt lgkmcnt(1)
	v_fmac_f32_e32 v4, v138, v130
	s_delay_alu instid0(VALU_DEP_1) | instskip(NEXT) | instid1(VALU_DEP_1)
	v_fmac_f32_e32 v4, v139, v131
	v_fmac_f32_e32 v4, v140, v132
	s_waitcnt vmcnt(5)
	s_delay_alu instid0(VALU_DEP_1) | instskip(SKIP_3) | instid1(VALU_DEP_1)
	v_fmac_f32_e32 v4, v141, v133
	ds_load_b128 v[130:133], v2 offset:432
	s_waitcnt lgkmcnt(1)
	v_fmac_f32_e32 v4, v142, v134
	v_fmac_f32_e32 v4, v143, v135
	s_delay_alu instid0(VALU_DEP_1) | instskip(SKIP_1) | instid1(VALU_DEP_1)
	v_fmac_f32_e32 v4, v144, v136
	s_waitcnt vmcnt(4)
	v_fmac_f32_e32 v4, v145, v137
	ds_load_b128 v[134:137], v2 offset:448
	s_waitcnt lgkmcnt(1)
	v_fmac_f32_e32 v4, v146, v130
	s_delay_alu instid0(VALU_DEP_1) | instskip(NEXT) | instid1(VALU_DEP_1)
	v_fmac_f32_e32 v4, v147, v131
	v_fmac_f32_e32 v4, v148, v132
	s_waitcnt vmcnt(3)
	s_delay_alu instid0(VALU_DEP_1) | instskip(SKIP_3) | instid1(VALU_DEP_1)
	v_fmac_f32_e32 v4, v149, v133
	ds_load_b128 v[130:133], v2 offset:464
	s_waitcnt lgkmcnt(1)
	v_fmac_f32_e32 v4, v150, v134
	v_fmac_f32_e32 v4, v151, v135
	s_delay_alu instid0(VALU_DEP_1) | instskip(SKIP_1) | instid1(VALU_DEP_1)
	v_fmac_f32_e32 v4, v152, v136
	s_waitcnt vmcnt(2)
	v_fmac_f32_e32 v4, v153, v137
	ds_load_b128 v[134:137], v2 offset:480
	ds_load_b64 v[2:3], v2 offset:496
	s_waitcnt lgkmcnt(2)
	v_fmac_f32_e32 v4, v154, v130
	s_delay_alu instid0(VALU_DEP_1) | instskip(NEXT) | instid1(VALU_DEP_1)
	v_fmac_f32_e32 v4, v155, v131
	v_fmac_f32_e32 v4, v156, v132
	s_waitcnt vmcnt(1)
	s_delay_alu instid0(VALU_DEP_1) | instskip(SKIP_1) | instid1(VALU_DEP_1)
	v_fmac_f32_e32 v4, v157, v133
	s_waitcnt lgkmcnt(1)
	v_fmac_f32_e32 v4, v158, v134
	s_delay_alu instid0(VALU_DEP_1) | instskip(NEXT) | instid1(VALU_DEP_1)
	v_fmac_f32_e32 v4, v159, v135
	v_fmac_f32_e32 v4, v160, v136
	s_waitcnt vmcnt(0)
	s_delay_alu instid0(VALU_DEP_1) | instskip(SKIP_1) | instid1(VALU_DEP_1)
	v_fmac_f32_e32 v4, v169, v137
	s_waitcnt lgkmcnt(0)
	v_fmac_f32_e32 v4, v170, v2
	s_delay_alu instid0(VALU_DEP_1) | instskip(NEXT) | instid1(VALU_DEP_1)
	v_fmac_f32_e32 v4, v171, v3
	v_sub_f32_e32 v2, v129, v4
	scratch_store_b32 off, v2, off offset:108
	v_cmpx_lt_u32_e32 26, v0
	s_cbranch_execz .LBB61_327
; %bb.326:
	scratch_load_b32 v2, off, off offset:104
	v_mov_b32_e32 v3, 0
	scratch_store_b32 off, v3, off offset:104
	s_waitcnt vmcnt(0)
	ds_store_b32 v1, v2
.LBB61_327:
	s_or_b32 exec_lo, exec_lo, s0
	s_waitcnt lgkmcnt(0)
	s_waitcnt_vscnt null, 0x0
	s_barrier
	buffer_gl0_inv
	s_clause 0x8
	scratch_load_b128 v[129:132], off, off offset:104
	scratch_load_b128 v[133:136], off, off offset:120
	scratch_load_b128 v[137:140], off, off offset:136
	scratch_load_b128 v[141:144], off, off offset:152
	scratch_load_b128 v[145:148], off, off offset:168
	scratch_load_b128 v[149:152], off, off offset:184
	scratch_load_b128 v[153:156], off, off offset:200
	scratch_load_b128 v[157:160], off, off offset:216
	scratch_load_b128 v[161:164], off, off offset:232
	v_mov_b32_e32 v2, 0
	ds_load_2addr_b32 v[3:4], v2 offset0:91 offset1:92
	ds_load_2addr_b32 v[165:166], v2 offset0:93 offset1:94
	;; [unrolled: 1-line block ×4, first 2 shown]
	s_mov_b32 s0, exec_lo
	s_waitcnt vmcnt(8) lgkmcnt(3)
	v_fma_f32 v171, v130, v3, 0
	s_delay_alu instid0(VALU_DEP_1)
	v_fmac_f32_e32 v171, v131, v4
	ds_load_2addr_b32 v[3:4], v2 offset0:99 offset1:100
	ds_load_2addr_b32 v[130:131], v2 offset0:101 offset1:102
	s_waitcnt lgkmcnt(4)
	v_fmac_f32_e32 v171, v132, v165
	s_waitcnt vmcnt(7)
	s_delay_alu instid0(VALU_DEP_1) | instskip(SKIP_1) | instid1(VALU_DEP_1)
	v_fmac_f32_e32 v171, v133, v166
	s_waitcnt lgkmcnt(3)
	v_fmac_f32_e32 v171, v134, v167
	s_delay_alu instid0(VALU_DEP_1)
	v_fmac_f32_e32 v171, v135, v168
	ds_load_2addr_b32 v[132:133], v2 offset0:103 offset1:104
	ds_load_2addr_b32 v[134:135], v2 offset0:105 offset1:106
	s_waitcnt lgkmcnt(4)
	v_fmac_f32_e32 v171, v136, v169
	s_waitcnt vmcnt(6)
	s_delay_alu instid0(VALU_DEP_1) | instskip(SKIP_1) | instid1(VALU_DEP_1)
	v_fmac_f32_e32 v171, v137, v170
	s_waitcnt lgkmcnt(3)
	v_fmac_f32_e32 v171, v138, v3
	s_delay_alu instid0(VALU_DEP_1) | instskip(SKIP_4) | instid1(VALU_DEP_1)
	v_fmac_f32_e32 v171, v139, v4
	ds_load_2addr_b32 v[3:4], v2 offset0:107 offset1:108
	s_waitcnt lgkmcnt(3)
	v_fmac_f32_e32 v171, v140, v130
	s_waitcnt vmcnt(5)
	v_fmac_f32_e32 v171, v141, v131
	ds_load_2addr_b32 v[130:131], v2 offset0:109 offset1:110
	s_waitcnt lgkmcnt(3)
	v_fmac_f32_e32 v171, v142, v132
	s_delay_alu instid0(VALU_DEP_1) | instskip(SKIP_1) | instid1(VALU_DEP_1)
	v_fmac_f32_e32 v171, v143, v133
	s_waitcnt lgkmcnt(2)
	v_fmac_f32_e32 v171, v144, v134
	s_waitcnt vmcnt(4)
	s_delay_alu instid0(VALU_DEP_1) | instskip(SKIP_4) | instid1(VALU_DEP_1)
	v_fmac_f32_e32 v171, v145, v135
	ds_load_2addr_b32 v[132:133], v2 offset0:111 offset1:112
	ds_load_2addr_b32 v[134:135], v2 offset0:113 offset1:114
	s_waitcnt lgkmcnt(3)
	v_fmac_f32_e32 v171, v146, v3
	v_fmac_f32_e32 v171, v147, v4
	ds_load_2addr_b32 v[3:4], v2 offset0:115 offset1:116
	s_waitcnt lgkmcnt(3)
	v_fmac_f32_e32 v171, v148, v130
	s_waitcnt vmcnt(3)
	s_delay_alu instid0(VALU_DEP_1) | instskip(SKIP_3) | instid1(VALU_DEP_1)
	v_fmac_f32_e32 v171, v149, v131
	ds_load_2addr_b32 v[130:131], v2 offset0:117 offset1:118
	s_waitcnt lgkmcnt(3)
	v_fmac_f32_e32 v171, v150, v132
	v_fmac_f32_e32 v171, v151, v133
	s_waitcnt lgkmcnt(2)
	s_delay_alu instid0(VALU_DEP_1) | instskip(SKIP_1) | instid1(VALU_DEP_1)
	v_fmac_f32_e32 v171, v152, v134
	s_waitcnt vmcnt(2)
	v_fmac_f32_e32 v171, v153, v135
	ds_load_2addr_b32 v[132:133], v2 offset0:119 offset1:120
	ds_load_2addr_b32 v[134:135], v2 offset0:121 offset1:122
	s_waitcnt lgkmcnt(3)
	v_fmac_f32_e32 v171, v154, v3
	s_delay_alu instid0(VALU_DEP_1)
	v_fmac_f32_e32 v171, v155, v4
	ds_load_2addr_b32 v[3:4], v2 offset0:123 offset1:124
	s_waitcnt lgkmcnt(3)
	v_fmac_f32_e32 v171, v156, v130
	ds_load_b32 v130, v2 offset:500
	s_waitcnt vmcnt(1)
	v_fmac_f32_e32 v171, v157, v131
	s_waitcnt lgkmcnt(3)
	s_delay_alu instid0(VALU_DEP_1) | instskip(NEXT) | instid1(VALU_DEP_1)
	v_fmac_f32_e32 v171, v158, v132
	v_fmac_f32_e32 v171, v159, v133
	s_waitcnt lgkmcnt(2)
	s_delay_alu instid0(VALU_DEP_1) | instskip(SKIP_1) | instid1(VALU_DEP_1)
	v_fmac_f32_e32 v171, v160, v134
	s_waitcnt vmcnt(0)
	v_fmac_f32_e32 v171, v161, v135
	s_waitcnt lgkmcnt(1)
	s_delay_alu instid0(VALU_DEP_1) | instskip(NEXT) | instid1(VALU_DEP_1)
	v_fmac_f32_e32 v171, v162, v3
	v_fmac_f32_e32 v171, v163, v4
	s_waitcnt lgkmcnt(0)
	s_delay_alu instid0(VALU_DEP_1) | instskip(NEXT) | instid1(VALU_DEP_1)
	v_fmac_f32_e32 v171, v164, v130
	v_sub_f32_e32 v3, v129, v171
	scratch_store_b32 off, v3, off offset:104
	v_cmpx_lt_u32_e32 25, v0
	s_cbranch_execz .LBB61_329
; %bb.328:
	scratch_load_b32 v3, off, off offset:100
	scratch_store_b32 off, v2, off offset:100
	s_waitcnt vmcnt(0)
	ds_store_b32 v1, v3
.LBB61_329:
	s_or_b32 exec_lo, exec_lo, s0
	s_waitcnt lgkmcnt(0)
	s_waitcnt_vscnt null, 0x0
	s_barrier
	buffer_gl0_inv
	s_clause 0x9
	scratch_load_b128 v[129:132], off, off offset:100
	scratch_load_b128 v[133:136], off, off offset:116
	scratch_load_b128 v[137:140], off, off offset:132
	scratch_load_b128 v[141:144], off, off offset:148
	scratch_load_b128 v[145:148], off, off offset:164
	scratch_load_b128 v[149:152], off, off offset:180
	scratch_load_b128 v[153:156], off, off offset:196
	scratch_load_b128 v[157:160], off, off offset:212
	scratch_load_b128 v[161:164], off, off offset:228
	scratch_load_b32 v3, off, off offset:244
	ds_load_2addr_b64 v[165:168], v2 offset0:45 offset1:46
	ds_load_2addr_b64 v[169:172], v2 offset0:47 offset1:48
	s_mov_b32 s0, exec_lo
	s_waitcnt vmcnt(9) lgkmcnt(1)
	v_fma_f32 v4, v130, v165, 0
	s_delay_alu instid0(VALU_DEP_1) | instskip(NEXT) | instid1(VALU_DEP_1)
	v_fmac_f32_e32 v4, v131, v166
	v_fmac_f32_e32 v4, v132, v167
	s_waitcnt vmcnt(8)
	s_delay_alu instid0(VALU_DEP_1) | instskip(SKIP_3) | instid1(VALU_DEP_1)
	v_fmac_f32_e32 v4, v133, v168
	ds_load_2addr_b64 v[130:133], v2 offset0:49 offset1:50
	s_waitcnt lgkmcnt(1)
	v_fmac_f32_e32 v4, v134, v169
	v_fmac_f32_e32 v4, v135, v170
	s_delay_alu instid0(VALU_DEP_1) | instskip(SKIP_1) | instid1(VALU_DEP_1)
	v_fmac_f32_e32 v4, v136, v171
	s_waitcnt vmcnt(7)
	v_fmac_f32_e32 v4, v137, v172
	ds_load_2addr_b64 v[134:137], v2 offset0:51 offset1:52
	s_waitcnt lgkmcnt(1)
	v_fmac_f32_e32 v4, v138, v130
	s_delay_alu instid0(VALU_DEP_1) | instskip(NEXT) | instid1(VALU_DEP_1)
	v_fmac_f32_e32 v4, v139, v131
	v_fmac_f32_e32 v4, v140, v132
	s_waitcnt vmcnt(6)
	s_delay_alu instid0(VALU_DEP_1) | instskip(SKIP_3) | instid1(VALU_DEP_1)
	v_fmac_f32_e32 v4, v141, v133
	ds_load_2addr_b64 v[130:133], v2 offset0:53 offset1:54
	s_waitcnt lgkmcnt(1)
	v_fmac_f32_e32 v4, v142, v134
	v_fmac_f32_e32 v4, v143, v135
	s_delay_alu instid0(VALU_DEP_1) | instskip(SKIP_1) | instid1(VALU_DEP_1)
	v_fmac_f32_e32 v4, v144, v136
	s_waitcnt vmcnt(5)
	v_fmac_f32_e32 v4, v145, v137
	ds_load_2addr_b64 v[134:137], v2 offset0:55 offset1:56
	s_waitcnt lgkmcnt(1)
	v_fmac_f32_e32 v4, v146, v130
	;; [unrolled: 17-line block ×3, first 2 shown]
	s_delay_alu instid0(VALU_DEP_1) | instskip(NEXT) | instid1(VALU_DEP_1)
	v_fmac_f32_e32 v4, v155, v131
	v_fmac_f32_e32 v4, v156, v132
	s_waitcnt vmcnt(2)
	s_delay_alu instid0(VALU_DEP_1) | instskip(SKIP_3) | instid1(VALU_DEP_1)
	v_fmac_f32_e32 v4, v157, v133
	ds_load_2addr_b64 v[130:133], v2 offset0:61 offset1:62
	s_waitcnt lgkmcnt(1)
	v_fmac_f32_e32 v4, v158, v134
	v_fmac_f32_e32 v4, v159, v135
	s_delay_alu instid0(VALU_DEP_1) | instskip(SKIP_1) | instid1(VALU_DEP_1)
	v_fmac_f32_e32 v4, v160, v136
	s_waitcnt vmcnt(1)
	v_fmac_f32_e32 v4, v161, v137
	s_waitcnt lgkmcnt(0)
	s_delay_alu instid0(VALU_DEP_1) | instskip(NEXT) | instid1(VALU_DEP_1)
	v_fmac_f32_e32 v4, v162, v130
	v_fmac_f32_e32 v4, v163, v131
	s_delay_alu instid0(VALU_DEP_1) | instskip(SKIP_1) | instid1(VALU_DEP_1)
	v_fmac_f32_e32 v4, v164, v132
	s_waitcnt vmcnt(0)
	v_fmac_f32_e32 v4, v3, v133
	s_delay_alu instid0(VALU_DEP_1)
	v_sub_f32_e32 v2, v129, v4
	scratch_store_b32 off, v2, off offset:100
	v_cmpx_lt_u32_e32 24, v0
	s_cbranch_execz .LBB61_331
; %bb.330:
	scratch_load_b32 v2, off, off offset:96
	v_mov_b32_e32 v3, 0
	scratch_store_b32 off, v3, off offset:96
	s_waitcnt vmcnt(0)
	ds_store_b32 v1, v2
.LBB61_331:
	s_or_b32 exec_lo, exec_lo, s0
	s_waitcnt lgkmcnt(0)
	s_waitcnt_vscnt null, 0x0
	s_barrier
	buffer_gl0_inv
	s_clause 0x9
	scratch_load_b128 v[129:132], off, off offset:96
	scratch_load_b128 v[133:136], off, off offset:112
	;; [unrolled: 1-line block ×9, first 2 shown]
	scratch_load_b64 v[3:4], off, off offset:240
	v_mov_b32_e32 v2, 0
	ds_load_2addr_b32 v[165:166], v2 offset0:89 offset1:90
	ds_load_2addr_b32 v[167:168], v2 offset0:91 offset1:92
	;; [unrolled: 1-line block ×4, first 2 shown]
	s_mov_b32 s0, exec_lo
	s_waitcnt vmcnt(9) lgkmcnt(3)
	v_fma_f32 v165, v130, v165, 0
	s_delay_alu instid0(VALU_DEP_1) | instskip(SKIP_4) | instid1(VALU_DEP_1)
	v_fmac_f32_e32 v165, v131, v166
	ds_load_2addr_b32 v[130:131], v2 offset0:97 offset1:98
	s_waitcnt lgkmcnt(3)
	v_fmac_f32_e32 v165, v132, v167
	s_waitcnt vmcnt(8)
	v_fmac_f32_e32 v165, v133, v168
	ds_load_2addr_b32 v[132:133], v2 offset0:99 offset1:100
	s_waitcnt lgkmcnt(3)
	v_fmac_f32_e32 v165, v134, v169
	s_delay_alu instid0(VALU_DEP_1) | instskip(SKIP_1) | instid1(VALU_DEP_1)
	v_fmac_f32_e32 v165, v135, v170
	s_waitcnt lgkmcnt(2)
	v_fmac_f32_e32 v165, v136, v171
	s_waitcnt vmcnt(7)
	s_delay_alu instid0(VALU_DEP_1) | instskip(SKIP_4) | instid1(VALU_DEP_1)
	v_fmac_f32_e32 v165, v137, v172
	ds_load_2addr_b32 v[134:135], v2 offset0:101 offset1:102
	ds_load_2addr_b32 v[136:137], v2 offset0:103 offset1:104
	s_waitcnt lgkmcnt(3)
	v_fmac_f32_e32 v165, v138, v130
	v_fmac_f32_e32 v165, v139, v131
	ds_load_2addr_b32 v[130:131], v2 offset0:105 offset1:106
	s_waitcnt lgkmcnt(3)
	v_fmac_f32_e32 v165, v140, v132
	s_waitcnt vmcnt(6)
	s_delay_alu instid0(VALU_DEP_1) | instskip(SKIP_3) | instid1(VALU_DEP_1)
	v_fmac_f32_e32 v165, v141, v133
	ds_load_2addr_b32 v[132:133], v2 offset0:107 offset1:108
	s_waitcnt lgkmcnt(3)
	v_fmac_f32_e32 v165, v142, v134
	v_fmac_f32_e32 v165, v143, v135
	s_waitcnt lgkmcnt(2)
	s_delay_alu instid0(VALU_DEP_1) | instskip(SKIP_1) | instid1(VALU_DEP_1)
	v_fmac_f32_e32 v165, v144, v136
	s_waitcnt vmcnt(5)
	v_fmac_f32_e32 v165, v145, v137
	ds_load_2addr_b32 v[134:135], v2 offset0:109 offset1:110
	ds_load_2addr_b32 v[136:137], v2 offset0:111 offset1:112
	s_waitcnt lgkmcnt(3)
	v_fmac_f32_e32 v165, v146, v130
	s_delay_alu instid0(VALU_DEP_1) | instskip(SKIP_4) | instid1(VALU_DEP_1)
	v_fmac_f32_e32 v165, v147, v131
	ds_load_2addr_b32 v[130:131], v2 offset0:113 offset1:114
	s_waitcnt lgkmcnt(3)
	v_fmac_f32_e32 v165, v148, v132
	s_waitcnt vmcnt(4)
	v_fmac_f32_e32 v165, v149, v133
	ds_load_2addr_b32 v[132:133], v2 offset0:115 offset1:116
	s_waitcnt lgkmcnt(3)
	v_fmac_f32_e32 v165, v150, v134
	s_delay_alu instid0(VALU_DEP_1) | instskip(SKIP_1) | instid1(VALU_DEP_1)
	v_fmac_f32_e32 v165, v151, v135
	s_waitcnt lgkmcnt(2)
	v_fmac_f32_e32 v165, v152, v136
	s_waitcnt vmcnt(3)
	s_delay_alu instid0(VALU_DEP_1) | instskip(SKIP_4) | instid1(VALU_DEP_1)
	v_fmac_f32_e32 v165, v153, v137
	ds_load_2addr_b32 v[134:135], v2 offset0:117 offset1:118
	ds_load_2addr_b32 v[136:137], v2 offset0:119 offset1:120
	s_waitcnt lgkmcnt(3)
	v_fmac_f32_e32 v165, v154, v130
	v_fmac_f32_e32 v165, v155, v131
	ds_load_2addr_b32 v[130:131], v2 offset0:121 offset1:122
	s_waitcnt lgkmcnt(3)
	v_fmac_f32_e32 v165, v156, v132
	s_waitcnt vmcnt(2)
	s_delay_alu instid0(VALU_DEP_1)
	v_fmac_f32_e32 v165, v157, v133
	ds_load_2addr_b32 v[132:133], v2 offset0:123 offset1:124
	s_waitcnt lgkmcnt(3)
	v_fmac_f32_e32 v165, v158, v134
	ds_load_b32 v134, v2 offset:500
	v_fmac_f32_e32 v165, v159, v135
	s_waitcnt lgkmcnt(3)
	s_delay_alu instid0(VALU_DEP_1) | instskip(SKIP_1) | instid1(VALU_DEP_1)
	v_fmac_f32_e32 v165, v160, v136
	s_waitcnt vmcnt(1)
	v_fmac_f32_e32 v165, v161, v137
	s_waitcnt lgkmcnt(2)
	s_delay_alu instid0(VALU_DEP_1) | instskip(NEXT) | instid1(VALU_DEP_1)
	v_fmac_f32_e32 v165, v162, v130
	v_fmac_f32_e32 v165, v163, v131
	s_waitcnt lgkmcnt(1)
	s_delay_alu instid0(VALU_DEP_1) | instskip(SKIP_1) | instid1(VALU_DEP_1)
	v_fmac_f32_e32 v165, v164, v132
	s_waitcnt vmcnt(0)
	v_fmac_f32_e32 v165, v3, v133
	s_waitcnt lgkmcnt(0)
	s_delay_alu instid0(VALU_DEP_1) | instskip(NEXT) | instid1(VALU_DEP_1)
	v_fmac_f32_e32 v165, v4, v134
	v_sub_f32_e32 v3, v129, v165
	scratch_store_b32 off, v3, off offset:96
	v_cmpx_lt_u32_e32 23, v0
	s_cbranch_execz .LBB61_333
; %bb.332:
	scratch_load_b32 v3, off, off offset:92
	scratch_store_b32 off, v2, off offset:92
	s_waitcnt vmcnt(0)
	ds_store_b32 v1, v3
.LBB61_333:
	s_or_b32 exec_lo, exec_lo, s0
	s_waitcnt lgkmcnt(0)
	s_waitcnt_vscnt null, 0x0
	s_barrier
	buffer_gl0_inv
	s_clause 0x9
	scratch_load_b128 v[129:132], off, off offset:92
	scratch_load_b128 v[133:136], off, off offset:108
	;; [unrolled: 1-line block ×9, first 2 shown]
	scratch_load_b96 v[173:175], off, off offset:236
	ds_load_b128 v[165:168], v2 offset:352
	ds_load_b128 v[169:172], v2 offset:368
	s_mov_b32 s0, exec_lo
	s_waitcnt vmcnt(9) lgkmcnt(1)
	v_fma_f32 v4, v130, v165, 0
	s_delay_alu instid0(VALU_DEP_1) | instskip(NEXT) | instid1(VALU_DEP_1)
	v_fmac_f32_e32 v4, v131, v166
	v_fmac_f32_e32 v4, v132, v167
	s_waitcnt vmcnt(8)
	s_delay_alu instid0(VALU_DEP_1) | instskip(SKIP_3) | instid1(VALU_DEP_1)
	v_fmac_f32_e32 v4, v133, v168
	ds_load_b128 v[130:133], v2 offset:384
	s_waitcnt lgkmcnt(1)
	v_fmac_f32_e32 v4, v134, v169
	v_fmac_f32_e32 v4, v135, v170
	s_delay_alu instid0(VALU_DEP_1) | instskip(SKIP_1) | instid1(VALU_DEP_1)
	v_fmac_f32_e32 v4, v136, v171
	s_waitcnt vmcnt(7)
	v_fmac_f32_e32 v4, v137, v172
	ds_load_b128 v[134:137], v2 offset:400
	s_waitcnt lgkmcnt(1)
	v_fmac_f32_e32 v4, v138, v130
	s_delay_alu instid0(VALU_DEP_1) | instskip(NEXT) | instid1(VALU_DEP_1)
	v_fmac_f32_e32 v4, v139, v131
	v_fmac_f32_e32 v4, v140, v132
	s_waitcnt vmcnt(6)
	s_delay_alu instid0(VALU_DEP_1) | instskip(SKIP_3) | instid1(VALU_DEP_1)
	v_fmac_f32_e32 v4, v141, v133
	ds_load_b128 v[130:133], v2 offset:416
	s_waitcnt lgkmcnt(1)
	v_fmac_f32_e32 v4, v142, v134
	v_fmac_f32_e32 v4, v143, v135
	s_delay_alu instid0(VALU_DEP_1) | instskip(SKIP_1) | instid1(VALU_DEP_1)
	v_fmac_f32_e32 v4, v144, v136
	s_waitcnt vmcnt(5)
	v_fmac_f32_e32 v4, v145, v137
	ds_load_b128 v[134:137], v2 offset:432
	s_waitcnt lgkmcnt(1)
	v_fmac_f32_e32 v4, v146, v130
	;; [unrolled: 17-line block ×3, first 2 shown]
	s_delay_alu instid0(VALU_DEP_1) | instskip(NEXT) | instid1(VALU_DEP_1)
	v_fmac_f32_e32 v4, v155, v131
	v_fmac_f32_e32 v4, v156, v132
	s_waitcnt vmcnt(2)
	s_delay_alu instid0(VALU_DEP_1) | instskip(SKIP_4) | instid1(VALU_DEP_1)
	v_fmac_f32_e32 v4, v157, v133
	ds_load_b128 v[130:133], v2 offset:480
	ds_load_b64 v[2:3], v2 offset:496
	s_waitcnt lgkmcnt(2)
	v_fmac_f32_e32 v4, v158, v134
	v_fmac_f32_e32 v4, v159, v135
	s_delay_alu instid0(VALU_DEP_1) | instskip(SKIP_1) | instid1(VALU_DEP_1)
	v_fmac_f32_e32 v4, v160, v136
	s_waitcnt vmcnt(1)
	v_fmac_f32_e32 v4, v161, v137
	s_waitcnt lgkmcnt(1)
	s_delay_alu instid0(VALU_DEP_1) | instskip(NEXT) | instid1(VALU_DEP_1)
	v_fmac_f32_e32 v4, v162, v130
	v_fmac_f32_e32 v4, v163, v131
	s_delay_alu instid0(VALU_DEP_1) | instskip(SKIP_1) | instid1(VALU_DEP_1)
	v_fmac_f32_e32 v4, v164, v132
	s_waitcnt vmcnt(0)
	v_fmac_f32_e32 v4, v173, v133
	s_waitcnt lgkmcnt(0)
	s_delay_alu instid0(VALU_DEP_1) | instskip(NEXT) | instid1(VALU_DEP_1)
	v_fmac_f32_e32 v4, v174, v2
	v_fmac_f32_e32 v4, v175, v3
	s_delay_alu instid0(VALU_DEP_1)
	v_sub_f32_e32 v2, v129, v4
	scratch_store_b32 off, v2, off offset:92
	v_cmpx_lt_u32_e32 22, v0
	s_cbranch_execz .LBB61_335
; %bb.334:
	scratch_load_b32 v2, off, off offset:88
	v_mov_b32_e32 v3, 0
	scratch_store_b32 off, v3, off offset:88
	s_waitcnt vmcnt(0)
	ds_store_b32 v1, v2
.LBB61_335:
	s_or_b32 exec_lo, exec_lo, s0
	s_waitcnt lgkmcnt(0)
	s_waitcnt_vscnt null, 0x0
	s_barrier
	buffer_gl0_inv
	s_clause 0x9
	scratch_load_b128 v[129:132], off, off offset:88
	scratch_load_b128 v[133:136], off, off offset:104
	;; [unrolled: 1-line block ×10, first 2 shown]
	v_mov_b32_e32 v2, 0
	ds_load_2addr_b32 v[3:4], v2 offset0:87 offset1:88
	ds_load_2addr_b32 v[169:170], v2 offset0:89 offset1:90
	;; [unrolled: 1-line block ×4, first 2 shown]
	s_mov_b32 s0, exec_lo
	s_waitcnt vmcnt(9) lgkmcnt(3)
	v_fma_f32 v175, v130, v3, 0
	s_delay_alu instid0(VALU_DEP_1)
	v_fmac_f32_e32 v175, v131, v4
	ds_load_2addr_b32 v[3:4], v2 offset0:95 offset1:96
	ds_load_2addr_b32 v[130:131], v2 offset0:97 offset1:98
	s_waitcnt lgkmcnt(4)
	v_fmac_f32_e32 v175, v132, v169
	s_waitcnt vmcnt(8)
	s_delay_alu instid0(VALU_DEP_1) | instskip(SKIP_1) | instid1(VALU_DEP_1)
	v_fmac_f32_e32 v175, v133, v170
	s_waitcnt lgkmcnt(3)
	v_fmac_f32_e32 v175, v134, v171
	s_delay_alu instid0(VALU_DEP_1)
	v_fmac_f32_e32 v175, v135, v172
	ds_load_2addr_b32 v[132:133], v2 offset0:99 offset1:100
	ds_load_2addr_b32 v[134:135], v2 offset0:101 offset1:102
	s_waitcnt lgkmcnt(4)
	v_fmac_f32_e32 v175, v136, v173
	s_waitcnt vmcnt(7)
	s_delay_alu instid0(VALU_DEP_1) | instskip(SKIP_1) | instid1(VALU_DEP_1)
	v_fmac_f32_e32 v175, v137, v174
	s_waitcnt lgkmcnt(3)
	v_fmac_f32_e32 v175, v138, v3
	s_delay_alu instid0(VALU_DEP_1) | instskip(SKIP_4) | instid1(VALU_DEP_1)
	v_fmac_f32_e32 v175, v139, v4
	ds_load_2addr_b32 v[3:4], v2 offset0:103 offset1:104
	s_waitcnt lgkmcnt(3)
	v_fmac_f32_e32 v175, v140, v130
	s_waitcnt vmcnt(6)
	v_fmac_f32_e32 v175, v141, v131
	ds_load_2addr_b32 v[130:131], v2 offset0:105 offset1:106
	s_waitcnt lgkmcnt(3)
	v_fmac_f32_e32 v175, v142, v132
	s_delay_alu instid0(VALU_DEP_1) | instskip(SKIP_1) | instid1(VALU_DEP_1)
	v_fmac_f32_e32 v175, v143, v133
	s_waitcnt lgkmcnt(2)
	v_fmac_f32_e32 v175, v144, v134
	s_waitcnt vmcnt(5)
	s_delay_alu instid0(VALU_DEP_1) | instskip(SKIP_4) | instid1(VALU_DEP_1)
	v_fmac_f32_e32 v175, v145, v135
	ds_load_2addr_b32 v[132:133], v2 offset0:107 offset1:108
	ds_load_2addr_b32 v[134:135], v2 offset0:109 offset1:110
	s_waitcnt lgkmcnt(3)
	v_fmac_f32_e32 v175, v146, v3
	v_fmac_f32_e32 v175, v147, v4
	ds_load_2addr_b32 v[3:4], v2 offset0:111 offset1:112
	s_waitcnt lgkmcnt(3)
	v_fmac_f32_e32 v175, v148, v130
	s_waitcnt vmcnt(4)
	s_delay_alu instid0(VALU_DEP_1) | instskip(SKIP_3) | instid1(VALU_DEP_1)
	v_fmac_f32_e32 v175, v149, v131
	ds_load_2addr_b32 v[130:131], v2 offset0:113 offset1:114
	s_waitcnt lgkmcnt(3)
	v_fmac_f32_e32 v175, v150, v132
	v_fmac_f32_e32 v175, v151, v133
	s_waitcnt lgkmcnt(2)
	s_delay_alu instid0(VALU_DEP_1) | instskip(SKIP_1) | instid1(VALU_DEP_1)
	v_fmac_f32_e32 v175, v152, v134
	s_waitcnt vmcnt(3)
	v_fmac_f32_e32 v175, v153, v135
	ds_load_2addr_b32 v[132:133], v2 offset0:115 offset1:116
	ds_load_2addr_b32 v[134:135], v2 offset0:117 offset1:118
	s_waitcnt lgkmcnt(3)
	v_fmac_f32_e32 v175, v154, v3
	s_delay_alu instid0(VALU_DEP_1) | instskip(SKIP_4) | instid1(VALU_DEP_1)
	v_fmac_f32_e32 v175, v155, v4
	ds_load_2addr_b32 v[3:4], v2 offset0:119 offset1:120
	s_waitcnt lgkmcnt(3)
	v_fmac_f32_e32 v175, v156, v130
	s_waitcnt vmcnt(2)
	v_fmac_f32_e32 v175, v157, v131
	ds_load_2addr_b32 v[130:131], v2 offset0:121 offset1:122
	s_waitcnt lgkmcnt(3)
	v_fmac_f32_e32 v175, v158, v132
	s_delay_alu instid0(VALU_DEP_1) | instskip(SKIP_1) | instid1(VALU_DEP_1)
	v_fmac_f32_e32 v175, v159, v133
	s_waitcnt lgkmcnt(2)
	v_fmac_f32_e32 v175, v160, v134
	ds_load_2addr_b32 v[132:133], v2 offset0:123 offset1:124
	ds_load_b32 v134, v2 offset:500
	s_waitcnt vmcnt(1)
	v_fmac_f32_e32 v175, v161, v135
	s_waitcnt lgkmcnt(3)
	s_delay_alu instid0(VALU_DEP_1) | instskip(NEXT) | instid1(VALU_DEP_1)
	v_fmac_f32_e32 v175, v162, v3
	v_fmac_f32_e32 v175, v163, v4
	s_waitcnt lgkmcnt(2)
	s_delay_alu instid0(VALU_DEP_1) | instskip(SKIP_1) | instid1(VALU_DEP_1)
	v_fmac_f32_e32 v175, v164, v130
	s_waitcnt vmcnt(0)
	v_fmac_f32_e32 v175, v165, v131
	s_waitcnt lgkmcnt(1)
	s_delay_alu instid0(VALU_DEP_1) | instskip(NEXT) | instid1(VALU_DEP_1)
	v_fmac_f32_e32 v175, v166, v132
	v_fmac_f32_e32 v175, v167, v133
	s_waitcnt lgkmcnt(0)
	s_delay_alu instid0(VALU_DEP_1) | instskip(NEXT) | instid1(VALU_DEP_1)
	v_fmac_f32_e32 v175, v168, v134
	v_sub_f32_e32 v3, v129, v175
	scratch_store_b32 off, v3, off offset:88
	v_cmpx_lt_u32_e32 21, v0
	s_cbranch_execz .LBB61_337
; %bb.336:
	scratch_load_b32 v3, off, off offset:84
	scratch_store_b32 off, v2, off offset:84
	s_waitcnt vmcnt(0)
	ds_store_b32 v1, v3
.LBB61_337:
	s_or_b32 exec_lo, exec_lo, s0
	s_waitcnt lgkmcnt(0)
	s_waitcnt_vscnt null, 0x0
	s_barrier
	buffer_gl0_inv
	s_clause 0xa
	scratch_load_b128 v[129:132], off, off offset:84
	scratch_load_b128 v[133:136], off, off offset:100
	;; [unrolled: 1-line block ×10, first 2 shown]
	scratch_load_b32 v3, off, off offset:244
	ds_load_2addr_b64 v[169:172], v2 offset0:43 offset1:44
	ds_load_2addr_b64 v[173:176], v2 offset0:45 offset1:46
	s_mov_b32 s0, exec_lo
	s_waitcnt vmcnt(10) lgkmcnt(1)
	v_fma_f32 v4, v130, v169, 0
	s_delay_alu instid0(VALU_DEP_1) | instskip(NEXT) | instid1(VALU_DEP_1)
	v_fmac_f32_e32 v4, v131, v170
	v_fmac_f32_e32 v4, v132, v171
	s_waitcnt vmcnt(9)
	s_delay_alu instid0(VALU_DEP_1) | instskip(SKIP_3) | instid1(VALU_DEP_1)
	v_fmac_f32_e32 v4, v133, v172
	ds_load_2addr_b64 v[130:133], v2 offset0:47 offset1:48
	s_waitcnt lgkmcnt(1)
	v_fmac_f32_e32 v4, v134, v173
	v_fmac_f32_e32 v4, v135, v174
	s_delay_alu instid0(VALU_DEP_1) | instskip(SKIP_1) | instid1(VALU_DEP_1)
	v_fmac_f32_e32 v4, v136, v175
	s_waitcnt vmcnt(8)
	v_fmac_f32_e32 v4, v137, v176
	ds_load_2addr_b64 v[134:137], v2 offset0:49 offset1:50
	s_waitcnt lgkmcnt(1)
	v_fmac_f32_e32 v4, v138, v130
	s_delay_alu instid0(VALU_DEP_1) | instskip(NEXT) | instid1(VALU_DEP_1)
	v_fmac_f32_e32 v4, v139, v131
	v_fmac_f32_e32 v4, v140, v132
	s_waitcnt vmcnt(7)
	s_delay_alu instid0(VALU_DEP_1) | instskip(SKIP_3) | instid1(VALU_DEP_1)
	v_fmac_f32_e32 v4, v141, v133
	ds_load_2addr_b64 v[130:133], v2 offset0:51 offset1:52
	s_waitcnt lgkmcnt(1)
	v_fmac_f32_e32 v4, v142, v134
	v_fmac_f32_e32 v4, v143, v135
	s_delay_alu instid0(VALU_DEP_1) | instskip(SKIP_1) | instid1(VALU_DEP_1)
	v_fmac_f32_e32 v4, v144, v136
	s_waitcnt vmcnt(6)
	v_fmac_f32_e32 v4, v145, v137
	ds_load_2addr_b64 v[134:137], v2 offset0:53 offset1:54
	s_waitcnt lgkmcnt(1)
	v_fmac_f32_e32 v4, v146, v130
	;; [unrolled: 17-line block ×4, first 2 shown]
	s_delay_alu instid0(VALU_DEP_1) | instskip(NEXT) | instid1(VALU_DEP_1)
	v_fmac_f32_e32 v4, v163, v131
	v_fmac_f32_e32 v4, v164, v132
	s_waitcnt vmcnt(1)
	s_delay_alu instid0(VALU_DEP_1) | instskip(SKIP_1) | instid1(VALU_DEP_1)
	v_fmac_f32_e32 v4, v165, v133
	s_waitcnt lgkmcnt(0)
	v_fmac_f32_e32 v4, v166, v134
	s_delay_alu instid0(VALU_DEP_1) | instskip(NEXT) | instid1(VALU_DEP_1)
	v_fmac_f32_e32 v4, v167, v135
	v_fmac_f32_e32 v4, v168, v136
	s_waitcnt vmcnt(0)
	s_delay_alu instid0(VALU_DEP_1) | instskip(NEXT) | instid1(VALU_DEP_1)
	v_fmac_f32_e32 v4, v3, v137
	v_sub_f32_e32 v2, v129, v4
	scratch_store_b32 off, v2, off offset:84
	v_cmpx_lt_u32_e32 20, v0
	s_cbranch_execz .LBB61_339
; %bb.338:
	scratch_load_b32 v2, off, off offset:80
	v_mov_b32_e32 v3, 0
	scratch_store_b32 off, v3, off offset:80
	s_waitcnt vmcnt(0)
	ds_store_b32 v1, v2
.LBB61_339:
	s_or_b32 exec_lo, exec_lo, s0
	s_waitcnt lgkmcnt(0)
	s_waitcnt_vscnt null, 0x0
	s_barrier
	buffer_gl0_inv
	s_clause 0xa
	scratch_load_b128 v[129:132], off, off offset:80
	scratch_load_b128 v[133:136], off, off offset:96
	;; [unrolled: 1-line block ×10, first 2 shown]
	scratch_load_b64 v[3:4], off, off offset:240
	v_mov_b32_e32 v2, 0
	ds_load_2addr_b32 v[169:170], v2 offset0:85 offset1:86
	ds_load_2addr_b32 v[171:172], v2 offset0:87 offset1:88
	;; [unrolled: 1-line block ×4, first 2 shown]
	s_mov_b32 s0, exec_lo
	s_waitcnt vmcnt(10) lgkmcnt(3)
	v_fma_f32 v169, v130, v169, 0
	s_delay_alu instid0(VALU_DEP_1) | instskip(SKIP_4) | instid1(VALU_DEP_1)
	v_fmac_f32_e32 v169, v131, v170
	ds_load_2addr_b32 v[130:131], v2 offset0:93 offset1:94
	s_waitcnt lgkmcnt(3)
	v_fmac_f32_e32 v169, v132, v171
	s_waitcnt vmcnt(9)
	v_fmac_f32_e32 v169, v133, v172
	ds_load_2addr_b32 v[132:133], v2 offset0:95 offset1:96
	s_waitcnt lgkmcnt(3)
	v_fmac_f32_e32 v169, v134, v173
	s_delay_alu instid0(VALU_DEP_1) | instskip(SKIP_1) | instid1(VALU_DEP_1)
	v_fmac_f32_e32 v169, v135, v174
	s_waitcnt lgkmcnt(2)
	v_fmac_f32_e32 v169, v136, v175
	s_waitcnt vmcnt(8)
	s_delay_alu instid0(VALU_DEP_1) | instskip(SKIP_4) | instid1(VALU_DEP_1)
	v_fmac_f32_e32 v169, v137, v176
	ds_load_2addr_b32 v[134:135], v2 offset0:97 offset1:98
	ds_load_2addr_b32 v[136:137], v2 offset0:99 offset1:100
	s_waitcnt lgkmcnt(3)
	v_fmac_f32_e32 v169, v138, v130
	v_fmac_f32_e32 v169, v139, v131
	ds_load_2addr_b32 v[130:131], v2 offset0:101 offset1:102
	s_waitcnt lgkmcnt(3)
	v_fmac_f32_e32 v169, v140, v132
	s_waitcnt vmcnt(7)
	s_delay_alu instid0(VALU_DEP_1) | instskip(SKIP_3) | instid1(VALU_DEP_1)
	v_fmac_f32_e32 v169, v141, v133
	ds_load_2addr_b32 v[132:133], v2 offset0:103 offset1:104
	s_waitcnt lgkmcnt(3)
	v_fmac_f32_e32 v169, v142, v134
	v_fmac_f32_e32 v169, v143, v135
	s_waitcnt lgkmcnt(2)
	s_delay_alu instid0(VALU_DEP_1) | instskip(SKIP_1) | instid1(VALU_DEP_1)
	v_fmac_f32_e32 v169, v144, v136
	s_waitcnt vmcnt(6)
	v_fmac_f32_e32 v169, v145, v137
	ds_load_2addr_b32 v[134:135], v2 offset0:105 offset1:106
	ds_load_2addr_b32 v[136:137], v2 offset0:107 offset1:108
	s_waitcnt lgkmcnt(3)
	v_fmac_f32_e32 v169, v146, v130
	s_delay_alu instid0(VALU_DEP_1) | instskip(SKIP_4) | instid1(VALU_DEP_1)
	v_fmac_f32_e32 v169, v147, v131
	ds_load_2addr_b32 v[130:131], v2 offset0:109 offset1:110
	s_waitcnt lgkmcnt(3)
	v_fmac_f32_e32 v169, v148, v132
	s_waitcnt vmcnt(5)
	v_fmac_f32_e32 v169, v149, v133
	ds_load_2addr_b32 v[132:133], v2 offset0:111 offset1:112
	s_waitcnt lgkmcnt(3)
	v_fmac_f32_e32 v169, v150, v134
	s_delay_alu instid0(VALU_DEP_1) | instskip(SKIP_1) | instid1(VALU_DEP_1)
	v_fmac_f32_e32 v169, v151, v135
	s_waitcnt lgkmcnt(2)
	v_fmac_f32_e32 v169, v152, v136
	s_waitcnt vmcnt(4)
	s_delay_alu instid0(VALU_DEP_1) | instskip(SKIP_4) | instid1(VALU_DEP_1)
	v_fmac_f32_e32 v169, v153, v137
	ds_load_2addr_b32 v[134:135], v2 offset0:113 offset1:114
	ds_load_2addr_b32 v[136:137], v2 offset0:115 offset1:116
	s_waitcnt lgkmcnt(3)
	v_fmac_f32_e32 v169, v154, v130
	v_fmac_f32_e32 v169, v155, v131
	ds_load_2addr_b32 v[130:131], v2 offset0:117 offset1:118
	s_waitcnt lgkmcnt(3)
	v_fmac_f32_e32 v169, v156, v132
	s_waitcnt vmcnt(3)
	s_delay_alu instid0(VALU_DEP_1) | instskip(SKIP_3) | instid1(VALU_DEP_1)
	v_fmac_f32_e32 v169, v157, v133
	ds_load_2addr_b32 v[132:133], v2 offset0:119 offset1:120
	s_waitcnt lgkmcnt(3)
	v_fmac_f32_e32 v169, v158, v134
	v_fmac_f32_e32 v169, v159, v135
	s_waitcnt lgkmcnt(2)
	s_delay_alu instid0(VALU_DEP_1) | instskip(SKIP_1) | instid1(VALU_DEP_1)
	v_fmac_f32_e32 v169, v160, v136
	s_waitcnt vmcnt(2)
	v_fmac_f32_e32 v169, v161, v137
	ds_load_2addr_b32 v[134:135], v2 offset0:121 offset1:122
	ds_load_2addr_b32 v[136:137], v2 offset0:123 offset1:124
	s_waitcnt lgkmcnt(3)
	v_fmac_f32_e32 v169, v162, v130
	ds_load_b32 v130, v2 offset:500
	v_fmac_f32_e32 v169, v163, v131
	s_waitcnt lgkmcnt(3)
	s_delay_alu instid0(VALU_DEP_1) | instskip(SKIP_1) | instid1(VALU_DEP_1)
	v_fmac_f32_e32 v169, v164, v132
	s_waitcnt vmcnt(1)
	v_fmac_f32_e32 v169, v165, v133
	s_waitcnt lgkmcnt(2)
	s_delay_alu instid0(VALU_DEP_1) | instskip(NEXT) | instid1(VALU_DEP_1)
	v_fmac_f32_e32 v169, v166, v134
	v_fmac_f32_e32 v169, v167, v135
	s_waitcnt lgkmcnt(1)
	s_delay_alu instid0(VALU_DEP_1) | instskip(SKIP_1) | instid1(VALU_DEP_1)
	v_fmac_f32_e32 v169, v168, v136
	s_waitcnt vmcnt(0)
	v_fmac_f32_e32 v169, v3, v137
	s_waitcnt lgkmcnt(0)
	s_delay_alu instid0(VALU_DEP_1) | instskip(NEXT) | instid1(VALU_DEP_1)
	v_fmac_f32_e32 v169, v4, v130
	v_sub_f32_e32 v3, v129, v169
	scratch_store_b32 off, v3, off offset:80
	v_cmpx_lt_u32_e32 19, v0
	s_cbranch_execz .LBB61_341
; %bb.340:
	scratch_load_b32 v3, off, off offset:76
	scratch_store_b32 off, v2, off offset:76
	s_waitcnt vmcnt(0)
	ds_store_b32 v1, v3
.LBB61_341:
	s_or_b32 exec_lo, exec_lo, s0
	s_waitcnt lgkmcnt(0)
	s_waitcnt_vscnt null, 0x0
	s_barrier
	buffer_gl0_inv
	s_clause 0xa
	scratch_load_b128 v[129:132], off, off offset:76
	scratch_load_b128 v[133:136], off, off offset:92
	;; [unrolled: 1-line block ×10, first 2 shown]
	scratch_load_b96 v[177:179], off, off offset:236
	ds_load_b128 v[169:172], v2 offset:336
	ds_load_b128 v[173:176], v2 offset:352
	s_mov_b32 s0, exec_lo
	s_waitcnt vmcnt(10) lgkmcnt(1)
	v_fma_f32 v4, v130, v169, 0
	s_delay_alu instid0(VALU_DEP_1) | instskip(NEXT) | instid1(VALU_DEP_1)
	v_fmac_f32_e32 v4, v131, v170
	v_fmac_f32_e32 v4, v132, v171
	s_waitcnt vmcnt(9)
	s_delay_alu instid0(VALU_DEP_1) | instskip(SKIP_3) | instid1(VALU_DEP_1)
	v_fmac_f32_e32 v4, v133, v172
	ds_load_b128 v[130:133], v2 offset:368
	s_waitcnt lgkmcnt(1)
	v_fmac_f32_e32 v4, v134, v173
	v_fmac_f32_e32 v4, v135, v174
	s_delay_alu instid0(VALU_DEP_1) | instskip(SKIP_1) | instid1(VALU_DEP_1)
	v_fmac_f32_e32 v4, v136, v175
	s_waitcnt vmcnt(8)
	v_fmac_f32_e32 v4, v137, v176
	ds_load_b128 v[134:137], v2 offset:384
	s_waitcnt lgkmcnt(1)
	v_fmac_f32_e32 v4, v138, v130
	s_delay_alu instid0(VALU_DEP_1) | instskip(NEXT) | instid1(VALU_DEP_1)
	v_fmac_f32_e32 v4, v139, v131
	v_fmac_f32_e32 v4, v140, v132
	s_waitcnt vmcnt(7)
	s_delay_alu instid0(VALU_DEP_1) | instskip(SKIP_3) | instid1(VALU_DEP_1)
	v_fmac_f32_e32 v4, v141, v133
	ds_load_b128 v[130:133], v2 offset:400
	s_waitcnt lgkmcnt(1)
	v_fmac_f32_e32 v4, v142, v134
	v_fmac_f32_e32 v4, v143, v135
	s_delay_alu instid0(VALU_DEP_1) | instskip(SKIP_1) | instid1(VALU_DEP_1)
	v_fmac_f32_e32 v4, v144, v136
	s_waitcnt vmcnt(6)
	v_fmac_f32_e32 v4, v145, v137
	ds_load_b128 v[134:137], v2 offset:416
	s_waitcnt lgkmcnt(1)
	v_fmac_f32_e32 v4, v146, v130
	;; [unrolled: 17-line block ×3, first 2 shown]
	s_delay_alu instid0(VALU_DEP_1) | instskip(NEXT) | instid1(VALU_DEP_1)
	v_fmac_f32_e32 v4, v155, v131
	v_fmac_f32_e32 v4, v156, v132
	s_waitcnt vmcnt(3)
	s_delay_alu instid0(VALU_DEP_1) | instskip(SKIP_3) | instid1(VALU_DEP_1)
	v_fmac_f32_e32 v4, v157, v133
	ds_load_b128 v[130:133], v2 offset:464
	s_waitcnt lgkmcnt(1)
	v_fmac_f32_e32 v4, v158, v134
	v_fmac_f32_e32 v4, v159, v135
	s_delay_alu instid0(VALU_DEP_1) | instskip(SKIP_1) | instid1(VALU_DEP_1)
	v_fmac_f32_e32 v4, v160, v136
	s_waitcnt vmcnt(2)
	v_fmac_f32_e32 v4, v161, v137
	ds_load_b128 v[134:137], v2 offset:480
	ds_load_b64 v[2:3], v2 offset:496
	s_waitcnt lgkmcnt(2)
	v_fmac_f32_e32 v4, v162, v130
	s_delay_alu instid0(VALU_DEP_1) | instskip(NEXT) | instid1(VALU_DEP_1)
	v_fmac_f32_e32 v4, v163, v131
	v_fmac_f32_e32 v4, v164, v132
	s_waitcnt vmcnt(1)
	s_delay_alu instid0(VALU_DEP_1) | instskip(SKIP_1) | instid1(VALU_DEP_1)
	v_fmac_f32_e32 v4, v165, v133
	s_waitcnt lgkmcnt(1)
	v_fmac_f32_e32 v4, v166, v134
	s_delay_alu instid0(VALU_DEP_1) | instskip(NEXT) | instid1(VALU_DEP_1)
	v_fmac_f32_e32 v4, v167, v135
	v_fmac_f32_e32 v4, v168, v136
	s_waitcnt vmcnt(0)
	s_delay_alu instid0(VALU_DEP_1) | instskip(SKIP_1) | instid1(VALU_DEP_1)
	v_fmac_f32_e32 v4, v177, v137
	s_waitcnt lgkmcnt(0)
	v_fmac_f32_e32 v4, v178, v2
	s_delay_alu instid0(VALU_DEP_1) | instskip(NEXT) | instid1(VALU_DEP_1)
	v_fmac_f32_e32 v4, v179, v3
	v_sub_f32_e32 v2, v129, v4
	scratch_store_b32 off, v2, off offset:76
	v_cmpx_lt_u32_e32 18, v0
	s_cbranch_execz .LBB61_343
; %bb.342:
	scratch_load_b32 v2, off, off offset:72
	v_mov_b32_e32 v3, 0
	scratch_store_b32 off, v3, off offset:72
	s_waitcnt vmcnt(0)
	ds_store_b32 v1, v2
.LBB61_343:
	s_or_b32 exec_lo, exec_lo, s0
	s_waitcnt lgkmcnt(0)
	s_waitcnt_vscnt null, 0x0
	s_barrier
	buffer_gl0_inv
	s_clause 0xa
	scratch_load_b128 v[129:132], off, off offset:72
	scratch_load_b128 v[133:136], off, off offset:88
	;; [unrolled: 1-line block ×11, first 2 shown]
	v_mov_b32_e32 v2, 0
	ds_load_2addr_b32 v[3:4], v2 offset0:83 offset1:84
	ds_load_2addr_b32 v[173:174], v2 offset0:85 offset1:86
	;; [unrolled: 1-line block ×4, first 2 shown]
	s_mov_b32 s0, exec_lo
	s_waitcnt vmcnt(10) lgkmcnt(3)
	v_fma_f32 v179, v130, v3, 0
	s_delay_alu instid0(VALU_DEP_1)
	v_fmac_f32_e32 v179, v131, v4
	ds_load_2addr_b32 v[3:4], v2 offset0:91 offset1:92
	ds_load_2addr_b32 v[130:131], v2 offset0:93 offset1:94
	s_waitcnt lgkmcnt(4)
	v_fmac_f32_e32 v179, v132, v173
	s_waitcnt vmcnt(9)
	s_delay_alu instid0(VALU_DEP_1) | instskip(SKIP_1) | instid1(VALU_DEP_1)
	v_fmac_f32_e32 v179, v133, v174
	s_waitcnt lgkmcnt(3)
	v_fmac_f32_e32 v179, v134, v175
	s_delay_alu instid0(VALU_DEP_1)
	v_fmac_f32_e32 v179, v135, v176
	ds_load_2addr_b32 v[132:133], v2 offset0:95 offset1:96
	ds_load_2addr_b32 v[134:135], v2 offset0:97 offset1:98
	s_waitcnt lgkmcnt(4)
	v_fmac_f32_e32 v179, v136, v177
	s_waitcnt vmcnt(8)
	s_delay_alu instid0(VALU_DEP_1) | instskip(SKIP_1) | instid1(VALU_DEP_1)
	v_fmac_f32_e32 v179, v137, v178
	s_waitcnt lgkmcnt(3)
	v_fmac_f32_e32 v179, v138, v3
	s_delay_alu instid0(VALU_DEP_1) | instskip(SKIP_4) | instid1(VALU_DEP_1)
	v_fmac_f32_e32 v179, v139, v4
	ds_load_2addr_b32 v[3:4], v2 offset0:99 offset1:100
	s_waitcnt lgkmcnt(3)
	v_fmac_f32_e32 v179, v140, v130
	s_waitcnt vmcnt(7)
	v_fmac_f32_e32 v179, v141, v131
	ds_load_2addr_b32 v[130:131], v2 offset0:101 offset1:102
	s_waitcnt lgkmcnt(3)
	v_fmac_f32_e32 v179, v142, v132
	s_delay_alu instid0(VALU_DEP_1) | instskip(SKIP_1) | instid1(VALU_DEP_1)
	v_fmac_f32_e32 v179, v143, v133
	s_waitcnt lgkmcnt(2)
	v_fmac_f32_e32 v179, v144, v134
	s_waitcnt vmcnt(6)
	s_delay_alu instid0(VALU_DEP_1) | instskip(SKIP_4) | instid1(VALU_DEP_1)
	v_fmac_f32_e32 v179, v145, v135
	ds_load_2addr_b32 v[132:133], v2 offset0:103 offset1:104
	ds_load_2addr_b32 v[134:135], v2 offset0:105 offset1:106
	s_waitcnt lgkmcnt(3)
	v_fmac_f32_e32 v179, v146, v3
	v_fmac_f32_e32 v179, v147, v4
	ds_load_2addr_b32 v[3:4], v2 offset0:107 offset1:108
	s_waitcnt lgkmcnt(3)
	v_fmac_f32_e32 v179, v148, v130
	s_waitcnt vmcnt(5)
	s_delay_alu instid0(VALU_DEP_1) | instskip(SKIP_3) | instid1(VALU_DEP_1)
	v_fmac_f32_e32 v179, v149, v131
	ds_load_2addr_b32 v[130:131], v2 offset0:109 offset1:110
	s_waitcnt lgkmcnt(3)
	v_fmac_f32_e32 v179, v150, v132
	v_fmac_f32_e32 v179, v151, v133
	s_waitcnt lgkmcnt(2)
	s_delay_alu instid0(VALU_DEP_1) | instskip(SKIP_1) | instid1(VALU_DEP_1)
	v_fmac_f32_e32 v179, v152, v134
	s_waitcnt vmcnt(4)
	v_fmac_f32_e32 v179, v153, v135
	ds_load_2addr_b32 v[132:133], v2 offset0:111 offset1:112
	ds_load_2addr_b32 v[134:135], v2 offset0:113 offset1:114
	s_waitcnt lgkmcnt(3)
	v_fmac_f32_e32 v179, v154, v3
	s_delay_alu instid0(VALU_DEP_1) | instskip(SKIP_4) | instid1(VALU_DEP_1)
	v_fmac_f32_e32 v179, v155, v4
	ds_load_2addr_b32 v[3:4], v2 offset0:115 offset1:116
	s_waitcnt lgkmcnt(3)
	v_fmac_f32_e32 v179, v156, v130
	s_waitcnt vmcnt(3)
	v_fmac_f32_e32 v179, v157, v131
	ds_load_2addr_b32 v[130:131], v2 offset0:117 offset1:118
	s_waitcnt lgkmcnt(3)
	v_fmac_f32_e32 v179, v158, v132
	s_delay_alu instid0(VALU_DEP_1) | instskip(SKIP_1) | instid1(VALU_DEP_1)
	v_fmac_f32_e32 v179, v159, v133
	s_waitcnt lgkmcnt(2)
	v_fmac_f32_e32 v179, v160, v134
	s_waitcnt vmcnt(2)
	s_delay_alu instid0(VALU_DEP_1) | instskip(SKIP_4) | instid1(VALU_DEP_1)
	v_fmac_f32_e32 v179, v161, v135
	ds_load_2addr_b32 v[132:133], v2 offset0:119 offset1:120
	ds_load_2addr_b32 v[134:135], v2 offset0:121 offset1:122
	s_waitcnt lgkmcnt(3)
	v_fmac_f32_e32 v179, v162, v3
	v_fmac_f32_e32 v179, v163, v4
	ds_load_2addr_b32 v[3:4], v2 offset0:123 offset1:124
	s_waitcnt lgkmcnt(3)
	v_fmac_f32_e32 v179, v164, v130
	ds_load_b32 v130, v2 offset:500
	s_waitcnt vmcnt(1)
	v_fmac_f32_e32 v179, v165, v131
	s_waitcnt lgkmcnt(3)
	s_delay_alu instid0(VALU_DEP_1) | instskip(NEXT) | instid1(VALU_DEP_1)
	v_fmac_f32_e32 v179, v166, v132
	v_fmac_f32_e32 v179, v167, v133
	s_waitcnt lgkmcnt(2)
	s_delay_alu instid0(VALU_DEP_1) | instskip(SKIP_1) | instid1(VALU_DEP_1)
	v_fmac_f32_e32 v179, v168, v134
	s_waitcnt vmcnt(0)
	v_fmac_f32_e32 v179, v169, v135
	s_waitcnt lgkmcnt(1)
	s_delay_alu instid0(VALU_DEP_1) | instskip(NEXT) | instid1(VALU_DEP_1)
	v_fmac_f32_e32 v179, v170, v3
	v_fmac_f32_e32 v179, v171, v4
	s_waitcnt lgkmcnt(0)
	s_delay_alu instid0(VALU_DEP_1) | instskip(NEXT) | instid1(VALU_DEP_1)
	v_fmac_f32_e32 v179, v172, v130
	v_sub_f32_e32 v3, v129, v179
	scratch_store_b32 off, v3, off offset:72
	v_cmpx_lt_u32_e32 17, v0
	s_cbranch_execz .LBB61_345
; %bb.344:
	scratch_load_b32 v3, off, off offset:68
	scratch_store_b32 off, v2, off offset:68
	s_waitcnt vmcnt(0)
	ds_store_b32 v1, v3
.LBB61_345:
	s_or_b32 exec_lo, exec_lo, s0
	s_waitcnt lgkmcnt(0)
	s_waitcnt_vscnt null, 0x0
	s_barrier
	buffer_gl0_inv
	s_clause 0xb
	scratch_load_b128 v[129:132], off, off offset:68
	scratch_load_b128 v[133:136], off, off offset:84
	;; [unrolled: 1-line block ×11, first 2 shown]
	scratch_load_b32 v3, off, off offset:244
	ds_load_2addr_b64 v[173:176], v2 offset0:41 offset1:42
	ds_load_2addr_b64 v[177:180], v2 offset0:43 offset1:44
	s_mov_b32 s0, exec_lo
	s_waitcnt vmcnt(11) lgkmcnt(1)
	v_fma_f32 v4, v130, v173, 0
	s_delay_alu instid0(VALU_DEP_1) | instskip(NEXT) | instid1(VALU_DEP_1)
	v_fmac_f32_e32 v4, v131, v174
	v_fmac_f32_e32 v4, v132, v175
	s_waitcnt vmcnt(10)
	s_delay_alu instid0(VALU_DEP_1) | instskip(SKIP_3) | instid1(VALU_DEP_1)
	v_fmac_f32_e32 v4, v133, v176
	ds_load_2addr_b64 v[130:133], v2 offset0:45 offset1:46
	s_waitcnt lgkmcnt(1)
	v_fmac_f32_e32 v4, v134, v177
	v_fmac_f32_e32 v4, v135, v178
	s_delay_alu instid0(VALU_DEP_1) | instskip(SKIP_1) | instid1(VALU_DEP_1)
	v_fmac_f32_e32 v4, v136, v179
	s_waitcnt vmcnt(9)
	v_fmac_f32_e32 v4, v137, v180
	ds_load_2addr_b64 v[134:137], v2 offset0:47 offset1:48
	s_waitcnt lgkmcnt(1)
	v_fmac_f32_e32 v4, v138, v130
	s_delay_alu instid0(VALU_DEP_1) | instskip(NEXT) | instid1(VALU_DEP_1)
	v_fmac_f32_e32 v4, v139, v131
	v_fmac_f32_e32 v4, v140, v132
	s_waitcnt vmcnt(8)
	s_delay_alu instid0(VALU_DEP_1) | instskip(SKIP_3) | instid1(VALU_DEP_1)
	v_fmac_f32_e32 v4, v141, v133
	ds_load_2addr_b64 v[130:133], v2 offset0:49 offset1:50
	s_waitcnt lgkmcnt(1)
	v_fmac_f32_e32 v4, v142, v134
	v_fmac_f32_e32 v4, v143, v135
	s_delay_alu instid0(VALU_DEP_1) | instskip(SKIP_1) | instid1(VALU_DEP_1)
	v_fmac_f32_e32 v4, v144, v136
	s_waitcnt vmcnt(7)
	v_fmac_f32_e32 v4, v145, v137
	ds_load_2addr_b64 v[134:137], v2 offset0:51 offset1:52
	s_waitcnt lgkmcnt(1)
	v_fmac_f32_e32 v4, v146, v130
	;; [unrolled: 17-line block ×4, first 2 shown]
	s_delay_alu instid0(VALU_DEP_1) | instskip(NEXT) | instid1(VALU_DEP_1)
	v_fmac_f32_e32 v4, v163, v131
	v_fmac_f32_e32 v4, v164, v132
	s_waitcnt vmcnt(2)
	s_delay_alu instid0(VALU_DEP_1) | instskip(SKIP_3) | instid1(VALU_DEP_1)
	v_fmac_f32_e32 v4, v165, v133
	ds_load_2addr_b64 v[130:133], v2 offset0:61 offset1:62
	s_waitcnt lgkmcnt(1)
	v_fmac_f32_e32 v4, v166, v134
	v_fmac_f32_e32 v4, v167, v135
	s_delay_alu instid0(VALU_DEP_1) | instskip(SKIP_1) | instid1(VALU_DEP_1)
	v_fmac_f32_e32 v4, v168, v136
	s_waitcnt vmcnt(1)
	v_fmac_f32_e32 v4, v169, v137
	s_waitcnt lgkmcnt(0)
	s_delay_alu instid0(VALU_DEP_1) | instskip(NEXT) | instid1(VALU_DEP_1)
	v_fmac_f32_e32 v4, v170, v130
	v_fmac_f32_e32 v4, v171, v131
	s_delay_alu instid0(VALU_DEP_1) | instskip(SKIP_1) | instid1(VALU_DEP_1)
	v_fmac_f32_e32 v4, v172, v132
	s_waitcnt vmcnt(0)
	v_fmac_f32_e32 v4, v3, v133
	s_delay_alu instid0(VALU_DEP_1)
	v_sub_f32_e32 v2, v129, v4
	scratch_store_b32 off, v2, off offset:68
	v_cmpx_lt_u32_e32 16, v0
	s_cbranch_execz .LBB61_347
; %bb.346:
	scratch_load_b32 v2, off, off offset:64
	v_mov_b32_e32 v3, 0
	scratch_store_b32 off, v3, off offset:64
	s_waitcnt vmcnt(0)
	ds_store_b32 v1, v2
.LBB61_347:
	s_or_b32 exec_lo, exec_lo, s0
	s_waitcnt lgkmcnt(0)
	s_waitcnt_vscnt null, 0x0
	s_barrier
	buffer_gl0_inv
	s_clause 0xb
	scratch_load_b128 v[129:132], off, off offset:64
	scratch_load_b128 v[133:136], off, off offset:80
	;; [unrolled: 1-line block ×11, first 2 shown]
	scratch_load_b64 v[3:4], off, off offset:240
	v_mov_b32_e32 v2, 0
	ds_load_2addr_b32 v[173:174], v2 offset0:81 offset1:82
	ds_load_2addr_b32 v[175:176], v2 offset0:83 offset1:84
	;; [unrolled: 1-line block ×4, first 2 shown]
	s_mov_b32 s0, exec_lo
	s_waitcnt vmcnt(11) lgkmcnt(3)
	v_fma_f32 v173, v130, v173, 0
	s_delay_alu instid0(VALU_DEP_1) | instskip(SKIP_4) | instid1(VALU_DEP_1)
	v_fmac_f32_e32 v173, v131, v174
	ds_load_2addr_b32 v[130:131], v2 offset0:89 offset1:90
	s_waitcnt lgkmcnt(3)
	v_fmac_f32_e32 v173, v132, v175
	s_waitcnt vmcnt(10)
	v_fmac_f32_e32 v173, v133, v176
	ds_load_2addr_b32 v[132:133], v2 offset0:91 offset1:92
	s_waitcnt lgkmcnt(3)
	v_fmac_f32_e32 v173, v134, v177
	s_delay_alu instid0(VALU_DEP_1) | instskip(SKIP_1) | instid1(VALU_DEP_1)
	v_fmac_f32_e32 v173, v135, v178
	s_waitcnt lgkmcnt(2)
	v_fmac_f32_e32 v173, v136, v179
	s_waitcnt vmcnt(9)
	s_delay_alu instid0(VALU_DEP_1) | instskip(SKIP_4) | instid1(VALU_DEP_1)
	v_fmac_f32_e32 v173, v137, v180
	ds_load_2addr_b32 v[134:135], v2 offset0:93 offset1:94
	ds_load_2addr_b32 v[136:137], v2 offset0:95 offset1:96
	s_waitcnt lgkmcnt(3)
	v_fmac_f32_e32 v173, v138, v130
	v_fmac_f32_e32 v173, v139, v131
	ds_load_2addr_b32 v[130:131], v2 offset0:97 offset1:98
	s_waitcnt lgkmcnt(3)
	v_fmac_f32_e32 v173, v140, v132
	s_waitcnt vmcnt(8)
	s_delay_alu instid0(VALU_DEP_1) | instskip(SKIP_3) | instid1(VALU_DEP_1)
	v_fmac_f32_e32 v173, v141, v133
	ds_load_2addr_b32 v[132:133], v2 offset0:99 offset1:100
	s_waitcnt lgkmcnt(3)
	v_fmac_f32_e32 v173, v142, v134
	v_fmac_f32_e32 v173, v143, v135
	s_waitcnt lgkmcnt(2)
	s_delay_alu instid0(VALU_DEP_1) | instskip(SKIP_1) | instid1(VALU_DEP_1)
	v_fmac_f32_e32 v173, v144, v136
	s_waitcnt vmcnt(7)
	v_fmac_f32_e32 v173, v145, v137
	ds_load_2addr_b32 v[134:135], v2 offset0:101 offset1:102
	ds_load_2addr_b32 v[136:137], v2 offset0:103 offset1:104
	s_waitcnt lgkmcnt(3)
	v_fmac_f32_e32 v173, v146, v130
	s_delay_alu instid0(VALU_DEP_1) | instskip(SKIP_4) | instid1(VALU_DEP_1)
	v_fmac_f32_e32 v173, v147, v131
	ds_load_2addr_b32 v[130:131], v2 offset0:105 offset1:106
	s_waitcnt lgkmcnt(3)
	v_fmac_f32_e32 v173, v148, v132
	s_waitcnt vmcnt(6)
	v_fmac_f32_e32 v173, v149, v133
	ds_load_2addr_b32 v[132:133], v2 offset0:107 offset1:108
	s_waitcnt lgkmcnt(3)
	v_fmac_f32_e32 v173, v150, v134
	s_delay_alu instid0(VALU_DEP_1) | instskip(SKIP_1) | instid1(VALU_DEP_1)
	v_fmac_f32_e32 v173, v151, v135
	s_waitcnt lgkmcnt(2)
	v_fmac_f32_e32 v173, v152, v136
	s_waitcnt vmcnt(5)
	s_delay_alu instid0(VALU_DEP_1) | instskip(SKIP_4) | instid1(VALU_DEP_1)
	v_fmac_f32_e32 v173, v153, v137
	ds_load_2addr_b32 v[134:135], v2 offset0:109 offset1:110
	ds_load_2addr_b32 v[136:137], v2 offset0:111 offset1:112
	s_waitcnt lgkmcnt(3)
	v_fmac_f32_e32 v173, v154, v130
	v_fmac_f32_e32 v173, v155, v131
	ds_load_2addr_b32 v[130:131], v2 offset0:113 offset1:114
	s_waitcnt lgkmcnt(3)
	v_fmac_f32_e32 v173, v156, v132
	s_waitcnt vmcnt(4)
	s_delay_alu instid0(VALU_DEP_1) | instskip(SKIP_3) | instid1(VALU_DEP_1)
	v_fmac_f32_e32 v173, v157, v133
	ds_load_2addr_b32 v[132:133], v2 offset0:115 offset1:116
	s_waitcnt lgkmcnt(3)
	v_fmac_f32_e32 v173, v158, v134
	v_fmac_f32_e32 v173, v159, v135
	s_waitcnt lgkmcnt(2)
	s_delay_alu instid0(VALU_DEP_1) | instskip(SKIP_1) | instid1(VALU_DEP_1)
	v_fmac_f32_e32 v173, v160, v136
	s_waitcnt vmcnt(3)
	v_fmac_f32_e32 v173, v161, v137
	ds_load_2addr_b32 v[134:135], v2 offset0:117 offset1:118
	ds_load_2addr_b32 v[136:137], v2 offset0:119 offset1:120
	s_waitcnt lgkmcnt(3)
	v_fmac_f32_e32 v173, v162, v130
	s_delay_alu instid0(VALU_DEP_1) | instskip(SKIP_4) | instid1(VALU_DEP_1)
	v_fmac_f32_e32 v173, v163, v131
	ds_load_2addr_b32 v[130:131], v2 offset0:121 offset1:122
	s_waitcnt lgkmcnt(3)
	v_fmac_f32_e32 v173, v164, v132
	s_waitcnt vmcnt(2)
	v_fmac_f32_e32 v173, v165, v133
	ds_load_2addr_b32 v[132:133], v2 offset0:123 offset1:124
	s_waitcnt lgkmcnt(3)
	v_fmac_f32_e32 v173, v166, v134
	ds_load_b32 v134, v2 offset:500
	v_fmac_f32_e32 v173, v167, v135
	s_waitcnt lgkmcnt(3)
	s_delay_alu instid0(VALU_DEP_1) | instskip(SKIP_1) | instid1(VALU_DEP_1)
	v_fmac_f32_e32 v173, v168, v136
	s_waitcnt vmcnt(1)
	v_fmac_f32_e32 v173, v169, v137
	s_waitcnt lgkmcnt(2)
	s_delay_alu instid0(VALU_DEP_1) | instskip(NEXT) | instid1(VALU_DEP_1)
	v_fmac_f32_e32 v173, v170, v130
	v_fmac_f32_e32 v173, v171, v131
	s_waitcnt lgkmcnt(1)
	s_delay_alu instid0(VALU_DEP_1) | instskip(SKIP_1) | instid1(VALU_DEP_1)
	v_fmac_f32_e32 v173, v172, v132
	s_waitcnt vmcnt(0)
	v_fmac_f32_e32 v173, v3, v133
	s_waitcnt lgkmcnt(0)
	s_delay_alu instid0(VALU_DEP_1) | instskip(NEXT) | instid1(VALU_DEP_1)
	v_fmac_f32_e32 v173, v4, v134
	v_sub_f32_e32 v3, v129, v173
	scratch_store_b32 off, v3, off offset:64
	v_cmpx_lt_u32_e32 15, v0
	s_cbranch_execz .LBB61_349
; %bb.348:
	scratch_load_b32 v3, off, off offset:60
	scratch_store_b32 off, v2, off offset:60
	s_waitcnt vmcnt(0)
	ds_store_b32 v1, v3
.LBB61_349:
	s_or_b32 exec_lo, exec_lo, s0
	s_waitcnt lgkmcnt(0)
	s_waitcnt_vscnt null, 0x0
	s_barrier
	buffer_gl0_inv
	s_clause 0xb
	scratch_load_b128 v[129:132], off, off offset:60
	scratch_load_b128 v[133:136], off, off offset:76
	;; [unrolled: 1-line block ×11, first 2 shown]
	scratch_load_b96 v[181:183], off, off offset:236
	ds_load_b128 v[173:176], v2 offset:320
	ds_load_b128 v[177:180], v2 offset:336
	s_mov_b32 s0, exec_lo
	s_waitcnt vmcnt(11) lgkmcnt(1)
	v_fma_f32 v4, v130, v173, 0
	s_delay_alu instid0(VALU_DEP_1) | instskip(NEXT) | instid1(VALU_DEP_1)
	v_fmac_f32_e32 v4, v131, v174
	v_fmac_f32_e32 v4, v132, v175
	s_waitcnt vmcnt(10)
	s_delay_alu instid0(VALU_DEP_1) | instskip(SKIP_3) | instid1(VALU_DEP_1)
	v_fmac_f32_e32 v4, v133, v176
	ds_load_b128 v[130:133], v2 offset:352
	s_waitcnt lgkmcnt(1)
	v_fmac_f32_e32 v4, v134, v177
	v_fmac_f32_e32 v4, v135, v178
	s_delay_alu instid0(VALU_DEP_1) | instskip(SKIP_1) | instid1(VALU_DEP_1)
	v_fmac_f32_e32 v4, v136, v179
	s_waitcnt vmcnt(9)
	v_fmac_f32_e32 v4, v137, v180
	ds_load_b128 v[134:137], v2 offset:368
	s_waitcnt lgkmcnt(1)
	v_fmac_f32_e32 v4, v138, v130
	s_delay_alu instid0(VALU_DEP_1) | instskip(NEXT) | instid1(VALU_DEP_1)
	v_fmac_f32_e32 v4, v139, v131
	v_fmac_f32_e32 v4, v140, v132
	s_waitcnt vmcnt(8)
	s_delay_alu instid0(VALU_DEP_1) | instskip(SKIP_3) | instid1(VALU_DEP_1)
	v_fmac_f32_e32 v4, v141, v133
	ds_load_b128 v[130:133], v2 offset:384
	s_waitcnt lgkmcnt(1)
	v_fmac_f32_e32 v4, v142, v134
	v_fmac_f32_e32 v4, v143, v135
	s_delay_alu instid0(VALU_DEP_1) | instskip(SKIP_1) | instid1(VALU_DEP_1)
	v_fmac_f32_e32 v4, v144, v136
	s_waitcnt vmcnt(7)
	v_fmac_f32_e32 v4, v145, v137
	ds_load_b128 v[134:137], v2 offset:400
	s_waitcnt lgkmcnt(1)
	v_fmac_f32_e32 v4, v146, v130
	;; [unrolled: 17-line block ×4, first 2 shown]
	s_delay_alu instid0(VALU_DEP_1) | instskip(NEXT) | instid1(VALU_DEP_1)
	v_fmac_f32_e32 v4, v163, v131
	v_fmac_f32_e32 v4, v164, v132
	s_waitcnt vmcnt(2)
	s_delay_alu instid0(VALU_DEP_1) | instskip(SKIP_4) | instid1(VALU_DEP_1)
	v_fmac_f32_e32 v4, v165, v133
	ds_load_b128 v[130:133], v2 offset:480
	ds_load_b64 v[2:3], v2 offset:496
	s_waitcnt lgkmcnt(2)
	v_fmac_f32_e32 v4, v166, v134
	v_fmac_f32_e32 v4, v167, v135
	s_delay_alu instid0(VALU_DEP_1) | instskip(SKIP_1) | instid1(VALU_DEP_1)
	v_fmac_f32_e32 v4, v168, v136
	s_waitcnt vmcnt(1)
	v_fmac_f32_e32 v4, v169, v137
	s_waitcnt lgkmcnt(1)
	s_delay_alu instid0(VALU_DEP_1) | instskip(NEXT) | instid1(VALU_DEP_1)
	v_fmac_f32_e32 v4, v170, v130
	v_fmac_f32_e32 v4, v171, v131
	s_delay_alu instid0(VALU_DEP_1) | instskip(SKIP_1) | instid1(VALU_DEP_1)
	v_fmac_f32_e32 v4, v172, v132
	s_waitcnt vmcnt(0)
	v_fmac_f32_e32 v4, v181, v133
	s_waitcnt lgkmcnt(0)
	s_delay_alu instid0(VALU_DEP_1) | instskip(NEXT) | instid1(VALU_DEP_1)
	v_fmac_f32_e32 v4, v182, v2
	v_fmac_f32_e32 v4, v183, v3
	s_delay_alu instid0(VALU_DEP_1)
	v_sub_f32_e32 v2, v129, v4
	scratch_store_b32 off, v2, off offset:60
	v_cmpx_lt_u32_e32 14, v0
	s_cbranch_execz .LBB61_351
; %bb.350:
	scratch_load_b32 v2, off, off offset:56
	v_mov_b32_e32 v3, 0
	scratch_store_b32 off, v3, off offset:56
	s_waitcnt vmcnt(0)
	ds_store_b32 v1, v2
.LBB61_351:
	s_or_b32 exec_lo, exec_lo, s0
	s_waitcnt lgkmcnt(0)
	s_waitcnt_vscnt null, 0x0
	s_barrier
	buffer_gl0_inv
	s_clause 0xb
	scratch_load_b128 v[129:132], off, off offset:56
	scratch_load_b128 v[133:136], off, off offset:72
	;; [unrolled: 1-line block ×12, first 2 shown]
	v_mov_b32_e32 v2, 0
	ds_load_2addr_b32 v[3:4], v2 offset0:79 offset1:80
	ds_load_2addr_b32 v[177:178], v2 offset0:81 offset1:82
	;; [unrolled: 1-line block ×4, first 2 shown]
	s_mov_b32 s0, exec_lo
	s_waitcnt vmcnt(11) lgkmcnt(3)
	v_fma_f32 v183, v130, v3, 0
	s_delay_alu instid0(VALU_DEP_1)
	v_fmac_f32_e32 v183, v131, v4
	ds_load_2addr_b32 v[3:4], v2 offset0:87 offset1:88
	ds_load_2addr_b32 v[130:131], v2 offset0:89 offset1:90
	s_waitcnt lgkmcnt(4)
	v_fmac_f32_e32 v183, v132, v177
	s_waitcnt vmcnt(10)
	s_delay_alu instid0(VALU_DEP_1) | instskip(SKIP_1) | instid1(VALU_DEP_1)
	v_fmac_f32_e32 v183, v133, v178
	s_waitcnt lgkmcnt(3)
	v_fmac_f32_e32 v183, v134, v179
	s_delay_alu instid0(VALU_DEP_1)
	v_fmac_f32_e32 v183, v135, v180
	ds_load_2addr_b32 v[132:133], v2 offset0:91 offset1:92
	ds_load_2addr_b32 v[134:135], v2 offset0:93 offset1:94
	s_waitcnt lgkmcnt(4)
	v_fmac_f32_e32 v183, v136, v181
	s_waitcnt vmcnt(9)
	s_delay_alu instid0(VALU_DEP_1) | instskip(SKIP_1) | instid1(VALU_DEP_1)
	v_fmac_f32_e32 v183, v137, v182
	s_waitcnt lgkmcnt(3)
	v_fmac_f32_e32 v183, v138, v3
	s_delay_alu instid0(VALU_DEP_1) | instskip(SKIP_4) | instid1(VALU_DEP_1)
	v_fmac_f32_e32 v183, v139, v4
	ds_load_2addr_b32 v[3:4], v2 offset0:95 offset1:96
	s_waitcnt lgkmcnt(3)
	v_fmac_f32_e32 v183, v140, v130
	s_waitcnt vmcnt(8)
	v_fmac_f32_e32 v183, v141, v131
	ds_load_2addr_b32 v[130:131], v2 offset0:97 offset1:98
	s_waitcnt lgkmcnt(3)
	v_fmac_f32_e32 v183, v142, v132
	s_delay_alu instid0(VALU_DEP_1) | instskip(SKIP_1) | instid1(VALU_DEP_1)
	v_fmac_f32_e32 v183, v143, v133
	s_waitcnt lgkmcnt(2)
	v_fmac_f32_e32 v183, v144, v134
	s_waitcnt vmcnt(7)
	s_delay_alu instid0(VALU_DEP_1) | instskip(SKIP_4) | instid1(VALU_DEP_1)
	v_fmac_f32_e32 v183, v145, v135
	ds_load_2addr_b32 v[132:133], v2 offset0:99 offset1:100
	ds_load_2addr_b32 v[134:135], v2 offset0:101 offset1:102
	s_waitcnt lgkmcnt(3)
	v_fmac_f32_e32 v183, v146, v3
	v_fmac_f32_e32 v183, v147, v4
	ds_load_2addr_b32 v[3:4], v2 offset0:103 offset1:104
	s_waitcnt lgkmcnt(3)
	v_fmac_f32_e32 v183, v148, v130
	s_waitcnt vmcnt(6)
	s_delay_alu instid0(VALU_DEP_1) | instskip(SKIP_3) | instid1(VALU_DEP_1)
	v_fmac_f32_e32 v183, v149, v131
	ds_load_2addr_b32 v[130:131], v2 offset0:105 offset1:106
	s_waitcnt lgkmcnt(3)
	v_fmac_f32_e32 v183, v150, v132
	v_fmac_f32_e32 v183, v151, v133
	s_waitcnt lgkmcnt(2)
	s_delay_alu instid0(VALU_DEP_1) | instskip(SKIP_1) | instid1(VALU_DEP_1)
	v_fmac_f32_e32 v183, v152, v134
	s_waitcnt vmcnt(5)
	v_fmac_f32_e32 v183, v153, v135
	ds_load_2addr_b32 v[132:133], v2 offset0:107 offset1:108
	ds_load_2addr_b32 v[134:135], v2 offset0:109 offset1:110
	s_waitcnt lgkmcnt(3)
	v_fmac_f32_e32 v183, v154, v3
	s_delay_alu instid0(VALU_DEP_1) | instskip(SKIP_4) | instid1(VALU_DEP_1)
	v_fmac_f32_e32 v183, v155, v4
	ds_load_2addr_b32 v[3:4], v2 offset0:111 offset1:112
	s_waitcnt lgkmcnt(3)
	v_fmac_f32_e32 v183, v156, v130
	s_waitcnt vmcnt(4)
	v_fmac_f32_e32 v183, v157, v131
	ds_load_2addr_b32 v[130:131], v2 offset0:113 offset1:114
	s_waitcnt lgkmcnt(3)
	v_fmac_f32_e32 v183, v158, v132
	s_delay_alu instid0(VALU_DEP_1) | instskip(SKIP_1) | instid1(VALU_DEP_1)
	v_fmac_f32_e32 v183, v159, v133
	s_waitcnt lgkmcnt(2)
	v_fmac_f32_e32 v183, v160, v134
	s_waitcnt vmcnt(3)
	s_delay_alu instid0(VALU_DEP_1) | instskip(SKIP_4) | instid1(VALU_DEP_1)
	v_fmac_f32_e32 v183, v161, v135
	ds_load_2addr_b32 v[132:133], v2 offset0:115 offset1:116
	ds_load_2addr_b32 v[134:135], v2 offset0:117 offset1:118
	s_waitcnt lgkmcnt(3)
	v_fmac_f32_e32 v183, v162, v3
	v_fmac_f32_e32 v183, v163, v4
	ds_load_2addr_b32 v[3:4], v2 offset0:119 offset1:120
	s_waitcnt lgkmcnt(3)
	v_fmac_f32_e32 v183, v164, v130
	s_waitcnt vmcnt(2)
	s_delay_alu instid0(VALU_DEP_1) | instskip(SKIP_3) | instid1(VALU_DEP_1)
	v_fmac_f32_e32 v183, v165, v131
	ds_load_2addr_b32 v[130:131], v2 offset0:121 offset1:122
	s_waitcnt lgkmcnt(3)
	v_fmac_f32_e32 v183, v166, v132
	v_fmac_f32_e32 v183, v167, v133
	s_waitcnt lgkmcnt(2)
	s_delay_alu instid0(VALU_DEP_1)
	v_fmac_f32_e32 v183, v168, v134
	ds_load_2addr_b32 v[132:133], v2 offset0:123 offset1:124
	ds_load_b32 v134, v2 offset:500
	s_waitcnt vmcnt(1)
	v_fmac_f32_e32 v183, v169, v135
	s_waitcnt lgkmcnt(3)
	s_delay_alu instid0(VALU_DEP_1) | instskip(NEXT) | instid1(VALU_DEP_1)
	v_fmac_f32_e32 v183, v170, v3
	v_fmac_f32_e32 v183, v171, v4
	s_waitcnt lgkmcnt(2)
	s_delay_alu instid0(VALU_DEP_1) | instskip(SKIP_1) | instid1(VALU_DEP_1)
	v_fmac_f32_e32 v183, v172, v130
	s_waitcnt vmcnt(0)
	v_fmac_f32_e32 v183, v173, v131
	s_waitcnt lgkmcnt(1)
	s_delay_alu instid0(VALU_DEP_1) | instskip(NEXT) | instid1(VALU_DEP_1)
	v_fmac_f32_e32 v183, v174, v132
	v_fmac_f32_e32 v183, v175, v133
	s_waitcnt lgkmcnt(0)
	s_delay_alu instid0(VALU_DEP_1) | instskip(NEXT) | instid1(VALU_DEP_1)
	v_fmac_f32_e32 v183, v176, v134
	v_sub_f32_e32 v3, v129, v183
	scratch_store_b32 off, v3, off offset:56
	v_cmpx_lt_u32_e32 13, v0
	s_cbranch_execz .LBB61_353
; %bb.352:
	scratch_load_b32 v3, off, off offset:52
	scratch_store_b32 off, v2, off offset:52
	s_waitcnt vmcnt(0)
	ds_store_b32 v1, v3
.LBB61_353:
	s_or_b32 exec_lo, exec_lo, s0
	s_waitcnt lgkmcnt(0)
	s_waitcnt_vscnt null, 0x0
	s_barrier
	buffer_gl0_inv
	s_clause 0xc
	scratch_load_b128 v[129:132], off, off offset:52
	scratch_load_b128 v[133:136], off, off offset:68
	;; [unrolled: 1-line block ×12, first 2 shown]
	scratch_load_b32 v3, off, off offset:244
	ds_load_2addr_b64 v[177:180], v2 offset0:39 offset1:40
	ds_load_2addr_b64 v[181:184], v2 offset0:41 offset1:42
	s_mov_b32 s0, exec_lo
	s_waitcnt vmcnt(12) lgkmcnt(1)
	v_fma_f32 v4, v130, v177, 0
	s_delay_alu instid0(VALU_DEP_1) | instskip(NEXT) | instid1(VALU_DEP_1)
	v_fmac_f32_e32 v4, v131, v178
	v_fmac_f32_e32 v4, v132, v179
	s_waitcnt vmcnt(11)
	s_delay_alu instid0(VALU_DEP_1) | instskip(SKIP_3) | instid1(VALU_DEP_1)
	v_fmac_f32_e32 v4, v133, v180
	ds_load_2addr_b64 v[130:133], v2 offset0:43 offset1:44
	s_waitcnt lgkmcnt(1)
	v_fmac_f32_e32 v4, v134, v181
	v_fmac_f32_e32 v4, v135, v182
	s_delay_alu instid0(VALU_DEP_1) | instskip(SKIP_1) | instid1(VALU_DEP_1)
	v_fmac_f32_e32 v4, v136, v183
	s_waitcnt vmcnt(10)
	v_fmac_f32_e32 v4, v137, v184
	ds_load_2addr_b64 v[134:137], v2 offset0:45 offset1:46
	s_waitcnt lgkmcnt(1)
	v_fmac_f32_e32 v4, v138, v130
	s_delay_alu instid0(VALU_DEP_1) | instskip(NEXT) | instid1(VALU_DEP_1)
	v_fmac_f32_e32 v4, v139, v131
	v_fmac_f32_e32 v4, v140, v132
	s_waitcnt vmcnt(9)
	s_delay_alu instid0(VALU_DEP_1) | instskip(SKIP_3) | instid1(VALU_DEP_1)
	v_fmac_f32_e32 v4, v141, v133
	ds_load_2addr_b64 v[130:133], v2 offset0:47 offset1:48
	s_waitcnt lgkmcnt(1)
	v_fmac_f32_e32 v4, v142, v134
	v_fmac_f32_e32 v4, v143, v135
	s_delay_alu instid0(VALU_DEP_1) | instskip(SKIP_1) | instid1(VALU_DEP_1)
	v_fmac_f32_e32 v4, v144, v136
	s_waitcnt vmcnt(8)
	v_fmac_f32_e32 v4, v145, v137
	ds_load_2addr_b64 v[134:137], v2 offset0:49 offset1:50
	s_waitcnt lgkmcnt(1)
	v_fmac_f32_e32 v4, v146, v130
	;; [unrolled: 17-line block ×5, first 2 shown]
	s_delay_alu instid0(VALU_DEP_1) | instskip(NEXT) | instid1(VALU_DEP_1)
	v_fmac_f32_e32 v4, v171, v131
	v_fmac_f32_e32 v4, v172, v132
	s_waitcnt vmcnt(1)
	s_delay_alu instid0(VALU_DEP_1) | instskip(SKIP_1) | instid1(VALU_DEP_1)
	v_fmac_f32_e32 v4, v173, v133
	s_waitcnt lgkmcnt(0)
	v_fmac_f32_e32 v4, v174, v134
	s_delay_alu instid0(VALU_DEP_1) | instskip(NEXT) | instid1(VALU_DEP_1)
	v_fmac_f32_e32 v4, v175, v135
	v_fmac_f32_e32 v4, v176, v136
	s_waitcnt vmcnt(0)
	s_delay_alu instid0(VALU_DEP_1) | instskip(NEXT) | instid1(VALU_DEP_1)
	v_fmac_f32_e32 v4, v3, v137
	v_sub_f32_e32 v2, v129, v4
	scratch_store_b32 off, v2, off offset:52
	v_cmpx_lt_u32_e32 12, v0
	s_cbranch_execz .LBB61_355
; %bb.354:
	scratch_load_b32 v2, off, off offset:48
	v_mov_b32_e32 v3, 0
	scratch_store_b32 off, v3, off offset:48
	s_waitcnt vmcnt(0)
	ds_store_b32 v1, v2
.LBB61_355:
	s_or_b32 exec_lo, exec_lo, s0
	s_waitcnt lgkmcnt(0)
	s_waitcnt_vscnt null, 0x0
	s_barrier
	buffer_gl0_inv
	s_clause 0xc
	scratch_load_b128 v[129:132], off, off offset:48
	scratch_load_b128 v[133:136], off, off offset:64
	;; [unrolled: 1-line block ×12, first 2 shown]
	scratch_load_b64 v[3:4], off, off offset:240
	v_mov_b32_e32 v2, 0
	ds_load_2addr_b32 v[177:178], v2 offset0:77 offset1:78
	ds_load_2addr_b32 v[179:180], v2 offset0:79 offset1:80
	;; [unrolled: 1-line block ×4, first 2 shown]
	s_mov_b32 s0, exec_lo
	s_waitcnt vmcnt(12) lgkmcnt(3)
	v_fma_f32 v177, v130, v177, 0
	s_delay_alu instid0(VALU_DEP_1) | instskip(SKIP_4) | instid1(VALU_DEP_1)
	v_fmac_f32_e32 v177, v131, v178
	ds_load_2addr_b32 v[130:131], v2 offset0:85 offset1:86
	s_waitcnt lgkmcnt(3)
	v_fmac_f32_e32 v177, v132, v179
	s_waitcnt vmcnt(11)
	v_fmac_f32_e32 v177, v133, v180
	ds_load_2addr_b32 v[132:133], v2 offset0:87 offset1:88
	s_waitcnt lgkmcnt(3)
	v_fmac_f32_e32 v177, v134, v181
	s_delay_alu instid0(VALU_DEP_1) | instskip(SKIP_1) | instid1(VALU_DEP_1)
	v_fmac_f32_e32 v177, v135, v182
	s_waitcnt lgkmcnt(2)
	v_fmac_f32_e32 v177, v136, v183
	s_waitcnt vmcnt(10)
	s_delay_alu instid0(VALU_DEP_1) | instskip(SKIP_4) | instid1(VALU_DEP_1)
	v_fmac_f32_e32 v177, v137, v184
	ds_load_2addr_b32 v[134:135], v2 offset0:89 offset1:90
	ds_load_2addr_b32 v[136:137], v2 offset0:91 offset1:92
	s_waitcnt lgkmcnt(3)
	v_fmac_f32_e32 v177, v138, v130
	v_fmac_f32_e32 v177, v139, v131
	ds_load_2addr_b32 v[130:131], v2 offset0:93 offset1:94
	s_waitcnt lgkmcnt(3)
	v_fmac_f32_e32 v177, v140, v132
	s_waitcnt vmcnt(9)
	s_delay_alu instid0(VALU_DEP_1) | instskip(SKIP_3) | instid1(VALU_DEP_1)
	v_fmac_f32_e32 v177, v141, v133
	ds_load_2addr_b32 v[132:133], v2 offset0:95 offset1:96
	s_waitcnt lgkmcnt(3)
	v_fmac_f32_e32 v177, v142, v134
	v_fmac_f32_e32 v177, v143, v135
	s_waitcnt lgkmcnt(2)
	s_delay_alu instid0(VALU_DEP_1) | instskip(SKIP_1) | instid1(VALU_DEP_1)
	v_fmac_f32_e32 v177, v144, v136
	s_waitcnt vmcnt(8)
	v_fmac_f32_e32 v177, v145, v137
	ds_load_2addr_b32 v[134:135], v2 offset0:97 offset1:98
	ds_load_2addr_b32 v[136:137], v2 offset0:99 offset1:100
	s_waitcnt lgkmcnt(3)
	v_fmac_f32_e32 v177, v146, v130
	s_delay_alu instid0(VALU_DEP_1) | instskip(SKIP_4) | instid1(VALU_DEP_1)
	v_fmac_f32_e32 v177, v147, v131
	ds_load_2addr_b32 v[130:131], v2 offset0:101 offset1:102
	s_waitcnt lgkmcnt(3)
	v_fmac_f32_e32 v177, v148, v132
	s_waitcnt vmcnt(7)
	v_fmac_f32_e32 v177, v149, v133
	ds_load_2addr_b32 v[132:133], v2 offset0:103 offset1:104
	s_waitcnt lgkmcnt(3)
	v_fmac_f32_e32 v177, v150, v134
	s_delay_alu instid0(VALU_DEP_1) | instskip(SKIP_1) | instid1(VALU_DEP_1)
	v_fmac_f32_e32 v177, v151, v135
	s_waitcnt lgkmcnt(2)
	v_fmac_f32_e32 v177, v152, v136
	s_waitcnt vmcnt(6)
	s_delay_alu instid0(VALU_DEP_1) | instskip(SKIP_4) | instid1(VALU_DEP_1)
	v_fmac_f32_e32 v177, v153, v137
	ds_load_2addr_b32 v[134:135], v2 offset0:105 offset1:106
	ds_load_2addr_b32 v[136:137], v2 offset0:107 offset1:108
	s_waitcnt lgkmcnt(3)
	v_fmac_f32_e32 v177, v154, v130
	v_fmac_f32_e32 v177, v155, v131
	ds_load_2addr_b32 v[130:131], v2 offset0:109 offset1:110
	s_waitcnt lgkmcnt(3)
	v_fmac_f32_e32 v177, v156, v132
	s_waitcnt vmcnt(5)
	s_delay_alu instid0(VALU_DEP_1) | instskip(SKIP_3) | instid1(VALU_DEP_1)
	v_fmac_f32_e32 v177, v157, v133
	ds_load_2addr_b32 v[132:133], v2 offset0:111 offset1:112
	s_waitcnt lgkmcnt(3)
	v_fmac_f32_e32 v177, v158, v134
	v_fmac_f32_e32 v177, v159, v135
	s_waitcnt lgkmcnt(2)
	s_delay_alu instid0(VALU_DEP_1) | instskip(SKIP_1) | instid1(VALU_DEP_1)
	v_fmac_f32_e32 v177, v160, v136
	s_waitcnt vmcnt(4)
	v_fmac_f32_e32 v177, v161, v137
	ds_load_2addr_b32 v[134:135], v2 offset0:113 offset1:114
	ds_load_2addr_b32 v[136:137], v2 offset0:115 offset1:116
	s_waitcnt lgkmcnt(3)
	v_fmac_f32_e32 v177, v162, v130
	s_delay_alu instid0(VALU_DEP_1) | instskip(SKIP_4) | instid1(VALU_DEP_1)
	v_fmac_f32_e32 v177, v163, v131
	ds_load_2addr_b32 v[130:131], v2 offset0:117 offset1:118
	s_waitcnt lgkmcnt(3)
	v_fmac_f32_e32 v177, v164, v132
	s_waitcnt vmcnt(3)
	v_fmac_f32_e32 v177, v165, v133
	ds_load_2addr_b32 v[132:133], v2 offset0:119 offset1:120
	s_waitcnt lgkmcnt(3)
	v_fmac_f32_e32 v177, v166, v134
	s_delay_alu instid0(VALU_DEP_1) | instskip(SKIP_1) | instid1(VALU_DEP_1)
	v_fmac_f32_e32 v177, v167, v135
	s_waitcnt lgkmcnt(2)
	v_fmac_f32_e32 v177, v168, v136
	s_waitcnt vmcnt(2)
	s_delay_alu instid0(VALU_DEP_1)
	v_fmac_f32_e32 v177, v169, v137
	ds_load_2addr_b32 v[134:135], v2 offset0:121 offset1:122
	ds_load_2addr_b32 v[136:137], v2 offset0:123 offset1:124
	s_waitcnt lgkmcnt(3)
	v_fmac_f32_e32 v177, v170, v130
	ds_load_b32 v130, v2 offset:500
	v_fmac_f32_e32 v177, v171, v131
	s_waitcnt lgkmcnt(3)
	s_delay_alu instid0(VALU_DEP_1) | instskip(SKIP_1) | instid1(VALU_DEP_1)
	v_fmac_f32_e32 v177, v172, v132
	s_waitcnt vmcnt(1)
	v_fmac_f32_e32 v177, v173, v133
	s_waitcnt lgkmcnt(2)
	s_delay_alu instid0(VALU_DEP_1) | instskip(NEXT) | instid1(VALU_DEP_1)
	v_fmac_f32_e32 v177, v174, v134
	v_fmac_f32_e32 v177, v175, v135
	s_waitcnt lgkmcnt(1)
	s_delay_alu instid0(VALU_DEP_1) | instskip(SKIP_1) | instid1(VALU_DEP_1)
	v_fmac_f32_e32 v177, v176, v136
	s_waitcnt vmcnt(0)
	v_fmac_f32_e32 v177, v3, v137
	s_waitcnt lgkmcnt(0)
	s_delay_alu instid0(VALU_DEP_1) | instskip(NEXT) | instid1(VALU_DEP_1)
	v_fmac_f32_e32 v177, v4, v130
	v_sub_f32_e32 v3, v129, v177
	scratch_store_b32 off, v3, off offset:48
	v_cmpx_lt_u32_e32 11, v0
	s_cbranch_execz .LBB61_357
; %bb.356:
	scratch_load_b32 v3, off, off offset:44
	scratch_store_b32 off, v2, off offset:44
	s_waitcnt vmcnt(0)
	ds_store_b32 v1, v3
.LBB61_357:
	s_or_b32 exec_lo, exec_lo, s0
	s_waitcnt lgkmcnt(0)
	s_waitcnt_vscnt null, 0x0
	s_barrier
	buffer_gl0_inv
	s_clause 0xc
	scratch_load_b128 v[129:132], off, off offset:44
	scratch_load_b128 v[133:136], off, off offset:60
	scratch_load_b128 v[137:140], off, off offset:76
	scratch_load_b128 v[141:144], off, off offset:92
	scratch_load_b128 v[145:148], off, off offset:108
	scratch_load_b128 v[149:152], off, off offset:124
	scratch_load_b128 v[153:156], off, off offset:140
	scratch_load_b128 v[157:160], off, off offset:156
	scratch_load_b128 v[161:164], off, off offset:172
	scratch_load_b128 v[165:168], off, off offset:188
	scratch_load_b128 v[169:172], off, off offset:204
	scratch_load_b128 v[173:176], off, off offset:220
	scratch_load_b96 v[185:187], off, off offset:236
	ds_load_b128 v[177:180], v2 offset:304
	ds_load_b128 v[181:184], v2 offset:320
	s_mov_b32 s0, exec_lo
	s_waitcnt vmcnt(12) lgkmcnt(1)
	v_fma_f32 v4, v130, v177, 0
	s_delay_alu instid0(VALU_DEP_1) | instskip(NEXT) | instid1(VALU_DEP_1)
	v_fmac_f32_e32 v4, v131, v178
	v_fmac_f32_e32 v4, v132, v179
	s_waitcnt vmcnt(11)
	s_delay_alu instid0(VALU_DEP_1) | instskip(SKIP_3) | instid1(VALU_DEP_1)
	v_fmac_f32_e32 v4, v133, v180
	ds_load_b128 v[130:133], v2 offset:336
	s_waitcnt lgkmcnt(1)
	v_fmac_f32_e32 v4, v134, v181
	v_fmac_f32_e32 v4, v135, v182
	s_delay_alu instid0(VALU_DEP_1) | instskip(SKIP_1) | instid1(VALU_DEP_1)
	v_fmac_f32_e32 v4, v136, v183
	s_waitcnt vmcnt(10)
	v_fmac_f32_e32 v4, v137, v184
	ds_load_b128 v[134:137], v2 offset:352
	s_waitcnt lgkmcnt(1)
	v_fmac_f32_e32 v4, v138, v130
	s_delay_alu instid0(VALU_DEP_1) | instskip(NEXT) | instid1(VALU_DEP_1)
	v_fmac_f32_e32 v4, v139, v131
	v_fmac_f32_e32 v4, v140, v132
	s_waitcnt vmcnt(9)
	s_delay_alu instid0(VALU_DEP_1) | instskip(SKIP_3) | instid1(VALU_DEP_1)
	v_fmac_f32_e32 v4, v141, v133
	ds_load_b128 v[130:133], v2 offset:368
	s_waitcnt lgkmcnt(1)
	v_fmac_f32_e32 v4, v142, v134
	v_fmac_f32_e32 v4, v143, v135
	s_delay_alu instid0(VALU_DEP_1) | instskip(SKIP_1) | instid1(VALU_DEP_1)
	v_fmac_f32_e32 v4, v144, v136
	s_waitcnt vmcnt(8)
	v_fmac_f32_e32 v4, v145, v137
	ds_load_b128 v[134:137], v2 offset:384
	s_waitcnt lgkmcnt(1)
	v_fmac_f32_e32 v4, v146, v130
	;; [unrolled: 17-line block ×4, first 2 shown]
	s_delay_alu instid0(VALU_DEP_1) | instskip(NEXT) | instid1(VALU_DEP_1)
	v_fmac_f32_e32 v4, v163, v131
	v_fmac_f32_e32 v4, v164, v132
	s_waitcnt vmcnt(3)
	s_delay_alu instid0(VALU_DEP_1) | instskip(SKIP_3) | instid1(VALU_DEP_1)
	v_fmac_f32_e32 v4, v165, v133
	ds_load_b128 v[130:133], v2 offset:464
	s_waitcnt lgkmcnt(1)
	v_fmac_f32_e32 v4, v166, v134
	v_fmac_f32_e32 v4, v167, v135
	s_delay_alu instid0(VALU_DEP_1) | instskip(SKIP_1) | instid1(VALU_DEP_1)
	v_fmac_f32_e32 v4, v168, v136
	s_waitcnt vmcnt(2)
	v_fmac_f32_e32 v4, v169, v137
	ds_load_b128 v[134:137], v2 offset:480
	ds_load_b64 v[2:3], v2 offset:496
	s_waitcnt lgkmcnt(2)
	v_fmac_f32_e32 v4, v170, v130
	s_delay_alu instid0(VALU_DEP_1) | instskip(NEXT) | instid1(VALU_DEP_1)
	v_fmac_f32_e32 v4, v171, v131
	v_fmac_f32_e32 v4, v172, v132
	s_waitcnt vmcnt(1)
	s_delay_alu instid0(VALU_DEP_1) | instskip(SKIP_1) | instid1(VALU_DEP_1)
	v_fmac_f32_e32 v4, v173, v133
	s_waitcnt lgkmcnt(1)
	v_fmac_f32_e32 v4, v174, v134
	s_delay_alu instid0(VALU_DEP_1) | instskip(NEXT) | instid1(VALU_DEP_1)
	v_fmac_f32_e32 v4, v175, v135
	v_fmac_f32_e32 v4, v176, v136
	s_waitcnt vmcnt(0)
	s_delay_alu instid0(VALU_DEP_1) | instskip(SKIP_1) | instid1(VALU_DEP_1)
	v_fmac_f32_e32 v4, v185, v137
	s_waitcnt lgkmcnt(0)
	v_fmac_f32_e32 v4, v186, v2
	s_delay_alu instid0(VALU_DEP_1) | instskip(NEXT) | instid1(VALU_DEP_1)
	v_fmac_f32_e32 v4, v187, v3
	v_sub_f32_e32 v2, v129, v4
	scratch_store_b32 off, v2, off offset:44
	v_cmpx_lt_u32_e32 10, v0
	s_cbranch_execz .LBB61_359
; %bb.358:
	scratch_load_b32 v2, off, off offset:40
	v_mov_b32_e32 v3, 0
	scratch_store_b32 off, v3, off offset:40
	s_waitcnt vmcnt(0)
	ds_store_b32 v1, v2
.LBB61_359:
	s_or_b32 exec_lo, exec_lo, s0
	s_waitcnt lgkmcnt(0)
	s_waitcnt_vscnt null, 0x0
	s_barrier
	buffer_gl0_inv
	s_clause 0xc
	scratch_load_b128 v[129:132], off, off offset:40
	scratch_load_b128 v[133:136], off, off offset:56
	;; [unrolled: 1-line block ×13, first 2 shown]
	v_mov_b32_e32 v2, 0
	ds_load_2addr_b32 v[3:4], v2 offset0:75 offset1:76
	ds_load_2addr_b32 v[181:182], v2 offset0:77 offset1:78
	;; [unrolled: 1-line block ×4, first 2 shown]
	s_mov_b32 s0, exec_lo
	s_waitcnt vmcnt(12) lgkmcnt(3)
	v_fma_f32 v187, v130, v3, 0
	s_delay_alu instid0(VALU_DEP_1)
	v_fmac_f32_e32 v187, v131, v4
	ds_load_2addr_b32 v[3:4], v2 offset0:83 offset1:84
	ds_load_2addr_b32 v[130:131], v2 offset0:85 offset1:86
	s_waitcnt lgkmcnt(4)
	v_fmac_f32_e32 v187, v132, v181
	s_waitcnt vmcnt(11)
	s_delay_alu instid0(VALU_DEP_1) | instskip(SKIP_1) | instid1(VALU_DEP_1)
	v_fmac_f32_e32 v187, v133, v182
	s_waitcnt lgkmcnt(3)
	v_fmac_f32_e32 v187, v134, v183
	s_delay_alu instid0(VALU_DEP_1)
	v_fmac_f32_e32 v187, v135, v184
	ds_load_2addr_b32 v[132:133], v2 offset0:87 offset1:88
	ds_load_2addr_b32 v[134:135], v2 offset0:89 offset1:90
	s_waitcnt lgkmcnt(4)
	v_fmac_f32_e32 v187, v136, v185
	s_waitcnt vmcnt(10)
	s_delay_alu instid0(VALU_DEP_1) | instskip(SKIP_1) | instid1(VALU_DEP_1)
	v_fmac_f32_e32 v187, v137, v186
	s_waitcnt lgkmcnt(3)
	v_fmac_f32_e32 v187, v138, v3
	s_delay_alu instid0(VALU_DEP_1) | instskip(SKIP_4) | instid1(VALU_DEP_1)
	v_fmac_f32_e32 v187, v139, v4
	ds_load_2addr_b32 v[3:4], v2 offset0:91 offset1:92
	s_waitcnt lgkmcnt(3)
	v_fmac_f32_e32 v187, v140, v130
	s_waitcnt vmcnt(9)
	v_fmac_f32_e32 v187, v141, v131
	ds_load_2addr_b32 v[130:131], v2 offset0:93 offset1:94
	s_waitcnt lgkmcnt(3)
	v_fmac_f32_e32 v187, v142, v132
	s_delay_alu instid0(VALU_DEP_1) | instskip(SKIP_1) | instid1(VALU_DEP_1)
	v_fmac_f32_e32 v187, v143, v133
	s_waitcnt lgkmcnt(2)
	v_fmac_f32_e32 v187, v144, v134
	s_waitcnt vmcnt(8)
	s_delay_alu instid0(VALU_DEP_1) | instskip(SKIP_4) | instid1(VALU_DEP_1)
	v_fmac_f32_e32 v187, v145, v135
	ds_load_2addr_b32 v[132:133], v2 offset0:95 offset1:96
	ds_load_2addr_b32 v[134:135], v2 offset0:97 offset1:98
	s_waitcnt lgkmcnt(3)
	v_fmac_f32_e32 v187, v146, v3
	v_fmac_f32_e32 v187, v147, v4
	ds_load_2addr_b32 v[3:4], v2 offset0:99 offset1:100
	s_waitcnt lgkmcnt(3)
	v_fmac_f32_e32 v187, v148, v130
	s_waitcnt vmcnt(7)
	s_delay_alu instid0(VALU_DEP_1) | instskip(SKIP_3) | instid1(VALU_DEP_1)
	v_fmac_f32_e32 v187, v149, v131
	ds_load_2addr_b32 v[130:131], v2 offset0:101 offset1:102
	s_waitcnt lgkmcnt(3)
	v_fmac_f32_e32 v187, v150, v132
	v_fmac_f32_e32 v187, v151, v133
	s_waitcnt lgkmcnt(2)
	s_delay_alu instid0(VALU_DEP_1) | instskip(SKIP_1) | instid1(VALU_DEP_1)
	v_fmac_f32_e32 v187, v152, v134
	s_waitcnt vmcnt(6)
	v_fmac_f32_e32 v187, v153, v135
	ds_load_2addr_b32 v[132:133], v2 offset0:103 offset1:104
	ds_load_2addr_b32 v[134:135], v2 offset0:105 offset1:106
	s_waitcnt lgkmcnt(3)
	v_fmac_f32_e32 v187, v154, v3
	s_delay_alu instid0(VALU_DEP_1) | instskip(SKIP_4) | instid1(VALU_DEP_1)
	v_fmac_f32_e32 v187, v155, v4
	ds_load_2addr_b32 v[3:4], v2 offset0:107 offset1:108
	s_waitcnt lgkmcnt(3)
	v_fmac_f32_e32 v187, v156, v130
	s_waitcnt vmcnt(5)
	v_fmac_f32_e32 v187, v157, v131
	ds_load_2addr_b32 v[130:131], v2 offset0:109 offset1:110
	s_waitcnt lgkmcnt(3)
	v_fmac_f32_e32 v187, v158, v132
	s_delay_alu instid0(VALU_DEP_1) | instskip(SKIP_1) | instid1(VALU_DEP_1)
	v_fmac_f32_e32 v187, v159, v133
	s_waitcnt lgkmcnt(2)
	v_fmac_f32_e32 v187, v160, v134
	s_waitcnt vmcnt(4)
	s_delay_alu instid0(VALU_DEP_1) | instskip(SKIP_4) | instid1(VALU_DEP_1)
	v_fmac_f32_e32 v187, v161, v135
	ds_load_2addr_b32 v[132:133], v2 offset0:111 offset1:112
	ds_load_2addr_b32 v[134:135], v2 offset0:113 offset1:114
	s_waitcnt lgkmcnt(3)
	v_fmac_f32_e32 v187, v162, v3
	v_fmac_f32_e32 v187, v163, v4
	ds_load_2addr_b32 v[3:4], v2 offset0:115 offset1:116
	s_waitcnt lgkmcnt(3)
	v_fmac_f32_e32 v187, v164, v130
	s_waitcnt vmcnt(3)
	s_delay_alu instid0(VALU_DEP_1) | instskip(SKIP_3) | instid1(VALU_DEP_1)
	v_fmac_f32_e32 v187, v165, v131
	ds_load_2addr_b32 v[130:131], v2 offset0:117 offset1:118
	s_waitcnt lgkmcnt(3)
	v_fmac_f32_e32 v187, v166, v132
	v_fmac_f32_e32 v187, v167, v133
	s_waitcnt lgkmcnt(2)
	s_delay_alu instid0(VALU_DEP_1) | instskip(SKIP_1) | instid1(VALU_DEP_1)
	v_fmac_f32_e32 v187, v168, v134
	s_waitcnt vmcnt(2)
	v_fmac_f32_e32 v187, v169, v135
	ds_load_2addr_b32 v[132:133], v2 offset0:119 offset1:120
	ds_load_2addr_b32 v[134:135], v2 offset0:121 offset1:122
	s_waitcnt lgkmcnt(3)
	v_fmac_f32_e32 v187, v170, v3
	s_delay_alu instid0(VALU_DEP_1)
	v_fmac_f32_e32 v187, v171, v4
	ds_load_2addr_b32 v[3:4], v2 offset0:123 offset1:124
	s_waitcnt lgkmcnt(3)
	v_fmac_f32_e32 v187, v172, v130
	ds_load_b32 v130, v2 offset:500
	s_waitcnt vmcnt(1)
	v_fmac_f32_e32 v187, v173, v131
	s_waitcnt lgkmcnt(3)
	s_delay_alu instid0(VALU_DEP_1) | instskip(NEXT) | instid1(VALU_DEP_1)
	v_fmac_f32_e32 v187, v174, v132
	v_fmac_f32_e32 v187, v175, v133
	s_waitcnt lgkmcnt(2)
	s_delay_alu instid0(VALU_DEP_1) | instskip(SKIP_1) | instid1(VALU_DEP_1)
	v_fmac_f32_e32 v187, v176, v134
	s_waitcnt vmcnt(0)
	v_fmac_f32_e32 v187, v177, v135
	s_waitcnt lgkmcnt(1)
	s_delay_alu instid0(VALU_DEP_1) | instskip(NEXT) | instid1(VALU_DEP_1)
	v_fmac_f32_e32 v187, v178, v3
	v_fmac_f32_e32 v187, v179, v4
	s_waitcnt lgkmcnt(0)
	s_delay_alu instid0(VALU_DEP_1) | instskip(NEXT) | instid1(VALU_DEP_1)
	v_fmac_f32_e32 v187, v180, v130
	v_sub_f32_e32 v3, v129, v187
	scratch_store_b32 off, v3, off offset:40
	v_cmpx_lt_u32_e32 9, v0
	s_cbranch_execz .LBB61_361
; %bb.360:
	scratch_load_b32 v3, off, off offset:36
	scratch_store_b32 off, v2, off offset:36
	s_waitcnt vmcnt(0)
	ds_store_b32 v1, v3
.LBB61_361:
	s_or_b32 exec_lo, exec_lo, s0
	s_waitcnt lgkmcnt(0)
	s_waitcnt_vscnt null, 0x0
	s_barrier
	buffer_gl0_inv
	s_clause 0xd
	scratch_load_b128 v[129:132], off, off offset:36
	scratch_load_b128 v[133:136], off, off offset:52
	;; [unrolled: 1-line block ×13, first 2 shown]
	scratch_load_b32 v3, off, off offset:244
	ds_load_2addr_b64 v[181:184], v2 offset0:37 offset1:38
	ds_load_2addr_b64 v[185:188], v2 offset0:39 offset1:40
	s_mov_b32 s0, exec_lo
	s_waitcnt vmcnt(13) lgkmcnt(1)
	v_fma_f32 v4, v130, v181, 0
	s_delay_alu instid0(VALU_DEP_1) | instskip(NEXT) | instid1(VALU_DEP_1)
	v_fmac_f32_e32 v4, v131, v182
	v_fmac_f32_e32 v4, v132, v183
	s_waitcnt vmcnt(12)
	s_delay_alu instid0(VALU_DEP_1) | instskip(SKIP_3) | instid1(VALU_DEP_1)
	v_fmac_f32_e32 v4, v133, v184
	ds_load_2addr_b64 v[130:133], v2 offset0:41 offset1:42
	s_waitcnt lgkmcnt(1)
	v_fmac_f32_e32 v4, v134, v185
	v_fmac_f32_e32 v4, v135, v186
	s_delay_alu instid0(VALU_DEP_1) | instskip(SKIP_1) | instid1(VALU_DEP_1)
	v_fmac_f32_e32 v4, v136, v187
	s_waitcnt vmcnt(11)
	v_fmac_f32_e32 v4, v137, v188
	ds_load_2addr_b64 v[134:137], v2 offset0:43 offset1:44
	s_waitcnt lgkmcnt(1)
	v_fmac_f32_e32 v4, v138, v130
	s_delay_alu instid0(VALU_DEP_1) | instskip(NEXT) | instid1(VALU_DEP_1)
	v_fmac_f32_e32 v4, v139, v131
	v_fmac_f32_e32 v4, v140, v132
	s_waitcnt vmcnt(10)
	s_delay_alu instid0(VALU_DEP_1) | instskip(SKIP_3) | instid1(VALU_DEP_1)
	v_fmac_f32_e32 v4, v141, v133
	ds_load_2addr_b64 v[130:133], v2 offset0:45 offset1:46
	s_waitcnt lgkmcnt(1)
	v_fmac_f32_e32 v4, v142, v134
	v_fmac_f32_e32 v4, v143, v135
	s_delay_alu instid0(VALU_DEP_1) | instskip(SKIP_1) | instid1(VALU_DEP_1)
	v_fmac_f32_e32 v4, v144, v136
	s_waitcnt vmcnt(9)
	v_fmac_f32_e32 v4, v145, v137
	ds_load_2addr_b64 v[134:137], v2 offset0:47 offset1:48
	s_waitcnt lgkmcnt(1)
	v_fmac_f32_e32 v4, v146, v130
	;; [unrolled: 17-line block ×5, first 2 shown]
	s_delay_alu instid0(VALU_DEP_1) | instskip(NEXT) | instid1(VALU_DEP_1)
	v_fmac_f32_e32 v4, v171, v131
	v_fmac_f32_e32 v4, v172, v132
	s_waitcnt vmcnt(2)
	s_delay_alu instid0(VALU_DEP_1) | instskip(SKIP_3) | instid1(VALU_DEP_1)
	v_fmac_f32_e32 v4, v173, v133
	ds_load_2addr_b64 v[130:133], v2 offset0:61 offset1:62
	s_waitcnt lgkmcnt(1)
	v_fmac_f32_e32 v4, v174, v134
	v_fmac_f32_e32 v4, v175, v135
	s_delay_alu instid0(VALU_DEP_1) | instskip(SKIP_1) | instid1(VALU_DEP_1)
	v_fmac_f32_e32 v4, v176, v136
	s_waitcnt vmcnt(1)
	v_fmac_f32_e32 v4, v177, v137
	s_waitcnt lgkmcnt(0)
	s_delay_alu instid0(VALU_DEP_1) | instskip(NEXT) | instid1(VALU_DEP_1)
	v_fmac_f32_e32 v4, v178, v130
	v_fmac_f32_e32 v4, v179, v131
	s_delay_alu instid0(VALU_DEP_1) | instskip(SKIP_1) | instid1(VALU_DEP_1)
	v_fmac_f32_e32 v4, v180, v132
	s_waitcnt vmcnt(0)
	v_fmac_f32_e32 v4, v3, v133
	s_delay_alu instid0(VALU_DEP_1)
	v_sub_f32_e32 v2, v129, v4
	scratch_store_b32 off, v2, off offset:36
	v_cmpx_lt_u32_e32 8, v0
	s_cbranch_execz .LBB61_363
; %bb.362:
	scratch_load_b32 v2, off, off offset:32
	v_mov_b32_e32 v3, 0
	scratch_store_b32 off, v3, off offset:32
	s_waitcnt vmcnt(0)
	ds_store_b32 v1, v2
.LBB61_363:
	s_or_b32 exec_lo, exec_lo, s0
	s_waitcnt lgkmcnt(0)
	s_waitcnt_vscnt null, 0x0
	s_barrier
	buffer_gl0_inv
	s_clause 0xd
	scratch_load_b128 v[129:132], off, off offset:32
	scratch_load_b128 v[133:136], off, off offset:48
	;; [unrolled: 1-line block ×13, first 2 shown]
	scratch_load_b64 v[3:4], off, off offset:240
	v_mov_b32_e32 v2, 0
	ds_load_2addr_b32 v[181:182], v2 offset0:73 offset1:74
	ds_load_2addr_b32 v[183:184], v2 offset0:75 offset1:76
	;; [unrolled: 1-line block ×4, first 2 shown]
	s_mov_b32 s0, exec_lo
	s_waitcnt vmcnt(13) lgkmcnt(3)
	v_fma_f32 v181, v130, v181, 0
	s_delay_alu instid0(VALU_DEP_1) | instskip(SKIP_4) | instid1(VALU_DEP_1)
	v_fmac_f32_e32 v181, v131, v182
	ds_load_2addr_b32 v[130:131], v2 offset0:81 offset1:82
	s_waitcnt lgkmcnt(3)
	v_fmac_f32_e32 v181, v132, v183
	s_waitcnt vmcnt(12)
	v_fmac_f32_e32 v181, v133, v184
	ds_load_2addr_b32 v[132:133], v2 offset0:83 offset1:84
	s_waitcnt lgkmcnt(3)
	v_fmac_f32_e32 v181, v134, v185
	s_delay_alu instid0(VALU_DEP_1) | instskip(SKIP_1) | instid1(VALU_DEP_1)
	v_fmac_f32_e32 v181, v135, v186
	s_waitcnt lgkmcnt(2)
	v_fmac_f32_e32 v181, v136, v187
	s_waitcnt vmcnt(11)
	s_delay_alu instid0(VALU_DEP_1) | instskip(SKIP_4) | instid1(VALU_DEP_1)
	v_fmac_f32_e32 v181, v137, v188
	ds_load_2addr_b32 v[134:135], v2 offset0:85 offset1:86
	ds_load_2addr_b32 v[136:137], v2 offset0:87 offset1:88
	s_waitcnt lgkmcnt(3)
	v_fmac_f32_e32 v181, v138, v130
	v_fmac_f32_e32 v181, v139, v131
	ds_load_2addr_b32 v[130:131], v2 offset0:89 offset1:90
	s_waitcnt lgkmcnt(3)
	v_fmac_f32_e32 v181, v140, v132
	s_waitcnt vmcnt(10)
	s_delay_alu instid0(VALU_DEP_1) | instskip(SKIP_3) | instid1(VALU_DEP_1)
	v_fmac_f32_e32 v181, v141, v133
	ds_load_2addr_b32 v[132:133], v2 offset0:91 offset1:92
	s_waitcnt lgkmcnt(3)
	v_fmac_f32_e32 v181, v142, v134
	v_fmac_f32_e32 v181, v143, v135
	s_waitcnt lgkmcnt(2)
	s_delay_alu instid0(VALU_DEP_1) | instskip(SKIP_1) | instid1(VALU_DEP_1)
	v_fmac_f32_e32 v181, v144, v136
	s_waitcnt vmcnt(9)
	v_fmac_f32_e32 v181, v145, v137
	ds_load_2addr_b32 v[134:135], v2 offset0:93 offset1:94
	ds_load_2addr_b32 v[136:137], v2 offset0:95 offset1:96
	s_waitcnt lgkmcnt(3)
	v_fmac_f32_e32 v181, v146, v130
	s_delay_alu instid0(VALU_DEP_1) | instskip(SKIP_4) | instid1(VALU_DEP_1)
	v_fmac_f32_e32 v181, v147, v131
	ds_load_2addr_b32 v[130:131], v2 offset0:97 offset1:98
	s_waitcnt lgkmcnt(3)
	v_fmac_f32_e32 v181, v148, v132
	s_waitcnt vmcnt(8)
	v_fmac_f32_e32 v181, v149, v133
	ds_load_2addr_b32 v[132:133], v2 offset0:99 offset1:100
	s_waitcnt lgkmcnt(3)
	v_fmac_f32_e32 v181, v150, v134
	s_delay_alu instid0(VALU_DEP_1) | instskip(SKIP_1) | instid1(VALU_DEP_1)
	v_fmac_f32_e32 v181, v151, v135
	s_waitcnt lgkmcnt(2)
	v_fmac_f32_e32 v181, v152, v136
	s_waitcnt vmcnt(7)
	s_delay_alu instid0(VALU_DEP_1) | instskip(SKIP_4) | instid1(VALU_DEP_1)
	v_fmac_f32_e32 v181, v153, v137
	ds_load_2addr_b32 v[134:135], v2 offset0:101 offset1:102
	ds_load_2addr_b32 v[136:137], v2 offset0:103 offset1:104
	s_waitcnt lgkmcnt(3)
	v_fmac_f32_e32 v181, v154, v130
	v_fmac_f32_e32 v181, v155, v131
	ds_load_2addr_b32 v[130:131], v2 offset0:105 offset1:106
	s_waitcnt lgkmcnt(3)
	v_fmac_f32_e32 v181, v156, v132
	s_waitcnt vmcnt(6)
	s_delay_alu instid0(VALU_DEP_1) | instskip(SKIP_3) | instid1(VALU_DEP_1)
	v_fmac_f32_e32 v181, v157, v133
	ds_load_2addr_b32 v[132:133], v2 offset0:107 offset1:108
	s_waitcnt lgkmcnt(3)
	v_fmac_f32_e32 v181, v158, v134
	v_fmac_f32_e32 v181, v159, v135
	s_waitcnt lgkmcnt(2)
	s_delay_alu instid0(VALU_DEP_1) | instskip(SKIP_1) | instid1(VALU_DEP_1)
	v_fmac_f32_e32 v181, v160, v136
	s_waitcnt vmcnt(5)
	v_fmac_f32_e32 v181, v161, v137
	ds_load_2addr_b32 v[134:135], v2 offset0:109 offset1:110
	ds_load_2addr_b32 v[136:137], v2 offset0:111 offset1:112
	s_waitcnt lgkmcnt(3)
	v_fmac_f32_e32 v181, v162, v130
	s_delay_alu instid0(VALU_DEP_1) | instskip(SKIP_4) | instid1(VALU_DEP_1)
	v_fmac_f32_e32 v181, v163, v131
	ds_load_2addr_b32 v[130:131], v2 offset0:113 offset1:114
	s_waitcnt lgkmcnt(3)
	v_fmac_f32_e32 v181, v164, v132
	s_waitcnt vmcnt(4)
	v_fmac_f32_e32 v181, v165, v133
	ds_load_2addr_b32 v[132:133], v2 offset0:115 offset1:116
	s_waitcnt lgkmcnt(3)
	v_fmac_f32_e32 v181, v166, v134
	s_delay_alu instid0(VALU_DEP_1) | instskip(SKIP_1) | instid1(VALU_DEP_1)
	v_fmac_f32_e32 v181, v167, v135
	s_waitcnt lgkmcnt(2)
	v_fmac_f32_e32 v181, v168, v136
	s_waitcnt vmcnt(3)
	s_delay_alu instid0(VALU_DEP_1) | instskip(SKIP_4) | instid1(VALU_DEP_1)
	v_fmac_f32_e32 v181, v169, v137
	ds_load_2addr_b32 v[134:135], v2 offset0:117 offset1:118
	ds_load_2addr_b32 v[136:137], v2 offset0:119 offset1:120
	s_waitcnt lgkmcnt(3)
	v_fmac_f32_e32 v181, v170, v130
	v_fmac_f32_e32 v181, v171, v131
	ds_load_2addr_b32 v[130:131], v2 offset0:121 offset1:122
	s_waitcnt lgkmcnt(3)
	v_fmac_f32_e32 v181, v172, v132
	s_waitcnt vmcnt(2)
	s_delay_alu instid0(VALU_DEP_1)
	v_fmac_f32_e32 v181, v173, v133
	ds_load_2addr_b32 v[132:133], v2 offset0:123 offset1:124
	s_waitcnt lgkmcnt(3)
	v_fmac_f32_e32 v181, v174, v134
	ds_load_b32 v134, v2 offset:500
	v_fmac_f32_e32 v181, v175, v135
	s_waitcnt lgkmcnt(3)
	s_delay_alu instid0(VALU_DEP_1) | instskip(SKIP_1) | instid1(VALU_DEP_1)
	v_fmac_f32_e32 v181, v176, v136
	s_waitcnt vmcnt(1)
	v_fmac_f32_e32 v181, v177, v137
	s_waitcnt lgkmcnt(2)
	s_delay_alu instid0(VALU_DEP_1) | instskip(NEXT) | instid1(VALU_DEP_1)
	v_fmac_f32_e32 v181, v178, v130
	v_fmac_f32_e32 v181, v179, v131
	s_waitcnt lgkmcnt(1)
	s_delay_alu instid0(VALU_DEP_1) | instskip(SKIP_1) | instid1(VALU_DEP_1)
	v_fmac_f32_e32 v181, v180, v132
	s_waitcnt vmcnt(0)
	v_fmac_f32_e32 v181, v3, v133
	s_waitcnt lgkmcnt(0)
	s_delay_alu instid0(VALU_DEP_1) | instskip(NEXT) | instid1(VALU_DEP_1)
	v_fmac_f32_e32 v181, v4, v134
	v_sub_f32_e32 v3, v129, v181
	scratch_store_b32 off, v3, off offset:32
	v_cmpx_lt_u32_e32 7, v0
	s_cbranch_execz .LBB61_365
; %bb.364:
	scratch_load_b32 v3, off, off offset:28
	scratch_store_b32 off, v2, off offset:28
	s_waitcnt vmcnt(0)
	ds_store_b32 v1, v3
.LBB61_365:
	s_or_b32 exec_lo, exec_lo, s0
	s_waitcnt lgkmcnt(0)
	s_waitcnt_vscnt null, 0x0
	s_barrier
	buffer_gl0_inv
	s_clause 0xd
	scratch_load_b128 v[129:132], off, off offset:28
	scratch_load_b128 v[133:136], off, off offset:44
	;; [unrolled: 1-line block ×13, first 2 shown]
	scratch_load_b96 v[189:191], off, off offset:236
	ds_load_b128 v[181:184], v2 offset:288
	ds_load_b128 v[185:188], v2 offset:304
	s_mov_b32 s0, exec_lo
	s_waitcnt vmcnt(13) lgkmcnt(1)
	v_fma_f32 v4, v130, v181, 0
	s_delay_alu instid0(VALU_DEP_1) | instskip(NEXT) | instid1(VALU_DEP_1)
	v_fmac_f32_e32 v4, v131, v182
	v_fmac_f32_e32 v4, v132, v183
	s_waitcnt vmcnt(12)
	s_delay_alu instid0(VALU_DEP_1) | instskip(SKIP_3) | instid1(VALU_DEP_1)
	v_fmac_f32_e32 v4, v133, v184
	ds_load_b128 v[130:133], v2 offset:320
	s_waitcnt lgkmcnt(1)
	v_fmac_f32_e32 v4, v134, v185
	v_fmac_f32_e32 v4, v135, v186
	s_delay_alu instid0(VALU_DEP_1) | instskip(SKIP_1) | instid1(VALU_DEP_1)
	v_fmac_f32_e32 v4, v136, v187
	s_waitcnt vmcnt(11)
	v_fmac_f32_e32 v4, v137, v188
	ds_load_b128 v[134:137], v2 offset:336
	s_waitcnt lgkmcnt(1)
	v_fmac_f32_e32 v4, v138, v130
	s_delay_alu instid0(VALU_DEP_1) | instskip(NEXT) | instid1(VALU_DEP_1)
	v_fmac_f32_e32 v4, v139, v131
	v_fmac_f32_e32 v4, v140, v132
	s_waitcnt vmcnt(10)
	s_delay_alu instid0(VALU_DEP_1) | instskip(SKIP_3) | instid1(VALU_DEP_1)
	v_fmac_f32_e32 v4, v141, v133
	ds_load_b128 v[130:133], v2 offset:352
	s_waitcnt lgkmcnt(1)
	v_fmac_f32_e32 v4, v142, v134
	v_fmac_f32_e32 v4, v143, v135
	s_delay_alu instid0(VALU_DEP_1) | instskip(SKIP_1) | instid1(VALU_DEP_1)
	v_fmac_f32_e32 v4, v144, v136
	s_waitcnt vmcnt(9)
	v_fmac_f32_e32 v4, v145, v137
	ds_load_b128 v[134:137], v2 offset:368
	s_waitcnt lgkmcnt(1)
	v_fmac_f32_e32 v4, v146, v130
	;; [unrolled: 17-line block ×5, first 2 shown]
	s_delay_alu instid0(VALU_DEP_1) | instskip(NEXT) | instid1(VALU_DEP_1)
	v_fmac_f32_e32 v4, v171, v131
	v_fmac_f32_e32 v4, v172, v132
	s_waitcnt vmcnt(2)
	s_delay_alu instid0(VALU_DEP_1) | instskip(SKIP_4) | instid1(VALU_DEP_1)
	v_fmac_f32_e32 v4, v173, v133
	ds_load_b128 v[130:133], v2 offset:480
	ds_load_b64 v[2:3], v2 offset:496
	s_waitcnt lgkmcnt(2)
	v_fmac_f32_e32 v4, v174, v134
	v_fmac_f32_e32 v4, v175, v135
	s_delay_alu instid0(VALU_DEP_1) | instskip(SKIP_1) | instid1(VALU_DEP_1)
	v_fmac_f32_e32 v4, v176, v136
	s_waitcnt vmcnt(1)
	v_fmac_f32_e32 v4, v177, v137
	s_waitcnt lgkmcnt(1)
	s_delay_alu instid0(VALU_DEP_1) | instskip(NEXT) | instid1(VALU_DEP_1)
	v_fmac_f32_e32 v4, v178, v130
	v_fmac_f32_e32 v4, v179, v131
	s_delay_alu instid0(VALU_DEP_1) | instskip(SKIP_1) | instid1(VALU_DEP_1)
	v_fmac_f32_e32 v4, v180, v132
	s_waitcnt vmcnt(0)
	v_fmac_f32_e32 v4, v189, v133
	s_waitcnt lgkmcnt(0)
	s_delay_alu instid0(VALU_DEP_1) | instskip(NEXT) | instid1(VALU_DEP_1)
	v_fmac_f32_e32 v4, v190, v2
	v_fmac_f32_e32 v4, v191, v3
	s_delay_alu instid0(VALU_DEP_1)
	v_sub_f32_e32 v2, v129, v4
	scratch_store_b32 off, v2, off offset:28
	v_cmpx_lt_u32_e32 6, v0
	s_cbranch_execz .LBB61_367
; %bb.366:
	scratch_load_b32 v2, off, off offset:24
	v_mov_b32_e32 v3, 0
	scratch_store_b32 off, v3, off offset:24
	s_waitcnt vmcnt(0)
	ds_store_b32 v1, v2
.LBB61_367:
	s_or_b32 exec_lo, exec_lo, s0
	s_waitcnt lgkmcnt(0)
	s_waitcnt_vscnt null, 0x0
	s_barrier
	buffer_gl0_inv
	s_clause 0xd
	scratch_load_b128 v[129:132], off, off offset:24
	scratch_load_b128 v[133:136], off, off offset:40
	;; [unrolled: 1-line block ×14, first 2 shown]
	v_mov_b32_e32 v2, 0
	ds_load_2addr_b32 v[3:4], v2 offset0:71 offset1:72
	ds_load_2addr_b32 v[185:186], v2 offset0:73 offset1:74
	;; [unrolled: 1-line block ×4, first 2 shown]
	s_mov_b32 s0, exec_lo
	s_waitcnt vmcnt(13) lgkmcnt(3)
	v_fma_f32 v191, v130, v3, 0
	s_delay_alu instid0(VALU_DEP_1)
	v_fmac_f32_e32 v191, v131, v4
	ds_load_2addr_b32 v[3:4], v2 offset0:79 offset1:80
	ds_load_2addr_b32 v[130:131], v2 offset0:81 offset1:82
	s_waitcnt lgkmcnt(4)
	v_fmac_f32_e32 v191, v132, v185
	s_waitcnt vmcnt(12)
	s_delay_alu instid0(VALU_DEP_1) | instskip(SKIP_1) | instid1(VALU_DEP_1)
	v_fmac_f32_e32 v191, v133, v186
	s_waitcnt lgkmcnt(3)
	v_fmac_f32_e32 v191, v134, v187
	s_delay_alu instid0(VALU_DEP_1)
	v_fmac_f32_e32 v191, v135, v188
	ds_load_2addr_b32 v[132:133], v2 offset0:83 offset1:84
	ds_load_2addr_b32 v[134:135], v2 offset0:85 offset1:86
	s_waitcnt lgkmcnt(4)
	v_fmac_f32_e32 v191, v136, v189
	s_waitcnt vmcnt(11)
	s_delay_alu instid0(VALU_DEP_1) | instskip(SKIP_1) | instid1(VALU_DEP_1)
	v_fmac_f32_e32 v191, v137, v190
	s_waitcnt lgkmcnt(3)
	v_fmac_f32_e32 v191, v138, v3
	s_delay_alu instid0(VALU_DEP_1) | instskip(SKIP_4) | instid1(VALU_DEP_1)
	v_fmac_f32_e32 v191, v139, v4
	ds_load_2addr_b32 v[3:4], v2 offset0:87 offset1:88
	s_waitcnt lgkmcnt(3)
	v_fmac_f32_e32 v191, v140, v130
	s_waitcnt vmcnt(10)
	v_fmac_f32_e32 v191, v141, v131
	ds_load_2addr_b32 v[130:131], v2 offset0:89 offset1:90
	s_waitcnt lgkmcnt(3)
	v_fmac_f32_e32 v191, v142, v132
	s_delay_alu instid0(VALU_DEP_1) | instskip(SKIP_1) | instid1(VALU_DEP_1)
	v_fmac_f32_e32 v191, v143, v133
	s_waitcnt lgkmcnt(2)
	v_fmac_f32_e32 v191, v144, v134
	s_waitcnt vmcnt(9)
	s_delay_alu instid0(VALU_DEP_1) | instskip(SKIP_4) | instid1(VALU_DEP_1)
	v_fmac_f32_e32 v191, v145, v135
	ds_load_2addr_b32 v[132:133], v2 offset0:91 offset1:92
	ds_load_2addr_b32 v[134:135], v2 offset0:93 offset1:94
	s_waitcnt lgkmcnt(3)
	v_fmac_f32_e32 v191, v146, v3
	v_fmac_f32_e32 v191, v147, v4
	ds_load_2addr_b32 v[3:4], v2 offset0:95 offset1:96
	s_waitcnt lgkmcnt(3)
	v_fmac_f32_e32 v191, v148, v130
	s_waitcnt vmcnt(8)
	s_delay_alu instid0(VALU_DEP_1) | instskip(SKIP_3) | instid1(VALU_DEP_1)
	v_fmac_f32_e32 v191, v149, v131
	ds_load_2addr_b32 v[130:131], v2 offset0:97 offset1:98
	s_waitcnt lgkmcnt(3)
	v_fmac_f32_e32 v191, v150, v132
	v_fmac_f32_e32 v191, v151, v133
	s_waitcnt lgkmcnt(2)
	s_delay_alu instid0(VALU_DEP_1) | instskip(SKIP_1) | instid1(VALU_DEP_1)
	v_fmac_f32_e32 v191, v152, v134
	s_waitcnt vmcnt(7)
	v_fmac_f32_e32 v191, v153, v135
	ds_load_2addr_b32 v[132:133], v2 offset0:99 offset1:100
	ds_load_2addr_b32 v[134:135], v2 offset0:101 offset1:102
	s_waitcnt lgkmcnt(3)
	v_fmac_f32_e32 v191, v154, v3
	s_delay_alu instid0(VALU_DEP_1) | instskip(SKIP_4) | instid1(VALU_DEP_1)
	v_fmac_f32_e32 v191, v155, v4
	ds_load_2addr_b32 v[3:4], v2 offset0:103 offset1:104
	s_waitcnt lgkmcnt(3)
	v_fmac_f32_e32 v191, v156, v130
	s_waitcnt vmcnt(6)
	v_fmac_f32_e32 v191, v157, v131
	ds_load_2addr_b32 v[130:131], v2 offset0:105 offset1:106
	s_waitcnt lgkmcnt(3)
	v_fmac_f32_e32 v191, v158, v132
	s_delay_alu instid0(VALU_DEP_1) | instskip(SKIP_1) | instid1(VALU_DEP_1)
	v_fmac_f32_e32 v191, v159, v133
	s_waitcnt lgkmcnt(2)
	v_fmac_f32_e32 v191, v160, v134
	s_waitcnt vmcnt(5)
	s_delay_alu instid0(VALU_DEP_1) | instskip(SKIP_4) | instid1(VALU_DEP_1)
	v_fmac_f32_e32 v191, v161, v135
	ds_load_2addr_b32 v[132:133], v2 offset0:107 offset1:108
	ds_load_2addr_b32 v[134:135], v2 offset0:109 offset1:110
	s_waitcnt lgkmcnt(3)
	v_fmac_f32_e32 v191, v162, v3
	v_fmac_f32_e32 v191, v163, v4
	ds_load_2addr_b32 v[3:4], v2 offset0:111 offset1:112
	s_waitcnt lgkmcnt(3)
	v_fmac_f32_e32 v191, v164, v130
	s_waitcnt vmcnt(4)
	s_delay_alu instid0(VALU_DEP_1) | instskip(SKIP_3) | instid1(VALU_DEP_1)
	v_fmac_f32_e32 v191, v165, v131
	ds_load_2addr_b32 v[130:131], v2 offset0:113 offset1:114
	s_waitcnt lgkmcnt(3)
	v_fmac_f32_e32 v191, v166, v132
	v_fmac_f32_e32 v191, v167, v133
	s_waitcnt lgkmcnt(2)
	s_delay_alu instid0(VALU_DEP_1) | instskip(SKIP_1) | instid1(VALU_DEP_1)
	v_fmac_f32_e32 v191, v168, v134
	s_waitcnt vmcnt(3)
	v_fmac_f32_e32 v191, v169, v135
	ds_load_2addr_b32 v[132:133], v2 offset0:115 offset1:116
	ds_load_2addr_b32 v[134:135], v2 offset0:117 offset1:118
	s_waitcnt lgkmcnt(3)
	v_fmac_f32_e32 v191, v170, v3
	s_delay_alu instid0(VALU_DEP_1) | instskip(SKIP_4) | instid1(VALU_DEP_1)
	v_fmac_f32_e32 v191, v171, v4
	ds_load_2addr_b32 v[3:4], v2 offset0:119 offset1:120
	s_waitcnt lgkmcnt(3)
	v_fmac_f32_e32 v191, v172, v130
	s_waitcnt vmcnt(2)
	v_fmac_f32_e32 v191, v173, v131
	ds_load_2addr_b32 v[130:131], v2 offset0:121 offset1:122
	s_waitcnt lgkmcnt(3)
	v_fmac_f32_e32 v191, v174, v132
	s_delay_alu instid0(VALU_DEP_1) | instskip(SKIP_1) | instid1(VALU_DEP_1)
	v_fmac_f32_e32 v191, v175, v133
	s_waitcnt lgkmcnt(2)
	v_fmac_f32_e32 v191, v176, v134
	ds_load_2addr_b32 v[132:133], v2 offset0:123 offset1:124
	ds_load_b32 v134, v2 offset:500
	s_waitcnt vmcnt(1)
	v_fmac_f32_e32 v191, v177, v135
	s_waitcnt lgkmcnt(3)
	s_delay_alu instid0(VALU_DEP_1) | instskip(NEXT) | instid1(VALU_DEP_1)
	v_fmac_f32_e32 v191, v178, v3
	v_fmac_f32_e32 v191, v179, v4
	s_waitcnt lgkmcnt(2)
	s_delay_alu instid0(VALU_DEP_1) | instskip(SKIP_1) | instid1(VALU_DEP_1)
	v_fmac_f32_e32 v191, v180, v130
	s_waitcnt vmcnt(0)
	v_fmac_f32_e32 v191, v181, v131
	s_waitcnt lgkmcnt(1)
	s_delay_alu instid0(VALU_DEP_1) | instskip(NEXT) | instid1(VALU_DEP_1)
	v_fmac_f32_e32 v191, v182, v132
	v_fmac_f32_e32 v191, v183, v133
	s_waitcnt lgkmcnt(0)
	s_delay_alu instid0(VALU_DEP_1) | instskip(NEXT) | instid1(VALU_DEP_1)
	v_fmac_f32_e32 v191, v184, v134
	v_sub_f32_e32 v3, v129, v191
	scratch_store_b32 off, v3, off offset:24
	v_cmpx_lt_u32_e32 5, v0
	s_cbranch_execz .LBB61_369
; %bb.368:
	scratch_load_b32 v3, off, off offset:20
	scratch_store_b32 off, v2, off offset:20
	s_waitcnt vmcnt(0)
	ds_store_b32 v1, v3
.LBB61_369:
	s_or_b32 exec_lo, exec_lo, s0
	s_waitcnt lgkmcnt(0)
	s_waitcnt_vscnt null, 0x0
	s_barrier
	buffer_gl0_inv
	s_clause 0xe
	scratch_load_b128 v[129:132], off, off offset:20
	scratch_load_b128 v[133:136], off, off offset:36
	;; [unrolled: 1-line block ×14, first 2 shown]
	scratch_load_b32 v3, off, off offset:244
	ds_load_2addr_b64 v[185:188], v2 offset0:35 offset1:36
	ds_load_2addr_b64 v[189:192], v2 offset0:37 offset1:38
	s_mov_b32 s0, exec_lo
	s_waitcnt vmcnt(14) lgkmcnt(1)
	v_fma_f32 v4, v130, v185, 0
	s_delay_alu instid0(VALU_DEP_1) | instskip(NEXT) | instid1(VALU_DEP_1)
	v_fmac_f32_e32 v4, v131, v186
	v_fmac_f32_e32 v4, v132, v187
	s_waitcnt vmcnt(13)
	s_delay_alu instid0(VALU_DEP_1) | instskip(SKIP_3) | instid1(VALU_DEP_1)
	v_fmac_f32_e32 v4, v133, v188
	ds_load_2addr_b64 v[130:133], v2 offset0:39 offset1:40
	s_waitcnt lgkmcnt(1)
	v_fmac_f32_e32 v4, v134, v189
	v_fmac_f32_e32 v4, v135, v190
	s_delay_alu instid0(VALU_DEP_1) | instskip(SKIP_1) | instid1(VALU_DEP_1)
	v_fmac_f32_e32 v4, v136, v191
	s_waitcnt vmcnt(12)
	v_fmac_f32_e32 v4, v137, v192
	ds_load_2addr_b64 v[134:137], v2 offset0:41 offset1:42
	s_waitcnt lgkmcnt(1)
	v_fmac_f32_e32 v4, v138, v130
	s_delay_alu instid0(VALU_DEP_1) | instskip(NEXT) | instid1(VALU_DEP_1)
	v_fmac_f32_e32 v4, v139, v131
	v_fmac_f32_e32 v4, v140, v132
	s_waitcnt vmcnt(11)
	s_delay_alu instid0(VALU_DEP_1) | instskip(SKIP_3) | instid1(VALU_DEP_1)
	v_fmac_f32_e32 v4, v141, v133
	ds_load_2addr_b64 v[130:133], v2 offset0:43 offset1:44
	s_waitcnt lgkmcnt(1)
	v_fmac_f32_e32 v4, v142, v134
	v_fmac_f32_e32 v4, v143, v135
	s_delay_alu instid0(VALU_DEP_1) | instskip(SKIP_1) | instid1(VALU_DEP_1)
	v_fmac_f32_e32 v4, v144, v136
	s_waitcnt vmcnt(10)
	v_fmac_f32_e32 v4, v145, v137
	ds_load_2addr_b64 v[134:137], v2 offset0:45 offset1:46
	s_waitcnt lgkmcnt(1)
	v_fmac_f32_e32 v4, v146, v130
	;; [unrolled: 17-line block ×6, first 2 shown]
	s_delay_alu instid0(VALU_DEP_1) | instskip(NEXT) | instid1(VALU_DEP_1)
	v_fmac_f32_e32 v4, v179, v131
	v_fmac_f32_e32 v4, v180, v132
	s_waitcnt vmcnt(1)
	s_delay_alu instid0(VALU_DEP_1) | instskip(SKIP_1) | instid1(VALU_DEP_1)
	v_fmac_f32_e32 v4, v181, v133
	s_waitcnt lgkmcnt(0)
	v_fmac_f32_e32 v4, v182, v134
	s_delay_alu instid0(VALU_DEP_1) | instskip(NEXT) | instid1(VALU_DEP_1)
	v_fmac_f32_e32 v4, v183, v135
	v_fmac_f32_e32 v4, v184, v136
	s_waitcnt vmcnt(0)
	s_delay_alu instid0(VALU_DEP_1) | instskip(NEXT) | instid1(VALU_DEP_1)
	v_fmac_f32_e32 v4, v3, v137
	v_sub_f32_e32 v2, v129, v4
	scratch_store_b32 off, v2, off offset:20
	v_cmpx_lt_u32_e32 4, v0
	s_cbranch_execz .LBB61_371
; %bb.370:
	scratch_load_b32 v2, off, off offset:16
	v_mov_b32_e32 v3, 0
	scratch_store_b32 off, v3, off offset:16
	s_waitcnt vmcnt(0)
	ds_store_b32 v1, v2
.LBB61_371:
	s_or_b32 exec_lo, exec_lo, s0
	s_waitcnt lgkmcnt(0)
	s_waitcnt_vscnt null, 0x0
	s_barrier
	buffer_gl0_inv
	s_clause 0xe
	scratch_load_b128 v[129:132], off, off offset:16
	scratch_load_b128 v[133:136], off, off offset:32
	;; [unrolled: 1-line block ×14, first 2 shown]
	scratch_load_b64 v[3:4], off, off offset:240
	v_mov_b32_e32 v2, 0
	ds_load_2addr_b32 v[185:186], v2 offset0:69 offset1:70
	ds_load_2addr_b32 v[187:188], v2 offset0:71 offset1:72
	;; [unrolled: 1-line block ×4, first 2 shown]
	s_mov_b32 s0, exec_lo
	s_waitcnt vmcnt(14) lgkmcnt(3)
	v_fma_f32 v185, v130, v185, 0
	s_delay_alu instid0(VALU_DEP_1) | instskip(SKIP_4) | instid1(VALU_DEP_1)
	v_fmac_f32_e32 v185, v131, v186
	ds_load_2addr_b32 v[130:131], v2 offset0:77 offset1:78
	s_waitcnt lgkmcnt(3)
	v_fmac_f32_e32 v185, v132, v187
	s_waitcnt vmcnt(13)
	v_fmac_f32_e32 v185, v133, v188
	ds_load_2addr_b32 v[132:133], v2 offset0:79 offset1:80
	s_waitcnt lgkmcnt(3)
	v_fmac_f32_e32 v185, v134, v189
	s_delay_alu instid0(VALU_DEP_1) | instskip(SKIP_1) | instid1(VALU_DEP_1)
	v_fmac_f32_e32 v185, v135, v190
	s_waitcnt lgkmcnt(2)
	v_fmac_f32_e32 v185, v136, v191
	s_waitcnt vmcnt(12)
	s_delay_alu instid0(VALU_DEP_1) | instskip(SKIP_4) | instid1(VALU_DEP_1)
	v_fmac_f32_e32 v185, v137, v192
	ds_load_2addr_b32 v[134:135], v2 offset0:81 offset1:82
	ds_load_2addr_b32 v[136:137], v2 offset0:83 offset1:84
	s_waitcnt lgkmcnt(3)
	v_fmac_f32_e32 v185, v138, v130
	v_fmac_f32_e32 v185, v139, v131
	ds_load_2addr_b32 v[130:131], v2 offset0:85 offset1:86
	s_waitcnt lgkmcnt(3)
	v_fmac_f32_e32 v185, v140, v132
	s_waitcnt vmcnt(11)
	s_delay_alu instid0(VALU_DEP_1) | instskip(SKIP_3) | instid1(VALU_DEP_1)
	v_fmac_f32_e32 v185, v141, v133
	ds_load_2addr_b32 v[132:133], v2 offset0:87 offset1:88
	s_waitcnt lgkmcnt(3)
	v_fmac_f32_e32 v185, v142, v134
	v_fmac_f32_e32 v185, v143, v135
	s_waitcnt lgkmcnt(2)
	s_delay_alu instid0(VALU_DEP_1) | instskip(SKIP_1) | instid1(VALU_DEP_1)
	v_fmac_f32_e32 v185, v144, v136
	s_waitcnt vmcnt(10)
	v_fmac_f32_e32 v185, v145, v137
	ds_load_2addr_b32 v[134:135], v2 offset0:89 offset1:90
	ds_load_2addr_b32 v[136:137], v2 offset0:91 offset1:92
	s_waitcnt lgkmcnt(3)
	v_fmac_f32_e32 v185, v146, v130
	s_delay_alu instid0(VALU_DEP_1) | instskip(SKIP_4) | instid1(VALU_DEP_1)
	v_fmac_f32_e32 v185, v147, v131
	ds_load_2addr_b32 v[130:131], v2 offset0:93 offset1:94
	s_waitcnt lgkmcnt(3)
	v_fmac_f32_e32 v185, v148, v132
	s_waitcnt vmcnt(9)
	v_fmac_f32_e32 v185, v149, v133
	ds_load_2addr_b32 v[132:133], v2 offset0:95 offset1:96
	s_waitcnt lgkmcnt(3)
	v_fmac_f32_e32 v185, v150, v134
	s_delay_alu instid0(VALU_DEP_1) | instskip(SKIP_1) | instid1(VALU_DEP_1)
	v_fmac_f32_e32 v185, v151, v135
	s_waitcnt lgkmcnt(2)
	v_fmac_f32_e32 v185, v152, v136
	s_waitcnt vmcnt(8)
	s_delay_alu instid0(VALU_DEP_1) | instskip(SKIP_4) | instid1(VALU_DEP_1)
	v_fmac_f32_e32 v185, v153, v137
	ds_load_2addr_b32 v[134:135], v2 offset0:97 offset1:98
	ds_load_2addr_b32 v[136:137], v2 offset0:99 offset1:100
	s_waitcnt lgkmcnt(3)
	v_fmac_f32_e32 v185, v154, v130
	v_fmac_f32_e32 v185, v155, v131
	ds_load_2addr_b32 v[130:131], v2 offset0:101 offset1:102
	s_waitcnt lgkmcnt(3)
	v_fmac_f32_e32 v185, v156, v132
	s_waitcnt vmcnt(7)
	s_delay_alu instid0(VALU_DEP_1) | instskip(SKIP_3) | instid1(VALU_DEP_1)
	v_fmac_f32_e32 v185, v157, v133
	ds_load_2addr_b32 v[132:133], v2 offset0:103 offset1:104
	s_waitcnt lgkmcnt(3)
	v_fmac_f32_e32 v185, v158, v134
	v_fmac_f32_e32 v185, v159, v135
	s_waitcnt lgkmcnt(2)
	s_delay_alu instid0(VALU_DEP_1) | instskip(SKIP_1) | instid1(VALU_DEP_1)
	v_fmac_f32_e32 v185, v160, v136
	s_waitcnt vmcnt(6)
	v_fmac_f32_e32 v185, v161, v137
	ds_load_2addr_b32 v[134:135], v2 offset0:105 offset1:106
	ds_load_2addr_b32 v[136:137], v2 offset0:107 offset1:108
	s_waitcnt lgkmcnt(3)
	v_fmac_f32_e32 v185, v162, v130
	;; [unrolled: 41-line block ×3, first 2 shown]
	ds_load_b32 v130, v2 offset:500
	v_fmac_f32_e32 v185, v179, v131
	s_waitcnt lgkmcnt(3)
	s_delay_alu instid0(VALU_DEP_1) | instskip(SKIP_1) | instid1(VALU_DEP_1)
	v_fmac_f32_e32 v185, v180, v132
	s_waitcnt vmcnt(1)
	v_fmac_f32_e32 v185, v181, v133
	s_waitcnt lgkmcnt(2)
	s_delay_alu instid0(VALU_DEP_1) | instskip(NEXT) | instid1(VALU_DEP_1)
	v_fmac_f32_e32 v185, v182, v134
	v_fmac_f32_e32 v185, v183, v135
	s_waitcnt lgkmcnt(1)
	s_delay_alu instid0(VALU_DEP_1) | instskip(SKIP_1) | instid1(VALU_DEP_1)
	v_fmac_f32_e32 v185, v184, v136
	s_waitcnt vmcnt(0)
	v_fmac_f32_e32 v185, v3, v137
	s_waitcnt lgkmcnt(0)
	s_delay_alu instid0(VALU_DEP_1) | instskip(NEXT) | instid1(VALU_DEP_1)
	v_fmac_f32_e32 v185, v4, v130
	v_sub_f32_e32 v3, v129, v185
	scratch_store_b32 off, v3, off offset:16
	v_cmpx_lt_u32_e32 3, v0
	s_cbranch_execz .LBB61_373
; %bb.372:
	scratch_load_b32 v3, off, off offset:12
	scratch_store_b32 off, v2, off offset:12
	s_waitcnt vmcnt(0)
	ds_store_b32 v1, v3
.LBB61_373:
	s_or_b32 exec_lo, exec_lo, s0
	s_waitcnt lgkmcnt(0)
	s_waitcnt_vscnt null, 0x0
	s_barrier
	buffer_gl0_inv
	s_clause 0xe
	scratch_load_b128 v[129:132], off, off offset:12
	scratch_load_b128 v[133:136], off, off offset:28
	;; [unrolled: 1-line block ×14, first 2 shown]
	scratch_load_b96 v[193:195], off, off offset:236
	ds_load_b128 v[185:188], v2 offset:272
	ds_load_b128 v[189:192], v2 offset:288
	s_mov_b32 s0, exec_lo
	s_waitcnt vmcnt(14) lgkmcnt(1)
	v_fma_f32 v4, v130, v185, 0
	s_delay_alu instid0(VALU_DEP_1) | instskip(NEXT) | instid1(VALU_DEP_1)
	v_fmac_f32_e32 v4, v131, v186
	v_fmac_f32_e32 v4, v132, v187
	s_waitcnt vmcnt(13)
	s_delay_alu instid0(VALU_DEP_1) | instskip(SKIP_3) | instid1(VALU_DEP_1)
	v_fmac_f32_e32 v4, v133, v188
	ds_load_b128 v[130:133], v2 offset:304
	s_waitcnt lgkmcnt(1)
	v_fmac_f32_e32 v4, v134, v189
	v_fmac_f32_e32 v4, v135, v190
	s_delay_alu instid0(VALU_DEP_1) | instskip(SKIP_1) | instid1(VALU_DEP_1)
	v_fmac_f32_e32 v4, v136, v191
	s_waitcnt vmcnt(12)
	v_fmac_f32_e32 v4, v137, v192
	ds_load_b128 v[134:137], v2 offset:320
	s_waitcnt lgkmcnt(1)
	v_fmac_f32_e32 v4, v138, v130
	s_delay_alu instid0(VALU_DEP_1) | instskip(NEXT) | instid1(VALU_DEP_1)
	v_fmac_f32_e32 v4, v139, v131
	v_fmac_f32_e32 v4, v140, v132
	s_waitcnt vmcnt(11)
	s_delay_alu instid0(VALU_DEP_1) | instskip(SKIP_3) | instid1(VALU_DEP_1)
	v_fmac_f32_e32 v4, v141, v133
	ds_load_b128 v[130:133], v2 offset:336
	s_waitcnt lgkmcnt(1)
	v_fmac_f32_e32 v4, v142, v134
	v_fmac_f32_e32 v4, v143, v135
	s_delay_alu instid0(VALU_DEP_1) | instskip(SKIP_1) | instid1(VALU_DEP_1)
	v_fmac_f32_e32 v4, v144, v136
	s_waitcnt vmcnt(10)
	v_fmac_f32_e32 v4, v145, v137
	ds_load_b128 v[134:137], v2 offset:352
	s_waitcnt lgkmcnt(1)
	v_fmac_f32_e32 v4, v146, v130
	;; [unrolled: 17-line block ×5, first 2 shown]
	s_delay_alu instid0(VALU_DEP_1) | instskip(NEXT) | instid1(VALU_DEP_1)
	v_fmac_f32_e32 v4, v171, v131
	v_fmac_f32_e32 v4, v172, v132
	s_waitcnt vmcnt(3)
	s_delay_alu instid0(VALU_DEP_1) | instskip(SKIP_3) | instid1(VALU_DEP_1)
	v_fmac_f32_e32 v4, v173, v133
	ds_load_b128 v[130:133], v2 offset:464
	s_waitcnt lgkmcnt(1)
	v_fmac_f32_e32 v4, v174, v134
	v_fmac_f32_e32 v4, v175, v135
	s_delay_alu instid0(VALU_DEP_1) | instskip(SKIP_1) | instid1(VALU_DEP_1)
	v_fmac_f32_e32 v4, v176, v136
	s_waitcnt vmcnt(2)
	v_fmac_f32_e32 v4, v177, v137
	ds_load_b128 v[134:137], v2 offset:480
	ds_load_b64 v[2:3], v2 offset:496
	s_waitcnt lgkmcnt(2)
	v_fmac_f32_e32 v4, v178, v130
	s_delay_alu instid0(VALU_DEP_1) | instskip(NEXT) | instid1(VALU_DEP_1)
	v_fmac_f32_e32 v4, v179, v131
	v_fmac_f32_e32 v4, v180, v132
	s_waitcnt vmcnt(1)
	s_delay_alu instid0(VALU_DEP_1) | instskip(SKIP_1) | instid1(VALU_DEP_1)
	v_fmac_f32_e32 v4, v181, v133
	s_waitcnt lgkmcnt(1)
	v_fmac_f32_e32 v4, v182, v134
	s_delay_alu instid0(VALU_DEP_1) | instskip(NEXT) | instid1(VALU_DEP_1)
	v_fmac_f32_e32 v4, v183, v135
	v_fmac_f32_e32 v4, v184, v136
	s_waitcnt vmcnt(0)
	s_delay_alu instid0(VALU_DEP_1) | instskip(SKIP_1) | instid1(VALU_DEP_1)
	v_fmac_f32_e32 v4, v193, v137
	s_waitcnt lgkmcnt(0)
	v_fmac_f32_e32 v4, v194, v2
	s_delay_alu instid0(VALU_DEP_1) | instskip(NEXT) | instid1(VALU_DEP_1)
	v_fmac_f32_e32 v4, v195, v3
	v_sub_f32_e32 v2, v129, v4
	scratch_store_b32 off, v2, off offset:12
	v_cmpx_lt_u32_e32 2, v0
	s_cbranch_execz .LBB61_375
; %bb.374:
	scratch_load_b32 v2, off, off offset:8
	v_mov_b32_e32 v3, 0
	scratch_store_b32 off, v3, off offset:8
	s_waitcnt vmcnt(0)
	ds_store_b32 v1, v2
.LBB61_375:
	s_or_b32 exec_lo, exec_lo, s0
	s_waitcnt lgkmcnt(0)
	s_waitcnt_vscnt null, 0x0
	s_barrier
	buffer_gl0_inv
	s_clause 0xe
	scratch_load_b128 v[129:132], off, off offset:8
	scratch_load_b128 v[133:136], off, off offset:24
	;; [unrolled: 1-line block ×15, first 2 shown]
	v_mov_b32_e32 v2, 0
	ds_load_2addr_b32 v[3:4], v2 offset0:67 offset1:68
	ds_load_2addr_b32 v[189:190], v2 offset0:69 offset1:70
	;; [unrolled: 1-line block ×4, first 2 shown]
	s_mov_b32 s0, exec_lo
	s_waitcnt vmcnt(14) lgkmcnt(3)
	v_fma_f32 v195, v130, v3, 0
	s_delay_alu instid0(VALU_DEP_1)
	v_fmac_f32_e32 v195, v131, v4
	ds_load_2addr_b32 v[3:4], v2 offset0:75 offset1:76
	ds_load_2addr_b32 v[130:131], v2 offset0:77 offset1:78
	s_waitcnt lgkmcnt(4)
	v_fmac_f32_e32 v195, v132, v189
	s_waitcnt vmcnt(13)
	s_delay_alu instid0(VALU_DEP_1) | instskip(SKIP_1) | instid1(VALU_DEP_1)
	v_fmac_f32_e32 v195, v133, v190
	s_waitcnt lgkmcnt(3)
	v_fmac_f32_e32 v195, v134, v191
	s_delay_alu instid0(VALU_DEP_1)
	v_fmac_f32_e32 v195, v135, v192
	ds_load_2addr_b32 v[132:133], v2 offset0:79 offset1:80
	ds_load_2addr_b32 v[134:135], v2 offset0:81 offset1:82
	s_waitcnt lgkmcnt(4)
	v_fmac_f32_e32 v195, v136, v193
	s_waitcnt vmcnt(12)
	s_delay_alu instid0(VALU_DEP_1) | instskip(SKIP_1) | instid1(VALU_DEP_1)
	v_fmac_f32_e32 v195, v137, v194
	s_waitcnt lgkmcnt(3)
	v_fmac_f32_e32 v195, v138, v3
	s_delay_alu instid0(VALU_DEP_1) | instskip(SKIP_4) | instid1(VALU_DEP_1)
	v_fmac_f32_e32 v195, v139, v4
	ds_load_2addr_b32 v[3:4], v2 offset0:83 offset1:84
	s_waitcnt lgkmcnt(3)
	v_fmac_f32_e32 v195, v140, v130
	s_waitcnt vmcnt(11)
	v_fmac_f32_e32 v195, v141, v131
	ds_load_2addr_b32 v[130:131], v2 offset0:85 offset1:86
	s_waitcnt lgkmcnt(3)
	v_fmac_f32_e32 v195, v142, v132
	s_delay_alu instid0(VALU_DEP_1) | instskip(SKIP_1) | instid1(VALU_DEP_1)
	v_fmac_f32_e32 v195, v143, v133
	s_waitcnt lgkmcnt(2)
	v_fmac_f32_e32 v195, v144, v134
	s_waitcnt vmcnt(10)
	s_delay_alu instid0(VALU_DEP_1) | instskip(SKIP_4) | instid1(VALU_DEP_1)
	v_fmac_f32_e32 v195, v145, v135
	ds_load_2addr_b32 v[132:133], v2 offset0:87 offset1:88
	ds_load_2addr_b32 v[134:135], v2 offset0:89 offset1:90
	s_waitcnt lgkmcnt(3)
	v_fmac_f32_e32 v195, v146, v3
	v_fmac_f32_e32 v195, v147, v4
	ds_load_2addr_b32 v[3:4], v2 offset0:91 offset1:92
	s_waitcnt lgkmcnt(3)
	v_fmac_f32_e32 v195, v148, v130
	s_waitcnt vmcnt(9)
	s_delay_alu instid0(VALU_DEP_1) | instskip(SKIP_3) | instid1(VALU_DEP_1)
	v_fmac_f32_e32 v195, v149, v131
	ds_load_2addr_b32 v[130:131], v2 offset0:93 offset1:94
	s_waitcnt lgkmcnt(3)
	v_fmac_f32_e32 v195, v150, v132
	v_fmac_f32_e32 v195, v151, v133
	s_waitcnt lgkmcnt(2)
	s_delay_alu instid0(VALU_DEP_1) | instskip(SKIP_1) | instid1(VALU_DEP_1)
	v_fmac_f32_e32 v195, v152, v134
	s_waitcnt vmcnt(8)
	v_fmac_f32_e32 v195, v153, v135
	ds_load_2addr_b32 v[132:133], v2 offset0:95 offset1:96
	ds_load_2addr_b32 v[134:135], v2 offset0:97 offset1:98
	s_waitcnt lgkmcnt(3)
	v_fmac_f32_e32 v195, v154, v3
	s_delay_alu instid0(VALU_DEP_1) | instskip(SKIP_4) | instid1(VALU_DEP_1)
	v_fmac_f32_e32 v195, v155, v4
	ds_load_2addr_b32 v[3:4], v2 offset0:99 offset1:100
	s_waitcnt lgkmcnt(3)
	v_fmac_f32_e32 v195, v156, v130
	s_waitcnt vmcnt(7)
	v_fmac_f32_e32 v195, v157, v131
	ds_load_2addr_b32 v[130:131], v2 offset0:101 offset1:102
	s_waitcnt lgkmcnt(3)
	v_fmac_f32_e32 v195, v158, v132
	s_delay_alu instid0(VALU_DEP_1) | instskip(SKIP_1) | instid1(VALU_DEP_1)
	v_fmac_f32_e32 v195, v159, v133
	s_waitcnt lgkmcnt(2)
	v_fmac_f32_e32 v195, v160, v134
	s_waitcnt vmcnt(6)
	s_delay_alu instid0(VALU_DEP_1) | instskip(SKIP_4) | instid1(VALU_DEP_1)
	v_fmac_f32_e32 v195, v161, v135
	ds_load_2addr_b32 v[132:133], v2 offset0:103 offset1:104
	ds_load_2addr_b32 v[134:135], v2 offset0:105 offset1:106
	s_waitcnt lgkmcnt(3)
	v_fmac_f32_e32 v195, v162, v3
	v_fmac_f32_e32 v195, v163, v4
	ds_load_2addr_b32 v[3:4], v2 offset0:107 offset1:108
	s_waitcnt lgkmcnt(3)
	v_fmac_f32_e32 v195, v164, v130
	s_waitcnt vmcnt(5)
	s_delay_alu instid0(VALU_DEP_1) | instskip(SKIP_3) | instid1(VALU_DEP_1)
	v_fmac_f32_e32 v195, v165, v131
	ds_load_2addr_b32 v[130:131], v2 offset0:109 offset1:110
	s_waitcnt lgkmcnt(3)
	v_fmac_f32_e32 v195, v166, v132
	v_fmac_f32_e32 v195, v167, v133
	s_waitcnt lgkmcnt(2)
	s_delay_alu instid0(VALU_DEP_1) | instskip(SKIP_1) | instid1(VALU_DEP_1)
	v_fmac_f32_e32 v195, v168, v134
	s_waitcnt vmcnt(4)
	v_fmac_f32_e32 v195, v169, v135
	ds_load_2addr_b32 v[132:133], v2 offset0:111 offset1:112
	ds_load_2addr_b32 v[134:135], v2 offset0:113 offset1:114
	s_waitcnt lgkmcnt(3)
	v_fmac_f32_e32 v195, v170, v3
	s_delay_alu instid0(VALU_DEP_1) | instskip(SKIP_4) | instid1(VALU_DEP_1)
	v_fmac_f32_e32 v195, v171, v4
	ds_load_2addr_b32 v[3:4], v2 offset0:115 offset1:116
	s_waitcnt lgkmcnt(3)
	v_fmac_f32_e32 v195, v172, v130
	s_waitcnt vmcnt(3)
	v_fmac_f32_e32 v195, v173, v131
	ds_load_2addr_b32 v[130:131], v2 offset0:117 offset1:118
	s_waitcnt lgkmcnt(3)
	v_fmac_f32_e32 v195, v174, v132
	s_delay_alu instid0(VALU_DEP_1) | instskip(SKIP_1) | instid1(VALU_DEP_1)
	v_fmac_f32_e32 v195, v175, v133
	s_waitcnt lgkmcnt(2)
	v_fmac_f32_e32 v195, v176, v134
	s_waitcnt vmcnt(2)
	s_delay_alu instid0(VALU_DEP_1) | instskip(SKIP_4) | instid1(VALU_DEP_1)
	v_fmac_f32_e32 v195, v177, v135
	ds_load_2addr_b32 v[132:133], v2 offset0:119 offset1:120
	ds_load_2addr_b32 v[134:135], v2 offset0:121 offset1:122
	s_waitcnt lgkmcnt(3)
	v_fmac_f32_e32 v195, v178, v3
	v_fmac_f32_e32 v195, v179, v4
	ds_load_2addr_b32 v[3:4], v2 offset0:123 offset1:124
	s_waitcnt lgkmcnt(3)
	v_fmac_f32_e32 v195, v180, v130
	ds_load_b32 v130, v2 offset:500
	s_waitcnt vmcnt(1)
	v_fmac_f32_e32 v195, v181, v131
	s_waitcnt lgkmcnt(3)
	s_delay_alu instid0(VALU_DEP_1) | instskip(NEXT) | instid1(VALU_DEP_1)
	v_fmac_f32_e32 v195, v182, v132
	v_fmac_f32_e32 v195, v183, v133
	s_waitcnt lgkmcnt(2)
	s_delay_alu instid0(VALU_DEP_1) | instskip(SKIP_1) | instid1(VALU_DEP_1)
	v_fmac_f32_e32 v195, v184, v134
	s_waitcnt vmcnt(0)
	v_fmac_f32_e32 v195, v185, v135
	s_waitcnt lgkmcnt(1)
	s_delay_alu instid0(VALU_DEP_1) | instskip(NEXT) | instid1(VALU_DEP_1)
	v_fmac_f32_e32 v195, v186, v3
	v_fmac_f32_e32 v195, v187, v4
	s_waitcnt lgkmcnt(0)
	s_delay_alu instid0(VALU_DEP_1) | instskip(NEXT) | instid1(VALU_DEP_1)
	v_fmac_f32_e32 v195, v188, v130
	v_sub_f32_e32 v3, v129, v195
	scratch_store_b32 off, v3, off offset:8
	v_cmpx_lt_u32_e32 1, v0
	s_cbranch_execz .LBB61_377
; %bb.376:
	scratch_load_b32 v3, off, off offset:4
	scratch_store_b32 off, v2, off offset:4
	s_waitcnt vmcnt(0)
	ds_store_b32 v1, v3
.LBB61_377:
	s_or_b32 exec_lo, exec_lo, s0
	s_waitcnt lgkmcnt(0)
	s_waitcnt_vscnt null, 0x0
	s_barrier
	buffer_gl0_inv
	s_clause 0xf
	scratch_load_b128 v[129:132], off, off offset:4
	scratch_load_b128 v[133:136], off, off offset:20
	;; [unrolled: 1-line block ×15, first 2 shown]
	scratch_load_b32 v3, off, off offset:244
	ds_load_2addr_b64 v[189:192], v2 offset0:33 offset1:34
	ds_load_2addr_b64 v[193:196], v2 offset0:35 offset1:36
	s_mov_b32 s0, exec_lo
	s_waitcnt vmcnt(15) lgkmcnt(1)
	v_fma_f32 v4, v130, v189, 0
	s_delay_alu instid0(VALU_DEP_1) | instskip(NEXT) | instid1(VALU_DEP_1)
	v_fmac_f32_e32 v4, v131, v190
	v_fmac_f32_e32 v4, v132, v191
	s_waitcnt vmcnt(14)
	s_delay_alu instid0(VALU_DEP_1) | instskip(SKIP_3) | instid1(VALU_DEP_1)
	v_fmac_f32_e32 v4, v133, v192
	ds_load_2addr_b64 v[130:133], v2 offset0:37 offset1:38
	s_waitcnt lgkmcnt(1)
	v_fmac_f32_e32 v4, v134, v193
	v_fmac_f32_e32 v4, v135, v194
	s_delay_alu instid0(VALU_DEP_1) | instskip(SKIP_1) | instid1(VALU_DEP_1)
	v_fmac_f32_e32 v4, v136, v195
	s_waitcnt vmcnt(13)
	v_fmac_f32_e32 v4, v137, v196
	ds_load_2addr_b64 v[134:137], v2 offset0:39 offset1:40
	s_waitcnt lgkmcnt(1)
	v_fmac_f32_e32 v4, v138, v130
	s_delay_alu instid0(VALU_DEP_1) | instskip(NEXT) | instid1(VALU_DEP_1)
	v_fmac_f32_e32 v4, v139, v131
	v_fmac_f32_e32 v4, v140, v132
	s_waitcnt vmcnt(12)
	s_delay_alu instid0(VALU_DEP_1) | instskip(SKIP_3) | instid1(VALU_DEP_1)
	v_fmac_f32_e32 v4, v141, v133
	ds_load_2addr_b64 v[130:133], v2 offset0:41 offset1:42
	s_waitcnt lgkmcnt(1)
	v_fmac_f32_e32 v4, v142, v134
	v_fmac_f32_e32 v4, v143, v135
	s_delay_alu instid0(VALU_DEP_1) | instskip(SKIP_1) | instid1(VALU_DEP_1)
	v_fmac_f32_e32 v4, v144, v136
	s_waitcnt vmcnt(11)
	v_fmac_f32_e32 v4, v145, v137
	ds_load_2addr_b64 v[134:137], v2 offset0:43 offset1:44
	s_waitcnt lgkmcnt(1)
	v_fmac_f32_e32 v4, v146, v130
	;; [unrolled: 17-line block ×6, first 2 shown]
	s_delay_alu instid0(VALU_DEP_1) | instskip(NEXT) | instid1(VALU_DEP_1)
	v_fmac_f32_e32 v4, v179, v131
	v_fmac_f32_e32 v4, v180, v132
	s_waitcnt vmcnt(2)
	s_delay_alu instid0(VALU_DEP_1) | instskip(SKIP_3) | instid1(VALU_DEP_1)
	v_fmac_f32_e32 v4, v181, v133
	ds_load_2addr_b64 v[130:133], v2 offset0:61 offset1:62
	s_waitcnt lgkmcnt(1)
	v_fmac_f32_e32 v4, v182, v134
	v_fmac_f32_e32 v4, v183, v135
	s_delay_alu instid0(VALU_DEP_1) | instskip(SKIP_1) | instid1(VALU_DEP_1)
	v_fmac_f32_e32 v4, v184, v136
	s_waitcnt vmcnt(1)
	v_fmac_f32_e32 v4, v185, v137
	s_waitcnt lgkmcnt(0)
	s_delay_alu instid0(VALU_DEP_1) | instskip(NEXT) | instid1(VALU_DEP_1)
	v_fmac_f32_e32 v4, v186, v130
	v_fmac_f32_e32 v4, v187, v131
	s_delay_alu instid0(VALU_DEP_1) | instskip(SKIP_1) | instid1(VALU_DEP_1)
	v_fmac_f32_e32 v4, v188, v132
	s_waitcnt vmcnt(0)
	v_fmac_f32_e32 v4, v3, v133
	s_delay_alu instid0(VALU_DEP_1)
	v_sub_f32_e32 v2, v129, v4
	scratch_store_b32 off, v2, off offset:4
	v_cmpx_ne_u32_e32 0, v0
	s_cbranch_execz .LBB61_379
; %bb.378:
	scratch_load_b32 v0, off, off
	v_mov_b32_e32 v2, 0
	scratch_store_b32 off, v2, off
	s_waitcnt vmcnt(0)
	ds_store_b32 v1, v0
.LBB61_379:
	s_or_b32 exec_lo, exec_lo, s0
	s_waitcnt lgkmcnt(0)
	s_waitcnt_vscnt null, 0x0
	s_barrier
	buffer_gl0_inv
	s_clause 0xe
	scratch_load_b128 v[129:132], off, off
	scratch_load_b128 v[133:136], off, off offset:16
	scratch_load_b128 v[137:140], off, off offset:32
	;; [unrolled: 1-line block ×14, first 2 shown]
	v_mov_b32_e32 v4, 0
	scratch_load_b64 v[0:1], off, off offset:240
	s_and_b32 vcc_lo, exec_lo, s16
	ds_load_2addr_b32 v[2:3], v4 offset0:65 offset1:66
	s_waitcnt vmcnt(15) lgkmcnt(0)
	v_fma_f32 v195, v130, v2, 0
	s_delay_alu instid0(VALU_DEP_1)
	v_fmac_f32_e32 v195, v131, v3
	ds_load_2addr_b32 v[189:190], v4 offset0:67 offset1:68
	ds_load_2addr_b32 v[191:192], v4 offset0:69 offset1:70
	;; [unrolled: 1-line block ×5, first 2 shown]
	s_waitcnt lgkmcnt(4)
	v_fmac_f32_e32 v195, v132, v189
	s_waitcnt vmcnt(14)
	s_delay_alu instid0(VALU_DEP_1) | instskip(SKIP_1) | instid1(VALU_DEP_1)
	v_fmac_f32_e32 v195, v133, v190
	s_waitcnt lgkmcnt(3)
	v_fmac_f32_e32 v195, v134, v191
	s_delay_alu instid0(VALU_DEP_1)
	v_fmac_f32_e32 v195, v135, v192
	ds_load_2addr_b32 v[132:133], v4 offset0:77 offset1:78
	ds_load_2addr_b32 v[134:135], v4 offset0:79 offset1:80
	s_waitcnt lgkmcnt(4)
	v_fmac_f32_e32 v195, v136, v193
	s_waitcnt vmcnt(13)
	s_delay_alu instid0(VALU_DEP_1) | instskip(SKIP_1) | instid1(VALU_DEP_1)
	v_fmac_f32_e32 v195, v137, v194
	s_waitcnt lgkmcnt(3)
	v_fmac_f32_e32 v195, v138, v2
	s_delay_alu instid0(VALU_DEP_1) | instskip(SKIP_4) | instid1(VALU_DEP_1)
	v_fmac_f32_e32 v195, v139, v3
	ds_load_2addr_b32 v[2:3], v4 offset0:81 offset1:82
	s_waitcnt lgkmcnt(3)
	v_fmac_f32_e32 v195, v140, v130
	s_waitcnt vmcnt(12)
	v_fmac_f32_e32 v195, v141, v131
	ds_load_2addr_b32 v[130:131], v4 offset0:83 offset1:84
	s_waitcnt lgkmcnt(3)
	v_fmac_f32_e32 v195, v142, v132
	s_delay_alu instid0(VALU_DEP_1) | instskip(SKIP_1) | instid1(VALU_DEP_1)
	v_fmac_f32_e32 v195, v143, v133
	s_waitcnt lgkmcnt(2)
	v_fmac_f32_e32 v195, v144, v134
	s_waitcnt vmcnt(11)
	s_delay_alu instid0(VALU_DEP_1) | instskip(SKIP_4) | instid1(VALU_DEP_1)
	v_fmac_f32_e32 v195, v145, v135
	ds_load_2addr_b32 v[132:133], v4 offset0:85 offset1:86
	ds_load_2addr_b32 v[134:135], v4 offset0:87 offset1:88
	s_waitcnt lgkmcnt(3)
	v_fmac_f32_e32 v195, v146, v2
	v_fmac_f32_e32 v195, v147, v3
	ds_load_2addr_b32 v[2:3], v4 offset0:89 offset1:90
	s_waitcnt lgkmcnt(3)
	v_fmac_f32_e32 v195, v148, v130
	s_waitcnt vmcnt(10)
	s_delay_alu instid0(VALU_DEP_1) | instskip(SKIP_3) | instid1(VALU_DEP_1)
	v_fmac_f32_e32 v195, v149, v131
	ds_load_2addr_b32 v[130:131], v4 offset0:91 offset1:92
	s_waitcnt lgkmcnt(3)
	v_fmac_f32_e32 v195, v150, v132
	v_fmac_f32_e32 v195, v151, v133
	s_waitcnt lgkmcnt(2)
	s_delay_alu instid0(VALU_DEP_1) | instskip(SKIP_1) | instid1(VALU_DEP_1)
	v_fmac_f32_e32 v195, v152, v134
	s_waitcnt vmcnt(9)
	v_fmac_f32_e32 v195, v153, v135
	ds_load_2addr_b32 v[132:133], v4 offset0:93 offset1:94
	ds_load_2addr_b32 v[134:135], v4 offset0:95 offset1:96
	s_waitcnt lgkmcnt(3)
	v_fmac_f32_e32 v195, v154, v2
	s_delay_alu instid0(VALU_DEP_1) | instskip(SKIP_4) | instid1(VALU_DEP_1)
	v_fmac_f32_e32 v195, v155, v3
	ds_load_2addr_b32 v[2:3], v4 offset0:97 offset1:98
	s_waitcnt lgkmcnt(3)
	v_fmac_f32_e32 v195, v156, v130
	s_waitcnt vmcnt(8)
	v_fmac_f32_e32 v195, v157, v131
	ds_load_2addr_b32 v[130:131], v4 offset0:99 offset1:100
	s_waitcnt lgkmcnt(3)
	v_fmac_f32_e32 v195, v158, v132
	s_delay_alu instid0(VALU_DEP_1) | instskip(SKIP_1) | instid1(VALU_DEP_1)
	v_fmac_f32_e32 v195, v159, v133
	s_waitcnt lgkmcnt(2)
	v_fmac_f32_e32 v195, v160, v134
	s_waitcnt vmcnt(7)
	s_delay_alu instid0(VALU_DEP_1) | instskip(SKIP_4) | instid1(VALU_DEP_1)
	v_fmac_f32_e32 v195, v161, v135
	ds_load_2addr_b32 v[132:133], v4 offset0:101 offset1:102
	ds_load_2addr_b32 v[134:135], v4 offset0:103 offset1:104
	s_waitcnt lgkmcnt(3)
	v_fmac_f32_e32 v195, v162, v2
	v_fmac_f32_e32 v195, v163, v3
	ds_load_2addr_b32 v[2:3], v4 offset0:105 offset1:106
	s_waitcnt lgkmcnt(3)
	v_fmac_f32_e32 v195, v164, v130
	s_waitcnt vmcnt(6)
	s_delay_alu instid0(VALU_DEP_1) | instskip(SKIP_3) | instid1(VALU_DEP_1)
	v_fmac_f32_e32 v195, v165, v131
	ds_load_2addr_b32 v[130:131], v4 offset0:107 offset1:108
	s_waitcnt lgkmcnt(3)
	v_fmac_f32_e32 v195, v166, v132
	v_fmac_f32_e32 v195, v167, v133
	s_waitcnt lgkmcnt(2)
	s_delay_alu instid0(VALU_DEP_1) | instskip(SKIP_1) | instid1(VALU_DEP_1)
	v_fmac_f32_e32 v195, v168, v134
	s_waitcnt vmcnt(5)
	v_fmac_f32_e32 v195, v169, v135
	ds_load_2addr_b32 v[132:133], v4 offset0:109 offset1:110
	ds_load_2addr_b32 v[134:135], v4 offset0:111 offset1:112
	s_waitcnt lgkmcnt(3)
	v_fmac_f32_e32 v195, v170, v2
	s_delay_alu instid0(VALU_DEP_1) | instskip(SKIP_4) | instid1(VALU_DEP_1)
	v_fmac_f32_e32 v195, v171, v3
	ds_load_2addr_b32 v[2:3], v4 offset0:113 offset1:114
	s_waitcnt lgkmcnt(3)
	v_fmac_f32_e32 v195, v172, v130
	s_waitcnt vmcnt(4)
	v_fmac_f32_e32 v195, v173, v131
	ds_load_2addr_b32 v[130:131], v4 offset0:115 offset1:116
	s_waitcnt lgkmcnt(3)
	v_fmac_f32_e32 v195, v174, v132
	s_delay_alu instid0(VALU_DEP_1) | instskip(SKIP_1) | instid1(VALU_DEP_1)
	v_fmac_f32_e32 v195, v175, v133
	s_waitcnt lgkmcnt(2)
	v_fmac_f32_e32 v195, v176, v134
	s_waitcnt vmcnt(3)
	s_delay_alu instid0(VALU_DEP_1) | instskip(SKIP_4) | instid1(VALU_DEP_1)
	v_fmac_f32_e32 v195, v177, v135
	ds_load_2addr_b32 v[132:133], v4 offset0:117 offset1:118
	ds_load_2addr_b32 v[134:135], v4 offset0:119 offset1:120
	s_waitcnt lgkmcnt(3)
	v_fmac_f32_e32 v195, v178, v2
	v_fmac_f32_e32 v195, v179, v3
	ds_load_2addr_b32 v[2:3], v4 offset0:121 offset1:122
	s_waitcnt lgkmcnt(3)
	v_fmac_f32_e32 v195, v180, v130
	s_waitcnt vmcnt(2)
	s_delay_alu instid0(VALU_DEP_1) | instskip(SKIP_4) | instid1(VALU_DEP_1)
	v_fmac_f32_e32 v195, v181, v131
	ds_load_2addr_b32 v[130:131], v4 offset0:123 offset1:124
	ds_load_b32 v4, v4 offset:500
	s_waitcnt lgkmcnt(4)
	v_fmac_f32_e32 v195, v182, v132
	v_fmac_f32_e32 v195, v183, v133
	s_waitcnt lgkmcnt(3)
	s_delay_alu instid0(VALU_DEP_1) | instskip(SKIP_1) | instid1(VALU_DEP_1)
	v_fmac_f32_e32 v195, v184, v134
	s_waitcnt vmcnt(1)
	v_fmac_f32_e32 v195, v185, v135
	s_waitcnt lgkmcnt(2)
	s_delay_alu instid0(VALU_DEP_1) | instskip(NEXT) | instid1(VALU_DEP_1)
	v_fmac_f32_e32 v195, v186, v2
	v_fmac_f32_e32 v195, v187, v3
	s_waitcnt lgkmcnt(1)
	s_delay_alu instid0(VALU_DEP_1) | instskip(SKIP_1) | instid1(VALU_DEP_1)
	v_fmac_f32_e32 v195, v188, v130
	s_waitcnt vmcnt(0)
	v_fmac_f32_e32 v195, v0, v131
	s_waitcnt lgkmcnt(0)
	s_delay_alu instid0(VALU_DEP_1) | instskip(NEXT) | instid1(VALU_DEP_1)
	v_fmac_f32_e32 v195, v1, v4
	v_sub_f32_e32 v1, v129, v195
	scratch_store_b32 off, v1, off
	s_cbranch_vccz .LBB61_503
; %bb.380:
	v_dual_mov_b32 v1, s12 :: v_dual_mov_b32 v2, s13
	s_mov_b32 s0, exec_lo
	flat_load_b32 v1, v[1:2] offset:240
	s_waitcnt vmcnt(0) lgkmcnt(0)
	v_cmpx_ne_u32_e32 61, v1
	s_cbranch_execz .LBB61_382
; %bb.381:
	v_lshl_add_u32 v1, v1, 2, 0
	scratch_load_b32 v2, v1, off offset:-4
	s_waitcnt vmcnt(0)
	scratch_store_b32 off, v2, off offset:240
	scratch_store_b32 v1, v0, off offset:-4
.LBB61_382:
	s_or_b32 exec_lo, exec_lo, s0
	v_dual_mov_b32 v0, s12 :: v_dual_mov_b32 v1, s13
	s_mov_b32 s0, exec_lo
	flat_load_b32 v0, v[0:1] offset:236
	s_waitcnt vmcnt(0) lgkmcnt(0)
	v_cmpx_ne_u32_e32 60, v0
	s_cbranch_execz .LBB61_384
; %bb.383:
	v_lshl_add_u32 v0, v0, 2, 0
	scratch_load_b32 v1, v0, off offset:-4
	scratch_load_b32 v2, off, off offset:236
	s_waitcnt vmcnt(1)
	scratch_store_b32 off, v1, off offset:236
	s_waitcnt vmcnt(0)
	scratch_store_b32 v0, v2, off offset:-4
.LBB61_384:
	s_or_b32 exec_lo, exec_lo, s0
	v_dual_mov_b32 v0, s12 :: v_dual_mov_b32 v1, s13
	s_mov_b32 s0, exec_lo
	flat_load_b32 v0, v[0:1] offset:232
	s_waitcnt vmcnt(0) lgkmcnt(0)
	v_cmpx_ne_u32_e32 59, v0
	s_cbranch_execz .LBB61_386
; %bb.385:
	v_lshl_add_u32 v0, v0, 2, 0
	scratch_load_b32 v1, v0, off offset:-4
	scratch_load_b32 v2, off, off offset:232
	s_waitcnt vmcnt(1)
	scratch_store_b32 off, v1, off offset:232
	s_waitcnt vmcnt(0)
	scratch_store_b32 v0, v2, off offset:-4
.LBB61_386:
	;; [unrolled: 16-line block ×59, first 2 shown]
	s_or_b32 exec_lo, exec_lo, s0
	v_dual_mov_b32 v0, s12 :: v_dual_mov_b32 v1, s13
	s_mov_b32 s0, exec_lo
	flat_load_b32 v0, v[0:1]
	scratch_load_b32 v1, off, off
	s_waitcnt vmcnt(1) lgkmcnt(0)
	v_cmpx_ne_u32_e32 1, v0
	s_cbranch_execz .LBB61_502
; %bb.501:
	v_lshl_add_u32 v0, v0, 2, 0
	scratch_load_b32 v2, v0, off offset:-4
	s_waitcnt vmcnt(0)
	scratch_store_b32 off, v2, off
	scratch_store_b32 v0, v1, off offset:-4
	scratch_load_b32 v1, off, off
.LBB61_502:
	s_or_b32 exec_lo, exec_lo, s0
.LBB61_503:
	s_clause 0xf
	scratch_load_b128 v[129:132], off, off offset:4
	scratch_load_b128 v[133:136], off, off offset:20
	;; [unrolled: 1-line block ×15, first 2 shown]
	scratch_load_b32 v0, off, off offset:244
	s_waitcnt vmcnt(16)
	global_store_b32 v[5:6], v1, off
	s_waitcnt vmcnt(15)
	s_clause 0x3
	global_store_b32 v[7:8], v129, off
	global_store_b32 v[9:10], v130, off
	global_store_b32 v[11:12], v131, off
	global_store_b32 v[13:14], v132, off
	s_waitcnt vmcnt(14)
	s_clause 0x3
	global_store_b32 v[15:16], v133, off
	global_store_b32 v[17:18], v134, off
	global_store_b32 v[19:20], v135, off
	;; [unrolled: 6-line block ×15, first 2 shown]
	global_store_b32 v[127:128], v188, off
	s_waitcnt vmcnt(0)
	global_store_b32 v[71:72], v0, off
	s_endpgm
	.section	.rodata,"a",@progbits
	.p2align	6, 0x0
	.amdhsa_kernel _ZN9rocsolver6v33100L18getri_kernel_smallILi62EfPfEEvT1_iilPiilS4_bb
		.amdhsa_group_segment_fixed_size 504
		.amdhsa_private_segment_fixed_size 256
		.amdhsa_kernarg_size 60
		.amdhsa_user_sgpr_count 15
		.amdhsa_user_sgpr_dispatch_ptr 0
		.amdhsa_user_sgpr_queue_ptr 0
		.amdhsa_user_sgpr_kernarg_segment_ptr 1
		.amdhsa_user_sgpr_dispatch_id 0
		.amdhsa_user_sgpr_private_segment_size 0
		.amdhsa_wavefront_size32 1
		.amdhsa_uses_dynamic_stack 0
		.amdhsa_enable_private_segment 1
		.amdhsa_system_sgpr_workgroup_id_x 1
		.amdhsa_system_sgpr_workgroup_id_y 0
		.amdhsa_system_sgpr_workgroup_id_z 0
		.amdhsa_system_sgpr_workgroup_info 0
		.amdhsa_system_vgpr_workitem_id 0
		.amdhsa_next_free_vgpr 197
		.amdhsa_next_free_sgpr 18
		.amdhsa_reserve_vcc 1
		.amdhsa_float_round_mode_32 0
		.amdhsa_float_round_mode_16_64 0
		.amdhsa_float_denorm_mode_32 3
		.amdhsa_float_denorm_mode_16_64 3
		.amdhsa_dx10_clamp 1
		.amdhsa_ieee_mode 1
		.amdhsa_fp16_overflow 0
		.amdhsa_workgroup_processor_mode 1
		.amdhsa_memory_ordered 1
		.amdhsa_forward_progress 0
		.amdhsa_shared_vgpr_count 0
		.amdhsa_exception_fp_ieee_invalid_op 0
		.amdhsa_exception_fp_denorm_src 0
		.amdhsa_exception_fp_ieee_div_zero 0
		.amdhsa_exception_fp_ieee_overflow 0
		.amdhsa_exception_fp_ieee_underflow 0
		.amdhsa_exception_fp_ieee_inexact 0
		.amdhsa_exception_int_div_zero 0
	.end_amdhsa_kernel
	.section	.text._ZN9rocsolver6v33100L18getri_kernel_smallILi62EfPfEEvT1_iilPiilS4_bb,"axG",@progbits,_ZN9rocsolver6v33100L18getri_kernel_smallILi62EfPfEEvT1_iilPiilS4_bb,comdat
.Lfunc_end61:
	.size	_ZN9rocsolver6v33100L18getri_kernel_smallILi62EfPfEEvT1_iilPiilS4_bb, .Lfunc_end61-_ZN9rocsolver6v33100L18getri_kernel_smallILi62EfPfEEvT1_iilPiilS4_bb
                                        ; -- End function
	.section	.AMDGPU.csdata,"",@progbits
; Kernel info:
; codeLenInByte = 50656
; NumSgprs: 20
; NumVgprs: 197
; ScratchSize: 256
; MemoryBound: 0
; FloatMode: 240
; IeeeMode: 1
; LDSByteSize: 504 bytes/workgroup (compile time only)
; SGPRBlocks: 2
; VGPRBlocks: 24
; NumSGPRsForWavesPerEU: 20
; NumVGPRsForWavesPerEU: 197
; Occupancy: 7
; WaveLimiterHint : 1
; COMPUTE_PGM_RSRC2:SCRATCH_EN: 1
; COMPUTE_PGM_RSRC2:USER_SGPR: 15
; COMPUTE_PGM_RSRC2:TRAP_HANDLER: 0
; COMPUTE_PGM_RSRC2:TGID_X_EN: 1
; COMPUTE_PGM_RSRC2:TGID_Y_EN: 0
; COMPUTE_PGM_RSRC2:TGID_Z_EN: 0
; COMPUTE_PGM_RSRC2:TIDIG_COMP_CNT: 0
	.section	.text._ZN9rocsolver6v33100L18getri_kernel_smallILi63EfPfEEvT1_iilPiilS4_bb,"axG",@progbits,_ZN9rocsolver6v33100L18getri_kernel_smallILi63EfPfEEvT1_iilPiilS4_bb,comdat
	.globl	_ZN9rocsolver6v33100L18getri_kernel_smallILi63EfPfEEvT1_iilPiilS4_bb ; -- Begin function _ZN9rocsolver6v33100L18getri_kernel_smallILi63EfPfEEvT1_iilPiilS4_bb
	.p2align	8
	.type	_ZN9rocsolver6v33100L18getri_kernel_smallILi63EfPfEEvT1_iilPiilS4_bb,@function
_ZN9rocsolver6v33100L18getri_kernel_smallILi63EfPfEEvT1_iilPiilS4_bb: ; @_ZN9rocsolver6v33100L18getri_kernel_smallILi63EfPfEEvT1_iilPiilS4_bb
; %bb.0:
	s_mov_b32 s2, exec_lo
	v_cmpx_gt_u32_e32 63, v0
	s_cbranch_execz .LBB62_260
; %bb.1:
	s_clause 0x2
	s_load_b32 s17, s[0:1], 0x38
	s_load_b128 s[8:11], s[0:1], 0x10
	s_load_b128 s[4:7], s[0:1], 0x28
	s_mov_b32 s14, s15
                                        ; implicit-def: $sgpr12_sgpr13
	s_waitcnt lgkmcnt(0)
	s_bitcmp1_b32 s17, 8
	s_cselect_b32 s16, -1, 0
	s_bfe_u32 s2, s17, 0x10008
	s_ashr_i32 s15, s15, 31
	s_cmp_eq_u32 s2, 0
	s_cbranch_scc1 .LBB62_3
; %bb.2:
	s_load_b32 s2, s[0:1], 0x20
	s_mul_i32 s3, s14, s5
	s_mul_hi_u32 s5, s14, s4
	s_mul_i32 s12, s15, s4
	s_add_i32 s3, s5, s3
	s_mul_i32 s4, s14, s4
	s_add_i32 s5, s3, s12
	s_delay_alu instid0(SALU_CYCLE_1)
	s_lshl_b64 s[4:5], s[4:5], 2
	s_waitcnt lgkmcnt(0)
	s_ashr_i32 s3, s2, 31
	s_add_u32 s4, s10, s4
	s_addc_u32 s5, s11, s5
	s_lshl_b64 s[2:3], s[2:3], 2
	s_delay_alu instid0(SALU_CYCLE_1)
	s_add_u32 s12, s4, s2
	s_addc_u32 s13, s5, s3
.LBB62_3:
	s_load_b128 s[0:3], s[0:1], 0x0
	s_mul_i32 s4, s14, s9
	s_mul_hi_u32 s5, s14, s8
	s_mul_i32 s9, s15, s8
	s_add_i32 s5, s5, s4
	s_mul_i32 s4, s14, s8
	s_add_i32 s5, s5, s9
	v_lshlrev_b32_e32 v131, 2, v0
	s_lshl_b64 s[4:5], s[4:5], 2
	s_waitcnt lgkmcnt(0)
	v_add3_u32 v2, s3, s3, v0
	s_ashr_i32 s9, s2, 31
	s_mov_b32 s8, s2
	s_add_u32 s2, s0, s4
	s_addc_u32 s4, s1, s5
	v_add_nc_u32_e32 v9, s3, v2
	s_lshl_b64 s[0:1], s[8:9], 2
	v_ashrrev_i32_e32 v3, 31, v2
	s_add_u32 s0, s2, s0
	s_addc_u32 s1, s4, s1
	v_add_nc_u32_e32 v11, s3, v9
	v_add_co_u32 v5, s2, s0, v131
	v_ashrrev_i32_e32 v10, 31, v9
	s_mov_b32 s10, s3
	s_delay_alu instid0(VALU_DEP_3) | instskip(SKIP_3) | instid1(VALU_DEP_3)
	v_add_nc_u32_e32 v13, s3, v11
	s_ashr_i32 s11, s3, 31
	v_add_co_ci_u32_e64 v6, null, s1, 0, s2
	v_lshlrev_b64 v[2:3], 2, v[2:3]
	v_add_nc_u32_e32 v15, s3, v13
	s_lshl_b64 s[4:5], s[10:11], 2
	v_lshlrev_b64 v[56:57], 2, v[9:10]
	v_add_co_u32 v7, vcc_lo, v5, s4
	s_delay_alu instid0(VALU_DEP_3) | instskip(SKIP_3) | instid1(VALU_DEP_4)
	v_add_nc_u32_e32 v17, s3, v15
	v_ashrrev_i32_e32 v12, 31, v11
	v_add_co_ci_u32_e32 v8, vcc_lo, s5, v6, vcc_lo
	v_add_co_u32 v9, vcc_lo, s0, v2
	v_add_nc_u32_e32 v19, s3, v17
	v_ashrrev_i32_e32 v14, 31, v13
	v_add_co_ci_u32_e32 v10, vcc_lo, s1, v3, vcc_lo
	v_lshlrev_b64 v[2:3], 2, v[11:12]
	s_delay_alu instid0(VALU_DEP_4) | instskip(SKIP_2) | instid1(VALU_DEP_3)
	v_add_nc_u32_e32 v21, s3, v19
	v_add_co_u32 v11, vcc_lo, s0, v56
	v_add_co_ci_u32_e32 v12, vcc_lo, s1, v57, vcc_lo
	v_add_nc_u32_e32 v23, s3, v21
	v_lshlrev_b64 v[56:57], 2, v[13:14]
	v_ashrrev_i32_e32 v16, 31, v15
	v_add_co_u32 v13, vcc_lo, s0, v2
	s_delay_alu instid0(VALU_DEP_4) | instskip(SKIP_3) | instid1(VALU_DEP_4)
	v_add_nc_u32_e32 v25, s3, v23
	v_ashrrev_i32_e32 v18, 31, v17
	v_add_co_ci_u32_e32 v14, vcc_lo, s1, v3, vcc_lo
	v_lshlrev_b64 v[2:3], 2, v[15:16]
	v_add_nc_u32_e32 v27, s3, v25
	v_add_co_u32 v15, vcc_lo, s0, v56
	v_add_co_ci_u32_e32 v16, vcc_lo, s1, v57, vcc_lo
	s_delay_alu instid0(VALU_DEP_3) | instskip(SKIP_3) | instid1(VALU_DEP_4)
	v_add_nc_u32_e32 v29, s3, v27
	v_lshlrev_b64 v[56:57], 2, v[17:18]
	v_ashrrev_i32_e32 v20, 31, v19
	v_add_co_u32 v17, vcc_lo, s0, v2
	v_add_nc_u32_e32 v31, s3, v29
	v_ashrrev_i32_e32 v22, 31, v21
	v_add_co_ci_u32_e32 v18, vcc_lo, s1, v3, vcc_lo
	v_lshlrev_b64 v[2:3], 2, v[19:20]
	s_delay_alu instid0(VALU_DEP_4) | instskip(SKIP_3) | instid1(VALU_DEP_4)
	v_add_nc_u32_e32 v33, s3, v31
	v_add_co_u32 v19, vcc_lo, s0, v56
	v_ashrrev_i32_e32 v24, 31, v23
	v_add_co_ci_u32_e32 v20, vcc_lo, s1, v57, vcc_lo
	v_add_nc_u32_e32 v35, s3, v33
	v_lshlrev_b64 v[56:57], 2, v[21:22]
	v_add_co_u32 v21, vcc_lo, s0, v2
	v_lshlrev_b64 v[71:72], 2, v[23:24]
	s_delay_alu instid0(VALU_DEP_4) | instskip(SKIP_3) | instid1(VALU_DEP_4)
	v_add_nc_u32_e32 v37, s3, v35
	v_ashrrev_i32_e32 v26, 31, v25
	v_add_co_ci_u32_e32 v22, vcc_lo, s1, v3, vcc_lo
	v_add_co_u32 v23, vcc_lo, s0, v56
	v_add_nc_u32_e32 v39, s3, v37
	v_ashrrev_i32_e32 v28, 31, v27
	v_add_co_ci_u32_e32 v24, vcc_lo, s1, v57, vcc_lo
	v_lshlrev_b64 v[56:57], 2, v[25:26]
	s_delay_alu instid0(VALU_DEP_4) | instskip(SKIP_2) | instid1(VALU_DEP_3)
	v_add_nc_u32_e32 v41, s3, v39
	v_add_co_u32 v25, vcc_lo, s0, v71
	v_add_co_ci_u32_e32 v26, vcc_lo, s1, v72, vcc_lo
	v_add_nc_u32_e32 v43, s3, v41
	v_lshlrev_b64 v[71:72], 2, v[27:28]
	v_ashrrev_i32_e32 v30, 31, v29
	v_add_co_u32 v27, vcc_lo, s0, v56
	s_delay_alu instid0(VALU_DEP_4) | instskip(SKIP_3) | instid1(VALU_DEP_4)
	v_add_nc_u32_e32 v45, s3, v43
	v_ashrrev_i32_e32 v32, 31, v31
	v_add_co_ci_u32_e32 v28, vcc_lo, s1, v57, vcc_lo
	v_lshlrev_b64 v[56:57], 2, v[29:30]
	v_add_nc_u32_e32 v47, s3, v45
	v_add_co_u32 v29, vcc_lo, s0, v71
	v_add_co_ci_u32_e32 v30, vcc_lo, s1, v72, vcc_lo
	s_delay_alu instid0(VALU_DEP_3) | instskip(SKIP_3) | instid1(VALU_DEP_4)
	v_add_nc_u32_e32 v49, s3, v47
	v_lshlrev_b64 v[71:72], 2, v[31:32]
	v_ashrrev_i32_e32 v34, 31, v33
	v_add_co_u32 v31, vcc_lo, s0, v56
	v_add_nc_u32_e32 v51, s3, v49
	v_ashrrev_i32_e32 v36, 31, v35
	v_add_co_ci_u32_e32 v32, vcc_lo, s1, v57, vcc_lo
	v_lshlrev_b64 v[56:57], 2, v[33:34]
	s_delay_alu instid0(VALU_DEP_4) | instskip(SKIP_2) | instid1(VALU_DEP_3)
	v_add_nc_u32_e32 v53, s3, v51
	v_add_co_u32 v33, vcc_lo, s0, v71
	v_add_co_ci_u32_e32 v34, vcc_lo, s1, v72, vcc_lo
	v_add_nc_u32_e32 v55, s3, v53
	v_lshlrev_b64 v[71:72], 2, v[35:36]
	v_ashrrev_i32_e32 v38, 31, v37
	v_add_co_u32 v35, vcc_lo, s0, v56
	s_delay_alu instid0(VALU_DEP_4) | instskip(SKIP_3) | instid1(VALU_DEP_4)
	v_add_nc_u32_e32 v58, s3, v55
	v_ashrrev_i32_e32 v40, 31, v39
	v_add_co_ci_u32_e32 v36, vcc_lo, s1, v57, vcc_lo
	v_lshlrev_b64 v[56:57], 2, v[37:38]
	v_add_nc_u32_e32 v60, s3, v58
	v_add_co_u32 v37, vcc_lo, s0, v71
	v_add_co_ci_u32_e32 v38, vcc_lo, s1, v72, vcc_lo
	s_delay_alu instid0(VALU_DEP_3) | instskip(SKIP_3) | instid1(VALU_DEP_4)
	v_add_nc_u32_e32 v62, s3, v60
	v_lshlrev_b64 v[71:72], 2, v[39:40]
	v_ashrrev_i32_e32 v42, 31, v41
	;; [unrolled: 25-line block ×3, first 2 shown]
	v_add_co_u32 v47, vcc_lo, s0, v56
	v_add_nc_u32_e32 v77, s3, v75
	v_ashrrev_i32_e32 v52, 31, v51
	v_add_co_ci_u32_e32 v48, vcc_lo, s1, v57, vcc_lo
	v_lshlrev_b64 v[56:57], 2, v[49:50]
	s_delay_alu instid0(VALU_DEP_4) | instskip(SKIP_3) | instid1(VALU_DEP_4)
	v_add_nc_u32_e32 v79, s3, v77
	v_add_co_u32 v49, vcc_lo, s0, v71
	v_ashrrev_i32_e32 v54, 31, v53
	v_add_co_ci_u32_e32 v50, vcc_lo, s1, v72, vcc_lo
	v_add_nc_u32_e32 v81, s3, v79
	v_lshlrev_b64 v[71:72], 2, v[51:52]
	v_add_co_u32 v51, vcc_lo, s0, v56
	v_lshlrev_b64 v[86:87], 2, v[53:54]
	s_delay_alu instid0(VALU_DEP_4) | instskip(SKIP_3) | instid1(VALU_DEP_4)
	v_add_nc_u32_e32 v83, s3, v81
	v_ashrrev_i32_e32 v56, 31, v55
	v_add_co_ci_u32_e32 v52, vcc_lo, s1, v57, vcc_lo
	v_add_co_u32 v53, vcc_lo, s0, v71
	v_add_nc_u32_e32 v85, s3, v83
	v_ashrrev_i32_e32 v59, 31, v58
	v_add_co_ci_u32_e32 v54, vcc_lo, s1, v72, vcc_lo
	v_lshlrev_b64 v[71:72], 2, v[55:56]
	s_delay_alu instid0(VALU_DEP_4) | instskip(SKIP_2) | instid1(VALU_DEP_3)
	v_add_nc_u32_e32 v89, s3, v85
	v_add_co_u32 v55, vcc_lo, s0, v86
	v_add_co_ci_u32_e32 v56, vcc_lo, s1, v87, vcc_lo
	v_add_nc_u32_e32 v91, s3, v89
	v_lshlrev_b64 v[86:87], 2, v[58:59]
	v_ashrrev_i32_e32 v61, 31, v60
	v_add_co_u32 v57, vcc_lo, s0, v71
	s_delay_alu instid0(VALU_DEP_4) | instskip(SKIP_3) | instid1(VALU_DEP_4)
	v_add_nc_u32_e32 v93, s3, v91
	v_ashrrev_i32_e32 v63, 31, v62
	v_add_co_ci_u32_e32 v58, vcc_lo, s1, v72, vcc_lo
	v_lshlrev_b64 v[71:72], 2, v[60:61]
	v_add_nc_u32_e32 v95, s3, v93
	v_add_co_u32 v59, vcc_lo, s0, v86
	v_add_co_ci_u32_e32 v60, vcc_lo, s1, v87, vcc_lo
	s_delay_alu instid0(VALU_DEP_3) | instskip(SKIP_3) | instid1(VALU_DEP_4)
	v_add_nc_u32_e32 v97, s3, v95
	v_lshlrev_b64 v[86:87], 2, v[62:63]
	v_ashrrev_i32_e32 v65, 31, v64
	v_add_co_u32 v61, vcc_lo, s0, v71
	v_add_nc_u32_e32 v99, s3, v97
	v_ashrrev_i32_e32 v67, 31, v66
	v_add_co_ci_u32_e32 v62, vcc_lo, s1, v72, vcc_lo
	v_lshlrev_b64 v[71:72], 2, v[64:65]
	s_delay_alu instid0(VALU_DEP_4) | instskip(SKIP_3) | instid1(VALU_DEP_4)
	v_add_nc_u32_e32 v101, s3, v99
	v_add_co_u32 v63, vcc_lo, s0, v86
	v_ashrrev_i32_e32 v69, 31, v68
	v_add_co_ci_u32_e32 v64, vcc_lo, s1, v87, vcc_lo
	v_add_nc_u32_e32 v103, s3, v101
	v_lshlrev_b64 v[86:87], 2, v[66:67]
	v_add_co_u32 v65, vcc_lo, s0, v71
	v_lshlrev_b64 v[124:125], 2, v[68:69]
	s_delay_alu instid0(VALU_DEP_4) | instskip(SKIP_3) | instid1(VALU_DEP_4)
	v_add_nc_u32_e32 v105, s3, v103
	v_ashrrev_i32_e32 v71, 31, v70
	v_add_co_ci_u32_e32 v66, vcc_lo, s1, v72, vcc_lo
	v_add_co_u32 v67, vcc_lo, s0, v86
	v_add_nc_u32_e32 v107, s3, v105
	v_add_co_ci_u32_e32 v68, vcc_lo, s1, v87, vcc_lo
	v_lshlrev_b64 v[71:72], 2, v[70:71]
	v_ashrrev_i32_e32 v74, 31, v73
	s_delay_alu instid0(VALU_DEP_4) | instskip(SKIP_3) | instid1(VALU_DEP_4)
	v_add_nc_u32_e32 v109, s3, v107
	v_add_co_u32 v69, vcc_lo, s0, v124
	v_ashrrev_i32_e32 v76, 31, v75
	v_add_co_ci_u32_e32 v70, vcc_lo, s1, v125, vcc_lo
	v_add_nc_u32_e32 v111, s3, v109
	v_lshlrev_b64 v[86:87], 2, v[73:74]
	v_add_co_u32 v73, vcc_lo, s0, v71
	v_add_co_ci_u32_e32 v74, vcc_lo, s1, v72, vcc_lo
	s_delay_alu instid0(VALU_DEP_4) | instskip(SKIP_3) | instid1(VALU_DEP_4)
	v_add_nc_u32_e32 v113, s3, v111
	v_lshlrev_b64 v[71:72], 2, v[75:76]
	v_ashrrev_i32_e32 v78, 31, v77
	v_add_co_u32 v75, vcc_lo, s0, v86
	v_add_nc_u32_e32 v115, s3, v113
	v_add_co_ci_u32_e32 v76, vcc_lo, s1, v87, vcc_lo
	s_delay_alu instid0(VALU_DEP_4) | instskip(SKIP_1) | instid1(VALU_DEP_4)
	v_lshlrev_b64 v[86:87], 2, v[77:78]
	v_ashrrev_i32_e32 v80, 31, v79
	v_add_nc_u32_e32 v117, s3, v115
	v_add_co_u32 v77, vcc_lo, s0, v71
	v_add_co_ci_u32_e32 v78, vcc_lo, s1, v72, vcc_lo
	s_delay_alu instid0(VALU_DEP_3)
	v_add_nc_u32_e32 v119, s3, v117
	v_ashrrev_i32_e32 v82, 31, v81
	v_lshlrev_b64 v[129:130], 2, v[79:80]
	v_ashrrev_i32_e32 v84, 31, v83
	v_ashrrev_i32_e32 v90, 31, v89
	v_add_nc_u32_e32 v121, s3, v119
	v_ashrrev_i32_e32 v92, 31, v91
	v_ashrrev_i32_e32 v94, 31, v93
	;; [unrolled: 1-line block ×3, first 2 shown]
	v_lshlrev_b64 v[89:90], 2, v[89:90]
	v_add_nc_u32_e32 v123, s3, v121
	v_lshlrev_b64 v[91:92], 2, v[91:92]
	v_lshlrev_b64 v[93:94], 2, v[93:94]
	v_ashrrev_i32_e32 v98, 31, v97
	v_lshlrev_b64 v[95:96], 2, v[95:96]
	v_add_nc_u32_e32 v126, s3, v123
	v_ashrrev_i32_e32 v100, 31, v99
	v_ashrrev_i32_e32 v102, 31, v101
	v_lshlrev_b64 v[97:98], 2, v[97:98]
	v_ashrrev_i32_e32 v104, 31, v103
	v_add_nc_u32_e32 v128, s3, v126
	v_lshlrev_b64 v[99:100], 2, v[99:100]
	v_lshlrev_b64 v[101:102], 2, v[101:102]
	v_ashrrev_i32_e32 v106, 31, v105
	v_lshlrev_b64 v[103:104], 2, v[103:104]
	v_add_nc_u32_e32 v185, s3, v128
	v_ashrrev_i32_e32 v108, 31, v107
	v_ashrrev_i32_e32 v110, 31, v109
	v_lshlrev_b64 v[105:106], 2, v[105:106]
	v_ashrrev_i32_e32 v112, 31, v111
	v_add_nc_u32_e32 v124, s3, v185
	v_lshlrev_b64 v[107:108], 2, v[107:108]
	v_lshlrev_b64 v[109:110], 2, v[109:110]
	v_ashrrev_i32_e32 v114, 31, v113
	v_lshlrev_b64 v[111:112], 2, v[111:112]
	v_ashrrev_i32_e32 v125, 31, v124
	v_ashrrev_i32_e32 v116, 31, v115
	;; [unrolled: 1-line block ×3, first 2 shown]
	v_lshlrev_b64 v[113:114], 2, v[113:114]
	v_ashrrev_i32_e32 v120, 31, v119
	v_lshlrev_b64 v[124:125], 2, v[124:125]
	v_lshlrev_b64 v[115:116], 2, v[115:116]
	;; [unrolled: 1-line block ×3, first 2 shown]
	v_ashrrev_i32_e32 v122, 31, v121
	v_lshlrev_b64 v[119:120], 2, v[119:120]
	v_ashrrev_i32_e32 v127, 31, v126
	v_add_co_u32 v71, vcc_lo, s0, v124
	v_add_co_ci_u32_e32 v72, vcc_lo, s1, v125, vcc_lo
	v_add_co_u32 v79, vcc_lo, s0, v86
	v_add_co_ci_u32_e32 v80, vcc_lo, s1, v87, vcc_lo
	v_lshlrev_b64 v[87:88], 2, v[81:82]
	v_add_co_u32 v81, vcc_lo, s0, v129
	v_ashrrev_i32_e32 v86, 31, v85
	v_add_co_ci_u32_e32 v82, vcc_lo, s1, v130, vcc_lo
	v_lshlrev_b64 v[124:125], 2, v[83:84]
	v_add_co_u32 v83, vcc_lo, s0, v87
	v_add_co_ci_u32_e32 v84, vcc_lo, s1, v88, vcc_lo
	v_lshlrev_b64 v[87:88], 2, v[85:86]
	s_delay_alu instid0(VALU_DEP_4) | instskip(SKIP_2) | instid1(VALU_DEP_4)
	v_add_co_u32 v85, vcc_lo, s0, v124
	v_add_co_ci_u32_e32 v86, vcc_lo, s1, v125, vcc_lo
	v_ashrrev_i32_e32 v124, 31, v123
	v_add_co_u32 v87, vcc_lo, s0, v87
	v_add_co_ci_u32_e32 v88, vcc_lo, s1, v88, vcc_lo
	v_add_co_u32 v89, vcc_lo, s0, v89
	v_add_co_ci_u32_e32 v90, vcc_lo, s1, v90, vcc_lo
	;; [unrolled: 2-line block ×15, first 2 shown]
	v_add_co_u32 v117, vcc_lo, s0, v117
	v_lshlrev_b64 v[121:122], 2, v[121:122]
	v_add_co_ci_u32_e32 v118, vcc_lo, s1, v118, vcc_lo
	v_add_co_u32 v119, vcc_lo, s0, v119
	v_lshlrev_b64 v[123:124], 2, v[123:124]
	v_ashrrev_i32_e32 v129, 31, v128
	v_add_co_ci_u32_e32 v120, vcc_lo, s1, v120, vcc_lo
	v_add_co_u32 v121, vcc_lo, s0, v121
	v_lshlrev_b64 v[125:126], 2, v[126:127]
	v_ashrrev_i32_e32 v186, 31, v185
	v_add_co_ci_u32_e32 v122, vcc_lo, s1, v122, vcc_lo
	v_add_co_u32 v123, vcc_lo, s0, v123
	v_lshlrev_b64 v[127:128], 2, v[128:129]
	v_add_co_ci_u32_e32 v124, vcc_lo, s1, v124, vcc_lo
	v_add_co_u32 v125, vcc_lo, s0, v125
	v_lshlrev_b64 v[129:130], 2, v[185:186]
	v_add_co_ci_u32_e32 v126, vcc_lo, s1, v126, vcc_lo
	v_add_co_u32 v127, vcc_lo, s0, v127
	v_add_co_ci_u32_e32 v128, vcc_lo, s1, v128, vcc_lo
	s_delay_alu instid0(VALU_DEP_4)
	v_add_co_u32 v129, vcc_lo, s0, v129
	s_clause 0x1f
	global_load_b32 v1, v131, s[0:1]
	global_load_b32 v2, v[7:8], off
	global_load_b32 v3, v[9:10], off
	global_load_b32 v4, v[11:12], off
	global_load_b32 v132, v[13:14], off
	global_load_b32 v133, v[15:16], off
	global_load_b32 v134, v[17:18], off
	global_load_b32 v135, v[19:20], off
	global_load_b32 v136, v[21:22], off
	global_load_b32 v137, v[23:24], off
	global_load_b32 v138, v[25:26], off
	global_load_b32 v139, v[27:28], off
	global_load_b32 v140, v[29:30], off
	global_load_b32 v141, v[31:32], off
	global_load_b32 v142, v[33:34], off
	global_load_b32 v143, v[35:36], off
	global_load_b32 v144, v[37:38], off
	global_load_b32 v145, v[39:40], off
	global_load_b32 v146, v[41:42], off
	global_load_b32 v147, v[43:44], off
	global_load_b32 v148, v[45:46], off
	global_load_b32 v149, v[47:48], off
	global_load_b32 v150, v[49:50], off
	global_load_b32 v151, v[51:52], off
	global_load_b32 v152, v[53:54], off
	global_load_b32 v153, v[55:56], off
	global_load_b32 v154, v[57:58], off
	global_load_b32 v155, v[59:60], off
	global_load_b32 v156, v[61:62], off
	global_load_b32 v157, v[63:64], off
	global_load_b32 v158, v[65:66], off
	global_load_b32 v159, v[67:68], off
	s_clause 0x18
	global_load_b32 v160, v[69:70], off
	global_load_b32 v161, v[73:74], off
	;; [unrolled: 1-line block ×25, first 2 shown]
	v_add_co_ci_u32_e32 v130, vcc_lo, s1, v130, vcc_lo
	s_clause 0x5
	global_load_b32 v185, v[121:122], off
	global_load_b32 v186, v[123:124], off
	;; [unrolled: 1-line block ×6, first 2 shown]
	s_bitcmp0_b32 s17, 0
	s_mov_b32 s1, -1
	s_waitcnt vmcnt(59)
	scratch_store_b128 off, v[1:4], off
	s_waitcnt vmcnt(55)
	scratch_store_b128 off, v[132:135], off offset:16
	s_waitcnt vmcnt(51)
	scratch_store_b128 off, v[136:139], off offset:32
	;; [unrolled: 2-line block ×14, first 2 shown]
	s_waitcnt vmcnt(0)
	scratch_store_b96 off, v[188:190], off offset:240
	s_cbranch_scc1 .LBB62_258
; %bb.4:
	v_cmp_eq_u32_e64 s0, 0, v0
	s_delay_alu instid0(VALU_DEP_1)
	s_and_saveexec_b32 s1, s0
	s_cbranch_execz .LBB62_6
; %bb.5:
	v_mov_b32_e32 v1, 0
	ds_store_b32 v1, v1 offset:252
.LBB62_6:
	s_or_b32 exec_lo, exec_lo, s1
	s_waitcnt lgkmcnt(0)
	s_waitcnt_vscnt null, 0x0
	s_barrier
	buffer_gl0_inv
	scratch_load_b32 v1, v131, off
	s_mov_b32 s2, exec_lo
	s_waitcnt vmcnt(0)
	v_cmpx_eq_f32_e32 0, v1
	s_cbranch_execz .LBB62_10
; %bb.7:
	v_mov_b32_e32 v1, 0
	s_mov_b32 s3, 0
	ds_load_b32 v2, v1 offset:252
	s_waitcnt lgkmcnt(0)
	v_readfirstlane_b32 s1, v2
	v_add_nc_u32_e32 v2, 1, v0
	s_delay_alu instid0(VALU_DEP_2) | instskip(NEXT) | instid1(VALU_DEP_1)
	s_cmp_eq_u32 s1, 0
	v_cmp_gt_i32_e32 vcc_lo, s1, v2
	s_cselect_b32 s4, -1, 0
	s_delay_alu instid0(SALU_CYCLE_1) | instskip(NEXT) | instid1(SALU_CYCLE_1)
	s_or_b32 s4, s4, vcc_lo
	s_and_b32 exec_lo, exec_lo, s4
	s_cbranch_execz .LBB62_10
; %bb.8:
	v_mov_b32_e32 v3, s1
.LBB62_9:                               ; =>This Inner Loop Header: Depth=1
	ds_cmpstore_rtn_b32 v3, v1, v2, v3 offset:252
	s_waitcnt lgkmcnt(0)
	v_cmp_ne_u32_e32 vcc_lo, 0, v3
	v_cmp_le_i32_e64 s1, v3, v2
	s_delay_alu instid0(VALU_DEP_1) | instskip(NEXT) | instid1(SALU_CYCLE_1)
	s_and_b32 s1, vcc_lo, s1
	s_and_b32 s1, exec_lo, s1
	s_delay_alu instid0(SALU_CYCLE_1) | instskip(NEXT) | instid1(SALU_CYCLE_1)
	s_or_b32 s3, s1, s3
	s_and_not1_b32 exec_lo, exec_lo, s3
	s_cbranch_execnz .LBB62_9
.LBB62_10:
	s_or_b32 exec_lo, exec_lo, s2
	v_mov_b32_e32 v1, 0
	s_barrier
	buffer_gl0_inv
	ds_load_b32 v2, v1 offset:252
	s_and_saveexec_b32 s1, s0
	s_cbranch_execz .LBB62_12
; %bb.11:
	s_lshl_b64 s[2:3], s[14:15], 2
	s_delay_alu instid0(SALU_CYCLE_1)
	s_add_u32 s2, s6, s2
	s_addc_u32 s3, s7, s3
	s_waitcnt lgkmcnt(0)
	global_store_b32 v1, v2, s[2:3]
.LBB62_12:
	s_or_b32 exec_lo, exec_lo, s1
	s_waitcnt lgkmcnt(0)
	v_cmp_ne_u32_e32 vcc_lo, 0, v2
	s_mov_b32 s1, 0
	s_cbranch_vccnz .LBB62_258
; %bb.13:
	v_add_nc_u32_e32 v1, 0, v131
	scratch_load_b32 v2, v1, off
	s_waitcnt vmcnt(0)
	v_div_scale_f32 v3, null, v2, v2, 1.0
	v_div_scale_f32 v133, vcc_lo, 1.0, v2, 1.0
	s_delay_alu instid0(VALU_DEP_2) | instskip(SKIP_2) | instid1(VALU_DEP_1)
	v_rcp_f32_e32 v4, v3
	s_waitcnt_depctr 0xfff
	v_fma_f32 v132, -v3, v4, 1.0
	v_fmac_f32_e32 v4, v132, v4
	s_delay_alu instid0(VALU_DEP_1) | instskip(NEXT) | instid1(VALU_DEP_1)
	v_mul_f32_e32 v132, v133, v4
	v_fma_f32 v134, -v3, v132, v133
	s_delay_alu instid0(VALU_DEP_1) | instskip(NEXT) | instid1(VALU_DEP_1)
	v_fmac_f32_e32 v132, v134, v4
	v_fma_f32 v3, -v3, v132, v133
	s_delay_alu instid0(VALU_DEP_1) | instskip(NEXT) | instid1(VALU_DEP_1)
	v_div_fmas_f32 v3, v3, v4, v132
	v_div_fixup_f32 v2, v3, v2, 1.0
	scratch_store_b32 v1, v2, off
	scratch_load_b32 v3, off, off offset:4
	v_xor_b32_e32 v4, 0x80000000, v2
	v_or_b32_e32 v2, 0x100, v131
	s_waitcnt vmcnt(0)
	ds_store_2addr_stride64_b32 v131, v4, v3 offset1:1
	s_waitcnt lgkmcnt(0)
	s_waitcnt_vscnt null, 0x0
	s_barrier
	buffer_gl0_inv
	s_and_saveexec_b32 s1, s0
	s_cbranch_execz .LBB62_15
; %bb.14:
	scratch_load_b32 v3, v1, off
	ds_load_b32 v4, v2
	v_mov_b32_e32 v132, 0
	ds_load_b32 v132, v132 offset:4
	s_waitcnt vmcnt(0) lgkmcnt(1)
	v_fma_f32 v3, v3, v4, 0
	s_waitcnt lgkmcnt(0)
	s_delay_alu instid0(VALU_DEP_1)
	v_mul_f32_e32 v3, v3, v132
	scratch_store_b32 off, v3, off offset:4
.LBB62_15:
	s_or_b32 exec_lo, exec_lo, s1
	s_waitcnt_vscnt null, 0x0
	s_barrier
	buffer_gl0_inv
	scratch_load_b32 v3, off, off offset:8
	s_mov_b32 s1, exec_lo
	s_waitcnt vmcnt(0)
	ds_store_b32 v2, v3
	s_waitcnt lgkmcnt(0)
	s_barrier
	buffer_gl0_inv
	v_cmpx_gt_u32_e32 2, v0
	s_cbranch_execz .LBB62_17
; %bb.16:
	scratch_load_b32 v132, v1, off
	scratch_load_b32 v133, off, off offset:4
	ds_load_b32 v134, v2
	v_mov_b32_e32 v3, 0
	ds_load_2addr_b32 v[3:4], v3 offset0:2 offset1:65
	s_waitcnt vmcnt(1) lgkmcnt(1)
	v_fma_f32 v132, v132, v134, 0
	s_waitcnt vmcnt(0) lgkmcnt(0)
	s_delay_alu instid0(VALU_DEP_1) | instskip(NEXT) | instid1(VALU_DEP_1)
	v_fma_f32 v4, v133, v4, v132
	v_cndmask_b32_e64 v4, v132, v4, s0
	s_delay_alu instid0(VALU_DEP_1)
	v_mul_f32_e32 v3, v4, v3
	scratch_store_b32 off, v3, off offset:8
.LBB62_17:
	s_or_b32 exec_lo, exec_lo, s1
	s_waitcnt_vscnt null, 0x0
	s_barrier
	buffer_gl0_inv
	scratch_load_b32 v4, off, off offset:12
	v_add_nc_u32_e32 v3, -1, v0
	s_mov_b32 s0, exec_lo
	s_waitcnt vmcnt(0)
	ds_store_b32 v2, v4
	s_waitcnt lgkmcnt(0)
	s_barrier
	buffer_gl0_inv
	v_cmpx_gt_u32_e32 3, v0
	s_cbranch_execz .LBB62_21
; %bb.18:
	v_add_nc_u32_e32 v132, -1, v0
	v_or_b32_e32 v133, 0x100, v131
	v_add_nc_u32_e32 v134, 0, v131
	v_mov_b32_e32 v4, 0
	s_mov_b32 s1, 0
.LBB62_19:                              ; =>This Inner Loop Header: Depth=1
	scratch_load_b32 v135, v134, off
	ds_load_b32 v136, v133
	v_add_nc_u32_e32 v132, 1, v132
	v_add_nc_u32_e32 v133, 4, v133
	v_add_nc_u32_e32 v134, 4, v134
	s_delay_alu instid0(VALU_DEP_3)
	v_cmp_lt_u32_e32 vcc_lo, 1, v132
	s_or_b32 s1, vcc_lo, s1
	s_waitcnt vmcnt(0) lgkmcnt(0)
	v_fmac_f32_e32 v4, v135, v136
	s_and_not1_b32 exec_lo, exec_lo, s1
	s_cbranch_execnz .LBB62_19
; %bb.20:
	s_or_b32 exec_lo, exec_lo, s1
	v_mov_b32_e32 v132, 0
	ds_load_b32 v132, v132 offset:12
	s_waitcnt lgkmcnt(0)
	v_mul_f32_e32 v4, v4, v132
	scratch_store_b32 off, v4, off offset:12
.LBB62_21:
	s_or_b32 exec_lo, exec_lo, s0
	s_waitcnt_vscnt null, 0x0
	s_barrier
	buffer_gl0_inv
	scratch_load_b32 v4, off, off offset:16
	s_mov_b32 s0, exec_lo
	s_waitcnt vmcnt(0)
	ds_store_b32 v2, v4
	s_waitcnt lgkmcnt(0)
	s_barrier
	buffer_gl0_inv
	v_cmpx_gt_u32_e32 4, v0
	s_cbranch_execz .LBB62_25
; %bb.22:
	v_add_nc_u32_e32 v132, -1, v0
	v_or_b32_e32 v133, 0x100, v131
	v_add_nc_u32_e32 v134, 0, v131
	v_mov_b32_e32 v4, 0
	s_mov_b32 s1, 0
.LBB62_23:                              ; =>This Inner Loop Header: Depth=1
	scratch_load_b32 v135, v134, off
	ds_load_b32 v136, v133
	v_add_nc_u32_e32 v132, 1, v132
	v_add_nc_u32_e32 v133, 4, v133
	v_add_nc_u32_e32 v134, 4, v134
	s_delay_alu instid0(VALU_DEP_3)
	v_cmp_lt_u32_e32 vcc_lo, 2, v132
	s_or_b32 s1, vcc_lo, s1
	s_waitcnt vmcnt(0) lgkmcnt(0)
	v_fmac_f32_e32 v4, v135, v136
	s_and_not1_b32 exec_lo, exec_lo, s1
	s_cbranch_execnz .LBB62_23
; %bb.24:
	s_or_b32 exec_lo, exec_lo, s1
	v_mov_b32_e32 v132, 0
	ds_load_b32 v132, v132 offset:16
	s_waitcnt lgkmcnt(0)
	v_mul_f32_e32 v4, v4, v132
	scratch_store_b32 off, v4, off offset:16
.LBB62_25:
	s_or_b32 exec_lo, exec_lo, s0
	s_waitcnt_vscnt null, 0x0
	s_barrier
	buffer_gl0_inv
	scratch_load_b32 v4, off, off offset:20
	;; [unrolled: 40-line block ×21, first 2 shown]
	s_mov_b32 s0, exec_lo
	s_waitcnt vmcnt(0)
	ds_store_b32 v2, v4
	s_waitcnt lgkmcnt(0)
	s_barrier
	buffer_gl0_inv
	v_cmpx_gt_u32_e32 24, v0
	s_cbranch_execz .LBB62_105
; %bb.102:
	v_add_nc_u32_e32 v132, -1, v0
	v_or_b32_e32 v133, 0x100, v131
	v_add_nc_u32_e32 v134, 0, v131
	v_mov_b32_e32 v4, 0
	s_mov_b32 s1, 0
.LBB62_103:                             ; =>This Inner Loop Header: Depth=1
	scratch_load_b32 v135, v134, off
	ds_load_b32 v136, v133
	v_add_nc_u32_e32 v132, 1, v132
	v_add_nc_u32_e32 v133, 4, v133
	v_add_nc_u32_e32 v134, 4, v134
	s_delay_alu instid0(VALU_DEP_3)
	v_cmp_lt_u32_e32 vcc_lo, 22, v132
	s_or_b32 s1, vcc_lo, s1
	s_waitcnt vmcnt(0) lgkmcnt(0)
	v_fmac_f32_e32 v4, v135, v136
	s_and_not1_b32 exec_lo, exec_lo, s1
	s_cbranch_execnz .LBB62_103
; %bb.104:
	s_or_b32 exec_lo, exec_lo, s1
	v_mov_b32_e32 v132, 0
	ds_load_b32 v132, v132 offset:96
	s_waitcnt lgkmcnt(0)
	v_mul_f32_e32 v4, v4, v132
	scratch_store_b32 off, v4, off offset:96
.LBB62_105:
	s_or_b32 exec_lo, exec_lo, s0
	s_waitcnt_vscnt null, 0x0
	s_barrier
	buffer_gl0_inv
	scratch_load_b32 v4, off, off offset:100
	s_mov_b32 s0, exec_lo
	s_waitcnt vmcnt(0)
	ds_store_b32 v2, v4
	s_waitcnt lgkmcnt(0)
	s_barrier
	buffer_gl0_inv
	v_cmpx_gt_u32_e32 25, v0
	s_cbranch_execz .LBB62_109
; %bb.106:
	v_add_nc_u32_e32 v132, -1, v0
	v_or_b32_e32 v133, 0x100, v131
	v_add_nc_u32_e32 v134, 0, v131
	v_mov_b32_e32 v4, 0
	s_mov_b32 s1, 0
.LBB62_107:                             ; =>This Inner Loop Header: Depth=1
	scratch_load_b32 v135, v134, off
	ds_load_b32 v136, v133
	v_add_nc_u32_e32 v132, 1, v132
	v_add_nc_u32_e32 v133, 4, v133
	v_add_nc_u32_e32 v134, 4, v134
	s_delay_alu instid0(VALU_DEP_3)
	v_cmp_lt_u32_e32 vcc_lo, 23, v132
	s_or_b32 s1, vcc_lo, s1
	s_waitcnt vmcnt(0) lgkmcnt(0)
	v_fmac_f32_e32 v4, v135, v136
	s_and_not1_b32 exec_lo, exec_lo, s1
	s_cbranch_execnz .LBB62_107
; %bb.108:
	s_or_b32 exec_lo, exec_lo, s1
	v_mov_b32_e32 v132, 0
	ds_load_b32 v132, v132 offset:100
	s_waitcnt lgkmcnt(0)
	v_mul_f32_e32 v4, v4, v132
	scratch_store_b32 off, v4, off offset:100
.LBB62_109:
	s_or_b32 exec_lo, exec_lo, s0
	s_waitcnt_vscnt null, 0x0
	s_barrier
	buffer_gl0_inv
	scratch_load_b32 v4, off, off offset:104
	;; [unrolled: 40-line block ×37, first 2 shown]
	s_mov_b32 s0, exec_lo
	s_waitcnt vmcnt(0)
	ds_store_b32 v2, v4
	s_waitcnt lgkmcnt(0)
	s_barrier
	buffer_gl0_inv
	v_cmpx_gt_u32_e32 61, v0
	s_cbranch_execz .LBB62_253
; %bb.250:
	v_add_nc_u32_e32 v132, -1, v0
	v_or_b32_e32 v133, 0x100, v131
	v_dual_mov_b32 v4, 0 :: v_dual_add_nc_u32 v131, 0, v131
	s_mov_b32 s1, 0
.LBB62_251:                             ; =>This Inner Loop Header: Depth=1
	scratch_load_b32 v134, v131, off
	ds_load_b32 v135, v133
	v_add_nc_u32_e32 v132, 1, v132
	v_add_nc_u32_e32 v133, 4, v133
	;; [unrolled: 1-line block ×3, first 2 shown]
	s_delay_alu instid0(VALU_DEP_3)
	v_cmp_lt_u32_e32 vcc_lo, 59, v132
	s_or_b32 s1, vcc_lo, s1
	s_waitcnt vmcnt(0) lgkmcnt(0)
	v_fmac_f32_e32 v4, v134, v135
	s_and_not1_b32 exec_lo, exec_lo, s1
	s_cbranch_execnz .LBB62_251
; %bb.252:
	s_or_b32 exec_lo, exec_lo, s1
	v_mov_b32_e32 v131, 0
	ds_load_b32 v131, v131 offset:244
	s_waitcnt lgkmcnt(0)
	v_mul_f32_e32 v4, v4, v131
	scratch_store_b32 off, v4, off offset:244
.LBB62_253:
	s_or_b32 exec_lo, exec_lo, s0
	s_waitcnt_vscnt null, 0x0
	s_barrier
	buffer_gl0_inv
	scratch_load_b32 v4, off, off offset:248
	s_mov_b32 s0, exec_lo
	s_waitcnt vmcnt(0)
	ds_store_b32 v2, v4
	s_waitcnt lgkmcnt(0)
	s_barrier
	buffer_gl0_inv
	v_cmpx_ne_u32_e32 62, v0
	s_cbranch_execz .LBB62_257
; %bb.254:
	v_mov_b32_e32 v4, 0
	s_mov_b32 s1, 0
.LBB62_255:                             ; =>This Inner Loop Header: Depth=1
	scratch_load_b32 v131, v1, off
	ds_load_b32 v132, v2
	v_add_nc_u32_e32 v3, 1, v3
	v_add_nc_u32_e32 v2, 4, v2
	s_waitcnt vmcnt(0) lgkmcnt(0)
	v_dual_fmac_f32 v4, v131, v132 :: v_dual_add_nc_u32 v1, 4, v1
	s_delay_alu instid0(VALU_DEP_3) | instskip(SKIP_1) | instid1(SALU_CYCLE_1)
	v_cmp_lt_u32_e32 vcc_lo, 60, v3
	s_or_b32 s1, vcc_lo, s1
	s_and_not1_b32 exec_lo, exec_lo, s1
	s_cbranch_execnz .LBB62_255
; %bb.256:
	s_or_b32 exec_lo, exec_lo, s1
	v_mov_b32_e32 v1, 0
	ds_load_b32 v1, v1 offset:248
	s_waitcnt lgkmcnt(0)
	v_mul_f32_e32 v1, v4, v1
	scratch_store_b32 off, v1, off offset:248
.LBB62_257:
	s_or_b32 exec_lo, exec_lo, s0
	s_mov_b32 s1, -1
	s_waitcnt_vscnt null, 0x0
	s_barrier
	buffer_gl0_inv
.LBB62_258:
	s_and_b32 vcc_lo, exec_lo, s1
	s_cbranch_vccz .LBB62_260
; %bb.259:
	s_lshl_b64 s[0:1], s[14:15], 2
	v_mov_b32_e32 v1, 0
	s_add_u32 s0, s6, s0
	s_addc_u32 s1, s7, s1
	global_load_b32 v1, v1, s[0:1]
	s_waitcnt vmcnt(0)
	v_cmp_ne_u32_e32 vcc_lo, 0, v1
	s_cbranch_vccz .LBB62_261
.LBB62_260:
	s_endpgm
.LBB62_261:
	v_lshl_or_b32 v1, v0, 2, 0x100
	s_mov_b32 s0, exec_lo
	v_cmpx_eq_u32_e32 62, v0
	s_cbranch_execz .LBB62_263
; %bb.262:
	scratch_load_b32 v2, off, off offset:244
	v_mov_b32_e32 v3, 0
	scratch_store_b32 off, v3, off offset:244
	s_waitcnt vmcnt(0)
	ds_store_b32 v1, v2
.LBB62_263:
	s_or_b32 exec_lo, exec_lo, s0
	s_waitcnt lgkmcnt(0)
	s_waitcnt_vscnt null, 0x0
	s_barrier
	buffer_gl0_inv
	scratch_load_b64 v[3:4], off, off offset:244
	v_mov_b32_e32 v2, 0
	s_mov_b32 s0, exec_lo
	ds_load_b32 v131, v2 offset:504
	s_waitcnt vmcnt(0) lgkmcnt(0)
	v_fma_f32 v4, v4, v131, 0
	s_delay_alu instid0(VALU_DEP_1)
	v_sub_f32_e32 v3, v3, v4
	scratch_store_b32 off, v3, off offset:244
	v_cmpx_lt_u32_e32 60, v0
	s_cbranch_execz .LBB62_265
; %bb.264:
	scratch_load_b32 v3, off, off offset:240
	scratch_store_b32 off, v2, off offset:240
	s_waitcnt vmcnt(0)
	ds_store_b32 v1, v3
.LBB62_265:
	s_or_b32 exec_lo, exec_lo, s0
	s_waitcnt lgkmcnt(0)
	s_waitcnt_vscnt null, 0x0
	s_barrier
	buffer_gl0_inv
	scratch_load_b96 v[131:133], off, off offset:240
	ds_load_2addr_b32 v[2:3], v2 offset0:125 offset1:126
	s_mov_b32 s0, exec_lo
	s_waitcnt vmcnt(0) lgkmcnt(0)
	v_fma_f32 v2, v132, v2, 0
	s_delay_alu instid0(VALU_DEP_1) | instskip(NEXT) | instid1(VALU_DEP_1)
	v_fmac_f32_e32 v2, v133, v3
	v_sub_f32_e32 v2, v131, v2
	scratch_store_b32 off, v2, off offset:240
	v_cmpx_lt_u32_e32 59, v0
	s_cbranch_execz .LBB62_267
; %bb.266:
	scratch_load_b32 v2, off, off offset:236
	v_mov_b32_e32 v3, 0
	scratch_store_b32 off, v3, off offset:236
	s_waitcnt vmcnt(0)
	ds_store_b32 v1, v2
.LBB62_267:
	s_or_b32 exec_lo, exec_lo, s0
	s_waitcnt lgkmcnt(0)
	s_waitcnt_vscnt null, 0x0
	s_barrier
	buffer_gl0_inv
	scratch_load_b128 v[131:134], off, off offset:236
	v_mov_b32_e32 v2, 0
	s_mov_b32 s0, exec_lo
	ds_load_b96 v[135:137], v2 offset:496
	s_waitcnt vmcnt(0) lgkmcnt(0)
	v_fma_f32 v3, v132, v135, 0
	s_delay_alu instid0(VALU_DEP_1) | instskip(NEXT) | instid1(VALU_DEP_1)
	v_fmac_f32_e32 v3, v133, v136
	v_fmac_f32_e32 v3, v134, v137
	s_delay_alu instid0(VALU_DEP_1)
	v_sub_f32_e32 v3, v131, v3
	scratch_store_b32 off, v3, off offset:236
	v_cmpx_lt_u32_e32 58, v0
	s_cbranch_execz .LBB62_269
; %bb.268:
	scratch_load_b32 v3, off, off offset:232
	scratch_store_b32 off, v2, off offset:232
	s_waitcnt vmcnt(0)
	ds_store_b32 v1, v3
.LBB62_269:
	s_or_b32 exec_lo, exec_lo, s0
	s_waitcnt lgkmcnt(0)
	s_waitcnt_vscnt null, 0x0
	s_barrier
	buffer_gl0_inv
	s_clause 0x1
	scratch_load_b128 v[131:134], off, off offset:232
	scratch_load_b32 v137, off, off offset:248
	ds_load_2addr_b32 v[3:4], v2 offset0:123 offset1:124
	ds_load_2addr_b32 v[135:136], v2 offset0:125 offset1:126
	s_mov_b32 s0, exec_lo
	s_waitcnt vmcnt(1) lgkmcnt(1)
	v_fma_f32 v2, v132, v3, 0
	s_delay_alu instid0(VALU_DEP_1) | instskip(SKIP_1) | instid1(VALU_DEP_1)
	v_fmac_f32_e32 v2, v133, v4
	s_waitcnt lgkmcnt(0)
	v_fmac_f32_e32 v2, v134, v135
	s_waitcnt vmcnt(0)
	s_delay_alu instid0(VALU_DEP_1) | instskip(NEXT) | instid1(VALU_DEP_1)
	v_fmac_f32_e32 v2, v137, v136
	v_sub_f32_e32 v2, v131, v2
	scratch_store_b32 off, v2, off offset:232
	v_cmpx_lt_u32_e32 57, v0
	s_cbranch_execz .LBB62_271
; %bb.270:
	scratch_load_b32 v2, off, off offset:228
	v_mov_b32_e32 v3, 0
	scratch_store_b32 off, v3, off offset:228
	s_waitcnt vmcnt(0)
	ds_store_b32 v1, v2
.LBB62_271:
	s_or_b32 exec_lo, exec_lo, s0
	s_waitcnt lgkmcnt(0)
	s_waitcnt_vscnt null, 0x0
	s_barrier
	buffer_gl0_inv
	s_clause 0x1
	scratch_load_b128 v[131:134], off, off offset:228
	scratch_load_b64 v[3:4], off, off offset:244
	v_mov_b32_e32 v2, 0
	ds_load_2addr_b64 v[135:138], v2 offset0:61 offset1:62
	ds_load_b32 v139, v2 offset:504
	s_mov_b32 s0, exec_lo
	s_waitcnt vmcnt(1) lgkmcnt(1)
	v_fma_f32 v132, v132, v135, 0
	s_delay_alu instid0(VALU_DEP_1) | instskip(NEXT) | instid1(VALU_DEP_1)
	v_fmac_f32_e32 v132, v133, v136
	v_fmac_f32_e32 v132, v134, v137
	s_waitcnt vmcnt(0)
	s_delay_alu instid0(VALU_DEP_1) | instskip(SKIP_1) | instid1(VALU_DEP_1)
	v_fmac_f32_e32 v132, v3, v138
	s_waitcnt lgkmcnt(0)
	v_fmac_f32_e32 v132, v4, v139
	s_delay_alu instid0(VALU_DEP_1)
	v_sub_f32_e32 v3, v131, v132
	scratch_store_b32 off, v3, off offset:228
	v_cmpx_lt_u32_e32 56, v0
	s_cbranch_execz .LBB62_273
; %bb.272:
	scratch_load_b32 v3, off, off offset:224
	scratch_store_b32 off, v2, off offset:224
	s_waitcnt vmcnt(0)
	ds_store_b32 v1, v3
.LBB62_273:
	s_or_b32 exec_lo, exec_lo, s0
	s_waitcnt lgkmcnt(0)
	s_waitcnt_vscnt null, 0x0
	s_barrier
	buffer_gl0_inv
	s_clause 0x1
	scratch_load_b128 v[131:134], off, off offset:224
	scratch_load_b96 v[135:137], off, off offset:240
	ds_load_2addr_b32 v[3:4], v2 offset0:121 offset1:122
	ds_load_2addr_b32 v[138:139], v2 offset0:123 offset1:124
	;; [unrolled: 1-line block ×3, first 2 shown]
	s_mov_b32 s0, exec_lo
	s_waitcnt vmcnt(1) lgkmcnt(2)
	v_fma_f32 v2, v132, v3, 0
	s_delay_alu instid0(VALU_DEP_1) | instskip(SKIP_1) | instid1(VALU_DEP_1)
	v_fmac_f32_e32 v2, v133, v4
	s_waitcnt lgkmcnt(1)
	v_fmac_f32_e32 v2, v134, v138
	s_waitcnt vmcnt(0)
	s_delay_alu instid0(VALU_DEP_1) | instskip(SKIP_1) | instid1(VALU_DEP_1)
	v_fmac_f32_e32 v2, v135, v139
	s_waitcnt lgkmcnt(0)
	v_fmac_f32_e32 v2, v136, v140
	s_delay_alu instid0(VALU_DEP_1) | instskip(NEXT) | instid1(VALU_DEP_1)
	v_fmac_f32_e32 v2, v137, v141
	v_sub_f32_e32 v2, v131, v2
	scratch_store_b32 off, v2, off offset:224
	v_cmpx_lt_u32_e32 55, v0
	s_cbranch_execz .LBB62_275
; %bb.274:
	scratch_load_b32 v2, off, off offset:220
	v_mov_b32_e32 v3, 0
	scratch_store_b32 off, v3, off offset:220
	s_waitcnt vmcnt(0)
	ds_store_b32 v1, v2
.LBB62_275:
	s_or_b32 exec_lo, exec_lo, s0
	s_waitcnt lgkmcnt(0)
	s_waitcnt_vscnt null, 0x0
	s_barrier
	buffer_gl0_inv
	s_clause 0x1
	scratch_load_b128 v[131:134], off, off offset:220
	scratch_load_b128 v[135:138], off, off offset:236
	v_mov_b32_e32 v2, 0
	ds_load_b128 v[139:142], v2 offset:480
	ds_load_b96 v[143:145], v2 offset:496
	s_mov_b32 s0, exec_lo
	s_waitcnt vmcnt(1) lgkmcnt(1)
	v_fma_f32 v3, v132, v139, 0
	s_delay_alu instid0(VALU_DEP_1) | instskip(NEXT) | instid1(VALU_DEP_1)
	v_fmac_f32_e32 v3, v133, v140
	v_fmac_f32_e32 v3, v134, v141
	s_waitcnt vmcnt(0)
	s_delay_alu instid0(VALU_DEP_1) | instskip(SKIP_1) | instid1(VALU_DEP_1)
	v_fmac_f32_e32 v3, v135, v142
	s_waitcnt lgkmcnt(0)
	v_fmac_f32_e32 v3, v136, v143
	s_delay_alu instid0(VALU_DEP_1) | instskip(NEXT) | instid1(VALU_DEP_1)
	v_fmac_f32_e32 v3, v137, v144
	v_fmac_f32_e32 v3, v138, v145
	s_delay_alu instid0(VALU_DEP_1)
	v_sub_f32_e32 v3, v131, v3
	scratch_store_b32 off, v3, off offset:220
	v_cmpx_lt_u32_e32 54, v0
	s_cbranch_execz .LBB62_277
; %bb.276:
	scratch_load_b32 v3, off, off offset:216
	scratch_store_b32 off, v2, off offset:216
	s_waitcnt vmcnt(0)
	ds_store_b32 v1, v3
.LBB62_277:
	s_or_b32 exec_lo, exec_lo, s0
	s_waitcnt lgkmcnt(0)
	s_waitcnt_vscnt null, 0x0
	s_barrier
	buffer_gl0_inv
	s_clause 0x2
	scratch_load_b128 v[131:134], off, off offset:216
	scratch_load_b128 v[135:138], off, off offset:232
	scratch_load_b32 v145, off, off offset:248
	ds_load_2addr_b32 v[3:4], v2 offset0:119 offset1:120
	ds_load_2addr_b32 v[139:140], v2 offset0:121 offset1:122
	;; [unrolled: 1-line block ×4, first 2 shown]
	s_mov_b32 s0, exec_lo
	s_waitcnt vmcnt(2) lgkmcnt(3)
	v_fma_f32 v2, v132, v3, 0
	s_delay_alu instid0(VALU_DEP_1) | instskip(SKIP_1) | instid1(VALU_DEP_1)
	v_fmac_f32_e32 v2, v133, v4
	s_waitcnt lgkmcnt(2)
	v_fmac_f32_e32 v2, v134, v139
	s_waitcnt vmcnt(1)
	s_delay_alu instid0(VALU_DEP_1) | instskip(SKIP_1) | instid1(VALU_DEP_1)
	v_fmac_f32_e32 v2, v135, v140
	s_waitcnt lgkmcnt(1)
	v_fmac_f32_e32 v2, v136, v141
	s_delay_alu instid0(VALU_DEP_1) | instskip(SKIP_1) | instid1(VALU_DEP_1)
	v_fmac_f32_e32 v2, v137, v142
	s_waitcnt lgkmcnt(0)
	v_fmac_f32_e32 v2, v138, v143
	s_waitcnt vmcnt(0)
	s_delay_alu instid0(VALU_DEP_1) | instskip(NEXT) | instid1(VALU_DEP_1)
	v_fmac_f32_e32 v2, v145, v144
	v_sub_f32_e32 v2, v131, v2
	scratch_store_b32 off, v2, off offset:216
	v_cmpx_lt_u32_e32 53, v0
	s_cbranch_execz .LBB62_279
; %bb.278:
	scratch_load_b32 v2, off, off offset:212
	v_mov_b32_e32 v3, 0
	scratch_store_b32 off, v3, off offset:212
	s_waitcnt vmcnt(0)
	ds_store_b32 v1, v2
.LBB62_279:
	s_or_b32 exec_lo, exec_lo, s0
	s_waitcnt lgkmcnt(0)
	s_waitcnt_vscnt null, 0x0
	s_barrier
	buffer_gl0_inv
	s_clause 0x2
	scratch_load_b128 v[131:134], off, off offset:212
	scratch_load_b128 v[135:138], off, off offset:228
	scratch_load_b64 v[3:4], off, off offset:244
	v_mov_b32_e32 v2, 0
	ds_load_2addr_b64 v[139:142], v2 offset0:59 offset1:60
	ds_load_2addr_b64 v[143:146], v2 offset0:61 offset1:62
	s_mov_b32 s0, exec_lo
	s_waitcnt vmcnt(2) lgkmcnt(1)
	v_fma_f32 v132, v132, v139, 0
	s_delay_alu instid0(VALU_DEP_1) | instskip(SKIP_3) | instid1(VALU_DEP_1)
	v_fmac_f32_e32 v132, v133, v140
	ds_load_b32 v133, v2 offset:504
	v_fmac_f32_e32 v132, v134, v141
	s_waitcnt vmcnt(1)
	v_fmac_f32_e32 v132, v135, v142
	s_waitcnt lgkmcnt(1)
	s_delay_alu instid0(VALU_DEP_1) | instskip(NEXT) | instid1(VALU_DEP_1)
	v_fmac_f32_e32 v132, v136, v143
	v_fmac_f32_e32 v132, v137, v144
	s_delay_alu instid0(VALU_DEP_1) | instskip(SKIP_1) | instid1(VALU_DEP_1)
	v_fmac_f32_e32 v132, v138, v145
	s_waitcnt vmcnt(0)
	v_fmac_f32_e32 v132, v3, v146
	s_waitcnt lgkmcnt(0)
	s_delay_alu instid0(VALU_DEP_1) | instskip(NEXT) | instid1(VALU_DEP_1)
	v_fmac_f32_e32 v132, v4, v133
	v_sub_f32_e32 v3, v131, v132
	scratch_store_b32 off, v3, off offset:212
	v_cmpx_lt_u32_e32 52, v0
	s_cbranch_execz .LBB62_281
; %bb.280:
	scratch_load_b32 v3, off, off offset:208
	scratch_store_b32 off, v2, off offset:208
	s_waitcnt vmcnt(0)
	ds_store_b32 v1, v3
.LBB62_281:
	s_or_b32 exec_lo, exec_lo, s0
	s_waitcnt lgkmcnt(0)
	s_waitcnt_vscnt null, 0x0
	s_barrier
	buffer_gl0_inv
	s_clause 0x2
	scratch_load_b128 v[131:134], off, off offset:208
	scratch_load_b128 v[135:138], off, off offset:224
	scratch_load_b96 v[139:141], off, off offset:240
	ds_load_2addr_b32 v[3:4], v2 offset0:117 offset1:118
	ds_load_2addr_b32 v[142:143], v2 offset0:119 offset1:120
	;; [unrolled: 1-line block ×4, first 2 shown]
	s_mov_b32 s0, exec_lo
	s_waitcnt vmcnt(2) lgkmcnt(3)
	v_fma_f32 v132, v132, v3, 0
	ds_load_2addr_b32 v[2:3], v2 offset0:125 offset1:126
	v_fmac_f32_e32 v132, v133, v4
	s_waitcnt lgkmcnt(3)
	s_delay_alu instid0(VALU_DEP_1) | instskip(SKIP_1) | instid1(VALU_DEP_1)
	v_fmac_f32_e32 v132, v134, v142
	s_waitcnt vmcnt(1)
	v_fmac_f32_e32 v132, v135, v143
	s_waitcnt lgkmcnt(2)
	s_delay_alu instid0(VALU_DEP_1) | instskip(NEXT) | instid1(VALU_DEP_1)
	v_fmac_f32_e32 v132, v136, v144
	v_fmac_f32_e32 v132, v137, v145
	s_waitcnt lgkmcnt(1)
	s_delay_alu instid0(VALU_DEP_1) | instskip(SKIP_1) | instid1(VALU_DEP_1)
	v_fmac_f32_e32 v132, v138, v146
	s_waitcnt vmcnt(0)
	v_fmac_f32_e32 v132, v139, v147
	s_waitcnt lgkmcnt(0)
	s_delay_alu instid0(VALU_DEP_1) | instskip(NEXT) | instid1(VALU_DEP_1)
	v_fmac_f32_e32 v132, v140, v2
	v_fmac_f32_e32 v132, v141, v3
	s_delay_alu instid0(VALU_DEP_1)
	v_sub_f32_e32 v2, v131, v132
	scratch_store_b32 off, v2, off offset:208
	v_cmpx_lt_u32_e32 51, v0
	s_cbranch_execz .LBB62_283
; %bb.282:
	scratch_load_b32 v2, off, off offset:204
	v_mov_b32_e32 v3, 0
	scratch_store_b32 off, v3, off offset:204
	s_waitcnt vmcnt(0)
	ds_store_b32 v1, v2
.LBB62_283:
	s_or_b32 exec_lo, exec_lo, s0
	s_waitcnt lgkmcnt(0)
	s_waitcnt_vscnt null, 0x0
	s_barrier
	buffer_gl0_inv
	s_clause 0x2
	scratch_load_b128 v[131:134], off, off offset:204
	scratch_load_b128 v[135:138], off, off offset:220
	;; [unrolled: 1-line block ×3, first 2 shown]
	v_mov_b32_e32 v2, 0
	ds_load_b128 v[143:146], v2 offset:464
	ds_load_b128 v[147:150], v2 offset:480
	s_mov_b32 s0, exec_lo
	s_waitcnt vmcnt(2) lgkmcnt(1)
	v_fma_f32 v3, v132, v143, 0
	s_delay_alu instid0(VALU_DEP_1) | instskip(NEXT) | instid1(VALU_DEP_1)
	v_fmac_f32_e32 v3, v133, v144
	v_fmac_f32_e32 v3, v134, v145
	ds_load_b96 v[132:134], v2 offset:496
	s_waitcnt vmcnt(1)
	v_fmac_f32_e32 v3, v135, v146
	s_waitcnt lgkmcnt(1)
	s_delay_alu instid0(VALU_DEP_1) | instskip(NEXT) | instid1(VALU_DEP_1)
	v_fmac_f32_e32 v3, v136, v147
	v_fmac_f32_e32 v3, v137, v148
	s_delay_alu instid0(VALU_DEP_1) | instskip(SKIP_1) | instid1(VALU_DEP_1)
	v_fmac_f32_e32 v3, v138, v149
	s_waitcnt vmcnt(0)
	v_fmac_f32_e32 v3, v139, v150
	s_waitcnt lgkmcnt(0)
	s_delay_alu instid0(VALU_DEP_1) | instskip(NEXT) | instid1(VALU_DEP_1)
	v_fmac_f32_e32 v3, v140, v132
	v_fmac_f32_e32 v3, v141, v133
	s_delay_alu instid0(VALU_DEP_1) | instskip(NEXT) | instid1(VALU_DEP_1)
	v_fmac_f32_e32 v3, v142, v134
	v_sub_f32_e32 v3, v131, v3
	scratch_store_b32 off, v3, off offset:204
	v_cmpx_lt_u32_e32 50, v0
	s_cbranch_execz .LBB62_285
; %bb.284:
	scratch_load_b32 v3, off, off offset:200
	scratch_store_b32 off, v2, off offset:200
	s_waitcnt vmcnt(0)
	ds_store_b32 v1, v3
.LBB62_285:
	s_or_b32 exec_lo, exec_lo, s0
	s_waitcnt lgkmcnt(0)
	s_waitcnt_vscnt null, 0x0
	s_barrier
	buffer_gl0_inv
	s_clause 0x3
	scratch_load_b128 v[131:134], off, off offset:200
	scratch_load_b128 v[135:138], off, off offset:216
	;; [unrolled: 1-line block ×3, first 2 shown]
	scratch_load_b32 v149, off, off offset:248
	ds_load_2addr_b32 v[3:4], v2 offset0:115 offset1:116
	ds_load_2addr_b32 v[143:144], v2 offset0:117 offset1:118
	;; [unrolled: 1-line block ×4, first 2 shown]
	s_mov_b32 s0, exec_lo
	s_waitcnt vmcnt(3) lgkmcnt(3)
	v_fma_f32 v150, v132, v3, 0
	s_delay_alu instid0(VALU_DEP_1)
	v_fmac_f32_e32 v150, v133, v4
	ds_load_2addr_b32 v[3:4], v2 offset0:123 offset1:124
	ds_load_2addr_b32 v[132:133], v2 offset0:125 offset1:126
	s_waitcnt lgkmcnt(4)
	v_fmac_f32_e32 v150, v134, v143
	s_waitcnt vmcnt(2)
	s_delay_alu instid0(VALU_DEP_1) | instskip(SKIP_1) | instid1(VALU_DEP_1)
	v_fmac_f32_e32 v150, v135, v144
	s_waitcnt lgkmcnt(3)
	v_fmac_f32_e32 v150, v136, v145
	s_delay_alu instid0(VALU_DEP_1) | instskip(SKIP_1) | instid1(VALU_DEP_1)
	v_fmac_f32_e32 v150, v137, v146
	s_waitcnt lgkmcnt(2)
	v_fmac_f32_e32 v150, v138, v147
	s_waitcnt vmcnt(1)
	s_delay_alu instid0(VALU_DEP_1) | instskip(SKIP_1) | instid1(VALU_DEP_1)
	v_fmac_f32_e32 v150, v139, v148
	s_waitcnt lgkmcnt(1)
	v_fmac_f32_e32 v150, v140, v3
	s_delay_alu instid0(VALU_DEP_1) | instskip(SKIP_1) | instid1(VALU_DEP_1)
	v_fmac_f32_e32 v150, v141, v4
	s_waitcnt lgkmcnt(0)
	v_fmac_f32_e32 v150, v142, v132
	s_waitcnt vmcnt(0)
	s_delay_alu instid0(VALU_DEP_1) | instskip(NEXT) | instid1(VALU_DEP_1)
	v_fmac_f32_e32 v150, v149, v133
	v_sub_f32_e32 v2, v131, v150
	scratch_store_b32 off, v2, off offset:200
	v_cmpx_lt_u32_e32 49, v0
	s_cbranch_execz .LBB62_287
; %bb.286:
	scratch_load_b32 v2, off, off offset:196
	v_mov_b32_e32 v3, 0
	scratch_store_b32 off, v3, off offset:196
	s_waitcnt vmcnt(0)
	ds_store_b32 v1, v2
.LBB62_287:
	s_or_b32 exec_lo, exec_lo, s0
	s_waitcnt lgkmcnt(0)
	s_waitcnt_vscnt null, 0x0
	s_barrier
	buffer_gl0_inv
	s_clause 0x3
	scratch_load_b128 v[131:134], off, off offset:196
	scratch_load_b128 v[135:138], off, off offset:212
	scratch_load_b128 v[139:142], off, off offset:228
	scratch_load_b64 v[3:4], off, off offset:244
	v_mov_b32_e32 v2, 0
	ds_load_2addr_b64 v[143:146], v2 offset0:57 offset1:58
	ds_load_2addr_b64 v[147:150], v2 offset0:59 offset1:60
	s_mov_b32 s0, exec_lo
	s_waitcnt vmcnt(3) lgkmcnt(1)
	v_fma_f32 v143, v132, v143, 0
	s_delay_alu instid0(VALU_DEP_1) | instskip(NEXT) | instid1(VALU_DEP_1)
	v_fmac_f32_e32 v143, v133, v144
	v_fmac_f32_e32 v143, v134, v145
	s_waitcnt vmcnt(2)
	s_delay_alu instid0(VALU_DEP_1)
	v_fmac_f32_e32 v143, v135, v146
	ds_load_2addr_b64 v[132:135], v2 offset0:61 offset1:62
	s_waitcnt lgkmcnt(1)
	v_fmac_f32_e32 v143, v136, v147
	ds_load_b32 v136, v2 offset:504
	v_fmac_f32_e32 v143, v137, v148
	s_delay_alu instid0(VALU_DEP_1) | instskip(SKIP_1) | instid1(VALU_DEP_1)
	v_fmac_f32_e32 v143, v138, v149
	s_waitcnt vmcnt(1)
	v_fmac_f32_e32 v143, v139, v150
	s_waitcnt lgkmcnt(1)
	s_delay_alu instid0(VALU_DEP_1) | instskip(NEXT) | instid1(VALU_DEP_1)
	v_fmac_f32_e32 v143, v140, v132
	v_fmac_f32_e32 v143, v141, v133
	s_delay_alu instid0(VALU_DEP_1) | instskip(SKIP_1) | instid1(VALU_DEP_1)
	v_fmac_f32_e32 v143, v142, v134
	s_waitcnt vmcnt(0)
	v_fmac_f32_e32 v143, v3, v135
	s_waitcnt lgkmcnt(0)
	s_delay_alu instid0(VALU_DEP_1) | instskip(NEXT) | instid1(VALU_DEP_1)
	v_fmac_f32_e32 v143, v4, v136
	v_sub_f32_e32 v3, v131, v143
	scratch_store_b32 off, v3, off offset:196
	v_cmpx_lt_u32_e32 48, v0
	s_cbranch_execz .LBB62_289
; %bb.288:
	scratch_load_b32 v3, off, off offset:192
	scratch_store_b32 off, v2, off offset:192
	s_waitcnt vmcnt(0)
	ds_store_b32 v1, v3
.LBB62_289:
	s_or_b32 exec_lo, exec_lo, s0
	s_waitcnt lgkmcnt(0)
	s_waitcnt_vscnt null, 0x0
	s_barrier
	buffer_gl0_inv
	s_clause 0x3
	scratch_load_b128 v[131:134], off, off offset:192
	scratch_load_b128 v[135:138], off, off offset:208
	;; [unrolled: 1-line block ×3, first 2 shown]
	scratch_load_b96 v[143:145], off, off offset:240
	ds_load_2addr_b32 v[3:4], v2 offset0:113 offset1:114
	ds_load_2addr_b32 v[146:147], v2 offset0:115 offset1:116
	;; [unrolled: 1-line block ×4, first 2 shown]
	s_mov_b32 s0, exec_lo
	s_waitcnt vmcnt(3) lgkmcnt(3)
	v_fma_f32 v152, v132, v3, 0
	s_delay_alu instid0(VALU_DEP_1)
	v_fmac_f32_e32 v152, v133, v4
	ds_load_2addr_b32 v[3:4], v2 offset0:121 offset1:122
	ds_load_2addr_b32 v[132:133], v2 offset0:123 offset1:124
	s_waitcnt lgkmcnt(4)
	v_fmac_f32_e32 v152, v134, v146
	s_waitcnt vmcnt(2)
	s_delay_alu instid0(VALU_DEP_1) | instskip(SKIP_3) | instid1(VALU_DEP_1)
	v_fmac_f32_e32 v152, v135, v147
	ds_load_2addr_b32 v[134:135], v2 offset0:125 offset1:126
	s_waitcnt lgkmcnt(4)
	v_fmac_f32_e32 v152, v136, v148
	v_fmac_f32_e32 v152, v137, v149
	s_waitcnt lgkmcnt(3)
	s_delay_alu instid0(VALU_DEP_1) | instskip(SKIP_1) | instid1(VALU_DEP_1)
	v_fmac_f32_e32 v152, v138, v150
	s_waitcnt vmcnt(1)
	v_fmac_f32_e32 v152, v139, v151
	s_waitcnt lgkmcnt(2)
	s_delay_alu instid0(VALU_DEP_1) | instskip(NEXT) | instid1(VALU_DEP_1)
	v_fmac_f32_e32 v152, v140, v3
	v_fmac_f32_e32 v152, v141, v4
	s_waitcnt lgkmcnt(1)
	s_delay_alu instid0(VALU_DEP_1) | instskip(SKIP_1) | instid1(VALU_DEP_1)
	v_fmac_f32_e32 v152, v142, v132
	s_waitcnt vmcnt(0)
	v_fmac_f32_e32 v152, v143, v133
	s_waitcnt lgkmcnt(0)
	s_delay_alu instid0(VALU_DEP_1) | instskip(NEXT) | instid1(VALU_DEP_1)
	v_fmac_f32_e32 v152, v144, v134
	v_fmac_f32_e32 v152, v145, v135
	s_delay_alu instid0(VALU_DEP_1)
	v_sub_f32_e32 v2, v131, v152
	scratch_store_b32 off, v2, off offset:192
	v_cmpx_lt_u32_e32 47, v0
	s_cbranch_execz .LBB62_291
; %bb.290:
	scratch_load_b32 v2, off, off offset:188
	v_mov_b32_e32 v3, 0
	scratch_store_b32 off, v3, off offset:188
	s_waitcnt vmcnt(0)
	ds_store_b32 v1, v2
.LBB62_291:
	s_or_b32 exec_lo, exec_lo, s0
	s_waitcnt lgkmcnt(0)
	s_waitcnt_vscnt null, 0x0
	s_barrier
	buffer_gl0_inv
	s_clause 0x3
	scratch_load_b128 v[131:134], off, off offset:188
	scratch_load_b128 v[135:138], off, off offset:204
	;; [unrolled: 1-line block ×4, first 2 shown]
	v_mov_b32_e32 v2, 0
	ds_load_b128 v[147:150], v2 offset:448
	ds_load_b128 v[151:154], v2 offset:464
	s_mov_b32 s0, exec_lo
	s_waitcnt vmcnt(3) lgkmcnt(1)
	v_fma_f32 v3, v132, v147, 0
	s_delay_alu instid0(VALU_DEP_1) | instskip(NEXT) | instid1(VALU_DEP_1)
	v_fmac_f32_e32 v3, v133, v148
	v_fmac_f32_e32 v3, v134, v149
	s_waitcnt vmcnt(2)
	s_delay_alu instid0(VALU_DEP_1) | instskip(SKIP_3) | instid1(VALU_DEP_1)
	v_fmac_f32_e32 v3, v135, v150
	ds_load_b128 v[132:135], v2 offset:480
	s_waitcnt lgkmcnt(1)
	v_fmac_f32_e32 v3, v136, v151
	v_fmac_f32_e32 v3, v137, v152
	s_delay_alu instid0(VALU_DEP_1) | instskip(SKIP_4) | instid1(VALU_DEP_1)
	v_fmac_f32_e32 v3, v138, v153
	ds_load_b96 v[136:138], v2 offset:496
	s_waitcnt vmcnt(1)
	v_fmac_f32_e32 v3, v139, v154
	s_waitcnt lgkmcnt(1)
	v_fmac_f32_e32 v3, v140, v132
	s_delay_alu instid0(VALU_DEP_1) | instskip(NEXT) | instid1(VALU_DEP_1)
	v_fmac_f32_e32 v3, v141, v133
	v_fmac_f32_e32 v3, v142, v134
	s_waitcnt vmcnt(0)
	s_delay_alu instid0(VALU_DEP_1) | instskip(SKIP_1) | instid1(VALU_DEP_1)
	v_fmac_f32_e32 v3, v143, v135
	s_waitcnt lgkmcnt(0)
	v_fmac_f32_e32 v3, v144, v136
	s_delay_alu instid0(VALU_DEP_1) | instskip(NEXT) | instid1(VALU_DEP_1)
	v_fmac_f32_e32 v3, v145, v137
	v_fmac_f32_e32 v3, v146, v138
	s_delay_alu instid0(VALU_DEP_1)
	v_sub_f32_e32 v3, v131, v3
	scratch_store_b32 off, v3, off offset:188
	v_cmpx_lt_u32_e32 46, v0
	s_cbranch_execz .LBB62_293
; %bb.292:
	scratch_load_b32 v3, off, off offset:184
	scratch_store_b32 off, v2, off offset:184
	s_waitcnt vmcnt(0)
	ds_store_b32 v1, v3
.LBB62_293:
	s_or_b32 exec_lo, exec_lo, s0
	s_waitcnt lgkmcnt(0)
	s_waitcnt_vscnt null, 0x0
	s_barrier
	buffer_gl0_inv
	s_clause 0x4
	scratch_load_b128 v[131:134], off, off offset:184
	scratch_load_b128 v[135:138], off, off offset:200
	;; [unrolled: 1-line block ×4, first 2 shown]
	scratch_load_b32 v153, off, off offset:248
	ds_load_2addr_b32 v[3:4], v2 offset0:111 offset1:112
	ds_load_2addr_b32 v[147:148], v2 offset0:113 offset1:114
	;; [unrolled: 1-line block ×4, first 2 shown]
	s_mov_b32 s0, exec_lo
	s_waitcnt vmcnt(4) lgkmcnt(3)
	v_fma_f32 v154, v132, v3, 0
	s_delay_alu instid0(VALU_DEP_1)
	v_fmac_f32_e32 v154, v133, v4
	ds_load_2addr_b32 v[3:4], v2 offset0:119 offset1:120
	ds_load_2addr_b32 v[132:133], v2 offset0:121 offset1:122
	s_waitcnt lgkmcnt(4)
	v_fmac_f32_e32 v154, v134, v147
	s_waitcnt vmcnt(3)
	s_delay_alu instid0(VALU_DEP_1) | instskip(SKIP_1) | instid1(VALU_DEP_1)
	v_fmac_f32_e32 v154, v135, v148
	s_waitcnt lgkmcnt(3)
	v_fmac_f32_e32 v154, v136, v149
	s_delay_alu instid0(VALU_DEP_1)
	v_fmac_f32_e32 v154, v137, v150
	ds_load_2addr_b32 v[134:135], v2 offset0:123 offset1:124
	ds_load_2addr_b32 v[136:137], v2 offset0:125 offset1:126
	s_waitcnt lgkmcnt(4)
	v_fmac_f32_e32 v154, v138, v151
	s_waitcnt vmcnt(2)
	s_delay_alu instid0(VALU_DEP_1) | instskip(SKIP_1) | instid1(VALU_DEP_1)
	v_fmac_f32_e32 v154, v139, v152
	s_waitcnt lgkmcnt(3)
	v_fmac_f32_e32 v154, v140, v3
	s_delay_alu instid0(VALU_DEP_1) | instskip(SKIP_1) | instid1(VALU_DEP_1)
	v_fmac_f32_e32 v154, v141, v4
	s_waitcnt lgkmcnt(2)
	v_fmac_f32_e32 v154, v142, v132
	s_waitcnt vmcnt(1)
	s_delay_alu instid0(VALU_DEP_1) | instskip(SKIP_1) | instid1(VALU_DEP_1)
	v_fmac_f32_e32 v154, v143, v133
	s_waitcnt lgkmcnt(1)
	v_fmac_f32_e32 v154, v144, v134
	s_delay_alu instid0(VALU_DEP_1) | instskip(SKIP_1) | instid1(VALU_DEP_1)
	v_fmac_f32_e32 v154, v145, v135
	s_waitcnt lgkmcnt(0)
	v_fmac_f32_e32 v154, v146, v136
	s_waitcnt vmcnt(0)
	s_delay_alu instid0(VALU_DEP_1) | instskip(NEXT) | instid1(VALU_DEP_1)
	v_fmac_f32_e32 v154, v153, v137
	v_sub_f32_e32 v2, v131, v154
	scratch_store_b32 off, v2, off offset:184
	v_cmpx_lt_u32_e32 45, v0
	s_cbranch_execz .LBB62_295
; %bb.294:
	scratch_load_b32 v2, off, off offset:180
	v_mov_b32_e32 v3, 0
	scratch_store_b32 off, v3, off offset:180
	s_waitcnt vmcnt(0)
	ds_store_b32 v1, v2
.LBB62_295:
	s_or_b32 exec_lo, exec_lo, s0
	s_waitcnt lgkmcnt(0)
	s_waitcnt_vscnt null, 0x0
	s_barrier
	buffer_gl0_inv
	s_clause 0x4
	scratch_load_b128 v[131:134], off, off offset:180
	scratch_load_b128 v[135:138], off, off offset:196
	;; [unrolled: 1-line block ×4, first 2 shown]
	scratch_load_b64 v[3:4], off, off offset:244
	v_mov_b32_e32 v2, 0
	ds_load_2addr_b64 v[147:150], v2 offset0:55 offset1:56
	ds_load_2addr_b64 v[151:154], v2 offset0:57 offset1:58
	s_mov_b32 s0, exec_lo
	s_waitcnt vmcnt(4) lgkmcnt(1)
	v_fma_f32 v147, v132, v147, 0
	s_delay_alu instid0(VALU_DEP_1) | instskip(NEXT) | instid1(VALU_DEP_1)
	v_fmac_f32_e32 v147, v133, v148
	v_fmac_f32_e32 v147, v134, v149
	s_waitcnt vmcnt(3)
	s_delay_alu instid0(VALU_DEP_1) | instskip(SKIP_3) | instid1(VALU_DEP_1)
	v_fmac_f32_e32 v147, v135, v150
	ds_load_2addr_b64 v[132:135], v2 offset0:59 offset1:60
	s_waitcnt lgkmcnt(1)
	v_fmac_f32_e32 v147, v136, v151
	v_fmac_f32_e32 v147, v137, v152
	s_delay_alu instid0(VALU_DEP_1) | instskip(SKIP_1) | instid1(VALU_DEP_1)
	v_fmac_f32_e32 v147, v138, v153
	s_waitcnt vmcnt(2)
	v_fmac_f32_e32 v147, v139, v154
	ds_load_2addr_b64 v[136:139], v2 offset0:61 offset1:62
	s_waitcnt lgkmcnt(1)
	v_fmac_f32_e32 v147, v140, v132
	ds_load_b32 v132, v2 offset:504
	v_fmac_f32_e32 v147, v141, v133
	s_delay_alu instid0(VALU_DEP_1) | instskip(SKIP_1) | instid1(VALU_DEP_1)
	v_fmac_f32_e32 v147, v142, v134
	s_waitcnt vmcnt(1)
	v_fmac_f32_e32 v147, v143, v135
	s_waitcnt lgkmcnt(1)
	s_delay_alu instid0(VALU_DEP_1) | instskip(NEXT) | instid1(VALU_DEP_1)
	v_fmac_f32_e32 v147, v144, v136
	v_fmac_f32_e32 v147, v145, v137
	s_delay_alu instid0(VALU_DEP_1) | instskip(SKIP_1) | instid1(VALU_DEP_1)
	v_fmac_f32_e32 v147, v146, v138
	s_waitcnt vmcnt(0)
	v_fmac_f32_e32 v147, v3, v139
	s_waitcnt lgkmcnt(0)
	s_delay_alu instid0(VALU_DEP_1) | instskip(NEXT) | instid1(VALU_DEP_1)
	v_fmac_f32_e32 v147, v4, v132
	v_sub_f32_e32 v3, v131, v147
	scratch_store_b32 off, v3, off offset:180
	v_cmpx_lt_u32_e32 44, v0
	s_cbranch_execz .LBB62_297
; %bb.296:
	scratch_load_b32 v3, off, off offset:176
	scratch_store_b32 off, v2, off offset:176
	s_waitcnt vmcnt(0)
	ds_store_b32 v1, v3
.LBB62_297:
	s_or_b32 exec_lo, exec_lo, s0
	s_waitcnt lgkmcnt(0)
	s_waitcnt_vscnt null, 0x0
	s_barrier
	buffer_gl0_inv
	s_clause 0x4
	scratch_load_b128 v[131:134], off, off offset:176
	scratch_load_b128 v[135:138], off, off offset:192
	scratch_load_b128 v[139:142], off, off offset:208
	scratch_load_b128 v[143:146], off, off offset:224
	scratch_load_b96 v[147:149], off, off offset:240
	ds_load_2addr_b32 v[3:4], v2 offset0:109 offset1:110
	ds_load_2addr_b32 v[150:151], v2 offset0:111 offset1:112
	;; [unrolled: 1-line block ×4, first 2 shown]
	s_mov_b32 s0, exec_lo
	s_waitcnt vmcnt(4) lgkmcnt(3)
	v_fma_f32 v156, v132, v3, 0
	s_delay_alu instid0(VALU_DEP_1)
	v_fmac_f32_e32 v156, v133, v4
	ds_load_2addr_b32 v[3:4], v2 offset0:117 offset1:118
	ds_load_2addr_b32 v[132:133], v2 offset0:119 offset1:120
	s_waitcnt lgkmcnt(4)
	v_fmac_f32_e32 v156, v134, v150
	s_waitcnt vmcnt(3)
	s_delay_alu instid0(VALU_DEP_1) | instskip(SKIP_1) | instid1(VALU_DEP_1)
	v_fmac_f32_e32 v156, v135, v151
	s_waitcnt lgkmcnt(3)
	v_fmac_f32_e32 v156, v136, v152
	s_delay_alu instid0(VALU_DEP_1)
	v_fmac_f32_e32 v156, v137, v153
	ds_load_2addr_b32 v[134:135], v2 offset0:121 offset1:122
	ds_load_2addr_b32 v[136:137], v2 offset0:123 offset1:124
	s_waitcnt lgkmcnt(4)
	v_fmac_f32_e32 v156, v138, v154
	s_waitcnt vmcnt(2)
	s_delay_alu instid0(VALU_DEP_1) | instskip(SKIP_1) | instid1(VALU_DEP_1)
	v_fmac_f32_e32 v156, v139, v155
	s_waitcnt lgkmcnt(3)
	v_fmac_f32_e32 v156, v140, v3
	ds_load_2addr_b32 v[2:3], v2 offset0:125 offset1:126
	v_fmac_f32_e32 v156, v141, v4
	s_waitcnt lgkmcnt(3)
	s_delay_alu instid0(VALU_DEP_1) | instskip(SKIP_1) | instid1(VALU_DEP_1)
	v_fmac_f32_e32 v156, v142, v132
	s_waitcnt vmcnt(1)
	v_fmac_f32_e32 v156, v143, v133
	s_waitcnt lgkmcnt(2)
	s_delay_alu instid0(VALU_DEP_1) | instskip(NEXT) | instid1(VALU_DEP_1)
	v_fmac_f32_e32 v156, v144, v134
	v_fmac_f32_e32 v156, v145, v135
	s_waitcnt lgkmcnt(1)
	s_delay_alu instid0(VALU_DEP_1) | instskip(SKIP_1) | instid1(VALU_DEP_1)
	v_fmac_f32_e32 v156, v146, v136
	s_waitcnt vmcnt(0)
	v_fmac_f32_e32 v156, v147, v137
	s_waitcnt lgkmcnt(0)
	s_delay_alu instid0(VALU_DEP_1) | instskip(NEXT) | instid1(VALU_DEP_1)
	v_fmac_f32_e32 v156, v148, v2
	v_fmac_f32_e32 v156, v149, v3
	s_delay_alu instid0(VALU_DEP_1)
	v_sub_f32_e32 v2, v131, v156
	scratch_store_b32 off, v2, off offset:176
	v_cmpx_lt_u32_e32 43, v0
	s_cbranch_execz .LBB62_299
; %bb.298:
	scratch_load_b32 v2, off, off offset:172
	v_mov_b32_e32 v3, 0
	scratch_store_b32 off, v3, off offset:172
	s_waitcnt vmcnt(0)
	ds_store_b32 v1, v2
.LBB62_299:
	s_or_b32 exec_lo, exec_lo, s0
	s_waitcnt lgkmcnt(0)
	s_waitcnt_vscnt null, 0x0
	s_barrier
	buffer_gl0_inv
	s_clause 0x4
	scratch_load_b128 v[131:134], off, off offset:172
	scratch_load_b128 v[135:138], off, off offset:188
	;; [unrolled: 1-line block ×5, first 2 shown]
	v_mov_b32_e32 v2, 0
	ds_load_b128 v[151:154], v2 offset:432
	ds_load_b128 v[155:158], v2 offset:448
	s_mov_b32 s0, exec_lo
	s_waitcnt vmcnt(4) lgkmcnt(1)
	v_fma_f32 v3, v132, v151, 0
	s_delay_alu instid0(VALU_DEP_1) | instskip(NEXT) | instid1(VALU_DEP_1)
	v_fmac_f32_e32 v3, v133, v152
	v_fmac_f32_e32 v3, v134, v153
	s_waitcnt vmcnt(3)
	s_delay_alu instid0(VALU_DEP_1) | instskip(SKIP_3) | instid1(VALU_DEP_1)
	v_fmac_f32_e32 v3, v135, v154
	ds_load_b128 v[132:135], v2 offset:464
	s_waitcnt lgkmcnt(1)
	v_fmac_f32_e32 v3, v136, v155
	v_fmac_f32_e32 v3, v137, v156
	s_delay_alu instid0(VALU_DEP_1) | instskip(SKIP_1) | instid1(VALU_DEP_1)
	v_fmac_f32_e32 v3, v138, v157
	s_waitcnt vmcnt(2)
	v_fmac_f32_e32 v3, v139, v158
	ds_load_b128 v[136:139], v2 offset:480
	s_waitcnt lgkmcnt(1)
	v_fmac_f32_e32 v3, v140, v132
	s_delay_alu instid0(VALU_DEP_1) | instskip(NEXT) | instid1(VALU_DEP_1)
	v_fmac_f32_e32 v3, v141, v133
	v_fmac_f32_e32 v3, v142, v134
	ds_load_b96 v[132:134], v2 offset:496
	s_waitcnt vmcnt(1)
	v_fmac_f32_e32 v3, v143, v135
	s_waitcnt lgkmcnt(1)
	s_delay_alu instid0(VALU_DEP_1) | instskip(NEXT) | instid1(VALU_DEP_1)
	v_fmac_f32_e32 v3, v144, v136
	v_fmac_f32_e32 v3, v145, v137
	s_delay_alu instid0(VALU_DEP_1) | instskip(SKIP_1) | instid1(VALU_DEP_1)
	v_fmac_f32_e32 v3, v146, v138
	s_waitcnt vmcnt(0)
	v_fmac_f32_e32 v3, v147, v139
	s_waitcnt lgkmcnt(0)
	s_delay_alu instid0(VALU_DEP_1) | instskip(NEXT) | instid1(VALU_DEP_1)
	v_fmac_f32_e32 v3, v148, v132
	v_fmac_f32_e32 v3, v149, v133
	s_delay_alu instid0(VALU_DEP_1) | instskip(NEXT) | instid1(VALU_DEP_1)
	v_fmac_f32_e32 v3, v150, v134
	v_sub_f32_e32 v3, v131, v3
	scratch_store_b32 off, v3, off offset:172
	v_cmpx_lt_u32_e32 42, v0
	s_cbranch_execz .LBB62_301
; %bb.300:
	scratch_load_b32 v3, off, off offset:168
	scratch_store_b32 off, v2, off offset:168
	s_waitcnt vmcnt(0)
	ds_store_b32 v1, v3
.LBB62_301:
	s_or_b32 exec_lo, exec_lo, s0
	s_waitcnt lgkmcnt(0)
	s_waitcnt_vscnt null, 0x0
	s_barrier
	buffer_gl0_inv
	s_clause 0x5
	scratch_load_b128 v[131:134], off, off offset:168
	scratch_load_b128 v[135:138], off, off offset:184
	;; [unrolled: 1-line block ×5, first 2 shown]
	scratch_load_b32 v157, off, off offset:248
	ds_load_2addr_b32 v[3:4], v2 offset0:107 offset1:108
	ds_load_2addr_b32 v[151:152], v2 offset0:109 offset1:110
	;; [unrolled: 1-line block ×4, first 2 shown]
	s_mov_b32 s0, exec_lo
	s_waitcnt vmcnt(5) lgkmcnt(3)
	v_fma_f32 v158, v132, v3, 0
	s_delay_alu instid0(VALU_DEP_1)
	v_fmac_f32_e32 v158, v133, v4
	ds_load_2addr_b32 v[3:4], v2 offset0:115 offset1:116
	ds_load_2addr_b32 v[132:133], v2 offset0:117 offset1:118
	s_waitcnt lgkmcnt(4)
	v_fmac_f32_e32 v158, v134, v151
	s_waitcnt vmcnt(4)
	s_delay_alu instid0(VALU_DEP_1) | instskip(SKIP_1) | instid1(VALU_DEP_1)
	v_fmac_f32_e32 v158, v135, v152
	s_waitcnt lgkmcnt(3)
	v_fmac_f32_e32 v158, v136, v153
	s_delay_alu instid0(VALU_DEP_1)
	v_fmac_f32_e32 v158, v137, v154
	ds_load_2addr_b32 v[134:135], v2 offset0:119 offset1:120
	ds_load_2addr_b32 v[136:137], v2 offset0:121 offset1:122
	s_waitcnt lgkmcnt(4)
	v_fmac_f32_e32 v158, v138, v155
	s_waitcnt vmcnt(3)
	s_delay_alu instid0(VALU_DEP_1) | instskip(SKIP_1) | instid1(VALU_DEP_1)
	v_fmac_f32_e32 v158, v139, v156
	s_waitcnt lgkmcnt(3)
	v_fmac_f32_e32 v158, v140, v3
	s_delay_alu instid0(VALU_DEP_1) | instskip(SKIP_4) | instid1(VALU_DEP_1)
	v_fmac_f32_e32 v158, v141, v4
	ds_load_2addr_b32 v[3:4], v2 offset0:123 offset1:124
	s_waitcnt lgkmcnt(3)
	v_fmac_f32_e32 v158, v142, v132
	s_waitcnt vmcnt(2)
	v_fmac_f32_e32 v158, v143, v133
	ds_load_2addr_b32 v[132:133], v2 offset0:125 offset1:126
	s_waitcnt lgkmcnt(3)
	v_fmac_f32_e32 v158, v144, v134
	s_delay_alu instid0(VALU_DEP_1) | instskip(SKIP_1) | instid1(VALU_DEP_1)
	v_fmac_f32_e32 v158, v145, v135
	s_waitcnt lgkmcnt(2)
	v_fmac_f32_e32 v158, v146, v136
	s_waitcnt vmcnt(1)
	s_delay_alu instid0(VALU_DEP_1) | instskip(SKIP_1) | instid1(VALU_DEP_1)
	v_fmac_f32_e32 v158, v147, v137
	s_waitcnt lgkmcnt(1)
	v_fmac_f32_e32 v158, v148, v3
	s_delay_alu instid0(VALU_DEP_1) | instskip(SKIP_1) | instid1(VALU_DEP_1)
	v_fmac_f32_e32 v158, v149, v4
	s_waitcnt lgkmcnt(0)
	v_fmac_f32_e32 v158, v150, v132
	s_waitcnt vmcnt(0)
	s_delay_alu instid0(VALU_DEP_1) | instskip(NEXT) | instid1(VALU_DEP_1)
	v_fmac_f32_e32 v158, v157, v133
	v_sub_f32_e32 v2, v131, v158
	scratch_store_b32 off, v2, off offset:168
	v_cmpx_lt_u32_e32 41, v0
	s_cbranch_execz .LBB62_303
; %bb.302:
	scratch_load_b32 v2, off, off offset:164
	v_mov_b32_e32 v3, 0
	scratch_store_b32 off, v3, off offset:164
	s_waitcnt vmcnt(0)
	ds_store_b32 v1, v2
.LBB62_303:
	s_or_b32 exec_lo, exec_lo, s0
	s_waitcnt lgkmcnt(0)
	s_waitcnt_vscnt null, 0x0
	s_barrier
	buffer_gl0_inv
	s_clause 0x5
	scratch_load_b128 v[131:134], off, off offset:164
	scratch_load_b128 v[135:138], off, off offset:180
	scratch_load_b128 v[139:142], off, off offset:196
	scratch_load_b128 v[143:146], off, off offset:212
	scratch_load_b128 v[147:150], off, off offset:228
	scratch_load_b64 v[3:4], off, off offset:244
	v_mov_b32_e32 v2, 0
	ds_load_2addr_b64 v[151:154], v2 offset0:53 offset1:54
	ds_load_2addr_b64 v[155:158], v2 offset0:55 offset1:56
	s_mov_b32 s0, exec_lo
	s_waitcnt vmcnt(5) lgkmcnt(1)
	v_fma_f32 v151, v132, v151, 0
	s_delay_alu instid0(VALU_DEP_1) | instskip(NEXT) | instid1(VALU_DEP_1)
	v_fmac_f32_e32 v151, v133, v152
	v_fmac_f32_e32 v151, v134, v153
	s_waitcnt vmcnt(4)
	s_delay_alu instid0(VALU_DEP_1) | instskip(SKIP_3) | instid1(VALU_DEP_1)
	v_fmac_f32_e32 v151, v135, v154
	ds_load_2addr_b64 v[132:135], v2 offset0:57 offset1:58
	s_waitcnt lgkmcnt(1)
	v_fmac_f32_e32 v151, v136, v155
	v_fmac_f32_e32 v151, v137, v156
	s_delay_alu instid0(VALU_DEP_1) | instskip(SKIP_1) | instid1(VALU_DEP_1)
	v_fmac_f32_e32 v151, v138, v157
	s_waitcnt vmcnt(3)
	v_fmac_f32_e32 v151, v139, v158
	ds_load_2addr_b64 v[136:139], v2 offset0:59 offset1:60
	s_waitcnt lgkmcnt(1)
	v_fmac_f32_e32 v151, v140, v132
	s_delay_alu instid0(VALU_DEP_1) | instskip(NEXT) | instid1(VALU_DEP_1)
	v_fmac_f32_e32 v151, v141, v133
	v_fmac_f32_e32 v151, v142, v134
	s_waitcnt vmcnt(2)
	s_delay_alu instid0(VALU_DEP_1)
	v_fmac_f32_e32 v151, v143, v135
	ds_load_2addr_b64 v[132:135], v2 offset0:61 offset1:62
	s_waitcnt lgkmcnt(1)
	v_fmac_f32_e32 v151, v144, v136
	ds_load_b32 v136, v2 offset:504
	v_fmac_f32_e32 v151, v145, v137
	s_delay_alu instid0(VALU_DEP_1) | instskip(SKIP_1) | instid1(VALU_DEP_1)
	v_fmac_f32_e32 v151, v146, v138
	s_waitcnt vmcnt(1)
	v_fmac_f32_e32 v151, v147, v139
	s_waitcnt lgkmcnt(1)
	s_delay_alu instid0(VALU_DEP_1) | instskip(NEXT) | instid1(VALU_DEP_1)
	v_fmac_f32_e32 v151, v148, v132
	v_fmac_f32_e32 v151, v149, v133
	s_delay_alu instid0(VALU_DEP_1) | instskip(SKIP_1) | instid1(VALU_DEP_1)
	v_fmac_f32_e32 v151, v150, v134
	s_waitcnt vmcnt(0)
	v_fmac_f32_e32 v151, v3, v135
	s_waitcnt lgkmcnt(0)
	s_delay_alu instid0(VALU_DEP_1) | instskip(NEXT) | instid1(VALU_DEP_1)
	v_fmac_f32_e32 v151, v4, v136
	v_sub_f32_e32 v3, v131, v151
	scratch_store_b32 off, v3, off offset:164
	v_cmpx_lt_u32_e32 40, v0
	s_cbranch_execz .LBB62_305
; %bb.304:
	scratch_load_b32 v3, off, off offset:160
	scratch_store_b32 off, v2, off offset:160
	s_waitcnt vmcnt(0)
	ds_store_b32 v1, v3
.LBB62_305:
	s_or_b32 exec_lo, exec_lo, s0
	s_waitcnt lgkmcnt(0)
	s_waitcnt_vscnt null, 0x0
	s_barrier
	buffer_gl0_inv
	s_clause 0x5
	scratch_load_b128 v[131:134], off, off offset:160
	scratch_load_b128 v[135:138], off, off offset:176
	;; [unrolled: 1-line block ×5, first 2 shown]
	scratch_load_b96 v[151:153], off, off offset:240
	ds_load_2addr_b32 v[3:4], v2 offset0:105 offset1:106
	ds_load_2addr_b32 v[154:155], v2 offset0:107 offset1:108
	;; [unrolled: 1-line block ×4, first 2 shown]
	s_mov_b32 s0, exec_lo
	s_waitcnt vmcnt(5) lgkmcnt(3)
	v_fma_f32 v160, v132, v3, 0
	s_delay_alu instid0(VALU_DEP_1)
	v_fmac_f32_e32 v160, v133, v4
	ds_load_2addr_b32 v[3:4], v2 offset0:113 offset1:114
	ds_load_2addr_b32 v[132:133], v2 offset0:115 offset1:116
	s_waitcnt lgkmcnt(4)
	v_fmac_f32_e32 v160, v134, v154
	s_waitcnt vmcnt(4)
	s_delay_alu instid0(VALU_DEP_1) | instskip(SKIP_1) | instid1(VALU_DEP_1)
	v_fmac_f32_e32 v160, v135, v155
	s_waitcnt lgkmcnt(3)
	v_fmac_f32_e32 v160, v136, v156
	s_delay_alu instid0(VALU_DEP_1)
	v_fmac_f32_e32 v160, v137, v157
	ds_load_2addr_b32 v[134:135], v2 offset0:117 offset1:118
	ds_load_2addr_b32 v[136:137], v2 offset0:119 offset1:120
	s_waitcnt lgkmcnt(4)
	v_fmac_f32_e32 v160, v138, v158
	s_waitcnt vmcnt(3)
	s_delay_alu instid0(VALU_DEP_1) | instskip(SKIP_1) | instid1(VALU_DEP_1)
	v_fmac_f32_e32 v160, v139, v159
	s_waitcnt lgkmcnt(3)
	v_fmac_f32_e32 v160, v140, v3
	s_delay_alu instid0(VALU_DEP_1) | instskip(SKIP_4) | instid1(VALU_DEP_1)
	v_fmac_f32_e32 v160, v141, v4
	ds_load_2addr_b32 v[3:4], v2 offset0:121 offset1:122
	s_waitcnt lgkmcnt(3)
	v_fmac_f32_e32 v160, v142, v132
	s_waitcnt vmcnt(2)
	v_fmac_f32_e32 v160, v143, v133
	ds_load_2addr_b32 v[132:133], v2 offset0:123 offset1:124
	s_waitcnt lgkmcnt(3)
	v_fmac_f32_e32 v160, v144, v134
	s_delay_alu instid0(VALU_DEP_1) | instskip(SKIP_4) | instid1(VALU_DEP_1)
	v_fmac_f32_e32 v160, v145, v135
	ds_load_2addr_b32 v[134:135], v2 offset0:125 offset1:126
	s_waitcnt lgkmcnt(3)
	v_fmac_f32_e32 v160, v146, v136
	s_waitcnt vmcnt(1)
	v_fmac_f32_e32 v160, v147, v137
	s_waitcnt lgkmcnt(2)
	s_delay_alu instid0(VALU_DEP_1) | instskip(NEXT) | instid1(VALU_DEP_1)
	v_fmac_f32_e32 v160, v148, v3
	v_fmac_f32_e32 v160, v149, v4
	s_waitcnt lgkmcnt(1)
	s_delay_alu instid0(VALU_DEP_1) | instskip(SKIP_1) | instid1(VALU_DEP_1)
	v_fmac_f32_e32 v160, v150, v132
	s_waitcnt vmcnt(0)
	v_fmac_f32_e32 v160, v151, v133
	s_waitcnt lgkmcnt(0)
	s_delay_alu instid0(VALU_DEP_1) | instskip(NEXT) | instid1(VALU_DEP_1)
	v_fmac_f32_e32 v160, v152, v134
	v_fmac_f32_e32 v160, v153, v135
	s_delay_alu instid0(VALU_DEP_1)
	v_sub_f32_e32 v2, v131, v160
	scratch_store_b32 off, v2, off offset:160
	v_cmpx_lt_u32_e32 39, v0
	s_cbranch_execz .LBB62_307
; %bb.306:
	scratch_load_b32 v2, off, off offset:156
	v_mov_b32_e32 v3, 0
	scratch_store_b32 off, v3, off offset:156
	s_waitcnt vmcnt(0)
	ds_store_b32 v1, v2
.LBB62_307:
	s_or_b32 exec_lo, exec_lo, s0
	s_waitcnt lgkmcnt(0)
	s_waitcnt_vscnt null, 0x0
	s_barrier
	buffer_gl0_inv
	s_clause 0x5
	scratch_load_b128 v[131:134], off, off offset:156
	scratch_load_b128 v[135:138], off, off offset:172
	;; [unrolled: 1-line block ×6, first 2 shown]
	v_mov_b32_e32 v2, 0
	ds_load_b128 v[155:158], v2 offset:416
	ds_load_b128 v[159:162], v2 offset:432
	s_mov_b32 s0, exec_lo
	s_waitcnt vmcnt(5) lgkmcnt(1)
	v_fma_f32 v3, v132, v155, 0
	s_delay_alu instid0(VALU_DEP_1) | instskip(NEXT) | instid1(VALU_DEP_1)
	v_fmac_f32_e32 v3, v133, v156
	v_fmac_f32_e32 v3, v134, v157
	s_waitcnt vmcnt(4)
	s_delay_alu instid0(VALU_DEP_1) | instskip(SKIP_3) | instid1(VALU_DEP_1)
	v_fmac_f32_e32 v3, v135, v158
	ds_load_b128 v[132:135], v2 offset:448
	s_waitcnt lgkmcnt(1)
	v_fmac_f32_e32 v3, v136, v159
	v_fmac_f32_e32 v3, v137, v160
	s_delay_alu instid0(VALU_DEP_1) | instskip(SKIP_1) | instid1(VALU_DEP_1)
	v_fmac_f32_e32 v3, v138, v161
	s_waitcnt vmcnt(3)
	v_fmac_f32_e32 v3, v139, v162
	ds_load_b128 v[136:139], v2 offset:464
	s_waitcnt lgkmcnt(1)
	v_fmac_f32_e32 v3, v140, v132
	s_delay_alu instid0(VALU_DEP_1) | instskip(NEXT) | instid1(VALU_DEP_1)
	v_fmac_f32_e32 v3, v141, v133
	v_fmac_f32_e32 v3, v142, v134
	s_waitcnt vmcnt(2)
	s_delay_alu instid0(VALU_DEP_1) | instskip(SKIP_3) | instid1(VALU_DEP_1)
	v_fmac_f32_e32 v3, v143, v135
	ds_load_b128 v[132:135], v2 offset:480
	s_waitcnt lgkmcnt(1)
	v_fmac_f32_e32 v3, v144, v136
	v_fmac_f32_e32 v3, v145, v137
	s_delay_alu instid0(VALU_DEP_1) | instskip(SKIP_4) | instid1(VALU_DEP_1)
	v_fmac_f32_e32 v3, v146, v138
	ds_load_b96 v[136:138], v2 offset:496
	s_waitcnt vmcnt(1)
	v_fmac_f32_e32 v3, v147, v139
	s_waitcnt lgkmcnt(1)
	v_fmac_f32_e32 v3, v148, v132
	s_delay_alu instid0(VALU_DEP_1) | instskip(NEXT) | instid1(VALU_DEP_1)
	v_fmac_f32_e32 v3, v149, v133
	v_fmac_f32_e32 v3, v150, v134
	s_waitcnt vmcnt(0)
	s_delay_alu instid0(VALU_DEP_1) | instskip(SKIP_1) | instid1(VALU_DEP_1)
	v_fmac_f32_e32 v3, v151, v135
	s_waitcnt lgkmcnt(0)
	v_fmac_f32_e32 v3, v152, v136
	s_delay_alu instid0(VALU_DEP_1) | instskip(NEXT) | instid1(VALU_DEP_1)
	v_fmac_f32_e32 v3, v153, v137
	v_fmac_f32_e32 v3, v154, v138
	s_delay_alu instid0(VALU_DEP_1)
	v_sub_f32_e32 v3, v131, v3
	scratch_store_b32 off, v3, off offset:156
	v_cmpx_lt_u32_e32 38, v0
	s_cbranch_execz .LBB62_309
; %bb.308:
	scratch_load_b32 v3, off, off offset:152
	scratch_store_b32 off, v2, off offset:152
	s_waitcnt vmcnt(0)
	ds_store_b32 v1, v3
.LBB62_309:
	s_or_b32 exec_lo, exec_lo, s0
	s_waitcnt lgkmcnt(0)
	s_waitcnt_vscnt null, 0x0
	s_barrier
	buffer_gl0_inv
	s_clause 0x6
	scratch_load_b128 v[131:134], off, off offset:152
	scratch_load_b128 v[135:138], off, off offset:168
	;; [unrolled: 1-line block ×6, first 2 shown]
	scratch_load_b32 v161, off, off offset:248
	ds_load_2addr_b32 v[3:4], v2 offset0:103 offset1:104
	ds_load_2addr_b32 v[155:156], v2 offset0:105 offset1:106
	;; [unrolled: 1-line block ×4, first 2 shown]
	s_mov_b32 s0, exec_lo
	s_waitcnt vmcnt(6) lgkmcnt(3)
	v_fma_f32 v162, v132, v3, 0
	s_delay_alu instid0(VALU_DEP_1)
	v_fmac_f32_e32 v162, v133, v4
	ds_load_2addr_b32 v[3:4], v2 offset0:111 offset1:112
	ds_load_2addr_b32 v[132:133], v2 offset0:113 offset1:114
	s_waitcnt lgkmcnt(4)
	v_fmac_f32_e32 v162, v134, v155
	s_waitcnt vmcnt(5)
	s_delay_alu instid0(VALU_DEP_1) | instskip(SKIP_1) | instid1(VALU_DEP_1)
	v_fmac_f32_e32 v162, v135, v156
	s_waitcnt lgkmcnt(3)
	v_fmac_f32_e32 v162, v136, v157
	s_delay_alu instid0(VALU_DEP_1)
	v_fmac_f32_e32 v162, v137, v158
	ds_load_2addr_b32 v[134:135], v2 offset0:115 offset1:116
	ds_load_2addr_b32 v[136:137], v2 offset0:117 offset1:118
	s_waitcnt lgkmcnt(4)
	v_fmac_f32_e32 v162, v138, v159
	s_waitcnt vmcnt(4)
	s_delay_alu instid0(VALU_DEP_1) | instskip(SKIP_1) | instid1(VALU_DEP_1)
	v_fmac_f32_e32 v162, v139, v160
	s_waitcnt lgkmcnt(3)
	v_fmac_f32_e32 v162, v140, v3
	s_delay_alu instid0(VALU_DEP_1) | instskip(SKIP_4) | instid1(VALU_DEP_1)
	v_fmac_f32_e32 v162, v141, v4
	ds_load_2addr_b32 v[3:4], v2 offset0:119 offset1:120
	s_waitcnt lgkmcnt(3)
	v_fmac_f32_e32 v162, v142, v132
	s_waitcnt vmcnt(3)
	v_fmac_f32_e32 v162, v143, v133
	ds_load_2addr_b32 v[132:133], v2 offset0:121 offset1:122
	s_waitcnt lgkmcnt(3)
	v_fmac_f32_e32 v162, v144, v134
	s_delay_alu instid0(VALU_DEP_1) | instskip(SKIP_1) | instid1(VALU_DEP_1)
	v_fmac_f32_e32 v162, v145, v135
	s_waitcnt lgkmcnt(2)
	v_fmac_f32_e32 v162, v146, v136
	s_waitcnt vmcnt(2)
	s_delay_alu instid0(VALU_DEP_1) | instskip(SKIP_4) | instid1(VALU_DEP_1)
	v_fmac_f32_e32 v162, v147, v137
	ds_load_2addr_b32 v[134:135], v2 offset0:123 offset1:124
	ds_load_2addr_b32 v[136:137], v2 offset0:125 offset1:126
	s_waitcnt lgkmcnt(3)
	v_fmac_f32_e32 v162, v148, v3
	v_fmac_f32_e32 v162, v149, v4
	s_waitcnt lgkmcnt(2)
	s_delay_alu instid0(VALU_DEP_1) | instskip(SKIP_1) | instid1(VALU_DEP_1)
	v_fmac_f32_e32 v162, v150, v132
	s_waitcnt vmcnt(1)
	v_fmac_f32_e32 v162, v151, v133
	s_waitcnt lgkmcnt(1)
	s_delay_alu instid0(VALU_DEP_1) | instskip(NEXT) | instid1(VALU_DEP_1)
	v_fmac_f32_e32 v162, v152, v134
	v_fmac_f32_e32 v162, v153, v135
	s_waitcnt lgkmcnt(0)
	s_delay_alu instid0(VALU_DEP_1) | instskip(SKIP_1) | instid1(VALU_DEP_1)
	v_fmac_f32_e32 v162, v154, v136
	s_waitcnt vmcnt(0)
	v_fmac_f32_e32 v162, v161, v137
	s_delay_alu instid0(VALU_DEP_1)
	v_sub_f32_e32 v2, v131, v162
	scratch_store_b32 off, v2, off offset:152
	v_cmpx_lt_u32_e32 37, v0
	s_cbranch_execz .LBB62_311
; %bb.310:
	scratch_load_b32 v2, off, off offset:148
	v_mov_b32_e32 v3, 0
	scratch_store_b32 off, v3, off offset:148
	s_waitcnt vmcnt(0)
	ds_store_b32 v1, v2
.LBB62_311:
	s_or_b32 exec_lo, exec_lo, s0
	s_waitcnt lgkmcnt(0)
	s_waitcnt_vscnt null, 0x0
	s_barrier
	buffer_gl0_inv
	s_clause 0x6
	scratch_load_b128 v[131:134], off, off offset:148
	scratch_load_b128 v[135:138], off, off offset:164
	;; [unrolled: 1-line block ×6, first 2 shown]
	scratch_load_b64 v[3:4], off, off offset:244
	v_mov_b32_e32 v2, 0
	ds_load_2addr_b64 v[155:158], v2 offset0:51 offset1:52
	ds_load_2addr_b64 v[159:162], v2 offset0:53 offset1:54
	s_mov_b32 s0, exec_lo
	s_waitcnt vmcnt(6) lgkmcnt(1)
	v_fma_f32 v155, v132, v155, 0
	s_delay_alu instid0(VALU_DEP_1) | instskip(NEXT) | instid1(VALU_DEP_1)
	v_fmac_f32_e32 v155, v133, v156
	v_fmac_f32_e32 v155, v134, v157
	s_waitcnt vmcnt(5)
	s_delay_alu instid0(VALU_DEP_1) | instskip(SKIP_3) | instid1(VALU_DEP_1)
	v_fmac_f32_e32 v155, v135, v158
	ds_load_2addr_b64 v[132:135], v2 offset0:55 offset1:56
	s_waitcnt lgkmcnt(1)
	v_fmac_f32_e32 v155, v136, v159
	v_fmac_f32_e32 v155, v137, v160
	s_delay_alu instid0(VALU_DEP_1) | instskip(SKIP_1) | instid1(VALU_DEP_1)
	v_fmac_f32_e32 v155, v138, v161
	s_waitcnt vmcnt(4)
	v_fmac_f32_e32 v155, v139, v162
	ds_load_2addr_b64 v[136:139], v2 offset0:57 offset1:58
	s_waitcnt lgkmcnt(1)
	v_fmac_f32_e32 v155, v140, v132
	s_delay_alu instid0(VALU_DEP_1) | instskip(NEXT) | instid1(VALU_DEP_1)
	v_fmac_f32_e32 v155, v141, v133
	v_fmac_f32_e32 v155, v142, v134
	s_waitcnt vmcnt(3)
	s_delay_alu instid0(VALU_DEP_1) | instskip(SKIP_3) | instid1(VALU_DEP_1)
	v_fmac_f32_e32 v155, v143, v135
	ds_load_2addr_b64 v[132:135], v2 offset0:59 offset1:60
	s_waitcnt lgkmcnt(1)
	v_fmac_f32_e32 v155, v144, v136
	v_fmac_f32_e32 v155, v145, v137
	s_delay_alu instid0(VALU_DEP_1) | instskip(SKIP_1) | instid1(VALU_DEP_1)
	v_fmac_f32_e32 v155, v146, v138
	s_waitcnt vmcnt(2)
	v_fmac_f32_e32 v155, v147, v139
	ds_load_2addr_b64 v[136:139], v2 offset0:61 offset1:62
	s_waitcnt lgkmcnt(1)
	v_fmac_f32_e32 v155, v148, v132
	ds_load_b32 v132, v2 offset:504
	v_fmac_f32_e32 v155, v149, v133
	s_delay_alu instid0(VALU_DEP_1) | instskip(SKIP_1) | instid1(VALU_DEP_1)
	v_fmac_f32_e32 v155, v150, v134
	s_waitcnt vmcnt(1)
	v_fmac_f32_e32 v155, v151, v135
	s_waitcnt lgkmcnt(1)
	s_delay_alu instid0(VALU_DEP_1) | instskip(NEXT) | instid1(VALU_DEP_1)
	v_fmac_f32_e32 v155, v152, v136
	v_fmac_f32_e32 v155, v153, v137
	s_delay_alu instid0(VALU_DEP_1) | instskip(SKIP_1) | instid1(VALU_DEP_1)
	v_fmac_f32_e32 v155, v154, v138
	s_waitcnt vmcnt(0)
	v_fmac_f32_e32 v155, v3, v139
	s_waitcnt lgkmcnt(0)
	s_delay_alu instid0(VALU_DEP_1) | instskip(NEXT) | instid1(VALU_DEP_1)
	v_fmac_f32_e32 v155, v4, v132
	v_sub_f32_e32 v3, v131, v155
	scratch_store_b32 off, v3, off offset:148
	v_cmpx_lt_u32_e32 36, v0
	s_cbranch_execz .LBB62_313
; %bb.312:
	scratch_load_b32 v3, off, off offset:144
	scratch_store_b32 off, v2, off offset:144
	s_waitcnt vmcnt(0)
	ds_store_b32 v1, v3
.LBB62_313:
	s_or_b32 exec_lo, exec_lo, s0
	s_waitcnt lgkmcnt(0)
	s_waitcnt_vscnt null, 0x0
	s_barrier
	buffer_gl0_inv
	s_clause 0x6
	scratch_load_b128 v[131:134], off, off offset:144
	scratch_load_b128 v[135:138], off, off offset:160
	;; [unrolled: 1-line block ×6, first 2 shown]
	scratch_load_b96 v[155:157], off, off offset:240
	ds_load_2addr_b32 v[3:4], v2 offset0:101 offset1:102
	ds_load_2addr_b32 v[158:159], v2 offset0:103 offset1:104
	;; [unrolled: 1-line block ×4, first 2 shown]
	s_mov_b32 s0, exec_lo
	s_waitcnt vmcnt(6) lgkmcnt(3)
	v_fma_f32 v164, v132, v3, 0
	s_delay_alu instid0(VALU_DEP_1)
	v_fmac_f32_e32 v164, v133, v4
	ds_load_2addr_b32 v[3:4], v2 offset0:109 offset1:110
	ds_load_2addr_b32 v[132:133], v2 offset0:111 offset1:112
	s_waitcnt lgkmcnt(4)
	v_fmac_f32_e32 v164, v134, v158
	s_waitcnt vmcnt(5)
	s_delay_alu instid0(VALU_DEP_1) | instskip(SKIP_1) | instid1(VALU_DEP_1)
	v_fmac_f32_e32 v164, v135, v159
	s_waitcnt lgkmcnt(3)
	v_fmac_f32_e32 v164, v136, v160
	s_delay_alu instid0(VALU_DEP_1)
	v_fmac_f32_e32 v164, v137, v161
	ds_load_2addr_b32 v[134:135], v2 offset0:113 offset1:114
	ds_load_2addr_b32 v[136:137], v2 offset0:115 offset1:116
	s_waitcnt lgkmcnt(4)
	v_fmac_f32_e32 v164, v138, v162
	s_waitcnt vmcnt(4)
	s_delay_alu instid0(VALU_DEP_1) | instskip(SKIP_1) | instid1(VALU_DEP_1)
	v_fmac_f32_e32 v164, v139, v163
	s_waitcnt lgkmcnt(3)
	v_fmac_f32_e32 v164, v140, v3
	s_delay_alu instid0(VALU_DEP_1) | instskip(SKIP_4) | instid1(VALU_DEP_1)
	v_fmac_f32_e32 v164, v141, v4
	ds_load_2addr_b32 v[3:4], v2 offset0:117 offset1:118
	s_waitcnt lgkmcnt(3)
	v_fmac_f32_e32 v164, v142, v132
	s_waitcnt vmcnt(3)
	v_fmac_f32_e32 v164, v143, v133
	ds_load_2addr_b32 v[132:133], v2 offset0:119 offset1:120
	s_waitcnt lgkmcnt(3)
	v_fmac_f32_e32 v164, v144, v134
	s_delay_alu instid0(VALU_DEP_1) | instskip(SKIP_1) | instid1(VALU_DEP_1)
	v_fmac_f32_e32 v164, v145, v135
	s_waitcnt lgkmcnt(2)
	v_fmac_f32_e32 v164, v146, v136
	s_waitcnt vmcnt(2)
	s_delay_alu instid0(VALU_DEP_1)
	v_fmac_f32_e32 v164, v147, v137
	ds_load_2addr_b32 v[134:135], v2 offset0:121 offset1:122
	ds_load_2addr_b32 v[136:137], v2 offset0:123 offset1:124
	s_waitcnt lgkmcnt(3)
	v_fmac_f32_e32 v164, v148, v3
	ds_load_2addr_b32 v[2:3], v2 offset0:125 offset1:126
	v_fmac_f32_e32 v164, v149, v4
	s_waitcnt lgkmcnt(3)
	s_delay_alu instid0(VALU_DEP_1) | instskip(SKIP_1) | instid1(VALU_DEP_1)
	v_fmac_f32_e32 v164, v150, v132
	s_waitcnt vmcnt(1)
	v_fmac_f32_e32 v164, v151, v133
	s_waitcnt lgkmcnt(2)
	s_delay_alu instid0(VALU_DEP_1) | instskip(NEXT) | instid1(VALU_DEP_1)
	v_fmac_f32_e32 v164, v152, v134
	v_fmac_f32_e32 v164, v153, v135
	s_waitcnt lgkmcnt(1)
	s_delay_alu instid0(VALU_DEP_1) | instskip(SKIP_1) | instid1(VALU_DEP_1)
	v_fmac_f32_e32 v164, v154, v136
	s_waitcnt vmcnt(0)
	v_fmac_f32_e32 v164, v155, v137
	s_waitcnt lgkmcnt(0)
	s_delay_alu instid0(VALU_DEP_1) | instskip(NEXT) | instid1(VALU_DEP_1)
	v_fmac_f32_e32 v164, v156, v2
	v_fmac_f32_e32 v164, v157, v3
	s_delay_alu instid0(VALU_DEP_1)
	v_sub_f32_e32 v2, v131, v164
	scratch_store_b32 off, v2, off offset:144
	v_cmpx_lt_u32_e32 35, v0
	s_cbranch_execz .LBB62_315
; %bb.314:
	scratch_load_b32 v2, off, off offset:140
	v_mov_b32_e32 v3, 0
	scratch_store_b32 off, v3, off offset:140
	s_waitcnt vmcnt(0)
	ds_store_b32 v1, v2
.LBB62_315:
	s_or_b32 exec_lo, exec_lo, s0
	s_waitcnt lgkmcnt(0)
	s_waitcnt_vscnt null, 0x0
	s_barrier
	buffer_gl0_inv
	s_clause 0x6
	scratch_load_b128 v[131:134], off, off offset:140
	scratch_load_b128 v[135:138], off, off offset:156
	;; [unrolled: 1-line block ×7, first 2 shown]
	v_mov_b32_e32 v2, 0
	ds_load_b128 v[159:162], v2 offset:400
	ds_load_b128 v[163:166], v2 offset:416
	s_mov_b32 s0, exec_lo
	s_waitcnt vmcnt(6) lgkmcnt(1)
	v_fma_f32 v3, v132, v159, 0
	s_delay_alu instid0(VALU_DEP_1) | instskip(NEXT) | instid1(VALU_DEP_1)
	v_fmac_f32_e32 v3, v133, v160
	v_fmac_f32_e32 v3, v134, v161
	s_waitcnt vmcnt(5)
	s_delay_alu instid0(VALU_DEP_1) | instskip(SKIP_3) | instid1(VALU_DEP_1)
	v_fmac_f32_e32 v3, v135, v162
	ds_load_b128 v[132:135], v2 offset:432
	s_waitcnt lgkmcnt(1)
	v_fmac_f32_e32 v3, v136, v163
	v_fmac_f32_e32 v3, v137, v164
	s_delay_alu instid0(VALU_DEP_1) | instskip(SKIP_1) | instid1(VALU_DEP_1)
	v_fmac_f32_e32 v3, v138, v165
	s_waitcnt vmcnt(4)
	v_fmac_f32_e32 v3, v139, v166
	ds_load_b128 v[136:139], v2 offset:448
	s_waitcnt lgkmcnt(1)
	v_fmac_f32_e32 v3, v140, v132
	s_delay_alu instid0(VALU_DEP_1) | instskip(NEXT) | instid1(VALU_DEP_1)
	v_fmac_f32_e32 v3, v141, v133
	v_fmac_f32_e32 v3, v142, v134
	s_waitcnt vmcnt(3)
	s_delay_alu instid0(VALU_DEP_1) | instskip(SKIP_3) | instid1(VALU_DEP_1)
	v_fmac_f32_e32 v3, v143, v135
	ds_load_b128 v[132:135], v2 offset:464
	s_waitcnt lgkmcnt(1)
	v_fmac_f32_e32 v3, v144, v136
	v_fmac_f32_e32 v3, v145, v137
	s_delay_alu instid0(VALU_DEP_1) | instskip(SKIP_1) | instid1(VALU_DEP_1)
	v_fmac_f32_e32 v3, v146, v138
	s_waitcnt vmcnt(2)
	v_fmac_f32_e32 v3, v147, v139
	ds_load_b128 v[136:139], v2 offset:480
	s_waitcnt lgkmcnt(1)
	v_fmac_f32_e32 v3, v148, v132
	s_delay_alu instid0(VALU_DEP_1) | instskip(NEXT) | instid1(VALU_DEP_1)
	v_fmac_f32_e32 v3, v149, v133
	v_fmac_f32_e32 v3, v150, v134
	ds_load_b96 v[132:134], v2 offset:496
	s_waitcnt vmcnt(1)
	v_fmac_f32_e32 v3, v151, v135
	s_waitcnt lgkmcnt(1)
	s_delay_alu instid0(VALU_DEP_1) | instskip(NEXT) | instid1(VALU_DEP_1)
	v_fmac_f32_e32 v3, v152, v136
	v_fmac_f32_e32 v3, v153, v137
	s_delay_alu instid0(VALU_DEP_1) | instskip(SKIP_1) | instid1(VALU_DEP_1)
	v_fmac_f32_e32 v3, v154, v138
	s_waitcnt vmcnt(0)
	v_fmac_f32_e32 v3, v155, v139
	s_waitcnt lgkmcnt(0)
	s_delay_alu instid0(VALU_DEP_1) | instskip(NEXT) | instid1(VALU_DEP_1)
	v_fmac_f32_e32 v3, v156, v132
	v_fmac_f32_e32 v3, v157, v133
	s_delay_alu instid0(VALU_DEP_1) | instskip(NEXT) | instid1(VALU_DEP_1)
	v_fmac_f32_e32 v3, v158, v134
	v_sub_f32_e32 v3, v131, v3
	scratch_store_b32 off, v3, off offset:140
	v_cmpx_lt_u32_e32 34, v0
	s_cbranch_execz .LBB62_317
; %bb.316:
	scratch_load_b32 v3, off, off offset:136
	scratch_store_b32 off, v2, off offset:136
	s_waitcnt vmcnt(0)
	ds_store_b32 v1, v3
.LBB62_317:
	s_or_b32 exec_lo, exec_lo, s0
	s_waitcnt lgkmcnt(0)
	s_waitcnt_vscnt null, 0x0
	s_barrier
	buffer_gl0_inv
	s_clause 0x7
	scratch_load_b128 v[131:134], off, off offset:136
	scratch_load_b128 v[135:138], off, off offset:152
	;; [unrolled: 1-line block ×7, first 2 shown]
	scratch_load_b32 v165, off, off offset:248
	ds_load_2addr_b32 v[3:4], v2 offset0:99 offset1:100
	ds_load_2addr_b32 v[159:160], v2 offset0:101 offset1:102
	;; [unrolled: 1-line block ×4, first 2 shown]
	s_mov_b32 s0, exec_lo
	s_waitcnt vmcnt(7) lgkmcnt(3)
	v_fma_f32 v166, v132, v3, 0
	s_delay_alu instid0(VALU_DEP_1)
	v_fmac_f32_e32 v166, v133, v4
	ds_load_2addr_b32 v[3:4], v2 offset0:107 offset1:108
	ds_load_2addr_b32 v[132:133], v2 offset0:109 offset1:110
	s_waitcnt lgkmcnt(4)
	v_fmac_f32_e32 v166, v134, v159
	s_waitcnt vmcnt(6)
	s_delay_alu instid0(VALU_DEP_1) | instskip(SKIP_1) | instid1(VALU_DEP_1)
	v_fmac_f32_e32 v166, v135, v160
	s_waitcnt lgkmcnt(3)
	v_fmac_f32_e32 v166, v136, v161
	s_delay_alu instid0(VALU_DEP_1)
	v_fmac_f32_e32 v166, v137, v162
	ds_load_2addr_b32 v[134:135], v2 offset0:111 offset1:112
	ds_load_2addr_b32 v[136:137], v2 offset0:113 offset1:114
	s_waitcnt lgkmcnt(4)
	v_fmac_f32_e32 v166, v138, v163
	s_waitcnt vmcnt(5)
	s_delay_alu instid0(VALU_DEP_1) | instskip(SKIP_1) | instid1(VALU_DEP_1)
	v_fmac_f32_e32 v166, v139, v164
	s_waitcnt lgkmcnt(3)
	v_fmac_f32_e32 v166, v140, v3
	s_delay_alu instid0(VALU_DEP_1) | instskip(SKIP_4) | instid1(VALU_DEP_1)
	v_fmac_f32_e32 v166, v141, v4
	ds_load_2addr_b32 v[3:4], v2 offset0:115 offset1:116
	s_waitcnt lgkmcnt(3)
	v_fmac_f32_e32 v166, v142, v132
	s_waitcnt vmcnt(4)
	v_fmac_f32_e32 v166, v143, v133
	ds_load_2addr_b32 v[132:133], v2 offset0:117 offset1:118
	s_waitcnt lgkmcnt(3)
	v_fmac_f32_e32 v166, v144, v134
	s_delay_alu instid0(VALU_DEP_1) | instskip(SKIP_1) | instid1(VALU_DEP_1)
	v_fmac_f32_e32 v166, v145, v135
	s_waitcnt lgkmcnt(2)
	v_fmac_f32_e32 v166, v146, v136
	s_waitcnt vmcnt(3)
	s_delay_alu instid0(VALU_DEP_1) | instskip(SKIP_4) | instid1(VALU_DEP_1)
	v_fmac_f32_e32 v166, v147, v137
	ds_load_2addr_b32 v[134:135], v2 offset0:119 offset1:120
	ds_load_2addr_b32 v[136:137], v2 offset0:121 offset1:122
	s_waitcnt lgkmcnt(3)
	v_fmac_f32_e32 v166, v148, v3
	v_fmac_f32_e32 v166, v149, v4
	ds_load_2addr_b32 v[3:4], v2 offset0:123 offset1:124
	s_waitcnt lgkmcnt(3)
	v_fmac_f32_e32 v166, v150, v132
	s_waitcnt vmcnt(2)
	s_delay_alu instid0(VALU_DEP_1) | instskip(SKIP_3) | instid1(VALU_DEP_1)
	v_fmac_f32_e32 v166, v151, v133
	ds_load_2addr_b32 v[132:133], v2 offset0:125 offset1:126
	s_waitcnt lgkmcnt(3)
	v_fmac_f32_e32 v166, v152, v134
	v_fmac_f32_e32 v166, v153, v135
	s_waitcnt lgkmcnt(2)
	s_delay_alu instid0(VALU_DEP_1) | instskip(SKIP_1) | instid1(VALU_DEP_1)
	v_fmac_f32_e32 v166, v154, v136
	s_waitcnt vmcnt(1)
	v_fmac_f32_e32 v166, v155, v137
	s_waitcnt lgkmcnt(1)
	s_delay_alu instid0(VALU_DEP_1) | instskip(NEXT) | instid1(VALU_DEP_1)
	v_fmac_f32_e32 v166, v156, v3
	v_fmac_f32_e32 v166, v157, v4
	s_waitcnt lgkmcnt(0)
	s_delay_alu instid0(VALU_DEP_1) | instskip(SKIP_1) | instid1(VALU_DEP_1)
	v_fmac_f32_e32 v166, v158, v132
	s_waitcnt vmcnt(0)
	v_fmac_f32_e32 v166, v165, v133
	s_delay_alu instid0(VALU_DEP_1)
	v_sub_f32_e32 v2, v131, v166
	scratch_store_b32 off, v2, off offset:136
	v_cmpx_lt_u32_e32 33, v0
	s_cbranch_execz .LBB62_319
; %bb.318:
	scratch_load_b32 v2, off, off offset:132
	v_mov_b32_e32 v3, 0
	scratch_store_b32 off, v3, off offset:132
	s_waitcnt vmcnt(0)
	ds_store_b32 v1, v2
.LBB62_319:
	s_or_b32 exec_lo, exec_lo, s0
	s_waitcnt lgkmcnt(0)
	s_waitcnt_vscnt null, 0x0
	s_barrier
	buffer_gl0_inv
	s_clause 0x7
	scratch_load_b128 v[131:134], off, off offset:132
	scratch_load_b128 v[135:138], off, off offset:148
	;; [unrolled: 1-line block ×7, first 2 shown]
	scratch_load_b64 v[3:4], off, off offset:244
	v_mov_b32_e32 v2, 0
	ds_load_2addr_b64 v[159:162], v2 offset0:49 offset1:50
	ds_load_2addr_b64 v[163:166], v2 offset0:51 offset1:52
	s_mov_b32 s0, exec_lo
	s_waitcnt vmcnt(7) lgkmcnt(1)
	v_fma_f32 v159, v132, v159, 0
	s_delay_alu instid0(VALU_DEP_1) | instskip(NEXT) | instid1(VALU_DEP_1)
	v_fmac_f32_e32 v159, v133, v160
	v_fmac_f32_e32 v159, v134, v161
	s_waitcnt vmcnt(6)
	s_delay_alu instid0(VALU_DEP_1) | instskip(SKIP_3) | instid1(VALU_DEP_1)
	v_fmac_f32_e32 v159, v135, v162
	ds_load_2addr_b64 v[132:135], v2 offset0:53 offset1:54
	s_waitcnt lgkmcnt(1)
	v_fmac_f32_e32 v159, v136, v163
	v_fmac_f32_e32 v159, v137, v164
	s_delay_alu instid0(VALU_DEP_1) | instskip(SKIP_1) | instid1(VALU_DEP_1)
	v_fmac_f32_e32 v159, v138, v165
	s_waitcnt vmcnt(5)
	v_fmac_f32_e32 v159, v139, v166
	ds_load_2addr_b64 v[136:139], v2 offset0:55 offset1:56
	s_waitcnt lgkmcnt(1)
	v_fmac_f32_e32 v159, v140, v132
	s_delay_alu instid0(VALU_DEP_1) | instskip(NEXT) | instid1(VALU_DEP_1)
	v_fmac_f32_e32 v159, v141, v133
	v_fmac_f32_e32 v159, v142, v134
	s_waitcnt vmcnt(4)
	s_delay_alu instid0(VALU_DEP_1) | instskip(SKIP_3) | instid1(VALU_DEP_1)
	v_fmac_f32_e32 v159, v143, v135
	ds_load_2addr_b64 v[132:135], v2 offset0:57 offset1:58
	s_waitcnt lgkmcnt(1)
	v_fmac_f32_e32 v159, v144, v136
	v_fmac_f32_e32 v159, v145, v137
	s_delay_alu instid0(VALU_DEP_1) | instskip(SKIP_1) | instid1(VALU_DEP_1)
	v_fmac_f32_e32 v159, v146, v138
	s_waitcnt vmcnt(3)
	v_fmac_f32_e32 v159, v147, v139
	ds_load_2addr_b64 v[136:139], v2 offset0:59 offset1:60
	s_waitcnt lgkmcnt(1)
	v_fmac_f32_e32 v159, v148, v132
	s_delay_alu instid0(VALU_DEP_1) | instskip(NEXT) | instid1(VALU_DEP_1)
	v_fmac_f32_e32 v159, v149, v133
	v_fmac_f32_e32 v159, v150, v134
	s_waitcnt vmcnt(2)
	s_delay_alu instid0(VALU_DEP_1)
	v_fmac_f32_e32 v159, v151, v135
	ds_load_2addr_b64 v[132:135], v2 offset0:61 offset1:62
	s_waitcnt lgkmcnt(1)
	v_fmac_f32_e32 v159, v152, v136
	ds_load_b32 v136, v2 offset:504
	v_fmac_f32_e32 v159, v153, v137
	s_delay_alu instid0(VALU_DEP_1) | instskip(SKIP_1) | instid1(VALU_DEP_1)
	v_fmac_f32_e32 v159, v154, v138
	s_waitcnt vmcnt(1)
	v_fmac_f32_e32 v159, v155, v139
	s_waitcnt lgkmcnt(1)
	s_delay_alu instid0(VALU_DEP_1) | instskip(NEXT) | instid1(VALU_DEP_1)
	v_fmac_f32_e32 v159, v156, v132
	v_fmac_f32_e32 v159, v157, v133
	s_delay_alu instid0(VALU_DEP_1) | instskip(SKIP_1) | instid1(VALU_DEP_1)
	v_fmac_f32_e32 v159, v158, v134
	s_waitcnt vmcnt(0)
	v_fmac_f32_e32 v159, v3, v135
	s_waitcnt lgkmcnt(0)
	s_delay_alu instid0(VALU_DEP_1) | instskip(NEXT) | instid1(VALU_DEP_1)
	v_fmac_f32_e32 v159, v4, v136
	v_sub_f32_e32 v3, v131, v159
	scratch_store_b32 off, v3, off offset:132
	v_cmpx_lt_u32_e32 32, v0
	s_cbranch_execz .LBB62_321
; %bb.320:
	scratch_load_b32 v3, off, off offset:128
	scratch_store_b32 off, v2, off offset:128
	s_waitcnt vmcnt(0)
	ds_store_b32 v1, v3
.LBB62_321:
	s_or_b32 exec_lo, exec_lo, s0
	s_waitcnt lgkmcnt(0)
	s_waitcnt_vscnt null, 0x0
	s_barrier
	buffer_gl0_inv
	s_clause 0x7
	scratch_load_b128 v[131:134], off, off offset:128
	scratch_load_b128 v[135:138], off, off offset:144
	;; [unrolled: 1-line block ×7, first 2 shown]
	scratch_load_b96 v[159:161], off, off offset:240
	ds_load_2addr_b32 v[3:4], v2 offset0:97 offset1:98
	ds_load_2addr_b32 v[162:163], v2 offset0:99 offset1:100
	ds_load_2addr_b32 v[164:165], v2 offset0:101 offset1:102
	ds_load_2addr_b32 v[166:167], v2 offset0:103 offset1:104
	s_mov_b32 s0, exec_lo
	s_waitcnt vmcnt(7) lgkmcnt(3)
	v_fma_f32 v168, v132, v3, 0
	s_delay_alu instid0(VALU_DEP_1)
	v_fmac_f32_e32 v168, v133, v4
	ds_load_2addr_b32 v[3:4], v2 offset0:105 offset1:106
	ds_load_2addr_b32 v[132:133], v2 offset0:107 offset1:108
	s_waitcnt lgkmcnt(4)
	v_fmac_f32_e32 v168, v134, v162
	s_waitcnt vmcnt(6)
	s_delay_alu instid0(VALU_DEP_1) | instskip(SKIP_1) | instid1(VALU_DEP_1)
	v_fmac_f32_e32 v168, v135, v163
	s_waitcnt lgkmcnt(3)
	v_fmac_f32_e32 v168, v136, v164
	s_delay_alu instid0(VALU_DEP_1)
	v_fmac_f32_e32 v168, v137, v165
	ds_load_2addr_b32 v[134:135], v2 offset0:109 offset1:110
	ds_load_2addr_b32 v[136:137], v2 offset0:111 offset1:112
	s_waitcnt lgkmcnt(4)
	v_fmac_f32_e32 v168, v138, v166
	s_waitcnt vmcnt(5)
	s_delay_alu instid0(VALU_DEP_1) | instskip(SKIP_1) | instid1(VALU_DEP_1)
	v_fmac_f32_e32 v168, v139, v167
	s_waitcnt lgkmcnt(3)
	v_fmac_f32_e32 v168, v140, v3
	s_delay_alu instid0(VALU_DEP_1) | instskip(SKIP_4) | instid1(VALU_DEP_1)
	v_fmac_f32_e32 v168, v141, v4
	ds_load_2addr_b32 v[3:4], v2 offset0:113 offset1:114
	s_waitcnt lgkmcnt(3)
	v_fmac_f32_e32 v168, v142, v132
	s_waitcnt vmcnt(4)
	v_fmac_f32_e32 v168, v143, v133
	ds_load_2addr_b32 v[132:133], v2 offset0:115 offset1:116
	s_waitcnt lgkmcnt(3)
	v_fmac_f32_e32 v168, v144, v134
	s_delay_alu instid0(VALU_DEP_1) | instskip(SKIP_1) | instid1(VALU_DEP_1)
	v_fmac_f32_e32 v168, v145, v135
	s_waitcnt lgkmcnt(2)
	v_fmac_f32_e32 v168, v146, v136
	s_waitcnt vmcnt(3)
	s_delay_alu instid0(VALU_DEP_1) | instskip(SKIP_4) | instid1(VALU_DEP_1)
	v_fmac_f32_e32 v168, v147, v137
	ds_load_2addr_b32 v[134:135], v2 offset0:117 offset1:118
	ds_load_2addr_b32 v[136:137], v2 offset0:119 offset1:120
	s_waitcnt lgkmcnt(3)
	v_fmac_f32_e32 v168, v148, v3
	v_fmac_f32_e32 v168, v149, v4
	ds_load_2addr_b32 v[3:4], v2 offset0:121 offset1:122
	s_waitcnt lgkmcnt(3)
	v_fmac_f32_e32 v168, v150, v132
	s_waitcnt vmcnt(2)
	s_delay_alu instid0(VALU_DEP_1) | instskip(SKIP_3) | instid1(VALU_DEP_1)
	v_fmac_f32_e32 v168, v151, v133
	ds_load_2addr_b32 v[132:133], v2 offset0:123 offset1:124
	s_waitcnt lgkmcnt(3)
	v_fmac_f32_e32 v168, v152, v134
	v_fmac_f32_e32 v168, v153, v135
	ds_load_2addr_b32 v[134:135], v2 offset0:125 offset1:126
	s_waitcnt lgkmcnt(3)
	v_fmac_f32_e32 v168, v154, v136
	s_waitcnt vmcnt(1)
	s_delay_alu instid0(VALU_DEP_1) | instskip(SKIP_1) | instid1(VALU_DEP_1)
	v_fmac_f32_e32 v168, v155, v137
	s_waitcnt lgkmcnt(2)
	v_fmac_f32_e32 v168, v156, v3
	s_delay_alu instid0(VALU_DEP_1) | instskip(SKIP_1) | instid1(VALU_DEP_1)
	v_fmac_f32_e32 v168, v157, v4
	s_waitcnt lgkmcnt(1)
	v_fmac_f32_e32 v168, v158, v132
	s_waitcnt vmcnt(0)
	s_delay_alu instid0(VALU_DEP_1) | instskip(SKIP_1) | instid1(VALU_DEP_1)
	v_fmac_f32_e32 v168, v159, v133
	s_waitcnt lgkmcnt(0)
	v_fmac_f32_e32 v168, v160, v134
	s_delay_alu instid0(VALU_DEP_1) | instskip(NEXT) | instid1(VALU_DEP_1)
	v_fmac_f32_e32 v168, v161, v135
	v_sub_f32_e32 v2, v131, v168
	scratch_store_b32 off, v2, off offset:128
	v_cmpx_lt_u32_e32 31, v0
	s_cbranch_execz .LBB62_323
; %bb.322:
	scratch_load_b32 v2, off, off offset:124
	v_mov_b32_e32 v3, 0
	scratch_store_b32 off, v3, off offset:124
	s_waitcnt vmcnt(0)
	ds_store_b32 v1, v2
.LBB62_323:
	s_or_b32 exec_lo, exec_lo, s0
	s_waitcnt lgkmcnt(0)
	s_waitcnt_vscnt null, 0x0
	s_barrier
	buffer_gl0_inv
	s_clause 0x7
	scratch_load_b128 v[131:134], off, off offset:124
	scratch_load_b128 v[135:138], off, off offset:140
	;; [unrolled: 1-line block ×8, first 2 shown]
	v_mov_b32_e32 v2, 0
	ds_load_b128 v[163:166], v2 offset:384
	ds_load_b128 v[167:170], v2 offset:400
	s_mov_b32 s0, exec_lo
	s_waitcnt vmcnt(7) lgkmcnt(1)
	v_fma_f32 v3, v132, v163, 0
	s_delay_alu instid0(VALU_DEP_1) | instskip(NEXT) | instid1(VALU_DEP_1)
	v_fmac_f32_e32 v3, v133, v164
	v_fmac_f32_e32 v3, v134, v165
	s_waitcnt vmcnt(6)
	s_delay_alu instid0(VALU_DEP_1) | instskip(SKIP_3) | instid1(VALU_DEP_1)
	v_fmac_f32_e32 v3, v135, v166
	ds_load_b128 v[132:135], v2 offset:416
	s_waitcnt lgkmcnt(1)
	v_fmac_f32_e32 v3, v136, v167
	v_fmac_f32_e32 v3, v137, v168
	s_delay_alu instid0(VALU_DEP_1) | instskip(SKIP_1) | instid1(VALU_DEP_1)
	v_fmac_f32_e32 v3, v138, v169
	s_waitcnt vmcnt(5)
	v_fmac_f32_e32 v3, v139, v170
	ds_load_b128 v[136:139], v2 offset:432
	s_waitcnt lgkmcnt(1)
	v_fmac_f32_e32 v3, v140, v132
	s_delay_alu instid0(VALU_DEP_1) | instskip(NEXT) | instid1(VALU_DEP_1)
	v_fmac_f32_e32 v3, v141, v133
	v_fmac_f32_e32 v3, v142, v134
	s_waitcnt vmcnt(4)
	s_delay_alu instid0(VALU_DEP_1) | instskip(SKIP_3) | instid1(VALU_DEP_1)
	v_fmac_f32_e32 v3, v143, v135
	ds_load_b128 v[132:135], v2 offset:448
	s_waitcnt lgkmcnt(1)
	v_fmac_f32_e32 v3, v144, v136
	v_fmac_f32_e32 v3, v145, v137
	s_delay_alu instid0(VALU_DEP_1) | instskip(SKIP_1) | instid1(VALU_DEP_1)
	v_fmac_f32_e32 v3, v146, v138
	s_waitcnt vmcnt(3)
	v_fmac_f32_e32 v3, v147, v139
	ds_load_b128 v[136:139], v2 offset:464
	s_waitcnt lgkmcnt(1)
	v_fmac_f32_e32 v3, v148, v132
	s_delay_alu instid0(VALU_DEP_1) | instskip(NEXT) | instid1(VALU_DEP_1)
	v_fmac_f32_e32 v3, v149, v133
	v_fmac_f32_e32 v3, v150, v134
	s_waitcnt vmcnt(2)
	s_delay_alu instid0(VALU_DEP_1) | instskip(SKIP_3) | instid1(VALU_DEP_1)
	v_fmac_f32_e32 v3, v151, v135
	ds_load_b128 v[132:135], v2 offset:480
	s_waitcnt lgkmcnt(1)
	v_fmac_f32_e32 v3, v152, v136
	v_fmac_f32_e32 v3, v153, v137
	s_delay_alu instid0(VALU_DEP_1) | instskip(SKIP_4) | instid1(VALU_DEP_1)
	v_fmac_f32_e32 v3, v154, v138
	ds_load_b96 v[136:138], v2 offset:496
	s_waitcnt vmcnt(1)
	v_fmac_f32_e32 v3, v155, v139
	s_waitcnt lgkmcnt(1)
	v_fmac_f32_e32 v3, v156, v132
	s_delay_alu instid0(VALU_DEP_1) | instskip(NEXT) | instid1(VALU_DEP_1)
	v_fmac_f32_e32 v3, v157, v133
	v_fmac_f32_e32 v3, v158, v134
	s_waitcnt vmcnt(0)
	s_delay_alu instid0(VALU_DEP_1) | instskip(SKIP_1) | instid1(VALU_DEP_1)
	v_fmac_f32_e32 v3, v159, v135
	s_waitcnt lgkmcnt(0)
	v_fmac_f32_e32 v3, v160, v136
	s_delay_alu instid0(VALU_DEP_1) | instskip(NEXT) | instid1(VALU_DEP_1)
	v_fmac_f32_e32 v3, v161, v137
	v_fmac_f32_e32 v3, v162, v138
	s_delay_alu instid0(VALU_DEP_1)
	v_sub_f32_e32 v3, v131, v3
	scratch_store_b32 off, v3, off offset:124
	v_cmpx_lt_u32_e32 30, v0
	s_cbranch_execz .LBB62_325
; %bb.324:
	scratch_load_b32 v3, off, off offset:120
	scratch_store_b32 off, v2, off offset:120
	s_waitcnt vmcnt(0)
	ds_store_b32 v1, v3
.LBB62_325:
	s_or_b32 exec_lo, exec_lo, s0
	s_waitcnt lgkmcnt(0)
	s_waitcnt_vscnt null, 0x0
	s_barrier
	buffer_gl0_inv
	s_clause 0x8
	scratch_load_b128 v[131:134], off, off offset:120
	scratch_load_b128 v[135:138], off, off offset:136
	;; [unrolled: 1-line block ×8, first 2 shown]
	scratch_load_b32 v169, off, off offset:248
	ds_load_2addr_b32 v[3:4], v2 offset0:95 offset1:96
	ds_load_2addr_b32 v[163:164], v2 offset0:97 offset1:98
	;; [unrolled: 1-line block ×4, first 2 shown]
	s_mov_b32 s0, exec_lo
	s_waitcnt vmcnt(8) lgkmcnt(3)
	v_fma_f32 v170, v132, v3, 0
	s_delay_alu instid0(VALU_DEP_1)
	v_fmac_f32_e32 v170, v133, v4
	ds_load_2addr_b32 v[3:4], v2 offset0:103 offset1:104
	ds_load_2addr_b32 v[132:133], v2 offset0:105 offset1:106
	s_waitcnt lgkmcnt(4)
	v_fmac_f32_e32 v170, v134, v163
	s_waitcnt vmcnt(7)
	s_delay_alu instid0(VALU_DEP_1) | instskip(SKIP_1) | instid1(VALU_DEP_1)
	v_fmac_f32_e32 v170, v135, v164
	s_waitcnt lgkmcnt(3)
	v_fmac_f32_e32 v170, v136, v165
	s_delay_alu instid0(VALU_DEP_1)
	v_fmac_f32_e32 v170, v137, v166
	ds_load_2addr_b32 v[134:135], v2 offset0:107 offset1:108
	ds_load_2addr_b32 v[136:137], v2 offset0:109 offset1:110
	s_waitcnt lgkmcnt(4)
	v_fmac_f32_e32 v170, v138, v167
	s_waitcnt vmcnt(6)
	s_delay_alu instid0(VALU_DEP_1) | instskip(SKIP_1) | instid1(VALU_DEP_1)
	v_fmac_f32_e32 v170, v139, v168
	s_waitcnt lgkmcnt(3)
	v_fmac_f32_e32 v170, v140, v3
	s_delay_alu instid0(VALU_DEP_1) | instskip(SKIP_4) | instid1(VALU_DEP_1)
	v_fmac_f32_e32 v170, v141, v4
	ds_load_2addr_b32 v[3:4], v2 offset0:111 offset1:112
	s_waitcnt lgkmcnt(3)
	v_fmac_f32_e32 v170, v142, v132
	s_waitcnt vmcnt(5)
	v_fmac_f32_e32 v170, v143, v133
	ds_load_2addr_b32 v[132:133], v2 offset0:113 offset1:114
	s_waitcnt lgkmcnt(3)
	v_fmac_f32_e32 v170, v144, v134
	s_delay_alu instid0(VALU_DEP_1) | instskip(SKIP_1) | instid1(VALU_DEP_1)
	v_fmac_f32_e32 v170, v145, v135
	s_waitcnt lgkmcnt(2)
	v_fmac_f32_e32 v170, v146, v136
	s_waitcnt vmcnt(4)
	s_delay_alu instid0(VALU_DEP_1) | instskip(SKIP_4) | instid1(VALU_DEP_1)
	v_fmac_f32_e32 v170, v147, v137
	ds_load_2addr_b32 v[134:135], v2 offset0:115 offset1:116
	ds_load_2addr_b32 v[136:137], v2 offset0:117 offset1:118
	s_waitcnt lgkmcnt(3)
	v_fmac_f32_e32 v170, v148, v3
	v_fmac_f32_e32 v170, v149, v4
	ds_load_2addr_b32 v[3:4], v2 offset0:119 offset1:120
	s_waitcnt lgkmcnt(3)
	v_fmac_f32_e32 v170, v150, v132
	s_waitcnt vmcnt(3)
	s_delay_alu instid0(VALU_DEP_1) | instskip(SKIP_3) | instid1(VALU_DEP_1)
	v_fmac_f32_e32 v170, v151, v133
	ds_load_2addr_b32 v[132:133], v2 offset0:121 offset1:122
	s_waitcnt lgkmcnt(3)
	v_fmac_f32_e32 v170, v152, v134
	v_fmac_f32_e32 v170, v153, v135
	s_waitcnt lgkmcnt(2)
	s_delay_alu instid0(VALU_DEP_1) | instskip(SKIP_1) | instid1(VALU_DEP_1)
	v_fmac_f32_e32 v170, v154, v136
	s_waitcnt vmcnt(2)
	v_fmac_f32_e32 v170, v155, v137
	ds_load_2addr_b32 v[134:135], v2 offset0:123 offset1:124
	ds_load_2addr_b32 v[136:137], v2 offset0:125 offset1:126
	s_waitcnt lgkmcnt(3)
	v_fmac_f32_e32 v170, v156, v3
	s_delay_alu instid0(VALU_DEP_1) | instskip(SKIP_1) | instid1(VALU_DEP_1)
	v_fmac_f32_e32 v170, v157, v4
	s_waitcnt lgkmcnt(2)
	v_fmac_f32_e32 v170, v158, v132
	s_waitcnt vmcnt(1)
	s_delay_alu instid0(VALU_DEP_1) | instskip(SKIP_1) | instid1(VALU_DEP_1)
	v_fmac_f32_e32 v170, v159, v133
	s_waitcnt lgkmcnt(1)
	v_fmac_f32_e32 v170, v160, v134
	s_delay_alu instid0(VALU_DEP_1) | instskip(SKIP_1) | instid1(VALU_DEP_1)
	v_fmac_f32_e32 v170, v161, v135
	s_waitcnt lgkmcnt(0)
	v_fmac_f32_e32 v170, v162, v136
	s_waitcnt vmcnt(0)
	s_delay_alu instid0(VALU_DEP_1) | instskip(NEXT) | instid1(VALU_DEP_1)
	v_fmac_f32_e32 v170, v169, v137
	v_sub_f32_e32 v2, v131, v170
	scratch_store_b32 off, v2, off offset:120
	v_cmpx_lt_u32_e32 29, v0
	s_cbranch_execz .LBB62_327
; %bb.326:
	scratch_load_b32 v2, off, off offset:116
	v_mov_b32_e32 v3, 0
	scratch_store_b32 off, v3, off offset:116
	s_waitcnt vmcnt(0)
	ds_store_b32 v1, v2
.LBB62_327:
	s_or_b32 exec_lo, exec_lo, s0
	s_waitcnt lgkmcnt(0)
	s_waitcnt_vscnt null, 0x0
	s_barrier
	buffer_gl0_inv
	s_clause 0x8
	scratch_load_b128 v[131:134], off, off offset:116
	scratch_load_b128 v[135:138], off, off offset:132
	;; [unrolled: 1-line block ×8, first 2 shown]
	scratch_load_b64 v[3:4], off, off offset:244
	v_mov_b32_e32 v2, 0
	ds_load_2addr_b64 v[163:166], v2 offset0:47 offset1:48
	ds_load_2addr_b64 v[167:170], v2 offset0:49 offset1:50
	s_mov_b32 s0, exec_lo
	s_waitcnt vmcnt(8) lgkmcnt(1)
	v_fma_f32 v163, v132, v163, 0
	s_delay_alu instid0(VALU_DEP_1) | instskip(NEXT) | instid1(VALU_DEP_1)
	v_fmac_f32_e32 v163, v133, v164
	v_fmac_f32_e32 v163, v134, v165
	s_waitcnt vmcnt(7)
	s_delay_alu instid0(VALU_DEP_1) | instskip(SKIP_3) | instid1(VALU_DEP_1)
	v_fmac_f32_e32 v163, v135, v166
	ds_load_2addr_b64 v[132:135], v2 offset0:51 offset1:52
	s_waitcnt lgkmcnt(1)
	v_fmac_f32_e32 v163, v136, v167
	v_fmac_f32_e32 v163, v137, v168
	s_delay_alu instid0(VALU_DEP_1) | instskip(SKIP_1) | instid1(VALU_DEP_1)
	v_fmac_f32_e32 v163, v138, v169
	s_waitcnt vmcnt(6)
	v_fmac_f32_e32 v163, v139, v170
	ds_load_2addr_b64 v[136:139], v2 offset0:53 offset1:54
	s_waitcnt lgkmcnt(1)
	v_fmac_f32_e32 v163, v140, v132
	s_delay_alu instid0(VALU_DEP_1) | instskip(NEXT) | instid1(VALU_DEP_1)
	v_fmac_f32_e32 v163, v141, v133
	v_fmac_f32_e32 v163, v142, v134
	s_waitcnt vmcnt(5)
	s_delay_alu instid0(VALU_DEP_1) | instskip(SKIP_3) | instid1(VALU_DEP_1)
	v_fmac_f32_e32 v163, v143, v135
	ds_load_2addr_b64 v[132:135], v2 offset0:55 offset1:56
	s_waitcnt lgkmcnt(1)
	v_fmac_f32_e32 v163, v144, v136
	v_fmac_f32_e32 v163, v145, v137
	s_delay_alu instid0(VALU_DEP_1) | instskip(SKIP_1) | instid1(VALU_DEP_1)
	v_fmac_f32_e32 v163, v146, v138
	s_waitcnt vmcnt(4)
	v_fmac_f32_e32 v163, v147, v139
	ds_load_2addr_b64 v[136:139], v2 offset0:57 offset1:58
	s_waitcnt lgkmcnt(1)
	v_fmac_f32_e32 v163, v148, v132
	;; [unrolled: 17-line block ×3, first 2 shown]
	ds_load_b32 v132, v2 offset:504
	v_fmac_f32_e32 v163, v157, v133
	s_delay_alu instid0(VALU_DEP_1) | instskip(SKIP_1) | instid1(VALU_DEP_1)
	v_fmac_f32_e32 v163, v158, v134
	s_waitcnt vmcnt(1)
	v_fmac_f32_e32 v163, v159, v135
	s_waitcnt lgkmcnt(1)
	s_delay_alu instid0(VALU_DEP_1) | instskip(NEXT) | instid1(VALU_DEP_1)
	v_fmac_f32_e32 v163, v160, v136
	v_fmac_f32_e32 v163, v161, v137
	s_delay_alu instid0(VALU_DEP_1) | instskip(SKIP_1) | instid1(VALU_DEP_1)
	v_fmac_f32_e32 v163, v162, v138
	s_waitcnt vmcnt(0)
	v_fmac_f32_e32 v163, v3, v139
	s_waitcnt lgkmcnt(0)
	s_delay_alu instid0(VALU_DEP_1) | instskip(NEXT) | instid1(VALU_DEP_1)
	v_fmac_f32_e32 v163, v4, v132
	v_sub_f32_e32 v3, v131, v163
	scratch_store_b32 off, v3, off offset:116
	v_cmpx_lt_u32_e32 28, v0
	s_cbranch_execz .LBB62_329
; %bb.328:
	scratch_load_b32 v3, off, off offset:112
	scratch_store_b32 off, v2, off offset:112
	s_waitcnt vmcnt(0)
	ds_store_b32 v1, v3
.LBB62_329:
	s_or_b32 exec_lo, exec_lo, s0
	s_waitcnt lgkmcnt(0)
	s_waitcnt_vscnt null, 0x0
	s_barrier
	buffer_gl0_inv
	s_clause 0x8
	scratch_load_b128 v[131:134], off, off offset:112
	scratch_load_b128 v[135:138], off, off offset:128
	;; [unrolled: 1-line block ×8, first 2 shown]
	scratch_load_b96 v[163:165], off, off offset:240
	ds_load_2addr_b32 v[3:4], v2 offset0:93 offset1:94
	ds_load_2addr_b32 v[166:167], v2 offset0:95 offset1:96
	;; [unrolled: 1-line block ×4, first 2 shown]
	s_mov_b32 s0, exec_lo
	s_waitcnt vmcnt(8) lgkmcnt(3)
	v_fma_f32 v172, v132, v3, 0
	s_delay_alu instid0(VALU_DEP_1)
	v_fmac_f32_e32 v172, v133, v4
	ds_load_2addr_b32 v[3:4], v2 offset0:101 offset1:102
	ds_load_2addr_b32 v[132:133], v2 offset0:103 offset1:104
	s_waitcnt lgkmcnt(4)
	v_fmac_f32_e32 v172, v134, v166
	s_waitcnt vmcnt(7)
	s_delay_alu instid0(VALU_DEP_1) | instskip(SKIP_1) | instid1(VALU_DEP_1)
	v_fmac_f32_e32 v172, v135, v167
	s_waitcnt lgkmcnt(3)
	v_fmac_f32_e32 v172, v136, v168
	s_delay_alu instid0(VALU_DEP_1)
	v_fmac_f32_e32 v172, v137, v169
	ds_load_2addr_b32 v[134:135], v2 offset0:105 offset1:106
	ds_load_2addr_b32 v[136:137], v2 offset0:107 offset1:108
	s_waitcnt lgkmcnt(4)
	v_fmac_f32_e32 v172, v138, v170
	s_waitcnt vmcnt(6)
	s_delay_alu instid0(VALU_DEP_1) | instskip(SKIP_1) | instid1(VALU_DEP_1)
	v_fmac_f32_e32 v172, v139, v171
	s_waitcnt lgkmcnt(3)
	v_fmac_f32_e32 v172, v140, v3
	s_delay_alu instid0(VALU_DEP_1) | instskip(SKIP_4) | instid1(VALU_DEP_1)
	v_fmac_f32_e32 v172, v141, v4
	ds_load_2addr_b32 v[3:4], v2 offset0:109 offset1:110
	s_waitcnt lgkmcnt(3)
	v_fmac_f32_e32 v172, v142, v132
	s_waitcnt vmcnt(5)
	v_fmac_f32_e32 v172, v143, v133
	ds_load_2addr_b32 v[132:133], v2 offset0:111 offset1:112
	s_waitcnt lgkmcnt(3)
	v_fmac_f32_e32 v172, v144, v134
	s_delay_alu instid0(VALU_DEP_1) | instskip(SKIP_1) | instid1(VALU_DEP_1)
	v_fmac_f32_e32 v172, v145, v135
	s_waitcnt lgkmcnt(2)
	v_fmac_f32_e32 v172, v146, v136
	s_waitcnt vmcnt(4)
	s_delay_alu instid0(VALU_DEP_1) | instskip(SKIP_4) | instid1(VALU_DEP_1)
	v_fmac_f32_e32 v172, v147, v137
	ds_load_2addr_b32 v[134:135], v2 offset0:113 offset1:114
	ds_load_2addr_b32 v[136:137], v2 offset0:115 offset1:116
	s_waitcnt lgkmcnt(3)
	v_fmac_f32_e32 v172, v148, v3
	v_fmac_f32_e32 v172, v149, v4
	ds_load_2addr_b32 v[3:4], v2 offset0:117 offset1:118
	s_waitcnt lgkmcnt(3)
	v_fmac_f32_e32 v172, v150, v132
	s_waitcnt vmcnt(3)
	s_delay_alu instid0(VALU_DEP_1) | instskip(SKIP_3) | instid1(VALU_DEP_1)
	v_fmac_f32_e32 v172, v151, v133
	ds_load_2addr_b32 v[132:133], v2 offset0:119 offset1:120
	s_waitcnt lgkmcnt(3)
	v_fmac_f32_e32 v172, v152, v134
	v_fmac_f32_e32 v172, v153, v135
	s_waitcnt lgkmcnt(2)
	s_delay_alu instid0(VALU_DEP_1) | instskip(SKIP_1) | instid1(VALU_DEP_1)
	v_fmac_f32_e32 v172, v154, v136
	s_waitcnt vmcnt(2)
	v_fmac_f32_e32 v172, v155, v137
	ds_load_2addr_b32 v[134:135], v2 offset0:121 offset1:122
	ds_load_2addr_b32 v[136:137], v2 offset0:123 offset1:124
	s_waitcnt lgkmcnt(3)
	v_fmac_f32_e32 v172, v156, v3
	ds_load_2addr_b32 v[2:3], v2 offset0:125 offset1:126
	v_fmac_f32_e32 v172, v157, v4
	s_waitcnt lgkmcnt(3)
	s_delay_alu instid0(VALU_DEP_1) | instskip(SKIP_1) | instid1(VALU_DEP_1)
	v_fmac_f32_e32 v172, v158, v132
	s_waitcnt vmcnt(1)
	v_fmac_f32_e32 v172, v159, v133
	s_waitcnt lgkmcnt(2)
	s_delay_alu instid0(VALU_DEP_1) | instskip(NEXT) | instid1(VALU_DEP_1)
	v_fmac_f32_e32 v172, v160, v134
	v_fmac_f32_e32 v172, v161, v135
	s_waitcnt lgkmcnt(1)
	s_delay_alu instid0(VALU_DEP_1) | instskip(SKIP_1) | instid1(VALU_DEP_1)
	v_fmac_f32_e32 v172, v162, v136
	s_waitcnt vmcnt(0)
	v_fmac_f32_e32 v172, v163, v137
	s_waitcnt lgkmcnt(0)
	s_delay_alu instid0(VALU_DEP_1) | instskip(NEXT) | instid1(VALU_DEP_1)
	v_fmac_f32_e32 v172, v164, v2
	v_fmac_f32_e32 v172, v165, v3
	s_delay_alu instid0(VALU_DEP_1)
	v_sub_f32_e32 v2, v131, v172
	scratch_store_b32 off, v2, off offset:112
	v_cmpx_lt_u32_e32 27, v0
	s_cbranch_execz .LBB62_331
; %bb.330:
	scratch_load_b32 v2, off, off offset:108
	v_mov_b32_e32 v3, 0
	scratch_store_b32 off, v3, off offset:108
	s_waitcnt vmcnt(0)
	ds_store_b32 v1, v2
.LBB62_331:
	s_or_b32 exec_lo, exec_lo, s0
	s_waitcnt lgkmcnt(0)
	s_waitcnt_vscnt null, 0x0
	s_barrier
	buffer_gl0_inv
	s_clause 0x8
	scratch_load_b128 v[131:134], off, off offset:108
	scratch_load_b128 v[135:138], off, off offset:124
	;; [unrolled: 1-line block ×9, first 2 shown]
	v_mov_b32_e32 v2, 0
	ds_load_b128 v[167:170], v2 offset:368
	ds_load_b128 v[171:174], v2 offset:384
	s_mov_b32 s0, exec_lo
	s_waitcnt vmcnt(8) lgkmcnt(1)
	v_fma_f32 v3, v132, v167, 0
	s_delay_alu instid0(VALU_DEP_1) | instskip(NEXT) | instid1(VALU_DEP_1)
	v_fmac_f32_e32 v3, v133, v168
	v_fmac_f32_e32 v3, v134, v169
	s_waitcnt vmcnt(7)
	s_delay_alu instid0(VALU_DEP_1) | instskip(SKIP_3) | instid1(VALU_DEP_1)
	v_fmac_f32_e32 v3, v135, v170
	ds_load_b128 v[132:135], v2 offset:400
	s_waitcnt lgkmcnt(1)
	v_fmac_f32_e32 v3, v136, v171
	v_fmac_f32_e32 v3, v137, v172
	s_delay_alu instid0(VALU_DEP_1) | instskip(SKIP_1) | instid1(VALU_DEP_1)
	v_fmac_f32_e32 v3, v138, v173
	s_waitcnt vmcnt(6)
	v_fmac_f32_e32 v3, v139, v174
	ds_load_b128 v[136:139], v2 offset:416
	s_waitcnt lgkmcnt(1)
	v_fmac_f32_e32 v3, v140, v132
	s_delay_alu instid0(VALU_DEP_1) | instskip(NEXT) | instid1(VALU_DEP_1)
	v_fmac_f32_e32 v3, v141, v133
	v_fmac_f32_e32 v3, v142, v134
	s_waitcnt vmcnt(5)
	s_delay_alu instid0(VALU_DEP_1) | instskip(SKIP_3) | instid1(VALU_DEP_1)
	v_fmac_f32_e32 v3, v143, v135
	ds_load_b128 v[132:135], v2 offset:432
	s_waitcnt lgkmcnt(1)
	v_fmac_f32_e32 v3, v144, v136
	v_fmac_f32_e32 v3, v145, v137
	s_delay_alu instid0(VALU_DEP_1) | instskip(SKIP_1) | instid1(VALU_DEP_1)
	v_fmac_f32_e32 v3, v146, v138
	s_waitcnt vmcnt(4)
	v_fmac_f32_e32 v3, v147, v139
	ds_load_b128 v[136:139], v2 offset:448
	s_waitcnt lgkmcnt(1)
	v_fmac_f32_e32 v3, v148, v132
	s_delay_alu instid0(VALU_DEP_1) | instskip(NEXT) | instid1(VALU_DEP_1)
	v_fmac_f32_e32 v3, v149, v133
	v_fmac_f32_e32 v3, v150, v134
	s_waitcnt vmcnt(3)
	s_delay_alu instid0(VALU_DEP_1) | instskip(SKIP_3) | instid1(VALU_DEP_1)
	v_fmac_f32_e32 v3, v151, v135
	ds_load_b128 v[132:135], v2 offset:464
	s_waitcnt lgkmcnt(1)
	v_fmac_f32_e32 v3, v152, v136
	v_fmac_f32_e32 v3, v153, v137
	s_delay_alu instid0(VALU_DEP_1) | instskip(SKIP_1) | instid1(VALU_DEP_1)
	v_fmac_f32_e32 v3, v154, v138
	s_waitcnt vmcnt(2)
	v_fmac_f32_e32 v3, v155, v139
	ds_load_b128 v[136:139], v2 offset:480
	s_waitcnt lgkmcnt(1)
	v_fmac_f32_e32 v3, v156, v132
	s_delay_alu instid0(VALU_DEP_1) | instskip(NEXT) | instid1(VALU_DEP_1)
	v_fmac_f32_e32 v3, v157, v133
	v_fmac_f32_e32 v3, v158, v134
	ds_load_b96 v[132:134], v2 offset:496
	s_waitcnt vmcnt(1)
	v_fmac_f32_e32 v3, v159, v135
	s_waitcnt lgkmcnt(1)
	s_delay_alu instid0(VALU_DEP_1) | instskip(NEXT) | instid1(VALU_DEP_1)
	v_fmac_f32_e32 v3, v160, v136
	v_fmac_f32_e32 v3, v161, v137
	s_delay_alu instid0(VALU_DEP_1) | instskip(SKIP_1) | instid1(VALU_DEP_1)
	v_fmac_f32_e32 v3, v162, v138
	s_waitcnt vmcnt(0)
	v_fmac_f32_e32 v3, v163, v139
	s_waitcnt lgkmcnt(0)
	s_delay_alu instid0(VALU_DEP_1) | instskip(NEXT) | instid1(VALU_DEP_1)
	v_fmac_f32_e32 v3, v164, v132
	v_fmac_f32_e32 v3, v165, v133
	s_delay_alu instid0(VALU_DEP_1) | instskip(NEXT) | instid1(VALU_DEP_1)
	v_fmac_f32_e32 v3, v166, v134
	v_sub_f32_e32 v3, v131, v3
	scratch_store_b32 off, v3, off offset:108
	v_cmpx_lt_u32_e32 26, v0
	s_cbranch_execz .LBB62_333
; %bb.332:
	scratch_load_b32 v3, off, off offset:104
	scratch_store_b32 off, v2, off offset:104
	s_waitcnt vmcnt(0)
	ds_store_b32 v1, v3
.LBB62_333:
	s_or_b32 exec_lo, exec_lo, s0
	s_waitcnt lgkmcnt(0)
	s_waitcnt_vscnt null, 0x0
	s_barrier
	buffer_gl0_inv
	s_clause 0x9
	scratch_load_b128 v[131:134], off, off offset:104
	scratch_load_b128 v[135:138], off, off offset:120
	;; [unrolled: 1-line block ×9, first 2 shown]
	scratch_load_b32 v173, off, off offset:248
	ds_load_2addr_b32 v[3:4], v2 offset0:91 offset1:92
	ds_load_2addr_b32 v[167:168], v2 offset0:93 offset1:94
	;; [unrolled: 1-line block ×4, first 2 shown]
	s_mov_b32 s0, exec_lo
	s_waitcnt vmcnt(9) lgkmcnt(3)
	v_fma_f32 v174, v132, v3, 0
	s_delay_alu instid0(VALU_DEP_1)
	v_fmac_f32_e32 v174, v133, v4
	ds_load_2addr_b32 v[3:4], v2 offset0:99 offset1:100
	ds_load_2addr_b32 v[132:133], v2 offset0:101 offset1:102
	s_waitcnt lgkmcnt(4)
	v_fmac_f32_e32 v174, v134, v167
	s_waitcnt vmcnt(8)
	s_delay_alu instid0(VALU_DEP_1) | instskip(SKIP_1) | instid1(VALU_DEP_1)
	v_fmac_f32_e32 v174, v135, v168
	s_waitcnt lgkmcnt(3)
	v_fmac_f32_e32 v174, v136, v169
	s_delay_alu instid0(VALU_DEP_1)
	v_fmac_f32_e32 v174, v137, v170
	ds_load_2addr_b32 v[134:135], v2 offset0:103 offset1:104
	ds_load_2addr_b32 v[136:137], v2 offset0:105 offset1:106
	s_waitcnt lgkmcnt(4)
	v_fmac_f32_e32 v174, v138, v171
	s_waitcnt vmcnt(7)
	s_delay_alu instid0(VALU_DEP_1) | instskip(SKIP_1) | instid1(VALU_DEP_1)
	v_fmac_f32_e32 v174, v139, v172
	s_waitcnt lgkmcnt(3)
	v_fmac_f32_e32 v174, v140, v3
	s_delay_alu instid0(VALU_DEP_1) | instskip(SKIP_4) | instid1(VALU_DEP_1)
	v_fmac_f32_e32 v174, v141, v4
	ds_load_2addr_b32 v[3:4], v2 offset0:107 offset1:108
	s_waitcnt lgkmcnt(3)
	v_fmac_f32_e32 v174, v142, v132
	s_waitcnt vmcnt(6)
	v_fmac_f32_e32 v174, v143, v133
	ds_load_2addr_b32 v[132:133], v2 offset0:109 offset1:110
	s_waitcnt lgkmcnt(3)
	v_fmac_f32_e32 v174, v144, v134
	s_delay_alu instid0(VALU_DEP_1) | instskip(SKIP_1) | instid1(VALU_DEP_1)
	v_fmac_f32_e32 v174, v145, v135
	s_waitcnt lgkmcnt(2)
	v_fmac_f32_e32 v174, v146, v136
	s_waitcnt vmcnt(5)
	s_delay_alu instid0(VALU_DEP_1) | instskip(SKIP_4) | instid1(VALU_DEP_1)
	v_fmac_f32_e32 v174, v147, v137
	ds_load_2addr_b32 v[134:135], v2 offset0:111 offset1:112
	ds_load_2addr_b32 v[136:137], v2 offset0:113 offset1:114
	s_waitcnt lgkmcnt(3)
	v_fmac_f32_e32 v174, v148, v3
	v_fmac_f32_e32 v174, v149, v4
	ds_load_2addr_b32 v[3:4], v2 offset0:115 offset1:116
	s_waitcnt lgkmcnt(3)
	v_fmac_f32_e32 v174, v150, v132
	s_waitcnt vmcnt(4)
	s_delay_alu instid0(VALU_DEP_1) | instskip(SKIP_3) | instid1(VALU_DEP_1)
	v_fmac_f32_e32 v174, v151, v133
	ds_load_2addr_b32 v[132:133], v2 offset0:117 offset1:118
	s_waitcnt lgkmcnt(3)
	v_fmac_f32_e32 v174, v152, v134
	v_fmac_f32_e32 v174, v153, v135
	s_waitcnt lgkmcnt(2)
	s_delay_alu instid0(VALU_DEP_1) | instskip(SKIP_1) | instid1(VALU_DEP_1)
	v_fmac_f32_e32 v174, v154, v136
	s_waitcnt vmcnt(3)
	v_fmac_f32_e32 v174, v155, v137
	ds_load_2addr_b32 v[134:135], v2 offset0:119 offset1:120
	ds_load_2addr_b32 v[136:137], v2 offset0:121 offset1:122
	s_waitcnt lgkmcnt(3)
	v_fmac_f32_e32 v174, v156, v3
	s_delay_alu instid0(VALU_DEP_1) | instskip(SKIP_4) | instid1(VALU_DEP_1)
	v_fmac_f32_e32 v174, v157, v4
	ds_load_2addr_b32 v[3:4], v2 offset0:123 offset1:124
	s_waitcnt lgkmcnt(3)
	v_fmac_f32_e32 v174, v158, v132
	s_waitcnt vmcnt(2)
	v_fmac_f32_e32 v174, v159, v133
	ds_load_2addr_b32 v[132:133], v2 offset0:125 offset1:126
	s_waitcnt lgkmcnt(3)
	v_fmac_f32_e32 v174, v160, v134
	s_delay_alu instid0(VALU_DEP_1) | instskip(SKIP_1) | instid1(VALU_DEP_1)
	v_fmac_f32_e32 v174, v161, v135
	s_waitcnt lgkmcnt(2)
	v_fmac_f32_e32 v174, v162, v136
	s_waitcnt vmcnt(1)
	s_delay_alu instid0(VALU_DEP_1) | instskip(SKIP_1) | instid1(VALU_DEP_1)
	v_fmac_f32_e32 v174, v163, v137
	s_waitcnt lgkmcnt(1)
	v_fmac_f32_e32 v174, v164, v3
	s_delay_alu instid0(VALU_DEP_1) | instskip(SKIP_1) | instid1(VALU_DEP_1)
	v_fmac_f32_e32 v174, v165, v4
	s_waitcnt lgkmcnt(0)
	v_fmac_f32_e32 v174, v166, v132
	s_waitcnt vmcnt(0)
	s_delay_alu instid0(VALU_DEP_1) | instskip(NEXT) | instid1(VALU_DEP_1)
	v_fmac_f32_e32 v174, v173, v133
	v_sub_f32_e32 v2, v131, v174
	scratch_store_b32 off, v2, off offset:104
	v_cmpx_lt_u32_e32 25, v0
	s_cbranch_execz .LBB62_335
; %bb.334:
	scratch_load_b32 v2, off, off offset:100
	v_mov_b32_e32 v3, 0
	scratch_store_b32 off, v3, off offset:100
	s_waitcnt vmcnt(0)
	ds_store_b32 v1, v2
.LBB62_335:
	s_or_b32 exec_lo, exec_lo, s0
	s_waitcnt lgkmcnt(0)
	s_waitcnt_vscnt null, 0x0
	s_barrier
	buffer_gl0_inv
	s_clause 0x9
	scratch_load_b128 v[131:134], off, off offset:100
	scratch_load_b128 v[135:138], off, off offset:116
	;; [unrolled: 1-line block ×9, first 2 shown]
	scratch_load_b64 v[3:4], off, off offset:244
	v_mov_b32_e32 v2, 0
	ds_load_2addr_b64 v[167:170], v2 offset0:45 offset1:46
	ds_load_2addr_b64 v[171:174], v2 offset0:47 offset1:48
	s_mov_b32 s0, exec_lo
	s_waitcnt vmcnt(9) lgkmcnt(1)
	v_fma_f32 v167, v132, v167, 0
	s_delay_alu instid0(VALU_DEP_1) | instskip(NEXT) | instid1(VALU_DEP_1)
	v_fmac_f32_e32 v167, v133, v168
	v_fmac_f32_e32 v167, v134, v169
	s_waitcnt vmcnt(8)
	s_delay_alu instid0(VALU_DEP_1) | instskip(SKIP_3) | instid1(VALU_DEP_1)
	v_fmac_f32_e32 v167, v135, v170
	ds_load_2addr_b64 v[132:135], v2 offset0:49 offset1:50
	s_waitcnt lgkmcnt(1)
	v_fmac_f32_e32 v167, v136, v171
	v_fmac_f32_e32 v167, v137, v172
	s_delay_alu instid0(VALU_DEP_1) | instskip(SKIP_1) | instid1(VALU_DEP_1)
	v_fmac_f32_e32 v167, v138, v173
	s_waitcnt vmcnt(7)
	v_fmac_f32_e32 v167, v139, v174
	ds_load_2addr_b64 v[136:139], v2 offset0:51 offset1:52
	s_waitcnt lgkmcnt(1)
	v_fmac_f32_e32 v167, v140, v132
	s_delay_alu instid0(VALU_DEP_1) | instskip(NEXT) | instid1(VALU_DEP_1)
	v_fmac_f32_e32 v167, v141, v133
	v_fmac_f32_e32 v167, v142, v134
	s_waitcnt vmcnt(6)
	s_delay_alu instid0(VALU_DEP_1) | instskip(SKIP_3) | instid1(VALU_DEP_1)
	v_fmac_f32_e32 v167, v143, v135
	ds_load_2addr_b64 v[132:135], v2 offset0:53 offset1:54
	s_waitcnt lgkmcnt(1)
	v_fmac_f32_e32 v167, v144, v136
	v_fmac_f32_e32 v167, v145, v137
	s_delay_alu instid0(VALU_DEP_1) | instskip(SKIP_1) | instid1(VALU_DEP_1)
	v_fmac_f32_e32 v167, v146, v138
	s_waitcnt vmcnt(5)
	v_fmac_f32_e32 v167, v147, v139
	ds_load_2addr_b64 v[136:139], v2 offset0:55 offset1:56
	s_waitcnt lgkmcnt(1)
	v_fmac_f32_e32 v167, v148, v132
	;; [unrolled: 17-line block ×3, first 2 shown]
	s_delay_alu instid0(VALU_DEP_1) | instskip(NEXT) | instid1(VALU_DEP_1)
	v_fmac_f32_e32 v167, v157, v133
	v_fmac_f32_e32 v167, v158, v134
	s_waitcnt vmcnt(2)
	s_delay_alu instid0(VALU_DEP_1)
	v_fmac_f32_e32 v167, v159, v135
	ds_load_2addr_b64 v[132:135], v2 offset0:61 offset1:62
	s_waitcnt lgkmcnt(1)
	v_fmac_f32_e32 v167, v160, v136
	ds_load_b32 v136, v2 offset:504
	v_fmac_f32_e32 v167, v161, v137
	s_delay_alu instid0(VALU_DEP_1) | instskip(SKIP_1) | instid1(VALU_DEP_1)
	v_fmac_f32_e32 v167, v162, v138
	s_waitcnt vmcnt(1)
	v_fmac_f32_e32 v167, v163, v139
	s_waitcnt lgkmcnt(1)
	s_delay_alu instid0(VALU_DEP_1) | instskip(NEXT) | instid1(VALU_DEP_1)
	v_fmac_f32_e32 v167, v164, v132
	v_fmac_f32_e32 v167, v165, v133
	s_delay_alu instid0(VALU_DEP_1) | instskip(SKIP_1) | instid1(VALU_DEP_1)
	v_fmac_f32_e32 v167, v166, v134
	s_waitcnt vmcnt(0)
	v_fmac_f32_e32 v167, v3, v135
	s_waitcnt lgkmcnt(0)
	s_delay_alu instid0(VALU_DEP_1) | instskip(NEXT) | instid1(VALU_DEP_1)
	v_fmac_f32_e32 v167, v4, v136
	v_sub_f32_e32 v3, v131, v167
	scratch_store_b32 off, v3, off offset:100
	v_cmpx_lt_u32_e32 24, v0
	s_cbranch_execz .LBB62_337
; %bb.336:
	scratch_load_b32 v3, off, off offset:96
	scratch_store_b32 off, v2, off offset:96
	s_waitcnt vmcnt(0)
	ds_store_b32 v1, v3
.LBB62_337:
	s_or_b32 exec_lo, exec_lo, s0
	s_waitcnt lgkmcnt(0)
	s_waitcnt_vscnt null, 0x0
	s_barrier
	buffer_gl0_inv
	s_clause 0x9
	scratch_load_b128 v[131:134], off, off offset:96
	scratch_load_b128 v[135:138], off, off offset:112
	;; [unrolled: 1-line block ×9, first 2 shown]
	scratch_load_b96 v[167:169], off, off offset:240
	ds_load_2addr_b32 v[3:4], v2 offset0:89 offset1:90
	ds_load_2addr_b32 v[170:171], v2 offset0:91 offset1:92
	;; [unrolled: 1-line block ×4, first 2 shown]
	s_mov_b32 s0, exec_lo
	s_waitcnt vmcnt(9) lgkmcnt(3)
	v_fma_f32 v176, v132, v3, 0
	s_delay_alu instid0(VALU_DEP_1)
	v_fmac_f32_e32 v176, v133, v4
	ds_load_2addr_b32 v[3:4], v2 offset0:97 offset1:98
	ds_load_2addr_b32 v[132:133], v2 offset0:99 offset1:100
	s_waitcnt lgkmcnt(4)
	v_fmac_f32_e32 v176, v134, v170
	s_waitcnt vmcnt(8)
	s_delay_alu instid0(VALU_DEP_1) | instskip(SKIP_1) | instid1(VALU_DEP_1)
	v_fmac_f32_e32 v176, v135, v171
	s_waitcnt lgkmcnt(3)
	v_fmac_f32_e32 v176, v136, v172
	s_delay_alu instid0(VALU_DEP_1)
	v_fmac_f32_e32 v176, v137, v173
	ds_load_2addr_b32 v[134:135], v2 offset0:101 offset1:102
	ds_load_2addr_b32 v[136:137], v2 offset0:103 offset1:104
	s_waitcnt lgkmcnt(4)
	v_fmac_f32_e32 v176, v138, v174
	s_waitcnt vmcnt(7)
	s_delay_alu instid0(VALU_DEP_1) | instskip(SKIP_1) | instid1(VALU_DEP_1)
	v_fmac_f32_e32 v176, v139, v175
	s_waitcnt lgkmcnt(3)
	v_fmac_f32_e32 v176, v140, v3
	s_delay_alu instid0(VALU_DEP_1) | instskip(SKIP_4) | instid1(VALU_DEP_1)
	v_fmac_f32_e32 v176, v141, v4
	ds_load_2addr_b32 v[3:4], v2 offset0:105 offset1:106
	s_waitcnt lgkmcnt(3)
	v_fmac_f32_e32 v176, v142, v132
	s_waitcnt vmcnt(6)
	v_fmac_f32_e32 v176, v143, v133
	ds_load_2addr_b32 v[132:133], v2 offset0:107 offset1:108
	s_waitcnt lgkmcnt(3)
	v_fmac_f32_e32 v176, v144, v134
	s_delay_alu instid0(VALU_DEP_1) | instskip(SKIP_1) | instid1(VALU_DEP_1)
	v_fmac_f32_e32 v176, v145, v135
	s_waitcnt lgkmcnt(2)
	v_fmac_f32_e32 v176, v146, v136
	s_waitcnt vmcnt(5)
	s_delay_alu instid0(VALU_DEP_1) | instskip(SKIP_4) | instid1(VALU_DEP_1)
	v_fmac_f32_e32 v176, v147, v137
	ds_load_2addr_b32 v[134:135], v2 offset0:109 offset1:110
	ds_load_2addr_b32 v[136:137], v2 offset0:111 offset1:112
	s_waitcnt lgkmcnt(3)
	v_fmac_f32_e32 v176, v148, v3
	v_fmac_f32_e32 v176, v149, v4
	ds_load_2addr_b32 v[3:4], v2 offset0:113 offset1:114
	s_waitcnt lgkmcnt(3)
	v_fmac_f32_e32 v176, v150, v132
	s_waitcnt vmcnt(4)
	s_delay_alu instid0(VALU_DEP_1) | instskip(SKIP_3) | instid1(VALU_DEP_1)
	v_fmac_f32_e32 v176, v151, v133
	ds_load_2addr_b32 v[132:133], v2 offset0:115 offset1:116
	s_waitcnt lgkmcnt(3)
	v_fmac_f32_e32 v176, v152, v134
	v_fmac_f32_e32 v176, v153, v135
	s_waitcnt lgkmcnt(2)
	s_delay_alu instid0(VALU_DEP_1) | instskip(SKIP_1) | instid1(VALU_DEP_1)
	v_fmac_f32_e32 v176, v154, v136
	s_waitcnt vmcnt(3)
	v_fmac_f32_e32 v176, v155, v137
	ds_load_2addr_b32 v[134:135], v2 offset0:117 offset1:118
	ds_load_2addr_b32 v[136:137], v2 offset0:119 offset1:120
	s_waitcnt lgkmcnt(3)
	v_fmac_f32_e32 v176, v156, v3
	s_delay_alu instid0(VALU_DEP_1) | instskip(SKIP_4) | instid1(VALU_DEP_1)
	v_fmac_f32_e32 v176, v157, v4
	ds_load_2addr_b32 v[3:4], v2 offset0:121 offset1:122
	s_waitcnt lgkmcnt(3)
	v_fmac_f32_e32 v176, v158, v132
	s_waitcnt vmcnt(2)
	v_fmac_f32_e32 v176, v159, v133
	ds_load_2addr_b32 v[132:133], v2 offset0:123 offset1:124
	s_waitcnt lgkmcnt(3)
	v_fmac_f32_e32 v176, v160, v134
	s_delay_alu instid0(VALU_DEP_1) | instskip(SKIP_4) | instid1(VALU_DEP_1)
	v_fmac_f32_e32 v176, v161, v135
	ds_load_2addr_b32 v[134:135], v2 offset0:125 offset1:126
	s_waitcnt lgkmcnt(3)
	v_fmac_f32_e32 v176, v162, v136
	s_waitcnt vmcnt(1)
	v_fmac_f32_e32 v176, v163, v137
	s_waitcnt lgkmcnt(2)
	s_delay_alu instid0(VALU_DEP_1) | instskip(NEXT) | instid1(VALU_DEP_1)
	v_fmac_f32_e32 v176, v164, v3
	v_fmac_f32_e32 v176, v165, v4
	s_waitcnt lgkmcnt(1)
	s_delay_alu instid0(VALU_DEP_1) | instskip(SKIP_1) | instid1(VALU_DEP_1)
	v_fmac_f32_e32 v176, v166, v132
	s_waitcnt vmcnt(0)
	v_fmac_f32_e32 v176, v167, v133
	s_waitcnt lgkmcnt(0)
	s_delay_alu instid0(VALU_DEP_1) | instskip(NEXT) | instid1(VALU_DEP_1)
	v_fmac_f32_e32 v176, v168, v134
	v_fmac_f32_e32 v176, v169, v135
	s_delay_alu instid0(VALU_DEP_1)
	v_sub_f32_e32 v2, v131, v176
	scratch_store_b32 off, v2, off offset:96
	v_cmpx_lt_u32_e32 23, v0
	s_cbranch_execz .LBB62_339
; %bb.338:
	scratch_load_b32 v2, off, off offset:92
	v_mov_b32_e32 v3, 0
	scratch_store_b32 off, v3, off offset:92
	s_waitcnt vmcnt(0)
	ds_store_b32 v1, v2
.LBB62_339:
	s_or_b32 exec_lo, exec_lo, s0
	s_waitcnt lgkmcnt(0)
	s_waitcnt_vscnt null, 0x0
	s_barrier
	buffer_gl0_inv
	s_clause 0x9
	scratch_load_b128 v[131:134], off, off offset:92
	scratch_load_b128 v[135:138], off, off offset:108
	;; [unrolled: 1-line block ×10, first 2 shown]
	v_mov_b32_e32 v2, 0
	ds_load_b128 v[171:174], v2 offset:352
	ds_load_b128 v[175:178], v2 offset:368
	s_mov_b32 s0, exec_lo
	s_waitcnt vmcnt(9) lgkmcnt(1)
	v_fma_f32 v3, v132, v171, 0
	s_delay_alu instid0(VALU_DEP_1) | instskip(NEXT) | instid1(VALU_DEP_1)
	v_fmac_f32_e32 v3, v133, v172
	v_fmac_f32_e32 v3, v134, v173
	s_waitcnt vmcnt(8)
	s_delay_alu instid0(VALU_DEP_1) | instskip(SKIP_3) | instid1(VALU_DEP_1)
	v_fmac_f32_e32 v3, v135, v174
	ds_load_b128 v[132:135], v2 offset:384
	s_waitcnt lgkmcnt(1)
	v_fmac_f32_e32 v3, v136, v175
	v_fmac_f32_e32 v3, v137, v176
	s_delay_alu instid0(VALU_DEP_1) | instskip(SKIP_1) | instid1(VALU_DEP_1)
	v_fmac_f32_e32 v3, v138, v177
	s_waitcnt vmcnt(7)
	v_fmac_f32_e32 v3, v139, v178
	ds_load_b128 v[136:139], v2 offset:400
	s_waitcnt lgkmcnt(1)
	v_fmac_f32_e32 v3, v140, v132
	s_delay_alu instid0(VALU_DEP_1) | instskip(NEXT) | instid1(VALU_DEP_1)
	v_fmac_f32_e32 v3, v141, v133
	v_fmac_f32_e32 v3, v142, v134
	s_waitcnt vmcnt(6)
	s_delay_alu instid0(VALU_DEP_1) | instskip(SKIP_3) | instid1(VALU_DEP_1)
	v_fmac_f32_e32 v3, v143, v135
	ds_load_b128 v[132:135], v2 offset:416
	s_waitcnt lgkmcnt(1)
	v_fmac_f32_e32 v3, v144, v136
	v_fmac_f32_e32 v3, v145, v137
	s_delay_alu instid0(VALU_DEP_1) | instskip(SKIP_1) | instid1(VALU_DEP_1)
	v_fmac_f32_e32 v3, v146, v138
	s_waitcnt vmcnt(5)
	v_fmac_f32_e32 v3, v147, v139
	ds_load_b128 v[136:139], v2 offset:432
	s_waitcnt lgkmcnt(1)
	v_fmac_f32_e32 v3, v148, v132
	;; [unrolled: 17-line block ×3, first 2 shown]
	s_delay_alu instid0(VALU_DEP_1) | instskip(NEXT) | instid1(VALU_DEP_1)
	v_fmac_f32_e32 v3, v157, v133
	v_fmac_f32_e32 v3, v158, v134
	s_waitcnt vmcnt(2)
	s_delay_alu instid0(VALU_DEP_1) | instskip(SKIP_3) | instid1(VALU_DEP_1)
	v_fmac_f32_e32 v3, v159, v135
	ds_load_b128 v[132:135], v2 offset:480
	s_waitcnt lgkmcnt(1)
	v_fmac_f32_e32 v3, v160, v136
	v_fmac_f32_e32 v3, v161, v137
	s_delay_alu instid0(VALU_DEP_1) | instskip(SKIP_4) | instid1(VALU_DEP_1)
	v_fmac_f32_e32 v3, v162, v138
	ds_load_b96 v[136:138], v2 offset:496
	s_waitcnt vmcnt(1)
	v_fmac_f32_e32 v3, v163, v139
	s_waitcnt lgkmcnt(1)
	v_fmac_f32_e32 v3, v164, v132
	s_delay_alu instid0(VALU_DEP_1) | instskip(NEXT) | instid1(VALU_DEP_1)
	v_fmac_f32_e32 v3, v165, v133
	v_fmac_f32_e32 v3, v166, v134
	s_waitcnt vmcnt(0)
	s_delay_alu instid0(VALU_DEP_1) | instskip(SKIP_1) | instid1(VALU_DEP_1)
	v_fmac_f32_e32 v3, v167, v135
	s_waitcnt lgkmcnt(0)
	v_fmac_f32_e32 v3, v168, v136
	s_delay_alu instid0(VALU_DEP_1) | instskip(NEXT) | instid1(VALU_DEP_1)
	v_fmac_f32_e32 v3, v169, v137
	v_fmac_f32_e32 v3, v170, v138
	s_delay_alu instid0(VALU_DEP_1)
	v_sub_f32_e32 v3, v131, v3
	scratch_store_b32 off, v3, off offset:92
	v_cmpx_lt_u32_e32 22, v0
	s_cbranch_execz .LBB62_341
; %bb.340:
	scratch_load_b32 v3, off, off offset:88
	scratch_store_b32 off, v2, off offset:88
	s_waitcnt vmcnt(0)
	ds_store_b32 v1, v3
.LBB62_341:
	s_or_b32 exec_lo, exec_lo, s0
	s_waitcnt lgkmcnt(0)
	s_waitcnt_vscnt null, 0x0
	s_barrier
	buffer_gl0_inv
	s_clause 0xa
	scratch_load_b128 v[131:134], off, off offset:88
	scratch_load_b128 v[135:138], off, off offset:104
	;; [unrolled: 1-line block ×10, first 2 shown]
	scratch_load_b32 v177, off, off offset:248
	ds_load_2addr_b32 v[3:4], v2 offset0:87 offset1:88
	ds_load_2addr_b32 v[171:172], v2 offset0:89 offset1:90
	;; [unrolled: 1-line block ×4, first 2 shown]
	s_mov_b32 s0, exec_lo
	s_waitcnt vmcnt(10) lgkmcnt(3)
	v_fma_f32 v178, v132, v3, 0
	s_delay_alu instid0(VALU_DEP_1)
	v_fmac_f32_e32 v178, v133, v4
	ds_load_2addr_b32 v[3:4], v2 offset0:95 offset1:96
	ds_load_2addr_b32 v[132:133], v2 offset0:97 offset1:98
	s_waitcnt lgkmcnt(4)
	v_fmac_f32_e32 v178, v134, v171
	s_waitcnt vmcnt(9)
	s_delay_alu instid0(VALU_DEP_1) | instskip(SKIP_1) | instid1(VALU_DEP_1)
	v_fmac_f32_e32 v178, v135, v172
	s_waitcnt lgkmcnt(3)
	v_fmac_f32_e32 v178, v136, v173
	s_delay_alu instid0(VALU_DEP_1)
	v_fmac_f32_e32 v178, v137, v174
	ds_load_2addr_b32 v[134:135], v2 offset0:99 offset1:100
	ds_load_2addr_b32 v[136:137], v2 offset0:101 offset1:102
	s_waitcnt lgkmcnt(4)
	v_fmac_f32_e32 v178, v138, v175
	s_waitcnt vmcnt(8)
	s_delay_alu instid0(VALU_DEP_1) | instskip(SKIP_1) | instid1(VALU_DEP_1)
	v_fmac_f32_e32 v178, v139, v176
	s_waitcnt lgkmcnt(3)
	v_fmac_f32_e32 v178, v140, v3
	s_delay_alu instid0(VALU_DEP_1) | instskip(SKIP_4) | instid1(VALU_DEP_1)
	v_fmac_f32_e32 v178, v141, v4
	ds_load_2addr_b32 v[3:4], v2 offset0:103 offset1:104
	s_waitcnt lgkmcnt(3)
	v_fmac_f32_e32 v178, v142, v132
	s_waitcnt vmcnt(7)
	v_fmac_f32_e32 v178, v143, v133
	ds_load_2addr_b32 v[132:133], v2 offset0:105 offset1:106
	s_waitcnt lgkmcnt(3)
	v_fmac_f32_e32 v178, v144, v134
	s_delay_alu instid0(VALU_DEP_1) | instskip(SKIP_1) | instid1(VALU_DEP_1)
	v_fmac_f32_e32 v178, v145, v135
	s_waitcnt lgkmcnt(2)
	v_fmac_f32_e32 v178, v146, v136
	s_waitcnt vmcnt(6)
	s_delay_alu instid0(VALU_DEP_1) | instskip(SKIP_4) | instid1(VALU_DEP_1)
	v_fmac_f32_e32 v178, v147, v137
	ds_load_2addr_b32 v[134:135], v2 offset0:107 offset1:108
	ds_load_2addr_b32 v[136:137], v2 offset0:109 offset1:110
	s_waitcnt lgkmcnt(3)
	v_fmac_f32_e32 v178, v148, v3
	v_fmac_f32_e32 v178, v149, v4
	ds_load_2addr_b32 v[3:4], v2 offset0:111 offset1:112
	s_waitcnt lgkmcnt(3)
	v_fmac_f32_e32 v178, v150, v132
	s_waitcnt vmcnt(5)
	s_delay_alu instid0(VALU_DEP_1) | instskip(SKIP_3) | instid1(VALU_DEP_1)
	v_fmac_f32_e32 v178, v151, v133
	ds_load_2addr_b32 v[132:133], v2 offset0:113 offset1:114
	s_waitcnt lgkmcnt(3)
	v_fmac_f32_e32 v178, v152, v134
	v_fmac_f32_e32 v178, v153, v135
	s_waitcnt lgkmcnt(2)
	s_delay_alu instid0(VALU_DEP_1) | instskip(SKIP_1) | instid1(VALU_DEP_1)
	v_fmac_f32_e32 v178, v154, v136
	s_waitcnt vmcnt(4)
	v_fmac_f32_e32 v178, v155, v137
	ds_load_2addr_b32 v[134:135], v2 offset0:115 offset1:116
	ds_load_2addr_b32 v[136:137], v2 offset0:117 offset1:118
	s_waitcnt lgkmcnt(3)
	v_fmac_f32_e32 v178, v156, v3
	s_delay_alu instid0(VALU_DEP_1) | instskip(SKIP_4) | instid1(VALU_DEP_1)
	v_fmac_f32_e32 v178, v157, v4
	ds_load_2addr_b32 v[3:4], v2 offset0:119 offset1:120
	s_waitcnt lgkmcnt(3)
	v_fmac_f32_e32 v178, v158, v132
	s_waitcnt vmcnt(3)
	v_fmac_f32_e32 v178, v159, v133
	ds_load_2addr_b32 v[132:133], v2 offset0:121 offset1:122
	s_waitcnt lgkmcnt(3)
	v_fmac_f32_e32 v178, v160, v134
	s_delay_alu instid0(VALU_DEP_1) | instskip(SKIP_1) | instid1(VALU_DEP_1)
	v_fmac_f32_e32 v178, v161, v135
	s_waitcnt lgkmcnt(2)
	v_fmac_f32_e32 v178, v162, v136
	s_waitcnt vmcnt(2)
	s_delay_alu instid0(VALU_DEP_1) | instskip(SKIP_4) | instid1(VALU_DEP_1)
	v_fmac_f32_e32 v178, v163, v137
	ds_load_2addr_b32 v[134:135], v2 offset0:123 offset1:124
	ds_load_2addr_b32 v[136:137], v2 offset0:125 offset1:126
	s_waitcnt lgkmcnt(3)
	v_fmac_f32_e32 v178, v164, v3
	v_fmac_f32_e32 v178, v165, v4
	s_waitcnt lgkmcnt(2)
	s_delay_alu instid0(VALU_DEP_1) | instskip(SKIP_1) | instid1(VALU_DEP_1)
	v_fmac_f32_e32 v178, v166, v132
	s_waitcnt vmcnt(1)
	v_fmac_f32_e32 v178, v167, v133
	s_waitcnt lgkmcnt(1)
	s_delay_alu instid0(VALU_DEP_1) | instskip(NEXT) | instid1(VALU_DEP_1)
	v_fmac_f32_e32 v178, v168, v134
	v_fmac_f32_e32 v178, v169, v135
	s_waitcnt lgkmcnt(0)
	s_delay_alu instid0(VALU_DEP_1) | instskip(SKIP_1) | instid1(VALU_DEP_1)
	v_fmac_f32_e32 v178, v170, v136
	s_waitcnt vmcnt(0)
	v_fmac_f32_e32 v178, v177, v137
	s_delay_alu instid0(VALU_DEP_1)
	v_sub_f32_e32 v2, v131, v178
	scratch_store_b32 off, v2, off offset:88
	v_cmpx_lt_u32_e32 21, v0
	s_cbranch_execz .LBB62_343
; %bb.342:
	scratch_load_b32 v2, off, off offset:84
	v_mov_b32_e32 v3, 0
	scratch_store_b32 off, v3, off offset:84
	s_waitcnt vmcnt(0)
	ds_store_b32 v1, v2
.LBB62_343:
	s_or_b32 exec_lo, exec_lo, s0
	s_waitcnt lgkmcnt(0)
	s_waitcnt_vscnt null, 0x0
	s_barrier
	buffer_gl0_inv
	s_clause 0xa
	scratch_load_b128 v[131:134], off, off offset:84
	scratch_load_b128 v[135:138], off, off offset:100
	;; [unrolled: 1-line block ×10, first 2 shown]
	scratch_load_b64 v[3:4], off, off offset:244
	v_mov_b32_e32 v2, 0
	ds_load_2addr_b64 v[171:174], v2 offset0:43 offset1:44
	ds_load_2addr_b64 v[175:178], v2 offset0:45 offset1:46
	s_mov_b32 s0, exec_lo
	s_waitcnt vmcnt(10) lgkmcnt(1)
	v_fma_f32 v171, v132, v171, 0
	s_delay_alu instid0(VALU_DEP_1) | instskip(NEXT) | instid1(VALU_DEP_1)
	v_fmac_f32_e32 v171, v133, v172
	v_fmac_f32_e32 v171, v134, v173
	s_waitcnt vmcnt(9)
	s_delay_alu instid0(VALU_DEP_1) | instskip(SKIP_3) | instid1(VALU_DEP_1)
	v_fmac_f32_e32 v171, v135, v174
	ds_load_2addr_b64 v[132:135], v2 offset0:47 offset1:48
	s_waitcnt lgkmcnt(1)
	v_fmac_f32_e32 v171, v136, v175
	v_fmac_f32_e32 v171, v137, v176
	s_delay_alu instid0(VALU_DEP_1) | instskip(SKIP_1) | instid1(VALU_DEP_1)
	v_fmac_f32_e32 v171, v138, v177
	s_waitcnt vmcnt(8)
	v_fmac_f32_e32 v171, v139, v178
	ds_load_2addr_b64 v[136:139], v2 offset0:49 offset1:50
	s_waitcnt lgkmcnt(1)
	v_fmac_f32_e32 v171, v140, v132
	s_delay_alu instid0(VALU_DEP_1) | instskip(NEXT) | instid1(VALU_DEP_1)
	v_fmac_f32_e32 v171, v141, v133
	v_fmac_f32_e32 v171, v142, v134
	s_waitcnt vmcnt(7)
	s_delay_alu instid0(VALU_DEP_1) | instskip(SKIP_3) | instid1(VALU_DEP_1)
	v_fmac_f32_e32 v171, v143, v135
	ds_load_2addr_b64 v[132:135], v2 offset0:51 offset1:52
	s_waitcnt lgkmcnt(1)
	v_fmac_f32_e32 v171, v144, v136
	v_fmac_f32_e32 v171, v145, v137
	s_delay_alu instid0(VALU_DEP_1) | instskip(SKIP_1) | instid1(VALU_DEP_1)
	v_fmac_f32_e32 v171, v146, v138
	s_waitcnt vmcnt(6)
	v_fmac_f32_e32 v171, v147, v139
	ds_load_2addr_b64 v[136:139], v2 offset0:53 offset1:54
	s_waitcnt lgkmcnt(1)
	v_fmac_f32_e32 v171, v148, v132
	s_delay_alu instid0(VALU_DEP_1) | instskip(NEXT) | instid1(VALU_DEP_1)
	v_fmac_f32_e32 v171, v149, v133
	v_fmac_f32_e32 v171, v150, v134
	s_waitcnt vmcnt(5)
	s_delay_alu instid0(VALU_DEP_1) | instskip(SKIP_3) | instid1(VALU_DEP_1)
	v_fmac_f32_e32 v171, v151, v135
	ds_load_2addr_b64 v[132:135], v2 offset0:55 offset1:56
	s_waitcnt lgkmcnt(1)
	v_fmac_f32_e32 v171, v152, v136
	v_fmac_f32_e32 v171, v153, v137
	s_delay_alu instid0(VALU_DEP_1) | instskip(SKIP_1) | instid1(VALU_DEP_1)
	v_fmac_f32_e32 v171, v154, v138
	s_waitcnt vmcnt(4)
	v_fmac_f32_e32 v171, v155, v139
	ds_load_2addr_b64 v[136:139], v2 offset0:57 offset1:58
	s_waitcnt lgkmcnt(1)
	v_fmac_f32_e32 v171, v156, v132
	s_delay_alu instid0(VALU_DEP_1) | instskip(NEXT) | instid1(VALU_DEP_1)
	v_fmac_f32_e32 v171, v157, v133
	v_fmac_f32_e32 v171, v158, v134
	s_waitcnt vmcnt(3)
	s_delay_alu instid0(VALU_DEP_1) | instskip(SKIP_3) | instid1(VALU_DEP_1)
	v_fmac_f32_e32 v171, v159, v135
	ds_load_2addr_b64 v[132:135], v2 offset0:59 offset1:60
	s_waitcnt lgkmcnt(1)
	v_fmac_f32_e32 v171, v160, v136
	v_fmac_f32_e32 v171, v161, v137
	s_delay_alu instid0(VALU_DEP_1) | instskip(SKIP_1) | instid1(VALU_DEP_1)
	v_fmac_f32_e32 v171, v162, v138
	s_waitcnt vmcnt(2)
	v_fmac_f32_e32 v171, v163, v139
	ds_load_2addr_b64 v[136:139], v2 offset0:61 offset1:62
	s_waitcnt lgkmcnt(1)
	v_fmac_f32_e32 v171, v164, v132
	ds_load_b32 v132, v2 offset:504
	v_fmac_f32_e32 v171, v165, v133
	s_delay_alu instid0(VALU_DEP_1) | instskip(SKIP_1) | instid1(VALU_DEP_1)
	v_fmac_f32_e32 v171, v166, v134
	s_waitcnt vmcnt(1)
	v_fmac_f32_e32 v171, v167, v135
	s_waitcnt lgkmcnt(1)
	s_delay_alu instid0(VALU_DEP_1) | instskip(NEXT) | instid1(VALU_DEP_1)
	v_fmac_f32_e32 v171, v168, v136
	v_fmac_f32_e32 v171, v169, v137
	s_delay_alu instid0(VALU_DEP_1) | instskip(SKIP_1) | instid1(VALU_DEP_1)
	v_fmac_f32_e32 v171, v170, v138
	s_waitcnt vmcnt(0)
	v_fmac_f32_e32 v171, v3, v139
	s_waitcnt lgkmcnt(0)
	s_delay_alu instid0(VALU_DEP_1) | instskip(NEXT) | instid1(VALU_DEP_1)
	v_fmac_f32_e32 v171, v4, v132
	v_sub_f32_e32 v3, v131, v171
	scratch_store_b32 off, v3, off offset:84
	v_cmpx_lt_u32_e32 20, v0
	s_cbranch_execz .LBB62_345
; %bb.344:
	scratch_load_b32 v3, off, off offset:80
	scratch_store_b32 off, v2, off offset:80
	s_waitcnt vmcnt(0)
	ds_store_b32 v1, v3
.LBB62_345:
	s_or_b32 exec_lo, exec_lo, s0
	s_waitcnt lgkmcnt(0)
	s_waitcnt_vscnt null, 0x0
	s_barrier
	buffer_gl0_inv
	s_clause 0xa
	scratch_load_b128 v[131:134], off, off offset:80
	scratch_load_b128 v[135:138], off, off offset:96
	;; [unrolled: 1-line block ×10, first 2 shown]
	scratch_load_b96 v[171:173], off, off offset:240
	ds_load_2addr_b32 v[3:4], v2 offset0:85 offset1:86
	ds_load_2addr_b32 v[174:175], v2 offset0:87 offset1:88
	ds_load_2addr_b32 v[176:177], v2 offset0:89 offset1:90
	ds_load_2addr_b32 v[178:179], v2 offset0:91 offset1:92
	s_mov_b32 s0, exec_lo
	s_waitcnt vmcnt(10) lgkmcnt(3)
	v_fma_f32 v180, v132, v3, 0
	s_delay_alu instid0(VALU_DEP_1)
	v_fmac_f32_e32 v180, v133, v4
	ds_load_2addr_b32 v[3:4], v2 offset0:93 offset1:94
	ds_load_2addr_b32 v[132:133], v2 offset0:95 offset1:96
	s_waitcnt lgkmcnt(4)
	v_fmac_f32_e32 v180, v134, v174
	s_waitcnt vmcnt(9)
	s_delay_alu instid0(VALU_DEP_1) | instskip(SKIP_1) | instid1(VALU_DEP_1)
	v_fmac_f32_e32 v180, v135, v175
	s_waitcnt lgkmcnt(3)
	v_fmac_f32_e32 v180, v136, v176
	s_delay_alu instid0(VALU_DEP_1)
	v_fmac_f32_e32 v180, v137, v177
	ds_load_2addr_b32 v[134:135], v2 offset0:97 offset1:98
	ds_load_2addr_b32 v[136:137], v2 offset0:99 offset1:100
	s_waitcnt lgkmcnt(4)
	v_fmac_f32_e32 v180, v138, v178
	s_waitcnt vmcnt(8)
	s_delay_alu instid0(VALU_DEP_1) | instskip(SKIP_1) | instid1(VALU_DEP_1)
	v_fmac_f32_e32 v180, v139, v179
	s_waitcnt lgkmcnt(3)
	v_fmac_f32_e32 v180, v140, v3
	s_delay_alu instid0(VALU_DEP_1) | instskip(SKIP_4) | instid1(VALU_DEP_1)
	v_fmac_f32_e32 v180, v141, v4
	ds_load_2addr_b32 v[3:4], v2 offset0:101 offset1:102
	s_waitcnt lgkmcnt(3)
	v_fmac_f32_e32 v180, v142, v132
	s_waitcnt vmcnt(7)
	v_fmac_f32_e32 v180, v143, v133
	ds_load_2addr_b32 v[132:133], v2 offset0:103 offset1:104
	s_waitcnt lgkmcnt(3)
	v_fmac_f32_e32 v180, v144, v134
	s_delay_alu instid0(VALU_DEP_1) | instskip(SKIP_1) | instid1(VALU_DEP_1)
	v_fmac_f32_e32 v180, v145, v135
	s_waitcnt lgkmcnt(2)
	v_fmac_f32_e32 v180, v146, v136
	s_waitcnt vmcnt(6)
	s_delay_alu instid0(VALU_DEP_1) | instskip(SKIP_4) | instid1(VALU_DEP_1)
	v_fmac_f32_e32 v180, v147, v137
	ds_load_2addr_b32 v[134:135], v2 offset0:105 offset1:106
	ds_load_2addr_b32 v[136:137], v2 offset0:107 offset1:108
	s_waitcnt lgkmcnt(3)
	v_fmac_f32_e32 v180, v148, v3
	v_fmac_f32_e32 v180, v149, v4
	ds_load_2addr_b32 v[3:4], v2 offset0:109 offset1:110
	s_waitcnt lgkmcnt(3)
	v_fmac_f32_e32 v180, v150, v132
	s_waitcnt vmcnt(5)
	s_delay_alu instid0(VALU_DEP_1) | instskip(SKIP_3) | instid1(VALU_DEP_1)
	v_fmac_f32_e32 v180, v151, v133
	ds_load_2addr_b32 v[132:133], v2 offset0:111 offset1:112
	s_waitcnt lgkmcnt(3)
	v_fmac_f32_e32 v180, v152, v134
	v_fmac_f32_e32 v180, v153, v135
	s_waitcnt lgkmcnt(2)
	s_delay_alu instid0(VALU_DEP_1) | instskip(SKIP_1) | instid1(VALU_DEP_1)
	v_fmac_f32_e32 v180, v154, v136
	s_waitcnt vmcnt(4)
	v_fmac_f32_e32 v180, v155, v137
	ds_load_2addr_b32 v[134:135], v2 offset0:113 offset1:114
	ds_load_2addr_b32 v[136:137], v2 offset0:115 offset1:116
	s_waitcnt lgkmcnt(3)
	v_fmac_f32_e32 v180, v156, v3
	s_delay_alu instid0(VALU_DEP_1) | instskip(SKIP_4) | instid1(VALU_DEP_1)
	v_fmac_f32_e32 v180, v157, v4
	ds_load_2addr_b32 v[3:4], v2 offset0:117 offset1:118
	s_waitcnt lgkmcnt(3)
	v_fmac_f32_e32 v180, v158, v132
	s_waitcnt vmcnt(3)
	v_fmac_f32_e32 v180, v159, v133
	ds_load_2addr_b32 v[132:133], v2 offset0:119 offset1:120
	s_waitcnt lgkmcnt(3)
	v_fmac_f32_e32 v180, v160, v134
	s_delay_alu instid0(VALU_DEP_1) | instskip(SKIP_1) | instid1(VALU_DEP_1)
	v_fmac_f32_e32 v180, v161, v135
	s_waitcnt lgkmcnt(2)
	v_fmac_f32_e32 v180, v162, v136
	s_waitcnt vmcnt(2)
	s_delay_alu instid0(VALU_DEP_1)
	v_fmac_f32_e32 v180, v163, v137
	ds_load_2addr_b32 v[134:135], v2 offset0:121 offset1:122
	ds_load_2addr_b32 v[136:137], v2 offset0:123 offset1:124
	s_waitcnt lgkmcnt(3)
	v_fmac_f32_e32 v180, v164, v3
	ds_load_2addr_b32 v[2:3], v2 offset0:125 offset1:126
	v_fmac_f32_e32 v180, v165, v4
	s_waitcnt lgkmcnt(3)
	s_delay_alu instid0(VALU_DEP_1) | instskip(SKIP_1) | instid1(VALU_DEP_1)
	v_fmac_f32_e32 v180, v166, v132
	s_waitcnt vmcnt(1)
	v_fmac_f32_e32 v180, v167, v133
	s_waitcnt lgkmcnt(2)
	s_delay_alu instid0(VALU_DEP_1) | instskip(NEXT) | instid1(VALU_DEP_1)
	v_fmac_f32_e32 v180, v168, v134
	v_fmac_f32_e32 v180, v169, v135
	s_waitcnt lgkmcnt(1)
	s_delay_alu instid0(VALU_DEP_1) | instskip(SKIP_1) | instid1(VALU_DEP_1)
	v_fmac_f32_e32 v180, v170, v136
	s_waitcnt vmcnt(0)
	v_fmac_f32_e32 v180, v171, v137
	s_waitcnt lgkmcnt(0)
	s_delay_alu instid0(VALU_DEP_1) | instskip(NEXT) | instid1(VALU_DEP_1)
	v_fmac_f32_e32 v180, v172, v2
	v_fmac_f32_e32 v180, v173, v3
	s_delay_alu instid0(VALU_DEP_1)
	v_sub_f32_e32 v2, v131, v180
	scratch_store_b32 off, v2, off offset:80
	v_cmpx_lt_u32_e32 19, v0
	s_cbranch_execz .LBB62_347
; %bb.346:
	scratch_load_b32 v2, off, off offset:76
	v_mov_b32_e32 v3, 0
	scratch_store_b32 off, v3, off offset:76
	s_waitcnt vmcnt(0)
	ds_store_b32 v1, v2
.LBB62_347:
	s_or_b32 exec_lo, exec_lo, s0
	s_waitcnt lgkmcnt(0)
	s_waitcnt_vscnt null, 0x0
	s_barrier
	buffer_gl0_inv
	s_clause 0xa
	scratch_load_b128 v[131:134], off, off offset:76
	scratch_load_b128 v[135:138], off, off offset:92
	;; [unrolled: 1-line block ×11, first 2 shown]
	v_mov_b32_e32 v2, 0
	ds_load_b128 v[175:178], v2 offset:336
	ds_load_b128 v[179:182], v2 offset:352
	s_mov_b32 s0, exec_lo
	s_waitcnt vmcnt(10) lgkmcnt(1)
	v_fma_f32 v3, v132, v175, 0
	s_delay_alu instid0(VALU_DEP_1) | instskip(NEXT) | instid1(VALU_DEP_1)
	v_fmac_f32_e32 v3, v133, v176
	v_fmac_f32_e32 v3, v134, v177
	s_waitcnt vmcnt(9)
	s_delay_alu instid0(VALU_DEP_1) | instskip(SKIP_3) | instid1(VALU_DEP_1)
	v_fmac_f32_e32 v3, v135, v178
	ds_load_b128 v[132:135], v2 offset:368
	s_waitcnt lgkmcnt(1)
	v_fmac_f32_e32 v3, v136, v179
	v_fmac_f32_e32 v3, v137, v180
	s_delay_alu instid0(VALU_DEP_1) | instskip(SKIP_1) | instid1(VALU_DEP_1)
	v_fmac_f32_e32 v3, v138, v181
	s_waitcnt vmcnt(8)
	v_fmac_f32_e32 v3, v139, v182
	ds_load_b128 v[136:139], v2 offset:384
	s_waitcnt lgkmcnt(1)
	v_fmac_f32_e32 v3, v140, v132
	s_delay_alu instid0(VALU_DEP_1) | instskip(NEXT) | instid1(VALU_DEP_1)
	v_fmac_f32_e32 v3, v141, v133
	v_fmac_f32_e32 v3, v142, v134
	s_waitcnt vmcnt(7)
	s_delay_alu instid0(VALU_DEP_1) | instskip(SKIP_3) | instid1(VALU_DEP_1)
	v_fmac_f32_e32 v3, v143, v135
	ds_load_b128 v[132:135], v2 offset:400
	s_waitcnt lgkmcnt(1)
	v_fmac_f32_e32 v3, v144, v136
	v_fmac_f32_e32 v3, v145, v137
	s_delay_alu instid0(VALU_DEP_1) | instskip(SKIP_1) | instid1(VALU_DEP_1)
	v_fmac_f32_e32 v3, v146, v138
	s_waitcnt vmcnt(6)
	v_fmac_f32_e32 v3, v147, v139
	ds_load_b128 v[136:139], v2 offset:416
	s_waitcnt lgkmcnt(1)
	v_fmac_f32_e32 v3, v148, v132
	;; [unrolled: 17-line block ×4, first 2 shown]
	s_delay_alu instid0(VALU_DEP_1) | instskip(NEXT) | instid1(VALU_DEP_1)
	v_fmac_f32_e32 v3, v165, v133
	v_fmac_f32_e32 v3, v166, v134
	ds_load_b96 v[132:134], v2 offset:496
	s_waitcnt vmcnt(1)
	v_fmac_f32_e32 v3, v167, v135
	s_waitcnt lgkmcnt(1)
	s_delay_alu instid0(VALU_DEP_1) | instskip(NEXT) | instid1(VALU_DEP_1)
	v_fmac_f32_e32 v3, v168, v136
	v_fmac_f32_e32 v3, v169, v137
	s_delay_alu instid0(VALU_DEP_1) | instskip(SKIP_1) | instid1(VALU_DEP_1)
	v_fmac_f32_e32 v3, v170, v138
	s_waitcnt vmcnt(0)
	v_fmac_f32_e32 v3, v171, v139
	s_waitcnt lgkmcnt(0)
	s_delay_alu instid0(VALU_DEP_1) | instskip(NEXT) | instid1(VALU_DEP_1)
	v_fmac_f32_e32 v3, v172, v132
	v_fmac_f32_e32 v3, v173, v133
	s_delay_alu instid0(VALU_DEP_1) | instskip(NEXT) | instid1(VALU_DEP_1)
	v_fmac_f32_e32 v3, v174, v134
	v_sub_f32_e32 v3, v131, v3
	scratch_store_b32 off, v3, off offset:76
	v_cmpx_lt_u32_e32 18, v0
	s_cbranch_execz .LBB62_349
; %bb.348:
	scratch_load_b32 v3, off, off offset:72
	scratch_store_b32 off, v2, off offset:72
	s_waitcnt vmcnt(0)
	ds_store_b32 v1, v3
.LBB62_349:
	s_or_b32 exec_lo, exec_lo, s0
	s_waitcnt lgkmcnt(0)
	s_waitcnt_vscnt null, 0x0
	s_barrier
	buffer_gl0_inv
	s_clause 0xb
	scratch_load_b128 v[131:134], off, off offset:72
	scratch_load_b128 v[135:138], off, off offset:88
	;; [unrolled: 1-line block ×11, first 2 shown]
	scratch_load_b32 v181, off, off offset:248
	ds_load_2addr_b32 v[3:4], v2 offset0:83 offset1:84
	ds_load_2addr_b32 v[175:176], v2 offset0:85 offset1:86
	;; [unrolled: 1-line block ×4, first 2 shown]
	s_mov_b32 s0, exec_lo
	s_waitcnt vmcnt(11) lgkmcnt(3)
	v_fma_f32 v182, v132, v3, 0
	s_delay_alu instid0(VALU_DEP_1)
	v_fmac_f32_e32 v182, v133, v4
	ds_load_2addr_b32 v[3:4], v2 offset0:91 offset1:92
	ds_load_2addr_b32 v[132:133], v2 offset0:93 offset1:94
	s_waitcnt lgkmcnt(4)
	v_fmac_f32_e32 v182, v134, v175
	s_waitcnt vmcnt(10)
	s_delay_alu instid0(VALU_DEP_1) | instskip(SKIP_1) | instid1(VALU_DEP_1)
	v_fmac_f32_e32 v182, v135, v176
	s_waitcnt lgkmcnt(3)
	v_fmac_f32_e32 v182, v136, v177
	s_delay_alu instid0(VALU_DEP_1)
	v_fmac_f32_e32 v182, v137, v178
	ds_load_2addr_b32 v[134:135], v2 offset0:95 offset1:96
	ds_load_2addr_b32 v[136:137], v2 offset0:97 offset1:98
	s_waitcnt lgkmcnt(4)
	v_fmac_f32_e32 v182, v138, v179
	s_waitcnt vmcnt(9)
	s_delay_alu instid0(VALU_DEP_1) | instskip(SKIP_1) | instid1(VALU_DEP_1)
	v_fmac_f32_e32 v182, v139, v180
	s_waitcnt lgkmcnt(3)
	v_fmac_f32_e32 v182, v140, v3
	s_delay_alu instid0(VALU_DEP_1) | instskip(SKIP_4) | instid1(VALU_DEP_1)
	v_fmac_f32_e32 v182, v141, v4
	ds_load_2addr_b32 v[3:4], v2 offset0:99 offset1:100
	s_waitcnt lgkmcnt(3)
	v_fmac_f32_e32 v182, v142, v132
	s_waitcnt vmcnt(8)
	v_fmac_f32_e32 v182, v143, v133
	ds_load_2addr_b32 v[132:133], v2 offset0:101 offset1:102
	s_waitcnt lgkmcnt(3)
	v_fmac_f32_e32 v182, v144, v134
	s_delay_alu instid0(VALU_DEP_1) | instskip(SKIP_1) | instid1(VALU_DEP_1)
	v_fmac_f32_e32 v182, v145, v135
	s_waitcnt lgkmcnt(2)
	v_fmac_f32_e32 v182, v146, v136
	s_waitcnt vmcnt(7)
	s_delay_alu instid0(VALU_DEP_1) | instskip(SKIP_4) | instid1(VALU_DEP_1)
	v_fmac_f32_e32 v182, v147, v137
	ds_load_2addr_b32 v[134:135], v2 offset0:103 offset1:104
	ds_load_2addr_b32 v[136:137], v2 offset0:105 offset1:106
	s_waitcnt lgkmcnt(3)
	v_fmac_f32_e32 v182, v148, v3
	v_fmac_f32_e32 v182, v149, v4
	ds_load_2addr_b32 v[3:4], v2 offset0:107 offset1:108
	s_waitcnt lgkmcnt(3)
	v_fmac_f32_e32 v182, v150, v132
	s_waitcnt vmcnt(6)
	s_delay_alu instid0(VALU_DEP_1) | instskip(SKIP_3) | instid1(VALU_DEP_1)
	v_fmac_f32_e32 v182, v151, v133
	ds_load_2addr_b32 v[132:133], v2 offset0:109 offset1:110
	s_waitcnt lgkmcnt(3)
	v_fmac_f32_e32 v182, v152, v134
	v_fmac_f32_e32 v182, v153, v135
	s_waitcnt lgkmcnt(2)
	s_delay_alu instid0(VALU_DEP_1) | instskip(SKIP_1) | instid1(VALU_DEP_1)
	v_fmac_f32_e32 v182, v154, v136
	s_waitcnt vmcnt(5)
	v_fmac_f32_e32 v182, v155, v137
	ds_load_2addr_b32 v[134:135], v2 offset0:111 offset1:112
	ds_load_2addr_b32 v[136:137], v2 offset0:113 offset1:114
	s_waitcnt lgkmcnt(3)
	v_fmac_f32_e32 v182, v156, v3
	s_delay_alu instid0(VALU_DEP_1) | instskip(SKIP_4) | instid1(VALU_DEP_1)
	v_fmac_f32_e32 v182, v157, v4
	ds_load_2addr_b32 v[3:4], v2 offset0:115 offset1:116
	s_waitcnt lgkmcnt(3)
	v_fmac_f32_e32 v182, v158, v132
	s_waitcnt vmcnt(4)
	v_fmac_f32_e32 v182, v159, v133
	ds_load_2addr_b32 v[132:133], v2 offset0:117 offset1:118
	s_waitcnt lgkmcnt(3)
	v_fmac_f32_e32 v182, v160, v134
	s_delay_alu instid0(VALU_DEP_1) | instskip(SKIP_1) | instid1(VALU_DEP_1)
	v_fmac_f32_e32 v182, v161, v135
	s_waitcnt lgkmcnt(2)
	v_fmac_f32_e32 v182, v162, v136
	s_waitcnt vmcnt(3)
	s_delay_alu instid0(VALU_DEP_1) | instskip(SKIP_4) | instid1(VALU_DEP_1)
	v_fmac_f32_e32 v182, v163, v137
	ds_load_2addr_b32 v[134:135], v2 offset0:119 offset1:120
	ds_load_2addr_b32 v[136:137], v2 offset0:121 offset1:122
	s_waitcnt lgkmcnt(3)
	v_fmac_f32_e32 v182, v164, v3
	v_fmac_f32_e32 v182, v165, v4
	ds_load_2addr_b32 v[3:4], v2 offset0:123 offset1:124
	s_waitcnt lgkmcnt(3)
	v_fmac_f32_e32 v182, v166, v132
	s_waitcnt vmcnt(2)
	s_delay_alu instid0(VALU_DEP_1) | instskip(SKIP_3) | instid1(VALU_DEP_1)
	v_fmac_f32_e32 v182, v167, v133
	ds_load_2addr_b32 v[132:133], v2 offset0:125 offset1:126
	s_waitcnt lgkmcnt(3)
	v_fmac_f32_e32 v182, v168, v134
	v_fmac_f32_e32 v182, v169, v135
	s_waitcnt lgkmcnt(2)
	s_delay_alu instid0(VALU_DEP_1) | instskip(SKIP_1) | instid1(VALU_DEP_1)
	v_fmac_f32_e32 v182, v170, v136
	s_waitcnt vmcnt(1)
	v_fmac_f32_e32 v182, v171, v137
	s_waitcnt lgkmcnt(1)
	s_delay_alu instid0(VALU_DEP_1) | instskip(NEXT) | instid1(VALU_DEP_1)
	v_fmac_f32_e32 v182, v172, v3
	v_fmac_f32_e32 v182, v173, v4
	s_waitcnt lgkmcnt(0)
	s_delay_alu instid0(VALU_DEP_1) | instskip(SKIP_1) | instid1(VALU_DEP_1)
	v_fmac_f32_e32 v182, v174, v132
	s_waitcnt vmcnt(0)
	v_fmac_f32_e32 v182, v181, v133
	s_delay_alu instid0(VALU_DEP_1)
	v_sub_f32_e32 v2, v131, v182
	scratch_store_b32 off, v2, off offset:72
	v_cmpx_lt_u32_e32 17, v0
	s_cbranch_execz .LBB62_351
; %bb.350:
	scratch_load_b32 v2, off, off offset:68
	v_mov_b32_e32 v3, 0
	scratch_store_b32 off, v3, off offset:68
	s_waitcnt vmcnt(0)
	ds_store_b32 v1, v2
.LBB62_351:
	s_or_b32 exec_lo, exec_lo, s0
	s_waitcnt lgkmcnt(0)
	s_waitcnt_vscnt null, 0x0
	s_barrier
	buffer_gl0_inv
	s_clause 0xb
	scratch_load_b128 v[131:134], off, off offset:68
	scratch_load_b128 v[135:138], off, off offset:84
	;; [unrolled: 1-line block ×11, first 2 shown]
	scratch_load_b64 v[3:4], off, off offset:244
	v_mov_b32_e32 v2, 0
	ds_load_2addr_b64 v[175:178], v2 offset0:41 offset1:42
	ds_load_2addr_b64 v[179:182], v2 offset0:43 offset1:44
	s_mov_b32 s0, exec_lo
	s_waitcnt vmcnt(11) lgkmcnt(1)
	v_fma_f32 v175, v132, v175, 0
	s_delay_alu instid0(VALU_DEP_1) | instskip(NEXT) | instid1(VALU_DEP_1)
	v_fmac_f32_e32 v175, v133, v176
	v_fmac_f32_e32 v175, v134, v177
	s_waitcnt vmcnt(10)
	s_delay_alu instid0(VALU_DEP_1) | instskip(SKIP_3) | instid1(VALU_DEP_1)
	v_fmac_f32_e32 v175, v135, v178
	ds_load_2addr_b64 v[132:135], v2 offset0:45 offset1:46
	s_waitcnt lgkmcnt(1)
	v_fmac_f32_e32 v175, v136, v179
	v_fmac_f32_e32 v175, v137, v180
	s_delay_alu instid0(VALU_DEP_1) | instskip(SKIP_1) | instid1(VALU_DEP_1)
	v_fmac_f32_e32 v175, v138, v181
	s_waitcnt vmcnt(9)
	v_fmac_f32_e32 v175, v139, v182
	ds_load_2addr_b64 v[136:139], v2 offset0:47 offset1:48
	s_waitcnt lgkmcnt(1)
	v_fmac_f32_e32 v175, v140, v132
	s_delay_alu instid0(VALU_DEP_1) | instskip(NEXT) | instid1(VALU_DEP_1)
	v_fmac_f32_e32 v175, v141, v133
	v_fmac_f32_e32 v175, v142, v134
	s_waitcnt vmcnt(8)
	s_delay_alu instid0(VALU_DEP_1) | instskip(SKIP_3) | instid1(VALU_DEP_1)
	v_fmac_f32_e32 v175, v143, v135
	ds_load_2addr_b64 v[132:135], v2 offset0:49 offset1:50
	s_waitcnt lgkmcnt(1)
	v_fmac_f32_e32 v175, v144, v136
	v_fmac_f32_e32 v175, v145, v137
	s_delay_alu instid0(VALU_DEP_1) | instskip(SKIP_1) | instid1(VALU_DEP_1)
	v_fmac_f32_e32 v175, v146, v138
	s_waitcnt vmcnt(7)
	v_fmac_f32_e32 v175, v147, v139
	ds_load_2addr_b64 v[136:139], v2 offset0:51 offset1:52
	s_waitcnt lgkmcnt(1)
	v_fmac_f32_e32 v175, v148, v132
	;; [unrolled: 17-line block ×4, first 2 shown]
	s_delay_alu instid0(VALU_DEP_1) | instskip(NEXT) | instid1(VALU_DEP_1)
	v_fmac_f32_e32 v175, v165, v133
	v_fmac_f32_e32 v175, v166, v134
	s_waitcnt vmcnt(2)
	s_delay_alu instid0(VALU_DEP_1)
	v_fmac_f32_e32 v175, v167, v135
	ds_load_2addr_b64 v[132:135], v2 offset0:61 offset1:62
	s_waitcnt lgkmcnt(1)
	v_fmac_f32_e32 v175, v168, v136
	ds_load_b32 v136, v2 offset:504
	v_fmac_f32_e32 v175, v169, v137
	s_delay_alu instid0(VALU_DEP_1) | instskip(SKIP_1) | instid1(VALU_DEP_1)
	v_fmac_f32_e32 v175, v170, v138
	s_waitcnt vmcnt(1)
	v_fmac_f32_e32 v175, v171, v139
	s_waitcnt lgkmcnt(1)
	s_delay_alu instid0(VALU_DEP_1) | instskip(NEXT) | instid1(VALU_DEP_1)
	v_fmac_f32_e32 v175, v172, v132
	v_fmac_f32_e32 v175, v173, v133
	s_delay_alu instid0(VALU_DEP_1) | instskip(SKIP_1) | instid1(VALU_DEP_1)
	v_fmac_f32_e32 v175, v174, v134
	s_waitcnt vmcnt(0)
	v_fmac_f32_e32 v175, v3, v135
	s_waitcnt lgkmcnt(0)
	s_delay_alu instid0(VALU_DEP_1) | instskip(NEXT) | instid1(VALU_DEP_1)
	v_fmac_f32_e32 v175, v4, v136
	v_sub_f32_e32 v3, v131, v175
	scratch_store_b32 off, v3, off offset:68
	v_cmpx_lt_u32_e32 16, v0
	s_cbranch_execz .LBB62_353
; %bb.352:
	scratch_load_b32 v3, off, off offset:64
	scratch_store_b32 off, v2, off offset:64
	s_waitcnt vmcnt(0)
	ds_store_b32 v1, v3
.LBB62_353:
	s_or_b32 exec_lo, exec_lo, s0
	s_waitcnt lgkmcnt(0)
	s_waitcnt_vscnt null, 0x0
	s_barrier
	buffer_gl0_inv
	s_clause 0xb
	scratch_load_b128 v[131:134], off, off offset:64
	scratch_load_b128 v[135:138], off, off offset:80
	;; [unrolled: 1-line block ×11, first 2 shown]
	scratch_load_b96 v[175:177], off, off offset:240
	ds_load_2addr_b32 v[3:4], v2 offset0:81 offset1:82
	ds_load_2addr_b32 v[178:179], v2 offset0:83 offset1:84
	;; [unrolled: 1-line block ×4, first 2 shown]
	s_mov_b32 s0, exec_lo
	s_waitcnt vmcnt(11) lgkmcnt(3)
	v_fma_f32 v184, v132, v3, 0
	s_delay_alu instid0(VALU_DEP_1)
	v_fmac_f32_e32 v184, v133, v4
	ds_load_2addr_b32 v[3:4], v2 offset0:89 offset1:90
	ds_load_2addr_b32 v[132:133], v2 offset0:91 offset1:92
	s_waitcnt lgkmcnt(4)
	v_fmac_f32_e32 v184, v134, v178
	s_waitcnt vmcnt(10)
	s_delay_alu instid0(VALU_DEP_1) | instskip(SKIP_1) | instid1(VALU_DEP_1)
	v_fmac_f32_e32 v184, v135, v179
	s_waitcnt lgkmcnt(3)
	v_fmac_f32_e32 v184, v136, v180
	s_delay_alu instid0(VALU_DEP_1)
	v_fmac_f32_e32 v184, v137, v181
	ds_load_2addr_b32 v[134:135], v2 offset0:93 offset1:94
	ds_load_2addr_b32 v[136:137], v2 offset0:95 offset1:96
	s_waitcnt lgkmcnt(4)
	v_fmac_f32_e32 v184, v138, v182
	s_waitcnt vmcnt(9)
	s_delay_alu instid0(VALU_DEP_1) | instskip(SKIP_1) | instid1(VALU_DEP_1)
	v_fmac_f32_e32 v184, v139, v183
	s_waitcnt lgkmcnt(3)
	v_fmac_f32_e32 v184, v140, v3
	s_delay_alu instid0(VALU_DEP_1) | instskip(SKIP_4) | instid1(VALU_DEP_1)
	v_fmac_f32_e32 v184, v141, v4
	ds_load_2addr_b32 v[3:4], v2 offset0:97 offset1:98
	s_waitcnt lgkmcnt(3)
	v_fmac_f32_e32 v184, v142, v132
	s_waitcnt vmcnt(8)
	v_fmac_f32_e32 v184, v143, v133
	ds_load_2addr_b32 v[132:133], v2 offset0:99 offset1:100
	s_waitcnt lgkmcnt(3)
	v_fmac_f32_e32 v184, v144, v134
	s_delay_alu instid0(VALU_DEP_1) | instskip(SKIP_1) | instid1(VALU_DEP_1)
	v_fmac_f32_e32 v184, v145, v135
	s_waitcnt lgkmcnt(2)
	v_fmac_f32_e32 v184, v146, v136
	s_waitcnt vmcnt(7)
	s_delay_alu instid0(VALU_DEP_1) | instskip(SKIP_4) | instid1(VALU_DEP_1)
	v_fmac_f32_e32 v184, v147, v137
	ds_load_2addr_b32 v[134:135], v2 offset0:101 offset1:102
	ds_load_2addr_b32 v[136:137], v2 offset0:103 offset1:104
	s_waitcnt lgkmcnt(3)
	v_fmac_f32_e32 v184, v148, v3
	v_fmac_f32_e32 v184, v149, v4
	ds_load_2addr_b32 v[3:4], v2 offset0:105 offset1:106
	s_waitcnt lgkmcnt(3)
	v_fmac_f32_e32 v184, v150, v132
	s_waitcnt vmcnt(6)
	s_delay_alu instid0(VALU_DEP_1) | instskip(SKIP_3) | instid1(VALU_DEP_1)
	v_fmac_f32_e32 v184, v151, v133
	ds_load_2addr_b32 v[132:133], v2 offset0:107 offset1:108
	s_waitcnt lgkmcnt(3)
	v_fmac_f32_e32 v184, v152, v134
	v_fmac_f32_e32 v184, v153, v135
	s_waitcnt lgkmcnt(2)
	s_delay_alu instid0(VALU_DEP_1) | instskip(SKIP_1) | instid1(VALU_DEP_1)
	v_fmac_f32_e32 v184, v154, v136
	s_waitcnt vmcnt(5)
	v_fmac_f32_e32 v184, v155, v137
	ds_load_2addr_b32 v[134:135], v2 offset0:109 offset1:110
	ds_load_2addr_b32 v[136:137], v2 offset0:111 offset1:112
	s_waitcnt lgkmcnt(3)
	v_fmac_f32_e32 v184, v156, v3
	s_delay_alu instid0(VALU_DEP_1) | instskip(SKIP_4) | instid1(VALU_DEP_1)
	v_fmac_f32_e32 v184, v157, v4
	ds_load_2addr_b32 v[3:4], v2 offset0:113 offset1:114
	s_waitcnt lgkmcnt(3)
	v_fmac_f32_e32 v184, v158, v132
	s_waitcnt vmcnt(4)
	v_fmac_f32_e32 v184, v159, v133
	ds_load_2addr_b32 v[132:133], v2 offset0:115 offset1:116
	s_waitcnt lgkmcnt(3)
	v_fmac_f32_e32 v184, v160, v134
	s_delay_alu instid0(VALU_DEP_1) | instskip(SKIP_1) | instid1(VALU_DEP_1)
	v_fmac_f32_e32 v184, v161, v135
	s_waitcnt lgkmcnt(2)
	v_fmac_f32_e32 v184, v162, v136
	s_waitcnt vmcnt(3)
	s_delay_alu instid0(VALU_DEP_1) | instskip(SKIP_4) | instid1(VALU_DEP_1)
	v_fmac_f32_e32 v184, v163, v137
	ds_load_2addr_b32 v[134:135], v2 offset0:117 offset1:118
	ds_load_2addr_b32 v[136:137], v2 offset0:119 offset1:120
	s_waitcnt lgkmcnt(3)
	v_fmac_f32_e32 v184, v164, v3
	v_fmac_f32_e32 v184, v165, v4
	ds_load_2addr_b32 v[3:4], v2 offset0:121 offset1:122
	s_waitcnt lgkmcnt(3)
	v_fmac_f32_e32 v184, v166, v132
	s_waitcnt vmcnt(2)
	s_delay_alu instid0(VALU_DEP_1) | instskip(SKIP_3) | instid1(VALU_DEP_1)
	v_fmac_f32_e32 v184, v167, v133
	ds_load_2addr_b32 v[132:133], v2 offset0:123 offset1:124
	s_waitcnt lgkmcnt(3)
	v_fmac_f32_e32 v184, v168, v134
	v_fmac_f32_e32 v184, v169, v135
	ds_load_2addr_b32 v[134:135], v2 offset0:125 offset1:126
	s_waitcnt lgkmcnt(3)
	v_fmac_f32_e32 v184, v170, v136
	s_waitcnt vmcnt(1)
	s_delay_alu instid0(VALU_DEP_1) | instskip(SKIP_1) | instid1(VALU_DEP_1)
	v_fmac_f32_e32 v184, v171, v137
	s_waitcnt lgkmcnt(2)
	v_fmac_f32_e32 v184, v172, v3
	s_delay_alu instid0(VALU_DEP_1) | instskip(SKIP_1) | instid1(VALU_DEP_1)
	v_fmac_f32_e32 v184, v173, v4
	s_waitcnt lgkmcnt(1)
	v_fmac_f32_e32 v184, v174, v132
	s_waitcnt vmcnt(0)
	s_delay_alu instid0(VALU_DEP_1) | instskip(SKIP_1) | instid1(VALU_DEP_1)
	v_fmac_f32_e32 v184, v175, v133
	s_waitcnt lgkmcnt(0)
	v_fmac_f32_e32 v184, v176, v134
	s_delay_alu instid0(VALU_DEP_1) | instskip(NEXT) | instid1(VALU_DEP_1)
	v_fmac_f32_e32 v184, v177, v135
	v_sub_f32_e32 v2, v131, v184
	scratch_store_b32 off, v2, off offset:64
	v_cmpx_lt_u32_e32 15, v0
	s_cbranch_execz .LBB62_355
; %bb.354:
	scratch_load_b32 v2, off, off offset:60
	v_mov_b32_e32 v3, 0
	scratch_store_b32 off, v3, off offset:60
	s_waitcnt vmcnt(0)
	ds_store_b32 v1, v2
.LBB62_355:
	s_or_b32 exec_lo, exec_lo, s0
	s_waitcnt lgkmcnt(0)
	s_waitcnt_vscnt null, 0x0
	s_barrier
	buffer_gl0_inv
	s_clause 0xb
	scratch_load_b128 v[131:134], off, off offset:60
	scratch_load_b128 v[135:138], off, off offset:76
	;; [unrolled: 1-line block ×12, first 2 shown]
	v_mov_b32_e32 v2, 0
	ds_load_b128 v[179:182], v2 offset:320
	ds_load_b128 v[183:186], v2 offset:336
	s_mov_b32 s0, exec_lo
	s_waitcnt vmcnt(11) lgkmcnt(1)
	v_fma_f32 v3, v132, v179, 0
	s_delay_alu instid0(VALU_DEP_1) | instskip(NEXT) | instid1(VALU_DEP_1)
	v_fmac_f32_e32 v3, v133, v180
	v_fmac_f32_e32 v3, v134, v181
	s_waitcnt vmcnt(10)
	s_delay_alu instid0(VALU_DEP_1) | instskip(SKIP_3) | instid1(VALU_DEP_1)
	v_fmac_f32_e32 v3, v135, v182
	ds_load_b128 v[132:135], v2 offset:352
	s_waitcnt lgkmcnt(1)
	v_fmac_f32_e32 v3, v136, v183
	v_fmac_f32_e32 v3, v137, v184
	s_delay_alu instid0(VALU_DEP_1) | instskip(SKIP_1) | instid1(VALU_DEP_1)
	v_fmac_f32_e32 v3, v138, v185
	s_waitcnt vmcnt(9)
	v_fmac_f32_e32 v3, v139, v186
	ds_load_b128 v[136:139], v2 offset:368
	s_waitcnt lgkmcnt(1)
	v_fmac_f32_e32 v3, v140, v132
	s_delay_alu instid0(VALU_DEP_1) | instskip(NEXT) | instid1(VALU_DEP_1)
	v_fmac_f32_e32 v3, v141, v133
	v_fmac_f32_e32 v3, v142, v134
	s_waitcnt vmcnt(8)
	s_delay_alu instid0(VALU_DEP_1) | instskip(SKIP_3) | instid1(VALU_DEP_1)
	v_fmac_f32_e32 v3, v143, v135
	ds_load_b128 v[132:135], v2 offset:384
	s_waitcnt lgkmcnt(1)
	v_fmac_f32_e32 v3, v144, v136
	v_fmac_f32_e32 v3, v145, v137
	s_delay_alu instid0(VALU_DEP_1) | instskip(SKIP_1) | instid1(VALU_DEP_1)
	v_fmac_f32_e32 v3, v146, v138
	s_waitcnt vmcnt(7)
	v_fmac_f32_e32 v3, v147, v139
	ds_load_b128 v[136:139], v2 offset:400
	s_waitcnt lgkmcnt(1)
	v_fmac_f32_e32 v3, v148, v132
	;; [unrolled: 17-line block ×4, first 2 shown]
	s_delay_alu instid0(VALU_DEP_1) | instskip(NEXT) | instid1(VALU_DEP_1)
	v_fmac_f32_e32 v3, v165, v133
	v_fmac_f32_e32 v3, v166, v134
	s_waitcnt vmcnt(2)
	s_delay_alu instid0(VALU_DEP_1) | instskip(SKIP_3) | instid1(VALU_DEP_1)
	v_fmac_f32_e32 v3, v167, v135
	ds_load_b128 v[132:135], v2 offset:480
	s_waitcnt lgkmcnt(1)
	v_fmac_f32_e32 v3, v168, v136
	v_fmac_f32_e32 v3, v169, v137
	s_delay_alu instid0(VALU_DEP_1) | instskip(SKIP_4) | instid1(VALU_DEP_1)
	v_fmac_f32_e32 v3, v170, v138
	ds_load_b96 v[136:138], v2 offset:496
	s_waitcnt vmcnt(1)
	v_fmac_f32_e32 v3, v171, v139
	s_waitcnt lgkmcnt(1)
	v_fmac_f32_e32 v3, v172, v132
	s_delay_alu instid0(VALU_DEP_1) | instskip(NEXT) | instid1(VALU_DEP_1)
	v_fmac_f32_e32 v3, v173, v133
	v_fmac_f32_e32 v3, v174, v134
	s_waitcnt vmcnt(0)
	s_delay_alu instid0(VALU_DEP_1) | instskip(SKIP_1) | instid1(VALU_DEP_1)
	v_fmac_f32_e32 v3, v175, v135
	s_waitcnt lgkmcnt(0)
	v_fmac_f32_e32 v3, v176, v136
	s_delay_alu instid0(VALU_DEP_1) | instskip(NEXT) | instid1(VALU_DEP_1)
	v_fmac_f32_e32 v3, v177, v137
	v_fmac_f32_e32 v3, v178, v138
	s_delay_alu instid0(VALU_DEP_1)
	v_sub_f32_e32 v3, v131, v3
	scratch_store_b32 off, v3, off offset:60
	v_cmpx_lt_u32_e32 14, v0
	s_cbranch_execz .LBB62_357
; %bb.356:
	scratch_load_b32 v3, off, off offset:56
	scratch_store_b32 off, v2, off offset:56
	s_waitcnt vmcnt(0)
	ds_store_b32 v1, v3
.LBB62_357:
	s_or_b32 exec_lo, exec_lo, s0
	s_waitcnt lgkmcnt(0)
	s_waitcnt_vscnt null, 0x0
	s_barrier
	buffer_gl0_inv
	s_clause 0xc
	scratch_load_b128 v[131:134], off, off offset:56
	scratch_load_b128 v[135:138], off, off offset:72
	;; [unrolled: 1-line block ×12, first 2 shown]
	scratch_load_b32 v185, off, off offset:248
	ds_load_2addr_b32 v[3:4], v2 offset0:79 offset1:80
	ds_load_2addr_b32 v[179:180], v2 offset0:81 offset1:82
	;; [unrolled: 1-line block ×4, first 2 shown]
	s_mov_b32 s0, exec_lo
	s_waitcnt vmcnt(12) lgkmcnt(3)
	v_fma_f32 v186, v132, v3, 0
	s_delay_alu instid0(VALU_DEP_1)
	v_fmac_f32_e32 v186, v133, v4
	ds_load_2addr_b32 v[3:4], v2 offset0:87 offset1:88
	ds_load_2addr_b32 v[132:133], v2 offset0:89 offset1:90
	s_waitcnt lgkmcnt(4)
	v_fmac_f32_e32 v186, v134, v179
	s_waitcnt vmcnt(11)
	s_delay_alu instid0(VALU_DEP_1) | instskip(SKIP_1) | instid1(VALU_DEP_1)
	v_fmac_f32_e32 v186, v135, v180
	s_waitcnt lgkmcnt(3)
	v_fmac_f32_e32 v186, v136, v181
	s_delay_alu instid0(VALU_DEP_1)
	v_fmac_f32_e32 v186, v137, v182
	ds_load_2addr_b32 v[134:135], v2 offset0:91 offset1:92
	ds_load_2addr_b32 v[136:137], v2 offset0:93 offset1:94
	s_waitcnt lgkmcnt(4)
	v_fmac_f32_e32 v186, v138, v183
	s_waitcnt vmcnt(10)
	s_delay_alu instid0(VALU_DEP_1) | instskip(SKIP_1) | instid1(VALU_DEP_1)
	v_fmac_f32_e32 v186, v139, v184
	s_waitcnt lgkmcnt(3)
	v_fmac_f32_e32 v186, v140, v3
	s_delay_alu instid0(VALU_DEP_1) | instskip(SKIP_4) | instid1(VALU_DEP_1)
	v_fmac_f32_e32 v186, v141, v4
	ds_load_2addr_b32 v[3:4], v2 offset0:95 offset1:96
	s_waitcnt lgkmcnt(3)
	v_fmac_f32_e32 v186, v142, v132
	s_waitcnt vmcnt(9)
	v_fmac_f32_e32 v186, v143, v133
	ds_load_2addr_b32 v[132:133], v2 offset0:97 offset1:98
	s_waitcnt lgkmcnt(3)
	v_fmac_f32_e32 v186, v144, v134
	s_delay_alu instid0(VALU_DEP_1) | instskip(SKIP_1) | instid1(VALU_DEP_1)
	v_fmac_f32_e32 v186, v145, v135
	s_waitcnt lgkmcnt(2)
	v_fmac_f32_e32 v186, v146, v136
	s_waitcnt vmcnt(8)
	s_delay_alu instid0(VALU_DEP_1) | instskip(SKIP_4) | instid1(VALU_DEP_1)
	v_fmac_f32_e32 v186, v147, v137
	ds_load_2addr_b32 v[134:135], v2 offset0:99 offset1:100
	ds_load_2addr_b32 v[136:137], v2 offset0:101 offset1:102
	s_waitcnt lgkmcnt(3)
	v_fmac_f32_e32 v186, v148, v3
	v_fmac_f32_e32 v186, v149, v4
	ds_load_2addr_b32 v[3:4], v2 offset0:103 offset1:104
	s_waitcnt lgkmcnt(3)
	v_fmac_f32_e32 v186, v150, v132
	s_waitcnt vmcnt(7)
	s_delay_alu instid0(VALU_DEP_1) | instskip(SKIP_3) | instid1(VALU_DEP_1)
	v_fmac_f32_e32 v186, v151, v133
	ds_load_2addr_b32 v[132:133], v2 offset0:105 offset1:106
	s_waitcnt lgkmcnt(3)
	v_fmac_f32_e32 v186, v152, v134
	v_fmac_f32_e32 v186, v153, v135
	s_waitcnt lgkmcnt(2)
	s_delay_alu instid0(VALU_DEP_1) | instskip(SKIP_1) | instid1(VALU_DEP_1)
	v_fmac_f32_e32 v186, v154, v136
	s_waitcnt vmcnt(6)
	v_fmac_f32_e32 v186, v155, v137
	ds_load_2addr_b32 v[134:135], v2 offset0:107 offset1:108
	ds_load_2addr_b32 v[136:137], v2 offset0:109 offset1:110
	s_waitcnt lgkmcnt(3)
	v_fmac_f32_e32 v186, v156, v3
	s_delay_alu instid0(VALU_DEP_1) | instskip(SKIP_4) | instid1(VALU_DEP_1)
	v_fmac_f32_e32 v186, v157, v4
	ds_load_2addr_b32 v[3:4], v2 offset0:111 offset1:112
	s_waitcnt lgkmcnt(3)
	v_fmac_f32_e32 v186, v158, v132
	s_waitcnt vmcnt(5)
	v_fmac_f32_e32 v186, v159, v133
	ds_load_2addr_b32 v[132:133], v2 offset0:113 offset1:114
	s_waitcnt lgkmcnt(3)
	v_fmac_f32_e32 v186, v160, v134
	s_delay_alu instid0(VALU_DEP_1) | instskip(SKIP_1) | instid1(VALU_DEP_1)
	v_fmac_f32_e32 v186, v161, v135
	s_waitcnt lgkmcnt(2)
	v_fmac_f32_e32 v186, v162, v136
	s_waitcnt vmcnt(4)
	s_delay_alu instid0(VALU_DEP_1) | instskip(SKIP_4) | instid1(VALU_DEP_1)
	v_fmac_f32_e32 v186, v163, v137
	ds_load_2addr_b32 v[134:135], v2 offset0:115 offset1:116
	ds_load_2addr_b32 v[136:137], v2 offset0:117 offset1:118
	s_waitcnt lgkmcnt(3)
	v_fmac_f32_e32 v186, v164, v3
	v_fmac_f32_e32 v186, v165, v4
	ds_load_2addr_b32 v[3:4], v2 offset0:119 offset1:120
	s_waitcnt lgkmcnt(3)
	v_fmac_f32_e32 v186, v166, v132
	s_waitcnt vmcnt(3)
	s_delay_alu instid0(VALU_DEP_1) | instskip(SKIP_3) | instid1(VALU_DEP_1)
	v_fmac_f32_e32 v186, v167, v133
	ds_load_2addr_b32 v[132:133], v2 offset0:121 offset1:122
	s_waitcnt lgkmcnt(3)
	v_fmac_f32_e32 v186, v168, v134
	v_fmac_f32_e32 v186, v169, v135
	s_waitcnt lgkmcnt(2)
	s_delay_alu instid0(VALU_DEP_1) | instskip(SKIP_1) | instid1(VALU_DEP_1)
	v_fmac_f32_e32 v186, v170, v136
	s_waitcnt vmcnt(2)
	v_fmac_f32_e32 v186, v171, v137
	ds_load_2addr_b32 v[134:135], v2 offset0:123 offset1:124
	ds_load_2addr_b32 v[136:137], v2 offset0:125 offset1:126
	s_waitcnt lgkmcnt(3)
	v_fmac_f32_e32 v186, v172, v3
	s_delay_alu instid0(VALU_DEP_1) | instskip(SKIP_1) | instid1(VALU_DEP_1)
	v_fmac_f32_e32 v186, v173, v4
	s_waitcnt lgkmcnt(2)
	v_fmac_f32_e32 v186, v174, v132
	s_waitcnt vmcnt(1)
	s_delay_alu instid0(VALU_DEP_1) | instskip(SKIP_1) | instid1(VALU_DEP_1)
	v_fmac_f32_e32 v186, v175, v133
	s_waitcnt lgkmcnt(1)
	v_fmac_f32_e32 v186, v176, v134
	s_delay_alu instid0(VALU_DEP_1) | instskip(SKIP_1) | instid1(VALU_DEP_1)
	v_fmac_f32_e32 v186, v177, v135
	s_waitcnt lgkmcnt(0)
	v_fmac_f32_e32 v186, v178, v136
	s_waitcnt vmcnt(0)
	s_delay_alu instid0(VALU_DEP_1) | instskip(NEXT) | instid1(VALU_DEP_1)
	v_fmac_f32_e32 v186, v185, v137
	v_sub_f32_e32 v2, v131, v186
	scratch_store_b32 off, v2, off offset:56
	v_cmpx_lt_u32_e32 13, v0
	s_cbranch_execz .LBB62_359
; %bb.358:
	scratch_load_b32 v2, off, off offset:52
	v_mov_b32_e32 v3, 0
	scratch_store_b32 off, v3, off offset:52
	s_waitcnt vmcnt(0)
	ds_store_b32 v1, v2
.LBB62_359:
	s_or_b32 exec_lo, exec_lo, s0
	s_waitcnt lgkmcnt(0)
	s_waitcnt_vscnt null, 0x0
	s_barrier
	buffer_gl0_inv
	s_clause 0xc
	scratch_load_b128 v[131:134], off, off offset:52
	scratch_load_b128 v[135:138], off, off offset:68
	;; [unrolled: 1-line block ×12, first 2 shown]
	scratch_load_b64 v[3:4], off, off offset:244
	v_mov_b32_e32 v2, 0
	ds_load_2addr_b64 v[179:182], v2 offset0:39 offset1:40
	ds_load_2addr_b64 v[183:186], v2 offset0:41 offset1:42
	s_mov_b32 s0, exec_lo
	s_waitcnt vmcnt(12) lgkmcnt(1)
	v_fma_f32 v179, v132, v179, 0
	s_delay_alu instid0(VALU_DEP_1) | instskip(NEXT) | instid1(VALU_DEP_1)
	v_fmac_f32_e32 v179, v133, v180
	v_fmac_f32_e32 v179, v134, v181
	s_waitcnt vmcnt(11)
	s_delay_alu instid0(VALU_DEP_1) | instskip(SKIP_3) | instid1(VALU_DEP_1)
	v_fmac_f32_e32 v179, v135, v182
	ds_load_2addr_b64 v[132:135], v2 offset0:43 offset1:44
	s_waitcnt lgkmcnt(1)
	v_fmac_f32_e32 v179, v136, v183
	v_fmac_f32_e32 v179, v137, v184
	s_delay_alu instid0(VALU_DEP_1) | instskip(SKIP_1) | instid1(VALU_DEP_1)
	v_fmac_f32_e32 v179, v138, v185
	s_waitcnt vmcnt(10)
	v_fmac_f32_e32 v179, v139, v186
	ds_load_2addr_b64 v[136:139], v2 offset0:45 offset1:46
	s_waitcnt lgkmcnt(1)
	v_fmac_f32_e32 v179, v140, v132
	s_delay_alu instid0(VALU_DEP_1) | instskip(NEXT) | instid1(VALU_DEP_1)
	v_fmac_f32_e32 v179, v141, v133
	v_fmac_f32_e32 v179, v142, v134
	s_waitcnt vmcnt(9)
	s_delay_alu instid0(VALU_DEP_1) | instskip(SKIP_3) | instid1(VALU_DEP_1)
	v_fmac_f32_e32 v179, v143, v135
	ds_load_2addr_b64 v[132:135], v2 offset0:47 offset1:48
	s_waitcnt lgkmcnt(1)
	v_fmac_f32_e32 v179, v144, v136
	v_fmac_f32_e32 v179, v145, v137
	s_delay_alu instid0(VALU_DEP_1) | instskip(SKIP_1) | instid1(VALU_DEP_1)
	v_fmac_f32_e32 v179, v146, v138
	s_waitcnt vmcnt(8)
	v_fmac_f32_e32 v179, v147, v139
	ds_load_2addr_b64 v[136:139], v2 offset0:49 offset1:50
	s_waitcnt lgkmcnt(1)
	v_fmac_f32_e32 v179, v148, v132
	;; [unrolled: 17-line block ×5, first 2 shown]
	ds_load_b32 v132, v2 offset:504
	v_fmac_f32_e32 v179, v173, v133
	s_delay_alu instid0(VALU_DEP_1) | instskip(SKIP_1) | instid1(VALU_DEP_1)
	v_fmac_f32_e32 v179, v174, v134
	s_waitcnt vmcnt(1)
	v_fmac_f32_e32 v179, v175, v135
	s_waitcnt lgkmcnt(1)
	s_delay_alu instid0(VALU_DEP_1) | instskip(NEXT) | instid1(VALU_DEP_1)
	v_fmac_f32_e32 v179, v176, v136
	v_fmac_f32_e32 v179, v177, v137
	s_delay_alu instid0(VALU_DEP_1) | instskip(SKIP_1) | instid1(VALU_DEP_1)
	v_fmac_f32_e32 v179, v178, v138
	s_waitcnt vmcnt(0)
	v_fmac_f32_e32 v179, v3, v139
	s_waitcnt lgkmcnt(0)
	s_delay_alu instid0(VALU_DEP_1) | instskip(NEXT) | instid1(VALU_DEP_1)
	v_fmac_f32_e32 v179, v4, v132
	v_sub_f32_e32 v3, v131, v179
	scratch_store_b32 off, v3, off offset:52
	v_cmpx_lt_u32_e32 12, v0
	s_cbranch_execz .LBB62_361
; %bb.360:
	scratch_load_b32 v3, off, off offset:48
	scratch_store_b32 off, v2, off offset:48
	s_waitcnt vmcnt(0)
	ds_store_b32 v1, v3
.LBB62_361:
	s_or_b32 exec_lo, exec_lo, s0
	s_waitcnt lgkmcnt(0)
	s_waitcnt_vscnt null, 0x0
	s_barrier
	buffer_gl0_inv
	s_clause 0xc
	scratch_load_b128 v[131:134], off, off offset:48
	scratch_load_b128 v[135:138], off, off offset:64
	;; [unrolled: 1-line block ×12, first 2 shown]
	scratch_load_b96 v[179:181], off, off offset:240
	ds_load_2addr_b32 v[3:4], v2 offset0:77 offset1:78
	ds_load_2addr_b32 v[182:183], v2 offset0:79 offset1:80
	;; [unrolled: 1-line block ×4, first 2 shown]
	s_mov_b32 s0, exec_lo
	s_waitcnt vmcnt(12) lgkmcnt(3)
	v_fma_f32 v188, v132, v3, 0
	s_delay_alu instid0(VALU_DEP_1)
	v_fmac_f32_e32 v188, v133, v4
	ds_load_2addr_b32 v[3:4], v2 offset0:85 offset1:86
	ds_load_2addr_b32 v[132:133], v2 offset0:87 offset1:88
	s_waitcnt lgkmcnt(4)
	v_fmac_f32_e32 v188, v134, v182
	s_waitcnt vmcnt(11)
	s_delay_alu instid0(VALU_DEP_1) | instskip(SKIP_1) | instid1(VALU_DEP_1)
	v_fmac_f32_e32 v188, v135, v183
	s_waitcnt lgkmcnt(3)
	v_fmac_f32_e32 v188, v136, v184
	s_delay_alu instid0(VALU_DEP_1)
	v_fmac_f32_e32 v188, v137, v185
	ds_load_2addr_b32 v[134:135], v2 offset0:89 offset1:90
	ds_load_2addr_b32 v[136:137], v2 offset0:91 offset1:92
	s_waitcnt lgkmcnt(4)
	v_fmac_f32_e32 v188, v138, v186
	s_waitcnt vmcnt(10)
	s_delay_alu instid0(VALU_DEP_1) | instskip(SKIP_1) | instid1(VALU_DEP_1)
	v_fmac_f32_e32 v188, v139, v187
	s_waitcnt lgkmcnt(3)
	v_fmac_f32_e32 v188, v140, v3
	s_delay_alu instid0(VALU_DEP_1) | instskip(SKIP_4) | instid1(VALU_DEP_1)
	v_fmac_f32_e32 v188, v141, v4
	ds_load_2addr_b32 v[3:4], v2 offset0:93 offset1:94
	s_waitcnt lgkmcnt(3)
	v_fmac_f32_e32 v188, v142, v132
	s_waitcnt vmcnt(9)
	v_fmac_f32_e32 v188, v143, v133
	ds_load_2addr_b32 v[132:133], v2 offset0:95 offset1:96
	s_waitcnt lgkmcnt(3)
	v_fmac_f32_e32 v188, v144, v134
	s_delay_alu instid0(VALU_DEP_1) | instskip(SKIP_1) | instid1(VALU_DEP_1)
	v_fmac_f32_e32 v188, v145, v135
	s_waitcnt lgkmcnt(2)
	v_fmac_f32_e32 v188, v146, v136
	s_waitcnt vmcnt(8)
	s_delay_alu instid0(VALU_DEP_1) | instskip(SKIP_4) | instid1(VALU_DEP_1)
	v_fmac_f32_e32 v188, v147, v137
	ds_load_2addr_b32 v[134:135], v2 offset0:97 offset1:98
	ds_load_2addr_b32 v[136:137], v2 offset0:99 offset1:100
	s_waitcnt lgkmcnt(3)
	v_fmac_f32_e32 v188, v148, v3
	v_fmac_f32_e32 v188, v149, v4
	ds_load_2addr_b32 v[3:4], v2 offset0:101 offset1:102
	s_waitcnt lgkmcnt(3)
	v_fmac_f32_e32 v188, v150, v132
	s_waitcnt vmcnt(7)
	s_delay_alu instid0(VALU_DEP_1) | instskip(SKIP_3) | instid1(VALU_DEP_1)
	v_fmac_f32_e32 v188, v151, v133
	ds_load_2addr_b32 v[132:133], v2 offset0:103 offset1:104
	s_waitcnt lgkmcnt(3)
	v_fmac_f32_e32 v188, v152, v134
	v_fmac_f32_e32 v188, v153, v135
	s_waitcnt lgkmcnt(2)
	s_delay_alu instid0(VALU_DEP_1) | instskip(SKIP_1) | instid1(VALU_DEP_1)
	v_fmac_f32_e32 v188, v154, v136
	s_waitcnt vmcnt(6)
	v_fmac_f32_e32 v188, v155, v137
	ds_load_2addr_b32 v[134:135], v2 offset0:105 offset1:106
	ds_load_2addr_b32 v[136:137], v2 offset0:107 offset1:108
	s_waitcnt lgkmcnt(3)
	v_fmac_f32_e32 v188, v156, v3
	s_delay_alu instid0(VALU_DEP_1) | instskip(SKIP_4) | instid1(VALU_DEP_1)
	v_fmac_f32_e32 v188, v157, v4
	ds_load_2addr_b32 v[3:4], v2 offset0:109 offset1:110
	s_waitcnt lgkmcnt(3)
	v_fmac_f32_e32 v188, v158, v132
	s_waitcnt vmcnt(5)
	v_fmac_f32_e32 v188, v159, v133
	ds_load_2addr_b32 v[132:133], v2 offset0:111 offset1:112
	s_waitcnt lgkmcnt(3)
	v_fmac_f32_e32 v188, v160, v134
	s_delay_alu instid0(VALU_DEP_1) | instskip(SKIP_1) | instid1(VALU_DEP_1)
	v_fmac_f32_e32 v188, v161, v135
	s_waitcnt lgkmcnt(2)
	v_fmac_f32_e32 v188, v162, v136
	s_waitcnt vmcnt(4)
	s_delay_alu instid0(VALU_DEP_1) | instskip(SKIP_4) | instid1(VALU_DEP_1)
	v_fmac_f32_e32 v188, v163, v137
	ds_load_2addr_b32 v[134:135], v2 offset0:113 offset1:114
	ds_load_2addr_b32 v[136:137], v2 offset0:115 offset1:116
	s_waitcnt lgkmcnt(3)
	v_fmac_f32_e32 v188, v164, v3
	v_fmac_f32_e32 v188, v165, v4
	ds_load_2addr_b32 v[3:4], v2 offset0:117 offset1:118
	s_waitcnt lgkmcnt(3)
	v_fmac_f32_e32 v188, v166, v132
	s_waitcnt vmcnt(3)
	s_delay_alu instid0(VALU_DEP_1) | instskip(SKIP_3) | instid1(VALU_DEP_1)
	v_fmac_f32_e32 v188, v167, v133
	ds_load_2addr_b32 v[132:133], v2 offset0:119 offset1:120
	s_waitcnt lgkmcnt(3)
	v_fmac_f32_e32 v188, v168, v134
	v_fmac_f32_e32 v188, v169, v135
	s_waitcnt lgkmcnt(2)
	s_delay_alu instid0(VALU_DEP_1) | instskip(SKIP_1) | instid1(VALU_DEP_1)
	v_fmac_f32_e32 v188, v170, v136
	s_waitcnt vmcnt(2)
	v_fmac_f32_e32 v188, v171, v137
	ds_load_2addr_b32 v[134:135], v2 offset0:121 offset1:122
	ds_load_2addr_b32 v[136:137], v2 offset0:123 offset1:124
	s_waitcnt lgkmcnt(3)
	v_fmac_f32_e32 v188, v172, v3
	ds_load_2addr_b32 v[2:3], v2 offset0:125 offset1:126
	v_fmac_f32_e32 v188, v173, v4
	s_waitcnt lgkmcnt(3)
	s_delay_alu instid0(VALU_DEP_1) | instskip(SKIP_1) | instid1(VALU_DEP_1)
	v_fmac_f32_e32 v188, v174, v132
	s_waitcnt vmcnt(1)
	v_fmac_f32_e32 v188, v175, v133
	s_waitcnt lgkmcnt(2)
	s_delay_alu instid0(VALU_DEP_1) | instskip(NEXT) | instid1(VALU_DEP_1)
	v_fmac_f32_e32 v188, v176, v134
	v_fmac_f32_e32 v188, v177, v135
	s_waitcnt lgkmcnt(1)
	s_delay_alu instid0(VALU_DEP_1) | instskip(SKIP_1) | instid1(VALU_DEP_1)
	v_fmac_f32_e32 v188, v178, v136
	s_waitcnt vmcnt(0)
	v_fmac_f32_e32 v188, v179, v137
	s_waitcnt lgkmcnt(0)
	s_delay_alu instid0(VALU_DEP_1) | instskip(NEXT) | instid1(VALU_DEP_1)
	v_fmac_f32_e32 v188, v180, v2
	v_fmac_f32_e32 v188, v181, v3
	s_delay_alu instid0(VALU_DEP_1)
	v_sub_f32_e32 v2, v131, v188
	scratch_store_b32 off, v2, off offset:48
	v_cmpx_lt_u32_e32 11, v0
	s_cbranch_execz .LBB62_363
; %bb.362:
	scratch_load_b32 v2, off, off offset:44
	v_mov_b32_e32 v3, 0
	scratch_store_b32 off, v3, off offset:44
	s_waitcnt vmcnt(0)
	ds_store_b32 v1, v2
.LBB62_363:
	s_or_b32 exec_lo, exec_lo, s0
	s_waitcnt lgkmcnt(0)
	s_waitcnt_vscnt null, 0x0
	s_barrier
	buffer_gl0_inv
	s_clause 0xc
	scratch_load_b128 v[131:134], off, off offset:44
	scratch_load_b128 v[135:138], off, off offset:60
	;; [unrolled: 1-line block ×13, first 2 shown]
	v_mov_b32_e32 v2, 0
	ds_load_b128 v[183:186], v2 offset:304
	ds_load_b128 v[187:190], v2 offset:320
	s_mov_b32 s0, exec_lo
	s_waitcnt vmcnt(12) lgkmcnt(1)
	v_fma_f32 v3, v132, v183, 0
	s_delay_alu instid0(VALU_DEP_1) | instskip(NEXT) | instid1(VALU_DEP_1)
	v_fmac_f32_e32 v3, v133, v184
	v_fmac_f32_e32 v3, v134, v185
	s_waitcnt vmcnt(11)
	s_delay_alu instid0(VALU_DEP_1) | instskip(SKIP_3) | instid1(VALU_DEP_1)
	v_fmac_f32_e32 v3, v135, v186
	ds_load_b128 v[132:135], v2 offset:336
	s_waitcnt lgkmcnt(1)
	v_fmac_f32_e32 v3, v136, v187
	v_fmac_f32_e32 v3, v137, v188
	s_delay_alu instid0(VALU_DEP_1) | instskip(SKIP_1) | instid1(VALU_DEP_1)
	v_fmac_f32_e32 v3, v138, v189
	s_waitcnt vmcnt(10)
	v_fmac_f32_e32 v3, v139, v190
	ds_load_b128 v[136:139], v2 offset:352
	s_waitcnt lgkmcnt(1)
	v_fmac_f32_e32 v3, v140, v132
	s_delay_alu instid0(VALU_DEP_1) | instskip(NEXT) | instid1(VALU_DEP_1)
	v_fmac_f32_e32 v3, v141, v133
	v_fmac_f32_e32 v3, v142, v134
	s_waitcnt vmcnt(9)
	s_delay_alu instid0(VALU_DEP_1) | instskip(SKIP_3) | instid1(VALU_DEP_1)
	v_fmac_f32_e32 v3, v143, v135
	ds_load_b128 v[132:135], v2 offset:368
	s_waitcnt lgkmcnt(1)
	v_fmac_f32_e32 v3, v144, v136
	v_fmac_f32_e32 v3, v145, v137
	s_delay_alu instid0(VALU_DEP_1) | instskip(SKIP_1) | instid1(VALU_DEP_1)
	v_fmac_f32_e32 v3, v146, v138
	s_waitcnt vmcnt(8)
	v_fmac_f32_e32 v3, v147, v139
	ds_load_b128 v[136:139], v2 offset:384
	s_waitcnt lgkmcnt(1)
	v_fmac_f32_e32 v3, v148, v132
	;; [unrolled: 17-line block ×5, first 2 shown]
	s_delay_alu instid0(VALU_DEP_1) | instskip(NEXT) | instid1(VALU_DEP_1)
	v_fmac_f32_e32 v3, v173, v133
	v_fmac_f32_e32 v3, v174, v134
	ds_load_b96 v[132:134], v2 offset:496
	s_waitcnt vmcnt(1)
	v_fmac_f32_e32 v3, v175, v135
	s_waitcnt lgkmcnt(1)
	s_delay_alu instid0(VALU_DEP_1) | instskip(NEXT) | instid1(VALU_DEP_1)
	v_fmac_f32_e32 v3, v176, v136
	v_fmac_f32_e32 v3, v177, v137
	s_delay_alu instid0(VALU_DEP_1) | instskip(SKIP_1) | instid1(VALU_DEP_1)
	v_fmac_f32_e32 v3, v178, v138
	s_waitcnt vmcnt(0)
	v_fmac_f32_e32 v3, v179, v139
	s_waitcnt lgkmcnt(0)
	s_delay_alu instid0(VALU_DEP_1) | instskip(NEXT) | instid1(VALU_DEP_1)
	v_fmac_f32_e32 v3, v180, v132
	v_fmac_f32_e32 v3, v181, v133
	s_delay_alu instid0(VALU_DEP_1) | instskip(NEXT) | instid1(VALU_DEP_1)
	v_fmac_f32_e32 v3, v182, v134
	v_sub_f32_e32 v3, v131, v3
	scratch_store_b32 off, v3, off offset:44
	v_cmpx_lt_u32_e32 10, v0
	s_cbranch_execz .LBB62_365
; %bb.364:
	scratch_load_b32 v3, off, off offset:40
	scratch_store_b32 off, v2, off offset:40
	s_waitcnt vmcnt(0)
	ds_store_b32 v1, v3
.LBB62_365:
	s_or_b32 exec_lo, exec_lo, s0
	s_waitcnt lgkmcnt(0)
	s_waitcnt_vscnt null, 0x0
	s_barrier
	buffer_gl0_inv
	s_clause 0xd
	scratch_load_b128 v[131:134], off, off offset:40
	scratch_load_b128 v[135:138], off, off offset:56
	;; [unrolled: 1-line block ×13, first 2 shown]
	scratch_load_b32 v189, off, off offset:248
	ds_load_2addr_b32 v[3:4], v2 offset0:75 offset1:76
	ds_load_2addr_b32 v[183:184], v2 offset0:77 offset1:78
	;; [unrolled: 1-line block ×4, first 2 shown]
	s_mov_b32 s0, exec_lo
	s_waitcnt vmcnt(13) lgkmcnt(3)
	v_fma_f32 v190, v132, v3, 0
	s_delay_alu instid0(VALU_DEP_1)
	v_fmac_f32_e32 v190, v133, v4
	ds_load_2addr_b32 v[3:4], v2 offset0:83 offset1:84
	ds_load_2addr_b32 v[132:133], v2 offset0:85 offset1:86
	s_waitcnt lgkmcnt(4)
	v_fmac_f32_e32 v190, v134, v183
	s_waitcnt vmcnt(12)
	s_delay_alu instid0(VALU_DEP_1) | instskip(SKIP_1) | instid1(VALU_DEP_1)
	v_fmac_f32_e32 v190, v135, v184
	s_waitcnt lgkmcnt(3)
	v_fmac_f32_e32 v190, v136, v185
	s_delay_alu instid0(VALU_DEP_1)
	v_fmac_f32_e32 v190, v137, v186
	ds_load_2addr_b32 v[134:135], v2 offset0:87 offset1:88
	ds_load_2addr_b32 v[136:137], v2 offset0:89 offset1:90
	s_waitcnt lgkmcnt(4)
	v_fmac_f32_e32 v190, v138, v187
	s_waitcnt vmcnt(11)
	s_delay_alu instid0(VALU_DEP_1) | instskip(SKIP_1) | instid1(VALU_DEP_1)
	v_fmac_f32_e32 v190, v139, v188
	s_waitcnt lgkmcnt(3)
	v_fmac_f32_e32 v190, v140, v3
	s_delay_alu instid0(VALU_DEP_1) | instskip(SKIP_4) | instid1(VALU_DEP_1)
	v_fmac_f32_e32 v190, v141, v4
	ds_load_2addr_b32 v[3:4], v2 offset0:91 offset1:92
	s_waitcnt lgkmcnt(3)
	v_fmac_f32_e32 v190, v142, v132
	s_waitcnt vmcnt(10)
	v_fmac_f32_e32 v190, v143, v133
	ds_load_2addr_b32 v[132:133], v2 offset0:93 offset1:94
	s_waitcnt lgkmcnt(3)
	v_fmac_f32_e32 v190, v144, v134
	s_delay_alu instid0(VALU_DEP_1) | instskip(SKIP_1) | instid1(VALU_DEP_1)
	v_fmac_f32_e32 v190, v145, v135
	s_waitcnt lgkmcnt(2)
	v_fmac_f32_e32 v190, v146, v136
	s_waitcnt vmcnt(9)
	s_delay_alu instid0(VALU_DEP_1) | instskip(SKIP_4) | instid1(VALU_DEP_1)
	v_fmac_f32_e32 v190, v147, v137
	ds_load_2addr_b32 v[134:135], v2 offset0:95 offset1:96
	ds_load_2addr_b32 v[136:137], v2 offset0:97 offset1:98
	s_waitcnt lgkmcnt(3)
	v_fmac_f32_e32 v190, v148, v3
	v_fmac_f32_e32 v190, v149, v4
	ds_load_2addr_b32 v[3:4], v2 offset0:99 offset1:100
	s_waitcnt lgkmcnt(3)
	v_fmac_f32_e32 v190, v150, v132
	s_waitcnt vmcnt(8)
	s_delay_alu instid0(VALU_DEP_1) | instskip(SKIP_3) | instid1(VALU_DEP_1)
	v_fmac_f32_e32 v190, v151, v133
	ds_load_2addr_b32 v[132:133], v2 offset0:101 offset1:102
	s_waitcnt lgkmcnt(3)
	v_fmac_f32_e32 v190, v152, v134
	v_fmac_f32_e32 v190, v153, v135
	s_waitcnt lgkmcnt(2)
	s_delay_alu instid0(VALU_DEP_1) | instskip(SKIP_1) | instid1(VALU_DEP_1)
	v_fmac_f32_e32 v190, v154, v136
	s_waitcnt vmcnt(7)
	v_fmac_f32_e32 v190, v155, v137
	ds_load_2addr_b32 v[134:135], v2 offset0:103 offset1:104
	ds_load_2addr_b32 v[136:137], v2 offset0:105 offset1:106
	s_waitcnt lgkmcnt(3)
	v_fmac_f32_e32 v190, v156, v3
	s_delay_alu instid0(VALU_DEP_1) | instskip(SKIP_4) | instid1(VALU_DEP_1)
	v_fmac_f32_e32 v190, v157, v4
	ds_load_2addr_b32 v[3:4], v2 offset0:107 offset1:108
	s_waitcnt lgkmcnt(3)
	v_fmac_f32_e32 v190, v158, v132
	s_waitcnt vmcnt(6)
	v_fmac_f32_e32 v190, v159, v133
	ds_load_2addr_b32 v[132:133], v2 offset0:109 offset1:110
	s_waitcnt lgkmcnt(3)
	v_fmac_f32_e32 v190, v160, v134
	s_delay_alu instid0(VALU_DEP_1) | instskip(SKIP_1) | instid1(VALU_DEP_1)
	v_fmac_f32_e32 v190, v161, v135
	s_waitcnt lgkmcnt(2)
	v_fmac_f32_e32 v190, v162, v136
	s_waitcnt vmcnt(5)
	s_delay_alu instid0(VALU_DEP_1) | instskip(SKIP_4) | instid1(VALU_DEP_1)
	v_fmac_f32_e32 v190, v163, v137
	ds_load_2addr_b32 v[134:135], v2 offset0:111 offset1:112
	ds_load_2addr_b32 v[136:137], v2 offset0:113 offset1:114
	s_waitcnt lgkmcnt(3)
	v_fmac_f32_e32 v190, v164, v3
	v_fmac_f32_e32 v190, v165, v4
	ds_load_2addr_b32 v[3:4], v2 offset0:115 offset1:116
	s_waitcnt lgkmcnt(3)
	v_fmac_f32_e32 v190, v166, v132
	s_waitcnt vmcnt(4)
	s_delay_alu instid0(VALU_DEP_1) | instskip(SKIP_3) | instid1(VALU_DEP_1)
	v_fmac_f32_e32 v190, v167, v133
	ds_load_2addr_b32 v[132:133], v2 offset0:117 offset1:118
	s_waitcnt lgkmcnt(3)
	v_fmac_f32_e32 v190, v168, v134
	v_fmac_f32_e32 v190, v169, v135
	s_waitcnt lgkmcnt(2)
	s_delay_alu instid0(VALU_DEP_1) | instskip(SKIP_1) | instid1(VALU_DEP_1)
	v_fmac_f32_e32 v190, v170, v136
	s_waitcnt vmcnt(3)
	v_fmac_f32_e32 v190, v171, v137
	ds_load_2addr_b32 v[134:135], v2 offset0:119 offset1:120
	ds_load_2addr_b32 v[136:137], v2 offset0:121 offset1:122
	s_waitcnt lgkmcnt(3)
	v_fmac_f32_e32 v190, v172, v3
	s_delay_alu instid0(VALU_DEP_1) | instskip(SKIP_4) | instid1(VALU_DEP_1)
	v_fmac_f32_e32 v190, v173, v4
	ds_load_2addr_b32 v[3:4], v2 offset0:123 offset1:124
	s_waitcnt lgkmcnt(3)
	v_fmac_f32_e32 v190, v174, v132
	s_waitcnt vmcnt(2)
	v_fmac_f32_e32 v190, v175, v133
	ds_load_2addr_b32 v[132:133], v2 offset0:125 offset1:126
	s_waitcnt lgkmcnt(3)
	v_fmac_f32_e32 v190, v176, v134
	s_delay_alu instid0(VALU_DEP_1) | instskip(SKIP_1) | instid1(VALU_DEP_1)
	v_fmac_f32_e32 v190, v177, v135
	s_waitcnt lgkmcnt(2)
	v_fmac_f32_e32 v190, v178, v136
	s_waitcnt vmcnt(1)
	s_delay_alu instid0(VALU_DEP_1) | instskip(SKIP_1) | instid1(VALU_DEP_1)
	v_fmac_f32_e32 v190, v179, v137
	s_waitcnt lgkmcnt(1)
	v_fmac_f32_e32 v190, v180, v3
	s_delay_alu instid0(VALU_DEP_1) | instskip(SKIP_1) | instid1(VALU_DEP_1)
	v_fmac_f32_e32 v190, v181, v4
	s_waitcnt lgkmcnt(0)
	v_fmac_f32_e32 v190, v182, v132
	s_waitcnt vmcnt(0)
	s_delay_alu instid0(VALU_DEP_1) | instskip(NEXT) | instid1(VALU_DEP_1)
	v_fmac_f32_e32 v190, v189, v133
	v_sub_f32_e32 v2, v131, v190
	scratch_store_b32 off, v2, off offset:40
	v_cmpx_lt_u32_e32 9, v0
	s_cbranch_execz .LBB62_367
; %bb.366:
	scratch_load_b32 v2, off, off offset:36
	v_mov_b32_e32 v3, 0
	scratch_store_b32 off, v3, off offset:36
	s_waitcnt vmcnt(0)
	ds_store_b32 v1, v2
.LBB62_367:
	s_or_b32 exec_lo, exec_lo, s0
	s_waitcnt lgkmcnt(0)
	s_waitcnt_vscnt null, 0x0
	s_barrier
	buffer_gl0_inv
	s_clause 0xd
	scratch_load_b128 v[131:134], off, off offset:36
	scratch_load_b128 v[135:138], off, off offset:52
	;; [unrolled: 1-line block ×13, first 2 shown]
	scratch_load_b64 v[3:4], off, off offset:244
	v_mov_b32_e32 v2, 0
	ds_load_2addr_b64 v[183:186], v2 offset0:37 offset1:38
	ds_load_2addr_b64 v[187:190], v2 offset0:39 offset1:40
	s_mov_b32 s0, exec_lo
	s_waitcnt vmcnt(13) lgkmcnt(1)
	v_fma_f32 v183, v132, v183, 0
	s_delay_alu instid0(VALU_DEP_1) | instskip(NEXT) | instid1(VALU_DEP_1)
	v_fmac_f32_e32 v183, v133, v184
	v_fmac_f32_e32 v183, v134, v185
	s_waitcnt vmcnt(12)
	s_delay_alu instid0(VALU_DEP_1) | instskip(SKIP_3) | instid1(VALU_DEP_1)
	v_fmac_f32_e32 v183, v135, v186
	ds_load_2addr_b64 v[132:135], v2 offset0:41 offset1:42
	s_waitcnt lgkmcnt(1)
	v_fmac_f32_e32 v183, v136, v187
	v_fmac_f32_e32 v183, v137, v188
	s_delay_alu instid0(VALU_DEP_1) | instskip(SKIP_1) | instid1(VALU_DEP_1)
	v_fmac_f32_e32 v183, v138, v189
	s_waitcnt vmcnt(11)
	v_fmac_f32_e32 v183, v139, v190
	ds_load_2addr_b64 v[136:139], v2 offset0:43 offset1:44
	s_waitcnt lgkmcnt(1)
	v_fmac_f32_e32 v183, v140, v132
	s_delay_alu instid0(VALU_DEP_1) | instskip(NEXT) | instid1(VALU_DEP_1)
	v_fmac_f32_e32 v183, v141, v133
	v_fmac_f32_e32 v183, v142, v134
	s_waitcnt vmcnt(10)
	s_delay_alu instid0(VALU_DEP_1) | instskip(SKIP_3) | instid1(VALU_DEP_1)
	v_fmac_f32_e32 v183, v143, v135
	ds_load_2addr_b64 v[132:135], v2 offset0:45 offset1:46
	s_waitcnt lgkmcnt(1)
	v_fmac_f32_e32 v183, v144, v136
	v_fmac_f32_e32 v183, v145, v137
	s_delay_alu instid0(VALU_DEP_1) | instskip(SKIP_1) | instid1(VALU_DEP_1)
	v_fmac_f32_e32 v183, v146, v138
	s_waitcnt vmcnt(9)
	v_fmac_f32_e32 v183, v147, v139
	ds_load_2addr_b64 v[136:139], v2 offset0:47 offset1:48
	s_waitcnt lgkmcnt(1)
	v_fmac_f32_e32 v183, v148, v132
	;; [unrolled: 17-line block ×5, first 2 shown]
	s_delay_alu instid0(VALU_DEP_1) | instskip(NEXT) | instid1(VALU_DEP_1)
	v_fmac_f32_e32 v183, v173, v133
	v_fmac_f32_e32 v183, v174, v134
	s_waitcnt vmcnt(2)
	s_delay_alu instid0(VALU_DEP_1)
	v_fmac_f32_e32 v183, v175, v135
	ds_load_2addr_b64 v[132:135], v2 offset0:61 offset1:62
	s_waitcnt lgkmcnt(1)
	v_fmac_f32_e32 v183, v176, v136
	ds_load_b32 v136, v2 offset:504
	v_fmac_f32_e32 v183, v177, v137
	s_delay_alu instid0(VALU_DEP_1) | instskip(SKIP_1) | instid1(VALU_DEP_1)
	v_fmac_f32_e32 v183, v178, v138
	s_waitcnt vmcnt(1)
	v_fmac_f32_e32 v183, v179, v139
	s_waitcnt lgkmcnt(1)
	s_delay_alu instid0(VALU_DEP_1) | instskip(NEXT) | instid1(VALU_DEP_1)
	v_fmac_f32_e32 v183, v180, v132
	v_fmac_f32_e32 v183, v181, v133
	s_delay_alu instid0(VALU_DEP_1) | instskip(SKIP_1) | instid1(VALU_DEP_1)
	v_fmac_f32_e32 v183, v182, v134
	s_waitcnt vmcnt(0)
	v_fmac_f32_e32 v183, v3, v135
	s_waitcnt lgkmcnt(0)
	s_delay_alu instid0(VALU_DEP_1) | instskip(NEXT) | instid1(VALU_DEP_1)
	v_fmac_f32_e32 v183, v4, v136
	v_sub_f32_e32 v3, v131, v183
	scratch_store_b32 off, v3, off offset:36
	v_cmpx_lt_u32_e32 8, v0
	s_cbranch_execz .LBB62_369
; %bb.368:
	scratch_load_b32 v3, off, off offset:32
	scratch_store_b32 off, v2, off offset:32
	s_waitcnt vmcnt(0)
	ds_store_b32 v1, v3
.LBB62_369:
	s_or_b32 exec_lo, exec_lo, s0
	s_waitcnt lgkmcnt(0)
	s_waitcnt_vscnt null, 0x0
	s_barrier
	buffer_gl0_inv
	s_clause 0xd
	scratch_load_b128 v[131:134], off, off offset:32
	scratch_load_b128 v[135:138], off, off offset:48
	;; [unrolled: 1-line block ×13, first 2 shown]
	scratch_load_b96 v[183:185], off, off offset:240
	ds_load_2addr_b32 v[3:4], v2 offset0:73 offset1:74
	ds_load_2addr_b32 v[186:187], v2 offset0:75 offset1:76
	;; [unrolled: 1-line block ×3, first 2 shown]
	s_mov_b32 s0, exec_lo
	s_waitcnt vmcnt(13) lgkmcnt(2)
	v_fma_f32 v190, v132, v3, 0
	s_delay_alu instid0(VALU_DEP_1)
	v_fmac_f32_e32 v190, v133, v4
	ds_load_2addr_b32 v[3:4], v2 offset0:79 offset1:80
	ds_load_2addr_b32 v[132:133], v2 offset0:81 offset1:82
	s_waitcnt lgkmcnt(3)
	v_fmac_f32_e32 v190, v134, v186
	s_waitcnt vmcnt(12)
	s_delay_alu instid0(VALU_DEP_1) | instskip(SKIP_3) | instid1(VALU_DEP_1)
	v_fmac_f32_e32 v190, v135, v187
	ds_load_2addr_b32 v[134:135], v2 offset0:83 offset1:84
	s_waitcnt lgkmcnt(3)
	v_fmac_f32_e32 v190, v136, v188
	v_fmac_f32_e32 v190, v137, v189
	s_waitcnt lgkmcnt(2)
	s_delay_alu instid0(VALU_DEP_1) | instskip(SKIP_1) | instid1(VALU_DEP_1)
	v_fmac_f32_e32 v190, v138, v3
	s_waitcnt vmcnt(11)
	v_fmac_f32_e32 v190, v139, v4
	ds_load_2addr_b32 v[3:4], v2 offset0:85 offset1:86
	s_waitcnt lgkmcnt(2)
	v_fmac_f32_e32 v190, v140, v132
	s_delay_alu instid0(VALU_DEP_1) | instskip(SKIP_4) | instid1(VALU_DEP_1)
	v_fmac_f32_e32 v190, v141, v133
	ds_load_2addr_b32 v[132:133], v2 offset0:87 offset1:88
	s_waitcnt lgkmcnt(2)
	v_fmac_f32_e32 v190, v142, v134
	s_waitcnt vmcnt(10)
	v_fmac_f32_e32 v190, v143, v135
	ds_load_2addr_b32 v[134:135], v2 offset0:89 offset1:90
	s_waitcnt lgkmcnt(2)
	v_fmac_f32_e32 v190, v144, v3
	s_delay_alu instid0(VALU_DEP_1) | instskip(SKIP_4) | instid1(VALU_DEP_1)
	v_fmac_f32_e32 v190, v145, v4
	ds_load_2addr_b32 v[3:4], v2 offset0:91 offset1:92
	s_waitcnt lgkmcnt(2)
	;; [unrolled: 10-line block ×10, first 2 shown]
	v_fmac_f32_e32 v190, v178, v134
	s_waitcnt vmcnt(1)
	v_fmac_f32_e32 v190, v179, v135
	ds_load_2addr_b32 v[134:135], v2 offset0:125 offset1:126
	s_waitcnt lgkmcnt(2)
	v_fmac_f32_e32 v190, v180, v3
	s_delay_alu instid0(VALU_DEP_1) | instskip(SKIP_1) | instid1(VALU_DEP_1)
	v_fmac_f32_e32 v190, v181, v4
	s_waitcnt lgkmcnt(1)
	v_fmac_f32_e32 v190, v182, v132
	s_waitcnt vmcnt(0)
	s_delay_alu instid0(VALU_DEP_1) | instskip(SKIP_1) | instid1(VALU_DEP_1)
	v_fmac_f32_e32 v190, v183, v133
	s_waitcnt lgkmcnt(0)
	v_fmac_f32_e32 v190, v184, v134
	s_delay_alu instid0(VALU_DEP_1) | instskip(NEXT) | instid1(VALU_DEP_1)
	v_fmac_f32_e32 v190, v185, v135
	v_sub_f32_e32 v2, v131, v190
	scratch_store_b32 off, v2, off offset:32
	v_cmpx_lt_u32_e32 7, v0
	s_cbranch_execz .LBB62_371
; %bb.370:
	scratch_load_b32 v2, off, off offset:28
	v_mov_b32_e32 v3, 0
	scratch_store_b32 off, v3, off offset:28
	s_waitcnt vmcnt(0)
	ds_store_b32 v1, v2
.LBB62_371:
	s_or_b32 exec_lo, exec_lo, s0
	s_waitcnt lgkmcnt(0)
	s_waitcnt_vscnt null, 0x0
	s_barrier
	buffer_gl0_inv
	s_clause 0xd
	scratch_load_b128 v[131:134], off, off offset:28
	scratch_load_b128 v[135:138], off, off offset:44
	;; [unrolled: 1-line block ×14, first 2 shown]
	v_mov_b32_e32 v2, 0
	ds_load_b128 v[187:190], v2 offset:288
	ds_load_b128 v[191:194], v2 offset:304
	s_mov_b32 s0, exec_lo
	s_waitcnt vmcnt(13) lgkmcnt(1)
	v_fma_f32 v3, v132, v187, 0
	s_delay_alu instid0(VALU_DEP_1) | instskip(NEXT) | instid1(VALU_DEP_1)
	v_fmac_f32_e32 v3, v133, v188
	v_fmac_f32_e32 v3, v134, v189
	s_waitcnt vmcnt(12)
	s_delay_alu instid0(VALU_DEP_1) | instskip(SKIP_3) | instid1(VALU_DEP_1)
	v_fmac_f32_e32 v3, v135, v190
	ds_load_b128 v[132:135], v2 offset:320
	s_waitcnt lgkmcnt(1)
	v_fmac_f32_e32 v3, v136, v191
	v_fmac_f32_e32 v3, v137, v192
	s_delay_alu instid0(VALU_DEP_1) | instskip(SKIP_1) | instid1(VALU_DEP_1)
	v_fmac_f32_e32 v3, v138, v193
	s_waitcnt vmcnt(11)
	v_fmac_f32_e32 v3, v139, v194
	ds_load_b128 v[136:139], v2 offset:336
	s_waitcnt lgkmcnt(1)
	v_fmac_f32_e32 v3, v140, v132
	s_delay_alu instid0(VALU_DEP_1) | instskip(NEXT) | instid1(VALU_DEP_1)
	v_fmac_f32_e32 v3, v141, v133
	v_fmac_f32_e32 v3, v142, v134
	s_waitcnt vmcnt(10)
	s_delay_alu instid0(VALU_DEP_1) | instskip(SKIP_3) | instid1(VALU_DEP_1)
	v_fmac_f32_e32 v3, v143, v135
	ds_load_b128 v[132:135], v2 offset:352
	s_waitcnt lgkmcnt(1)
	v_fmac_f32_e32 v3, v144, v136
	v_fmac_f32_e32 v3, v145, v137
	s_delay_alu instid0(VALU_DEP_1) | instskip(SKIP_1) | instid1(VALU_DEP_1)
	v_fmac_f32_e32 v3, v146, v138
	s_waitcnt vmcnt(9)
	v_fmac_f32_e32 v3, v147, v139
	ds_load_b128 v[136:139], v2 offset:368
	s_waitcnt lgkmcnt(1)
	v_fmac_f32_e32 v3, v148, v132
	;; [unrolled: 17-line block ×5, first 2 shown]
	s_delay_alu instid0(VALU_DEP_1) | instskip(NEXT) | instid1(VALU_DEP_1)
	v_fmac_f32_e32 v3, v173, v133
	v_fmac_f32_e32 v3, v174, v134
	s_waitcnt vmcnt(2)
	s_delay_alu instid0(VALU_DEP_1) | instskip(SKIP_3) | instid1(VALU_DEP_1)
	v_fmac_f32_e32 v3, v175, v135
	ds_load_b128 v[132:135], v2 offset:480
	s_waitcnt lgkmcnt(1)
	v_fmac_f32_e32 v3, v176, v136
	v_fmac_f32_e32 v3, v177, v137
	s_delay_alu instid0(VALU_DEP_1) | instskip(SKIP_4) | instid1(VALU_DEP_1)
	v_fmac_f32_e32 v3, v178, v138
	ds_load_b96 v[136:138], v2 offset:496
	s_waitcnt vmcnt(1)
	v_fmac_f32_e32 v3, v179, v139
	s_waitcnt lgkmcnt(1)
	v_fmac_f32_e32 v3, v180, v132
	s_delay_alu instid0(VALU_DEP_1) | instskip(NEXT) | instid1(VALU_DEP_1)
	v_fmac_f32_e32 v3, v181, v133
	v_fmac_f32_e32 v3, v182, v134
	s_waitcnt vmcnt(0)
	s_delay_alu instid0(VALU_DEP_1) | instskip(SKIP_1) | instid1(VALU_DEP_1)
	v_fmac_f32_e32 v3, v183, v135
	s_waitcnt lgkmcnt(0)
	v_fmac_f32_e32 v3, v184, v136
	s_delay_alu instid0(VALU_DEP_1) | instskip(NEXT) | instid1(VALU_DEP_1)
	v_fmac_f32_e32 v3, v185, v137
	v_fmac_f32_e32 v3, v186, v138
	s_delay_alu instid0(VALU_DEP_1)
	v_sub_f32_e32 v3, v131, v3
	scratch_store_b32 off, v3, off offset:28
	v_cmpx_lt_u32_e32 6, v0
	s_cbranch_execz .LBB62_373
; %bb.372:
	scratch_load_b32 v3, off, off offset:24
	scratch_store_b32 off, v2, off offset:24
	s_waitcnt vmcnt(0)
	ds_store_b32 v1, v3
.LBB62_373:
	s_or_b32 exec_lo, exec_lo, s0
	s_waitcnt lgkmcnt(0)
	s_waitcnt_vscnt null, 0x0
	s_barrier
	buffer_gl0_inv
	s_clause 0xe
	scratch_load_b128 v[131:134], off, off offset:24
	scratch_load_b128 v[135:138], off, off offset:40
	;; [unrolled: 1-line block ×14, first 2 shown]
	scratch_load_b32 v193, off, off offset:248
	ds_load_2addr_b32 v[3:4], v2 offset0:71 offset1:72
	ds_load_2addr_b32 v[187:188], v2 offset0:73 offset1:74
	;; [unrolled: 1-line block ×4, first 2 shown]
	s_mov_b32 s0, exec_lo
	s_waitcnt vmcnt(14) lgkmcnt(3)
	v_fma_f32 v194, v132, v3, 0
	s_delay_alu instid0(VALU_DEP_1)
	v_fmac_f32_e32 v194, v133, v4
	ds_load_2addr_b32 v[3:4], v2 offset0:79 offset1:80
	ds_load_2addr_b32 v[132:133], v2 offset0:81 offset1:82
	s_waitcnt lgkmcnt(4)
	v_fmac_f32_e32 v194, v134, v187
	s_waitcnt vmcnt(13)
	s_delay_alu instid0(VALU_DEP_1) | instskip(SKIP_1) | instid1(VALU_DEP_1)
	v_fmac_f32_e32 v194, v135, v188
	s_waitcnt lgkmcnt(3)
	v_fmac_f32_e32 v194, v136, v189
	s_delay_alu instid0(VALU_DEP_1)
	v_fmac_f32_e32 v194, v137, v190
	ds_load_2addr_b32 v[134:135], v2 offset0:83 offset1:84
	ds_load_2addr_b32 v[136:137], v2 offset0:85 offset1:86
	s_waitcnt lgkmcnt(4)
	v_fmac_f32_e32 v194, v138, v191
	s_waitcnt vmcnt(12)
	s_delay_alu instid0(VALU_DEP_1) | instskip(SKIP_1) | instid1(VALU_DEP_1)
	v_fmac_f32_e32 v194, v139, v192
	s_waitcnt lgkmcnt(3)
	v_fmac_f32_e32 v194, v140, v3
	s_delay_alu instid0(VALU_DEP_1) | instskip(SKIP_4) | instid1(VALU_DEP_1)
	v_fmac_f32_e32 v194, v141, v4
	ds_load_2addr_b32 v[3:4], v2 offset0:87 offset1:88
	s_waitcnt lgkmcnt(3)
	v_fmac_f32_e32 v194, v142, v132
	s_waitcnt vmcnt(11)
	v_fmac_f32_e32 v194, v143, v133
	ds_load_2addr_b32 v[132:133], v2 offset0:89 offset1:90
	s_waitcnt lgkmcnt(3)
	v_fmac_f32_e32 v194, v144, v134
	s_delay_alu instid0(VALU_DEP_1) | instskip(SKIP_1) | instid1(VALU_DEP_1)
	v_fmac_f32_e32 v194, v145, v135
	s_waitcnt lgkmcnt(2)
	v_fmac_f32_e32 v194, v146, v136
	s_waitcnt vmcnt(10)
	s_delay_alu instid0(VALU_DEP_1) | instskip(SKIP_4) | instid1(VALU_DEP_1)
	v_fmac_f32_e32 v194, v147, v137
	ds_load_2addr_b32 v[134:135], v2 offset0:91 offset1:92
	ds_load_2addr_b32 v[136:137], v2 offset0:93 offset1:94
	s_waitcnt lgkmcnt(3)
	v_fmac_f32_e32 v194, v148, v3
	v_fmac_f32_e32 v194, v149, v4
	ds_load_2addr_b32 v[3:4], v2 offset0:95 offset1:96
	s_waitcnt lgkmcnt(3)
	v_fmac_f32_e32 v194, v150, v132
	s_waitcnt vmcnt(9)
	s_delay_alu instid0(VALU_DEP_1) | instskip(SKIP_3) | instid1(VALU_DEP_1)
	v_fmac_f32_e32 v194, v151, v133
	ds_load_2addr_b32 v[132:133], v2 offset0:97 offset1:98
	s_waitcnt lgkmcnt(3)
	v_fmac_f32_e32 v194, v152, v134
	v_fmac_f32_e32 v194, v153, v135
	s_waitcnt lgkmcnt(2)
	s_delay_alu instid0(VALU_DEP_1) | instskip(SKIP_1) | instid1(VALU_DEP_1)
	v_fmac_f32_e32 v194, v154, v136
	s_waitcnt vmcnt(8)
	v_fmac_f32_e32 v194, v155, v137
	ds_load_2addr_b32 v[134:135], v2 offset0:99 offset1:100
	ds_load_2addr_b32 v[136:137], v2 offset0:101 offset1:102
	s_waitcnt lgkmcnt(3)
	v_fmac_f32_e32 v194, v156, v3
	s_delay_alu instid0(VALU_DEP_1) | instskip(SKIP_4) | instid1(VALU_DEP_1)
	v_fmac_f32_e32 v194, v157, v4
	ds_load_2addr_b32 v[3:4], v2 offset0:103 offset1:104
	s_waitcnt lgkmcnt(3)
	v_fmac_f32_e32 v194, v158, v132
	s_waitcnt vmcnt(7)
	v_fmac_f32_e32 v194, v159, v133
	ds_load_2addr_b32 v[132:133], v2 offset0:105 offset1:106
	s_waitcnt lgkmcnt(3)
	v_fmac_f32_e32 v194, v160, v134
	s_delay_alu instid0(VALU_DEP_1) | instskip(SKIP_1) | instid1(VALU_DEP_1)
	v_fmac_f32_e32 v194, v161, v135
	s_waitcnt lgkmcnt(2)
	v_fmac_f32_e32 v194, v162, v136
	s_waitcnt vmcnt(6)
	s_delay_alu instid0(VALU_DEP_1) | instskip(SKIP_4) | instid1(VALU_DEP_1)
	v_fmac_f32_e32 v194, v163, v137
	ds_load_2addr_b32 v[134:135], v2 offset0:107 offset1:108
	ds_load_2addr_b32 v[136:137], v2 offset0:109 offset1:110
	s_waitcnt lgkmcnt(3)
	v_fmac_f32_e32 v194, v164, v3
	v_fmac_f32_e32 v194, v165, v4
	ds_load_2addr_b32 v[3:4], v2 offset0:111 offset1:112
	s_waitcnt lgkmcnt(3)
	v_fmac_f32_e32 v194, v166, v132
	s_waitcnt vmcnt(5)
	s_delay_alu instid0(VALU_DEP_1) | instskip(SKIP_3) | instid1(VALU_DEP_1)
	v_fmac_f32_e32 v194, v167, v133
	ds_load_2addr_b32 v[132:133], v2 offset0:113 offset1:114
	s_waitcnt lgkmcnt(3)
	v_fmac_f32_e32 v194, v168, v134
	v_fmac_f32_e32 v194, v169, v135
	s_waitcnt lgkmcnt(2)
	s_delay_alu instid0(VALU_DEP_1) | instskip(SKIP_1) | instid1(VALU_DEP_1)
	v_fmac_f32_e32 v194, v170, v136
	s_waitcnt vmcnt(4)
	v_fmac_f32_e32 v194, v171, v137
	ds_load_2addr_b32 v[134:135], v2 offset0:115 offset1:116
	ds_load_2addr_b32 v[136:137], v2 offset0:117 offset1:118
	s_waitcnt lgkmcnt(3)
	v_fmac_f32_e32 v194, v172, v3
	s_delay_alu instid0(VALU_DEP_1) | instskip(SKIP_4) | instid1(VALU_DEP_1)
	v_fmac_f32_e32 v194, v173, v4
	ds_load_2addr_b32 v[3:4], v2 offset0:119 offset1:120
	s_waitcnt lgkmcnt(3)
	v_fmac_f32_e32 v194, v174, v132
	s_waitcnt vmcnt(3)
	v_fmac_f32_e32 v194, v175, v133
	ds_load_2addr_b32 v[132:133], v2 offset0:121 offset1:122
	s_waitcnt lgkmcnt(3)
	v_fmac_f32_e32 v194, v176, v134
	s_delay_alu instid0(VALU_DEP_1) | instskip(SKIP_1) | instid1(VALU_DEP_1)
	v_fmac_f32_e32 v194, v177, v135
	s_waitcnt lgkmcnt(2)
	v_fmac_f32_e32 v194, v178, v136
	s_waitcnt vmcnt(2)
	s_delay_alu instid0(VALU_DEP_1) | instskip(SKIP_4) | instid1(VALU_DEP_1)
	v_fmac_f32_e32 v194, v179, v137
	ds_load_2addr_b32 v[134:135], v2 offset0:123 offset1:124
	ds_load_2addr_b32 v[136:137], v2 offset0:125 offset1:126
	s_waitcnt lgkmcnt(3)
	v_fmac_f32_e32 v194, v180, v3
	v_fmac_f32_e32 v194, v181, v4
	s_waitcnt lgkmcnt(2)
	s_delay_alu instid0(VALU_DEP_1) | instskip(SKIP_1) | instid1(VALU_DEP_1)
	v_fmac_f32_e32 v194, v182, v132
	s_waitcnt vmcnt(1)
	v_fmac_f32_e32 v194, v183, v133
	s_waitcnt lgkmcnt(1)
	s_delay_alu instid0(VALU_DEP_1) | instskip(NEXT) | instid1(VALU_DEP_1)
	v_fmac_f32_e32 v194, v184, v134
	v_fmac_f32_e32 v194, v185, v135
	s_waitcnt lgkmcnt(0)
	s_delay_alu instid0(VALU_DEP_1) | instskip(SKIP_1) | instid1(VALU_DEP_1)
	v_fmac_f32_e32 v194, v186, v136
	s_waitcnt vmcnt(0)
	v_fmac_f32_e32 v194, v193, v137
	s_delay_alu instid0(VALU_DEP_1)
	v_sub_f32_e32 v2, v131, v194
	scratch_store_b32 off, v2, off offset:24
	v_cmpx_lt_u32_e32 5, v0
	s_cbranch_execz .LBB62_375
; %bb.374:
	scratch_load_b32 v2, off, off offset:20
	v_mov_b32_e32 v3, 0
	scratch_store_b32 off, v3, off offset:20
	s_waitcnt vmcnt(0)
	ds_store_b32 v1, v2
.LBB62_375:
	s_or_b32 exec_lo, exec_lo, s0
	s_waitcnt lgkmcnt(0)
	s_waitcnt_vscnt null, 0x0
	s_barrier
	buffer_gl0_inv
	s_clause 0xe
	scratch_load_b128 v[131:134], off, off offset:20
	scratch_load_b128 v[135:138], off, off offset:36
	;; [unrolled: 1-line block ×14, first 2 shown]
	scratch_load_b64 v[3:4], off, off offset:244
	v_mov_b32_e32 v2, 0
	ds_load_2addr_b64 v[187:190], v2 offset0:35 offset1:36
	ds_load_2addr_b64 v[191:194], v2 offset0:37 offset1:38
	s_mov_b32 s0, exec_lo
	s_waitcnt vmcnt(14) lgkmcnt(1)
	v_fma_f32 v187, v132, v187, 0
	s_delay_alu instid0(VALU_DEP_1) | instskip(NEXT) | instid1(VALU_DEP_1)
	v_fmac_f32_e32 v187, v133, v188
	v_fmac_f32_e32 v187, v134, v189
	s_waitcnt vmcnt(13)
	s_delay_alu instid0(VALU_DEP_1) | instskip(SKIP_3) | instid1(VALU_DEP_1)
	v_fmac_f32_e32 v187, v135, v190
	ds_load_2addr_b64 v[132:135], v2 offset0:39 offset1:40
	s_waitcnt lgkmcnt(1)
	v_fmac_f32_e32 v187, v136, v191
	v_fmac_f32_e32 v187, v137, v192
	s_delay_alu instid0(VALU_DEP_1) | instskip(SKIP_1) | instid1(VALU_DEP_1)
	v_fmac_f32_e32 v187, v138, v193
	s_waitcnt vmcnt(12)
	v_fmac_f32_e32 v187, v139, v194
	ds_load_2addr_b64 v[136:139], v2 offset0:41 offset1:42
	s_waitcnt lgkmcnt(1)
	v_fmac_f32_e32 v187, v140, v132
	s_delay_alu instid0(VALU_DEP_1) | instskip(NEXT) | instid1(VALU_DEP_1)
	v_fmac_f32_e32 v187, v141, v133
	v_fmac_f32_e32 v187, v142, v134
	s_waitcnt vmcnt(11)
	s_delay_alu instid0(VALU_DEP_1) | instskip(SKIP_3) | instid1(VALU_DEP_1)
	v_fmac_f32_e32 v187, v143, v135
	ds_load_2addr_b64 v[132:135], v2 offset0:43 offset1:44
	s_waitcnt lgkmcnt(1)
	v_fmac_f32_e32 v187, v144, v136
	v_fmac_f32_e32 v187, v145, v137
	s_delay_alu instid0(VALU_DEP_1) | instskip(SKIP_1) | instid1(VALU_DEP_1)
	v_fmac_f32_e32 v187, v146, v138
	s_waitcnt vmcnt(10)
	v_fmac_f32_e32 v187, v147, v139
	ds_load_2addr_b64 v[136:139], v2 offset0:45 offset1:46
	s_waitcnt lgkmcnt(1)
	v_fmac_f32_e32 v187, v148, v132
	;; [unrolled: 17-line block ×6, first 2 shown]
	ds_load_b32 v132, v2 offset:504
	v_fmac_f32_e32 v187, v181, v133
	s_delay_alu instid0(VALU_DEP_1) | instskip(SKIP_1) | instid1(VALU_DEP_1)
	v_fmac_f32_e32 v187, v182, v134
	s_waitcnt vmcnt(1)
	v_fmac_f32_e32 v187, v183, v135
	s_waitcnt lgkmcnt(1)
	s_delay_alu instid0(VALU_DEP_1) | instskip(NEXT) | instid1(VALU_DEP_1)
	v_fmac_f32_e32 v187, v184, v136
	v_fmac_f32_e32 v187, v185, v137
	s_delay_alu instid0(VALU_DEP_1) | instskip(SKIP_1) | instid1(VALU_DEP_1)
	v_fmac_f32_e32 v187, v186, v138
	s_waitcnt vmcnt(0)
	v_fmac_f32_e32 v187, v3, v139
	s_waitcnt lgkmcnt(0)
	s_delay_alu instid0(VALU_DEP_1) | instskip(NEXT) | instid1(VALU_DEP_1)
	v_fmac_f32_e32 v187, v4, v132
	v_sub_f32_e32 v3, v131, v187
	scratch_store_b32 off, v3, off offset:20
	v_cmpx_lt_u32_e32 4, v0
	s_cbranch_execz .LBB62_377
; %bb.376:
	scratch_load_b32 v3, off, off offset:16
	scratch_store_b32 off, v2, off offset:16
	s_waitcnt vmcnt(0)
	ds_store_b32 v1, v3
.LBB62_377:
	s_or_b32 exec_lo, exec_lo, s0
	s_waitcnt lgkmcnt(0)
	s_waitcnt_vscnt null, 0x0
	s_barrier
	buffer_gl0_inv
	s_clause 0xe
	scratch_load_b128 v[131:134], off, off offset:16
	scratch_load_b128 v[135:138], off, off offset:32
	;; [unrolled: 1-line block ×14, first 2 shown]
	scratch_load_b96 v[187:189], off, off offset:240
	ds_load_2addr_b32 v[3:4], v2 offset0:69 offset1:70
	ds_load_2addr_b32 v[190:191], v2 offset0:71 offset1:72
	;; [unrolled: 1-line block ×4, first 2 shown]
	s_mov_b32 s0, exec_lo
	s_waitcnt vmcnt(14) lgkmcnt(3)
	v_fma_f32 v196, v132, v3, 0
	s_delay_alu instid0(VALU_DEP_1)
	v_fmac_f32_e32 v196, v133, v4
	ds_load_2addr_b32 v[3:4], v2 offset0:77 offset1:78
	ds_load_2addr_b32 v[132:133], v2 offset0:79 offset1:80
	s_waitcnt lgkmcnt(4)
	v_fmac_f32_e32 v196, v134, v190
	s_waitcnt vmcnt(13)
	s_delay_alu instid0(VALU_DEP_1) | instskip(SKIP_1) | instid1(VALU_DEP_1)
	v_fmac_f32_e32 v196, v135, v191
	s_waitcnt lgkmcnt(3)
	v_fmac_f32_e32 v196, v136, v192
	s_delay_alu instid0(VALU_DEP_1)
	v_fmac_f32_e32 v196, v137, v193
	ds_load_2addr_b32 v[134:135], v2 offset0:81 offset1:82
	ds_load_2addr_b32 v[136:137], v2 offset0:83 offset1:84
	s_waitcnt lgkmcnt(4)
	v_fmac_f32_e32 v196, v138, v194
	s_waitcnt vmcnt(12)
	s_delay_alu instid0(VALU_DEP_1) | instskip(SKIP_1) | instid1(VALU_DEP_1)
	v_fmac_f32_e32 v196, v139, v195
	s_waitcnt lgkmcnt(3)
	v_fmac_f32_e32 v196, v140, v3
	s_delay_alu instid0(VALU_DEP_1) | instskip(SKIP_4) | instid1(VALU_DEP_1)
	v_fmac_f32_e32 v196, v141, v4
	ds_load_2addr_b32 v[3:4], v2 offset0:85 offset1:86
	s_waitcnt lgkmcnt(3)
	v_fmac_f32_e32 v196, v142, v132
	s_waitcnt vmcnt(11)
	v_fmac_f32_e32 v196, v143, v133
	ds_load_2addr_b32 v[132:133], v2 offset0:87 offset1:88
	s_waitcnt lgkmcnt(3)
	v_fmac_f32_e32 v196, v144, v134
	s_delay_alu instid0(VALU_DEP_1) | instskip(SKIP_1) | instid1(VALU_DEP_1)
	v_fmac_f32_e32 v196, v145, v135
	s_waitcnt lgkmcnt(2)
	v_fmac_f32_e32 v196, v146, v136
	s_waitcnt vmcnt(10)
	s_delay_alu instid0(VALU_DEP_1) | instskip(SKIP_4) | instid1(VALU_DEP_1)
	v_fmac_f32_e32 v196, v147, v137
	ds_load_2addr_b32 v[134:135], v2 offset0:89 offset1:90
	ds_load_2addr_b32 v[136:137], v2 offset0:91 offset1:92
	s_waitcnt lgkmcnt(3)
	v_fmac_f32_e32 v196, v148, v3
	v_fmac_f32_e32 v196, v149, v4
	ds_load_2addr_b32 v[3:4], v2 offset0:93 offset1:94
	s_waitcnt lgkmcnt(3)
	v_fmac_f32_e32 v196, v150, v132
	s_waitcnt vmcnt(9)
	s_delay_alu instid0(VALU_DEP_1) | instskip(SKIP_3) | instid1(VALU_DEP_1)
	v_fmac_f32_e32 v196, v151, v133
	ds_load_2addr_b32 v[132:133], v2 offset0:95 offset1:96
	s_waitcnt lgkmcnt(3)
	v_fmac_f32_e32 v196, v152, v134
	v_fmac_f32_e32 v196, v153, v135
	s_waitcnt lgkmcnt(2)
	s_delay_alu instid0(VALU_DEP_1) | instskip(SKIP_1) | instid1(VALU_DEP_1)
	v_fmac_f32_e32 v196, v154, v136
	s_waitcnt vmcnt(8)
	v_fmac_f32_e32 v196, v155, v137
	ds_load_2addr_b32 v[134:135], v2 offset0:97 offset1:98
	ds_load_2addr_b32 v[136:137], v2 offset0:99 offset1:100
	s_waitcnt lgkmcnt(3)
	v_fmac_f32_e32 v196, v156, v3
	s_delay_alu instid0(VALU_DEP_1) | instskip(SKIP_4) | instid1(VALU_DEP_1)
	v_fmac_f32_e32 v196, v157, v4
	ds_load_2addr_b32 v[3:4], v2 offset0:101 offset1:102
	s_waitcnt lgkmcnt(3)
	v_fmac_f32_e32 v196, v158, v132
	s_waitcnt vmcnt(7)
	v_fmac_f32_e32 v196, v159, v133
	ds_load_2addr_b32 v[132:133], v2 offset0:103 offset1:104
	s_waitcnt lgkmcnt(3)
	v_fmac_f32_e32 v196, v160, v134
	s_delay_alu instid0(VALU_DEP_1) | instskip(SKIP_1) | instid1(VALU_DEP_1)
	v_fmac_f32_e32 v196, v161, v135
	s_waitcnt lgkmcnt(2)
	v_fmac_f32_e32 v196, v162, v136
	s_waitcnt vmcnt(6)
	s_delay_alu instid0(VALU_DEP_1) | instskip(SKIP_4) | instid1(VALU_DEP_1)
	v_fmac_f32_e32 v196, v163, v137
	ds_load_2addr_b32 v[134:135], v2 offset0:105 offset1:106
	ds_load_2addr_b32 v[136:137], v2 offset0:107 offset1:108
	s_waitcnt lgkmcnt(3)
	v_fmac_f32_e32 v196, v164, v3
	v_fmac_f32_e32 v196, v165, v4
	ds_load_2addr_b32 v[3:4], v2 offset0:109 offset1:110
	s_waitcnt lgkmcnt(3)
	v_fmac_f32_e32 v196, v166, v132
	s_waitcnt vmcnt(5)
	s_delay_alu instid0(VALU_DEP_1) | instskip(SKIP_3) | instid1(VALU_DEP_1)
	v_fmac_f32_e32 v196, v167, v133
	ds_load_2addr_b32 v[132:133], v2 offset0:111 offset1:112
	s_waitcnt lgkmcnt(3)
	v_fmac_f32_e32 v196, v168, v134
	v_fmac_f32_e32 v196, v169, v135
	s_waitcnt lgkmcnt(2)
	s_delay_alu instid0(VALU_DEP_1) | instskip(SKIP_1) | instid1(VALU_DEP_1)
	v_fmac_f32_e32 v196, v170, v136
	s_waitcnt vmcnt(4)
	v_fmac_f32_e32 v196, v171, v137
	ds_load_2addr_b32 v[134:135], v2 offset0:113 offset1:114
	ds_load_2addr_b32 v[136:137], v2 offset0:115 offset1:116
	s_waitcnt lgkmcnt(3)
	v_fmac_f32_e32 v196, v172, v3
	s_delay_alu instid0(VALU_DEP_1) | instskip(SKIP_4) | instid1(VALU_DEP_1)
	v_fmac_f32_e32 v196, v173, v4
	ds_load_2addr_b32 v[3:4], v2 offset0:117 offset1:118
	s_waitcnt lgkmcnt(3)
	v_fmac_f32_e32 v196, v174, v132
	s_waitcnt vmcnt(3)
	v_fmac_f32_e32 v196, v175, v133
	ds_load_2addr_b32 v[132:133], v2 offset0:119 offset1:120
	s_waitcnt lgkmcnt(3)
	v_fmac_f32_e32 v196, v176, v134
	s_delay_alu instid0(VALU_DEP_1) | instskip(SKIP_1) | instid1(VALU_DEP_1)
	v_fmac_f32_e32 v196, v177, v135
	s_waitcnt lgkmcnt(2)
	v_fmac_f32_e32 v196, v178, v136
	s_waitcnt vmcnt(2)
	s_delay_alu instid0(VALU_DEP_1)
	v_fmac_f32_e32 v196, v179, v137
	ds_load_2addr_b32 v[134:135], v2 offset0:121 offset1:122
	ds_load_2addr_b32 v[136:137], v2 offset0:123 offset1:124
	s_waitcnt lgkmcnt(3)
	v_fmac_f32_e32 v196, v180, v3
	ds_load_2addr_b32 v[2:3], v2 offset0:125 offset1:126
	v_fmac_f32_e32 v196, v181, v4
	s_waitcnt lgkmcnt(3)
	s_delay_alu instid0(VALU_DEP_1) | instskip(SKIP_1) | instid1(VALU_DEP_1)
	v_fmac_f32_e32 v196, v182, v132
	s_waitcnt vmcnt(1)
	v_fmac_f32_e32 v196, v183, v133
	s_waitcnt lgkmcnt(2)
	s_delay_alu instid0(VALU_DEP_1) | instskip(NEXT) | instid1(VALU_DEP_1)
	v_fmac_f32_e32 v196, v184, v134
	v_fmac_f32_e32 v196, v185, v135
	s_waitcnt lgkmcnt(1)
	s_delay_alu instid0(VALU_DEP_1) | instskip(SKIP_1) | instid1(VALU_DEP_1)
	v_fmac_f32_e32 v196, v186, v136
	s_waitcnt vmcnt(0)
	v_fmac_f32_e32 v196, v187, v137
	s_waitcnt lgkmcnt(0)
	s_delay_alu instid0(VALU_DEP_1) | instskip(NEXT) | instid1(VALU_DEP_1)
	v_fmac_f32_e32 v196, v188, v2
	v_fmac_f32_e32 v196, v189, v3
	s_delay_alu instid0(VALU_DEP_1)
	v_sub_f32_e32 v2, v131, v196
	scratch_store_b32 off, v2, off offset:16
	v_cmpx_lt_u32_e32 3, v0
	s_cbranch_execz .LBB62_379
; %bb.378:
	scratch_load_b32 v2, off, off offset:12
	v_mov_b32_e32 v3, 0
	scratch_store_b32 off, v3, off offset:12
	s_waitcnt vmcnt(0)
	ds_store_b32 v1, v2
.LBB62_379:
	s_or_b32 exec_lo, exec_lo, s0
	s_waitcnt lgkmcnt(0)
	s_waitcnt_vscnt null, 0x0
	s_barrier
	buffer_gl0_inv
	s_clause 0xe
	scratch_load_b128 v[131:134], off, off offset:12
	scratch_load_b128 v[135:138], off, off offset:28
	;; [unrolled: 1-line block ×15, first 2 shown]
	v_mov_b32_e32 v2, 0
	ds_load_b128 v[191:194], v2 offset:272
	ds_load_b128 v[195:198], v2 offset:288
	s_mov_b32 s0, exec_lo
	s_waitcnt vmcnt(14) lgkmcnt(1)
	v_fma_f32 v3, v132, v191, 0
	s_delay_alu instid0(VALU_DEP_1) | instskip(NEXT) | instid1(VALU_DEP_1)
	v_fmac_f32_e32 v3, v133, v192
	v_fmac_f32_e32 v3, v134, v193
	s_waitcnt vmcnt(13)
	s_delay_alu instid0(VALU_DEP_1) | instskip(SKIP_3) | instid1(VALU_DEP_1)
	v_fmac_f32_e32 v3, v135, v194
	ds_load_b128 v[132:135], v2 offset:304
	s_waitcnt lgkmcnt(1)
	v_fmac_f32_e32 v3, v136, v195
	v_fmac_f32_e32 v3, v137, v196
	s_delay_alu instid0(VALU_DEP_1) | instskip(SKIP_1) | instid1(VALU_DEP_1)
	v_fmac_f32_e32 v3, v138, v197
	s_waitcnt vmcnt(12)
	v_fmac_f32_e32 v3, v139, v198
	ds_load_b128 v[136:139], v2 offset:320
	s_waitcnt lgkmcnt(1)
	v_fmac_f32_e32 v3, v140, v132
	s_delay_alu instid0(VALU_DEP_1) | instskip(NEXT) | instid1(VALU_DEP_1)
	v_fmac_f32_e32 v3, v141, v133
	v_fmac_f32_e32 v3, v142, v134
	s_waitcnt vmcnt(11)
	s_delay_alu instid0(VALU_DEP_1) | instskip(SKIP_3) | instid1(VALU_DEP_1)
	v_fmac_f32_e32 v3, v143, v135
	ds_load_b128 v[132:135], v2 offset:336
	s_waitcnt lgkmcnt(1)
	v_fmac_f32_e32 v3, v144, v136
	v_fmac_f32_e32 v3, v145, v137
	s_delay_alu instid0(VALU_DEP_1) | instskip(SKIP_1) | instid1(VALU_DEP_1)
	v_fmac_f32_e32 v3, v146, v138
	s_waitcnt vmcnt(10)
	v_fmac_f32_e32 v3, v147, v139
	ds_load_b128 v[136:139], v2 offset:352
	s_waitcnt lgkmcnt(1)
	v_fmac_f32_e32 v3, v148, v132
	;; [unrolled: 17-line block ×6, first 2 shown]
	s_delay_alu instid0(VALU_DEP_1) | instskip(NEXT) | instid1(VALU_DEP_1)
	v_fmac_f32_e32 v3, v181, v133
	v_fmac_f32_e32 v3, v182, v134
	ds_load_b96 v[132:134], v2 offset:496
	s_waitcnt vmcnt(1)
	v_fmac_f32_e32 v3, v183, v135
	s_waitcnt lgkmcnt(1)
	s_delay_alu instid0(VALU_DEP_1) | instskip(NEXT) | instid1(VALU_DEP_1)
	v_fmac_f32_e32 v3, v184, v136
	v_fmac_f32_e32 v3, v185, v137
	s_delay_alu instid0(VALU_DEP_1) | instskip(SKIP_1) | instid1(VALU_DEP_1)
	v_fmac_f32_e32 v3, v186, v138
	s_waitcnt vmcnt(0)
	v_fmac_f32_e32 v3, v187, v139
	s_waitcnt lgkmcnt(0)
	s_delay_alu instid0(VALU_DEP_1) | instskip(NEXT) | instid1(VALU_DEP_1)
	v_fmac_f32_e32 v3, v188, v132
	v_fmac_f32_e32 v3, v189, v133
	s_delay_alu instid0(VALU_DEP_1) | instskip(NEXT) | instid1(VALU_DEP_1)
	v_fmac_f32_e32 v3, v190, v134
	v_sub_f32_e32 v3, v131, v3
	scratch_store_b32 off, v3, off offset:12
	v_cmpx_lt_u32_e32 2, v0
	s_cbranch_execz .LBB62_381
; %bb.380:
	scratch_load_b32 v3, off, off offset:8
	scratch_store_b32 off, v2, off offset:8
	s_waitcnt vmcnt(0)
	ds_store_b32 v1, v3
.LBB62_381:
	s_or_b32 exec_lo, exec_lo, s0
	s_waitcnt lgkmcnt(0)
	s_waitcnt_vscnt null, 0x0
	s_barrier
	buffer_gl0_inv
	s_clause 0xf
	scratch_load_b128 v[131:134], off, off offset:8
	scratch_load_b128 v[135:138], off, off offset:24
	;; [unrolled: 1-line block ×15, first 2 shown]
	scratch_load_b32 v197, off, off offset:248
	ds_load_2addr_b32 v[3:4], v2 offset0:67 offset1:68
	ds_load_2addr_b32 v[191:192], v2 offset0:69 offset1:70
	ds_load_2addr_b32 v[193:194], v2 offset0:71 offset1:72
	ds_load_2addr_b32 v[195:196], v2 offset0:73 offset1:74
	s_mov_b32 s0, exec_lo
	s_waitcnt vmcnt(15) lgkmcnt(3)
	v_fma_f32 v198, v132, v3, 0
	s_delay_alu instid0(VALU_DEP_1)
	v_fmac_f32_e32 v198, v133, v4
	ds_load_2addr_b32 v[3:4], v2 offset0:75 offset1:76
	ds_load_2addr_b32 v[132:133], v2 offset0:77 offset1:78
	s_waitcnt lgkmcnt(4)
	v_fmac_f32_e32 v198, v134, v191
	s_waitcnt vmcnt(14)
	s_delay_alu instid0(VALU_DEP_1) | instskip(SKIP_1) | instid1(VALU_DEP_1)
	v_fmac_f32_e32 v198, v135, v192
	s_waitcnt lgkmcnt(3)
	v_fmac_f32_e32 v198, v136, v193
	s_delay_alu instid0(VALU_DEP_1)
	v_fmac_f32_e32 v198, v137, v194
	ds_load_2addr_b32 v[134:135], v2 offset0:79 offset1:80
	ds_load_2addr_b32 v[136:137], v2 offset0:81 offset1:82
	s_waitcnt lgkmcnt(4)
	v_fmac_f32_e32 v198, v138, v195
	s_waitcnt vmcnt(13)
	s_delay_alu instid0(VALU_DEP_1) | instskip(SKIP_1) | instid1(VALU_DEP_1)
	v_fmac_f32_e32 v198, v139, v196
	s_waitcnt lgkmcnt(3)
	v_fmac_f32_e32 v198, v140, v3
	s_delay_alu instid0(VALU_DEP_1) | instskip(SKIP_4) | instid1(VALU_DEP_1)
	v_fmac_f32_e32 v198, v141, v4
	ds_load_2addr_b32 v[3:4], v2 offset0:83 offset1:84
	s_waitcnt lgkmcnt(3)
	v_fmac_f32_e32 v198, v142, v132
	s_waitcnt vmcnt(12)
	v_fmac_f32_e32 v198, v143, v133
	ds_load_2addr_b32 v[132:133], v2 offset0:85 offset1:86
	s_waitcnt lgkmcnt(3)
	v_fmac_f32_e32 v198, v144, v134
	s_delay_alu instid0(VALU_DEP_1) | instskip(SKIP_1) | instid1(VALU_DEP_1)
	v_fmac_f32_e32 v198, v145, v135
	s_waitcnt lgkmcnt(2)
	v_fmac_f32_e32 v198, v146, v136
	s_waitcnt vmcnt(11)
	s_delay_alu instid0(VALU_DEP_1) | instskip(SKIP_4) | instid1(VALU_DEP_1)
	v_fmac_f32_e32 v198, v147, v137
	ds_load_2addr_b32 v[134:135], v2 offset0:87 offset1:88
	ds_load_2addr_b32 v[136:137], v2 offset0:89 offset1:90
	s_waitcnt lgkmcnt(3)
	v_fmac_f32_e32 v198, v148, v3
	v_fmac_f32_e32 v198, v149, v4
	ds_load_2addr_b32 v[3:4], v2 offset0:91 offset1:92
	s_waitcnt lgkmcnt(3)
	v_fmac_f32_e32 v198, v150, v132
	s_waitcnt vmcnt(10)
	s_delay_alu instid0(VALU_DEP_1) | instskip(SKIP_3) | instid1(VALU_DEP_1)
	v_fmac_f32_e32 v198, v151, v133
	ds_load_2addr_b32 v[132:133], v2 offset0:93 offset1:94
	s_waitcnt lgkmcnt(3)
	v_fmac_f32_e32 v198, v152, v134
	v_fmac_f32_e32 v198, v153, v135
	s_waitcnt lgkmcnt(2)
	s_delay_alu instid0(VALU_DEP_1) | instskip(SKIP_1) | instid1(VALU_DEP_1)
	v_fmac_f32_e32 v198, v154, v136
	s_waitcnt vmcnt(9)
	v_fmac_f32_e32 v198, v155, v137
	ds_load_2addr_b32 v[134:135], v2 offset0:95 offset1:96
	ds_load_2addr_b32 v[136:137], v2 offset0:97 offset1:98
	s_waitcnt lgkmcnt(3)
	v_fmac_f32_e32 v198, v156, v3
	s_delay_alu instid0(VALU_DEP_1) | instskip(SKIP_4) | instid1(VALU_DEP_1)
	v_fmac_f32_e32 v198, v157, v4
	ds_load_2addr_b32 v[3:4], v2 offset0:99 offset1:100
	s_waitcnt lgkmcnt(3)
	v_fmac_f32_e32 v198, v158, v132
	s_waitcnt vmcnt(8)
	v_fmac_f32_e32 v198, v159, v133
	ds_load_2addr_b32 v[132:133], v2 offset0:101 offset1:102
	s_waitcnt lgkmcnt(3)
	v_fmac_f32_e32 v198, v160, v134
	s_delay_alu instid0(VALU_DEP_1) | instskip(SKIP_1) | instid1(VALU_DEP_1)
	v_fmac_f32_e32 v198, v161, v135
	s_waitcnt lgkmcnt(2)
	v_fmac_f32_e32 v198, v162, v136
	s_waitcnt vmcnt(7)
	s_delay_alu instid0(VALU_DEP_1) | instskip(SKIP_4) | instid1(VALU_DEP_1)
	v_fmac_f32_e32 v198, v163, v137
	ds_load_2addr_b32 v[134:135], v2 offset0:103 offset1:104
	ds_load_2addr_b32 v[136:137], v2 offset0:105 offset1:106
	s_waitcnt lgkmcnt(3)
	v_fmac_f32_e32 v198, v164, v3
	v_fmac_f32_e32 v198, v165, v4
	ds_load_2addr_b32 v[3:4], v2 offset0:107 offset1:108
	s_waitcnt lgkmcnt(3)
	v_fmac_f32_e32 v198, v166, v132
	s_waitcnt vmcnt(6)
	s_delay_alu instid0(VALU_DEP_1) | instskip(SKIP_3) | instid1(VALU_DEP_1)
	v_fmac_f32_e32 v198, v167, v133
	ds_load_2addr_b32 v[132:133], v2 offset0:109 offset1:110
	s_waitcnt lgkmcnt(3)
	v_fmac_f32_e32 v198, v168, v134
	v_fmac_f32_e32 v198, v169, v135
	s_waitcnt lgkmcnt(2)
	s_delay_alu instid0(VALU_DEP_1) | instskip(SKIP_1) | instid1(VALU_DEP_1)
	v_fmac_f32_e32 v198, v170, v136
	s_waitcnt vmcnt(5)
	v_fmac_f32_e32 v198, v171, v137
	ds_load_2addr_b32 v[134:135], v2 offset0:111 offset1:112
	ds_load_2addr_b32 v[136:137], v2 offset0:113 offset1:114
	s_waitcnt lgkmcnt(3)
	v_fmac_f32_e32 v198, v172, v3
	s_delay_alu instid0(VALU_DEP_1) | instskip(SKIP_4) | instid1(VALU_DEP_1)
	v_fmac_f32_e32 v198, v173, v4
	ds_load_2addr_b32 v[3:4], v2 offset0:115 offset1:116
	s_waitcnt lgkmcnt(3)
	v_fmac_f32_e32 v198, v174, v132
	s_waitcnt vmcnt(4)
	v_fmac_f32_e32 v198, v175, v133
	ds_load_2addr_b32 v[132:133], v2 offset0:117 offset1:118
	s_waitcnt lgkmcnt(3)
	v_fmac_f32_e32 v198, v176, v134
	s_delay_alu instid0(VALU_DEP_1) | instskip(SKIP_1) | instid1(VALU_DEP_1)
	v_fmac_f32_e32 v198, v177, v135
	s_waitcnt lgkmcnt(2)
	v_fmac_f32_e32 v198, v178, v136
	s_waitcnt vmcnt(3)
	s_delay_alu instid0(VALU_DEP_1) | instskip(SKIP_4) | instid1(VALU_DEP_1)
	v_fmac_f32_e32 v198, v179, v137
	ds_load_2addr_b32 v[134:135], v2 offset0:119 offset1:120
	ds_load_2addr_b32 v[136:137], v2 offset0:121 offset1:122
	s_waitcnt lgkmcnt(3)
	v_fmac_f32_e32 v198, v180, v3
	v_fmac_f32_e32 v198, v181, v4
	ds_load_2addr_b32 v[3:4], v2 offset0:123 offset1:124
	s_waitcnt lgkmcnt(3)
	v_fmac_f32_e32 v198, v182, v132
	s_waitcnt vmcnt(2)
	s_delay_alu instid0(VALU_DEP_1) | instskip(SKIP_3) | instid1(VALU_DEP_1)
	v_fmac_f32_e32 v198, v183, v133
	ds_load_2addr_b32 v[132:133], v2 offset0:125 offset1:126
	s_waitcnt lgkmcnt(3)
	v_fmac_f32_e32 v198, v184, v134
	v_fmac_f32_e32 v198, v185, v135
	s_waitcnt lgkmcnt(2)
	s_delay_alu instid0(VALU_DEP_1) | instskip(SKIP_1) | instid1(VALU_DEP_1)
	v_fmac_f32_e32 v198, v186, v136
	s_waitcnt vmcnt(1)
	v_fmac_f32_e32 v198, v187, v137
	s_waitcnt lgkmcnt(1)
	s_delay_alu instid0(VALU_DEP_1) | instskip(NEXT) | instid1(VALU_DEP_1)
	v_fmac_f32_e32 v198, v188, v3
	v_fmac_f32_e32 v198, v189, v4
	s_waitcnt lgkmcnt(0)
	s_delay_alu instid0(VALU_DEP_1) | instskip(SKIP_1) | instid1(VALU_DEP_1)
	v_fmac_f32_e32 v198, v190, v132
	s_waitcnt vmcnt(0)
	v_fmac_f32_e32 v198, v197, v133
	s_delay_alu instid0(VALU_DEP_1)
	v_sub_f32_e32 v2, v131, v198
	scratch_store_b32 off, v2, off offset:8
	v_cmpx_lt_u32_e32 1, v0
	s_cbranch_execz .LBB62_383
; %bb.382:
	scratch_load_b32 v2, off, off offset:4
	v_mov_b32_e32 v3, 0
	scratch_store_b32 off, v3, off offset:4
	s_waitcnt vmcnt(0)
	ds_store_b32 v1, v2
.LBB62_383:
	s_or_b32 exec_lo, exec_lo, s0
	s_waitcnt lgkmcnt(0)
	s_waitcnt_vscnt null, 0x0
	s_barrier
	buffer_gl0_inv
	s_clause 0xe
	scratch_load_b128 v[131:134], off, off offset:4
	scratch_load_b128 v[135:138], off, off offset:20
	;; [unrolled: 1-line block ×15, first 2 shown]
	v_mov_b32_e32 v3, 0
	scratch_load_b64 v[199:200], off, off offset:244
	s_mov_b32 s0, exec_lo
	ds_load_2addr_b64 v[191:194], v3 offset0:33 offset1:34
	ds_load_2addr_b64 v[195:198], v3 offset0:35 offset1:36
	s_waitcnt vmcnt(15) lgkmcnt(1)
	v_fma_f32 v2, v132, v191, 0
	s_delay_alu instid0(VALU_DEP_1) | instskip(SKIP_3) | instid1(VALU_DEP_1)
	v_fmac_f32_e32 v2, v133, v192
	ds_load_b32 v4, v3 offset:504
	v_fmac_f32_e32 v2, v134, v193
	s_waitcnt vmcnt(14)
	v_fmac_f32_e32 v2, v135, v194
	ds_load_2addr_b64 v[132:135], v3 offset0:37 offset1:38
	s_waitcnt lgkmcnt(2)
	v_fmac_f32_e32 v2, v136, v195
	s_delay_alu instid0(VALU_DEP_1) | instskip(NEXT) | instid1(VALU_DEP_1)
	v_fmac_f32_e32 v2, v137, v196
	v_fmac_f32_e32 v2, v138, v197
	s_waitcnt vmcnt(13)
	s_delay_alu instid0(VALU_DEP_1) | instskip(SKIP_3) | instid1(VALU_DEP_1)
	v_fmac_f32_e32 v2, v139, v198
	ds_load_2addr_b64 v[136:139], v3 offset0:39 offset1:40
	s_waitcnt lgkmcnt(1)
	v_fmac_f32_e32 v2, v140, v132
	v_fmac_f32_e32 v2, v141, v133
	s_delay_alu instid0(VALU_DEP_1) | instskip(SKIP_1) | instid1(VALU_DEP_1)
	v_fmac_f32_e32 v2, v142, v134
	s_waitcnt vmcnt(12)
	v_fmac_f32_e32 v2, v143, v135
	ds_load_2addr_b64 v[132:135], v3 offset0:41 offset1:42
	s_waitcnt lgkmcnt(1)
	v_fmac_f32_e32 v2, v144, v136
	s_delay_alu instid0(VALU_DEP_1) | instskip(NEXT) | instid1(VALU_DEP_1)
	v_fmac_f32_e32 v2, v145, v137
	v_fmac_f32_e32 v2, v146, v138
	s_waitcnt vmcnt(11)
	s_delay_alu instid0(VALU_DEP_1) | instskip(SKIP_3) | instid1(VALU_DEP_1)
	v_fmac_f32_e32 v2, v147, v139
	ds_load_2addr_b64 v[136:139], v3 offset0:43 offset1:44
	s_waitcnt lgkmcnt(1)
	v_fmac_f32_e32 v2, v148, v132
	v_fmac_f32_e32 v2, v149, v133
	s_delay_alu instid0(VALU_DEP_1) | instskip(SKIP_1) | instid1(VALU_DEP_1)
	;; [unrolled: 17-line block ×6, first 2 shown]
	v_fmac_f32_e32 v2, v182, v134
	s_waitcnt vmcnt(2)
	v_fmac_f32_e32 v2, v183, v135
	ds_load_2addr_b64 v[132:135], v3 offset0:61 offset1:62
	s_waitcnt lgkmcnt(1)
	v_fmac_f32_e32 v2, v184, v136
	s_delay_alu instid0(VALU_DEP_1) | instskip(NEXT) | instid1(VALU_DEP_1)
	v_fmac_f32_e32 v2, v185, v137
	v_fmac_f32_e32 v2, v186, v138
	s_waitcnt vmcnt(1)
	s_delay_alu instid0(VALU_DEP_1) | instskip(SKIP_1) | instid1(VALU_DEP_1)
	v_fmac_f32_e32 v2, v187, v139
	s_waitcnt lgkmcnt(0)
	v_fmac_f32_e32 v2, v188, v132
	s_delay_alu instid0(VALU_DEP_1) | instskip(NEXT) | instid1(VALU_DEP_1)
	v_fmac_f32_e32 v2, v189, v133
	v_fmac_f32_e32 v2, v190, v134
	s_waitcnt vmcnt(0)
	s_delay_alu instid0(VALU_DEP_1) | instskip(NEXT) | instid1(VALU_DEP_1)
	v_fmac_f32_e32 v2, v199, v135
	v_fmac_f32_e32 v2, v200, v4
	s_delay_alu instid0(VALU_DEP_1)
	v_sub_f32_e32 v2, v131, v2
	scratch_store_b32 off, v2, off offset:4
	v_cmpx_ne_u32_e32 0, v0
	s_cbranch_execz .LBB62_385
; %bb.384:
	scratch_load_b32 v0, off, off
	scratch_store_b32 off, v3, off
	s_waitcnt vmcnt(0)
	ds_store_b32 v1, v0
.LBB62_385:
	s_or_b32 exec_lo, exec_lo, s0
	s_waitcnt lgkmcnt(0)
	s_waitcnt_vscnt null, 0x0
	s_barrier
	buffer_gl0_inv
	s_clause 0xf
	scratch_load_b128 v[131:134], off, off
	scratch_load_b128 v[135:138], off, off offset:16
	scratch_load_b128 v[139:142], off, off offset:32
	;; [unrolled: 1-line block ×14, first 2 shown]
	scratch_load_b96 v[0:2], off, off offset:240
	ds_load_2addr_b32 v[191:192], v3 offset0:65 offset1:66
	ds_load_2addr_b32 v[193:194], v3 offset0:67 offset1:68
	;; [unrolled: 1-line block ×4, first 2 shown]
	s_and_b32 vcc_lo, exec_lo, s16
	s_waitcnt vmcnt(15) lgkmcnt(3)
	v_fma_f32 v191, v132, v191, 0
	s_delay_alu instid0(VALU_DEP_1) | instskip(SKIP_4) | instid1(VALU_DEP_1)
	v_fmac_f32_e32 v191, v133, v192
	ds_load_2addr_b32 v[132:133], v3 offset0:73 offset1:74
	s_waitcnt lgkmcnt(3)
	v_fmac_f32_e32 v191, v134, v193
	s_waitcnt vmcnt(14)
	v_fmac_f32_e32 v191, v135, v194
	ds_load_2addr_b32 v[134:135], v3 offset0:75 offset1:76
	s_waitcnt lgkmcnt(3)
	v_fmac_f32_e32 v191, v136, v195
	s_delay_alu instid0(VALU_DEP_1) | instskip(SKIP_1) | instid1(VALU_DEP_1)
	v_fmac_f32_e32 v191, v137, v196
	s_waitcnt lgkmcnt(2)
	v_fmac_f32_e32 v191, v138, v197
	s_waitcnt vmcnt(13)
	s_delay_alu instid0(VALU_DEP_1) | instskip(SKIP_4) | instid1(VALU_DEP_1)
	v_fmac_f32_e32 v191, v139, v198
	ds_load_2addr_b32 v[136:137], v3 offset0:77 offset1:78
	ds_load_2addr_b32 v[138:139], v3 offset0:79 offset1:80
	s_waitcnt lgkmcnt(3)
	v_fmac_f32_e32 v191, v140, v132
	v_fmac_f32_e32 v191, v141, v133
	ds_load_2addr_b32 v[132:133], v3 offset0:81 offset1:82
	s_waitcnt lgkmcnt(3)
	v_fmac_f32_e32 v191, v142, v134
	s_waitcnt vmcnt(12)
	s_delay_alu instid0(VALU_DEP_1) | instskip(SKIP_3) | instid1(VALU_DEP_1)
	v_fmac_f32_e32 v191, v143, v135
	ds_load_2addr_b32 v[134:135], v3 offset0:83 offset1:84
	s_waitcnt lgkmcnt(3)
	v_fmac_f32_e32 v191, v144, v136
	v_fmac_f32_e32 v191, v145, v137
	s_waitcnt lgkmcnt(2)
	s_delay_alu instid0(VALU_DEP_1) | instskip(SKIP_1) | instid1(VALU_DEP_1)
	v_fmac_f32_e32 v191, v146, v138
	s_waitcnt vmcnt(11)
	v_fmac_f32_e32 v191, v147, v139
	ds_load_2addr_b32 v[136:137], v3 offset0:85 offset1:86
	ds_load_2addr_b32 v[138:139], v3 offset0:87 offset1:88
	s_waitcnt lgkmcnt(3)
	v_fmac_f32_e32 v191, v148, v132
	s_delay_alu instid0(VALU_DEP_1) | instskip(SKIP_4) | instid1(VALU_DEP_1)
	v_fmac_f32_e32 v191, v149, v133
	ds_load_2addr_b32 v[132:133], v3 offset0:89 offset1:90
	s_waitcnt lgkmcnt(3)
	v_fmac_f32_e32 v191, v150, v134
	s_waitcnt vmcnt(10)
	v_fmac_f32_e32 v191, v151, v135
	ds_load_2addr_b32 v[134:135], v3 offset0:91 offset1:92
	s_waitcnt lgkmcnt(3)
	v_fmac_f32_e32 v191, v152, v136
	s_delay_alu instid0(VALU_DEP_1) | instskip(SKIP_1) | instid1(VALU_DEP_1)
	v_fmac_f32_e32 v191, v153, v137
	s_waitcnt lgkmcnt(2)
	v_fmac_f32_e32 v191, v154, v138
	s_waitcnt vmcnt(9)
	s_delay_alu instid0(VALU_DEP_1) | instskip(SKIP_4) | instid1(VALU_DEP_1)
	v_fmac_f32_e32 v191, v155, v139
	ds_load_2addr_b32 v[136:137], v3 offset0:93 offset1:94
	ds_load_2addr_b32 v[138:139], v3 offset0:95 offset1:96
	s_waitcnt lgkmcnt(3)
	v_fmac_f32_e32 v191, v156, v132
	v_fmac_f32_e32 v191, v157, v133
	ds_load_2addr_b32 v[132:133], v3 offset0:97 offset1:98
	s_waitcnt lgkmcnt(3)
	v_fmac_f32_e32 v191, v158, v134
	s_waitcnt vmcnt(8)
	s_delay_alu instid0(VALU_DEP_1) | instskip(SKIP_3) | instid1(VALU_DEP_1)
	v_fmac_f32_e32 v191, v159, v135
	ds_load_2addr_b32 v[134:135], v3 offset0:99 offset1:100
	s_waitcnt lgkmcnt(3)
	v_fmac_f32_e32 v191, v160, v136
	v_fmac_f32_e32 v191, v161, v137
	s_waitcnt lgkmcnt(2)
	s_delay_alu instid0(VALU_DEP_1) | instskip(SKIP_1) | instid1(VALU_DEP_1)
	v_fmac_f32_e32 v191, v162, v138
	s_waitcnt vmcnt(7)
	v_fmac_f32_e32 v191, v163, v139
	ds_load_2addr_b32 v[136:137], v3 offset0:101 offset1:102
	ds_load_2addr_b32 v[138:139], v3 offset0:103 offset1:104
	s_waitcnt lgkmcnt(3)
	v_fmac_f32_e32 v191, v164, v132
	;; [unrolled: 41-line block ×3, first 2 shown]
	s_delay_alu instid0(VALU_DEP_1) | instskip(SKIP_4) | instid1(VALU_DEP_1)
	v_fmac_f32_e32 v191, v181, v133
	ds_load_2addr_b32 v[132:133], v3 offset0:121 offset1:122
	s_waitcnt lgkmcnt(3)
	v_fmac_f32_e32 v191, v182, v134
	s_waitcnt vmcnt(2)
	v_fmac_f32_e32 v191, v183, v135
	ds_load_2addr_b32 v[134:135], v3 offset0:123 offset1:124
	ds_load_2addr_b32 v[3:4], v3 offset0:125 offset1:126
	s_waitcnt lgkmcnt(4)
	v_fmac_f32_e32 v191, v184, v136
	s_delay_alu instid0(VALU_DEP_1) | instskip(SKIP_1) | instid1(VALU_DEP_1)
	v_fmac_f32_e32 v191, v185, v137
	s_waitcnt lgkmcnt(3)
	v_fmac_f32_e32 v191, v186, v138
	s_waitcnt vmcnt(1)
	s_delay_alu instid0(VALU_DEP_1) | instskip(SKIP_1) | instid1(VALU_DEP_1)
	v_fmac_f32_e32 v191, v187, v139
	s_waitcnt lgkmcnt(2)
	v_fmac_f32_e32 v191, v188, v132
	s_delay_alu instid0(VALU_DEP_1) | instskip(SKIP_1) | instid1(VALU_DEP_1)
	v_fmac_f32_e32 v191, v189, v133
	s_waitcnt lgkmcnt(1)
	v_fmac_f32_e32 v191, v190, v134
	s_waitcnt vmcnt(0)
	s_delay_alu instid0(VALU_DEP_1) | instskip(SKIP_1) | instid1(VALU_DEP_1)
	v_fmac_f32_e32 v191, v0, v135
	s_waitcnt lgkmcnt(0)
	v_fmac_f32_e32 v191, v1, v3
	s_delay_alu instid0(VALU_DEP_1) | instskip(NEXT) | instid1(VALU_DEP_1)
	v_fmac_f32_e32 v191, v2, v4
	v_sub_f32_e32 v0, v131, v191
	scratch_store_b32 off, v0, off
	s_cbranch_vccz .LBB62_511
; %bb.386:
	v_dual_mov_b32 v2, s12 :: v_dual_mov_b32 v3, s13
	s_mov_b32 s0, exec_lo
	flat_load_b32 v0, v[2:3] offset:244
	s_waitcnt vmcnt(0) lgkmcnt(0)
	v_cmpx_ne_u32_e32 62, v0
	s_cbranch_execz .LBB62_388
; %bb.387:
	v_lshl_add_u32 v0, v0, 2, 0
	scratch_load_b32 v2, v0, off offset:-4
	s_waitcnt vmcnt(0)
	scratch_store_b32 off, v2, off offset:244
	scratch_store_b32 v0, v1, off offset:-4
.LBB62_388:
	s_or_b32 exec_lo, exec_lo, s0
	v_dual_mov_b32 v0, s12 :: v_dual_mov_b32 v1, s13
	s_mov_b32 s0, exec_lo
	flat_load_b32 v0, v[0:1] offset:240
	s_waitcnt vmcnt(0) lgkmcnt(0)
	v_cmpx_ne_u32_e32 61, v0
	s_cbranch_execz .LBB62_390
; %bb.389:
	v_lshl_add_u32 v0, v0, 2, 0
	scratch_load_b32 v1, v0, off offset:-4
	scratch_load_b32 v2, off, off offset:240
	s_waitcnt vmcnt(1)
	scratch_store_b32 off, v1, off offset:240
	s_waitcnt vmcnt(0)
	scratch_store_b32 v0, v2, off offset:-4
.LBB62_390:
	s_or_b32 exec_lo, exec_lo, s0
	v_dual_mov_b32 v0, s12 :: v_dual_mov_b32 v1, s13
	s_mov_b32 s0, exec_lo
	flat_load_b32 v0, v[0:1] offset:236
	s_waitcnt vmcnt(0) lgkmcnt(0)
	v_cmpx_ne_u32_e32 60, v0
	s_cbranch_execz .LBB62_392
; %bb.391:
	v_lshl_add_u32 v0, v0, 2, 0
	scratch_load_b32 v1, v0, off offset:-4
	scratch_load_b32 v2, off, off offset:236
	s_waitcnt vmcnt(1)
	scratch_store_b32 off, v1, off offset:236
	s_waitcnt vmcnt(0)
	scratch_store_b32 v0, v2, off offset:-4
.LBB62_392:
	;; [unrolled: 16-line block ×60, first 2 shown]
	s_or_b32 exec_lo, exec_lo, s0
	v_dual_mov_b32 v0, s12 :: v_dual_mov_b32 v1, s13
	s_mov_b32 s0, exec_lo
	flat_load_b32 v1, v[0:1]
	scratch_load_b32 v0, off, off
	s_waitcnt vmcnt(1) lgkmcnt(0)
	v_cmpx_ne_u32_e32 1, v1
	s_cbranch_execz .LBB62_510
; %bb.509:
	v_lshl_add_u32 v1, v1, 2, 0
	scratch_load_b32 v2, v1, off offset:-4
	s_waitcnt vmcnt(0)
	scratch_store_b32 off, v2, off
	scratch_store_b32 v1, v0, off offset:-4
	scratch_load_b32 v0, off, off
.LBB62_510:
	s_or_b32 exec_lo, exec_lo, s0
.LBB62_511:
	s_clause 0xf
	scratch_load_b128 v[1:4], off, off offset:4
	scratch_load_b128 v[131:134], off, off offset:20
	;; [unrolled: 1-line block ×15, first 2 shown]
	scratch_load_b64 v[187:188], off, off offset:244
	s_waitcnt vmcnt(16)
	global_store_b32 v[5:6], v0, off
	s_waitcnt vmcnt(15)
	s_clause 0x3
	global_store_b32 v[7:8], v1, off
	global_store_b32 v[9:10], v2, off
	global_store_b32 v[11:12], v3, off
	global_store_b32 v[13:14], v4, off
	s_waitcnt vmcnt(14)
	s_clause 0x3
	global_store_b32 v[15:16], v131, off
	global_store_b32 v[17:18], v132, off
	global_store_b32 v[19:20], v133, off
	;; [unrolled: 6-line block ×15, first 2 shown]
	global_store_b32 v[127:128], v186, off
	s_waitcnt vmcnt(0)
	s_clause 0x1
	global_store_b32 v[129:130], v187, off
	global_store_b32 v[71:72], v188, off
	s_endpgm
	.section	.rodata,"a",@progbits
	.p2align	6, 0x0
	.amdhsa_kernel _ZN9rocsolver6v33100L18getri_kernel_smallILi63EfPfEEvT1_iilPiilS4_bb
		.amdhsa_group_segment_fixed_size 508
		.amdhsa_private_segment_fixed_size 256
		.amdhsa_kernarg_size 60
		.amdhsa_user_sgpr_count 15
		.amdhsa_user_sgpr_dispatch_ptr 0
		.amdhsa_user_sgpr_queue_ptr 0
		.amdhsa_user_sgpr_kernarg_segment_ptr 1
		.amdhsa_user_sgpr_dispatch_id 0
		.amdhsa_user_sgpr_private_segment_size 0
		.amdhsa_wavefront_size32 1
		.amdhsa_uses_dynamic_stack 0
		.amdhsa_enable_private_segment 1
		.amdhsa_system_sgpr_workgroup_id_x 1
		.amdhsa_system_sgpr_workgroup_id_y 0
		.amdhsa_system_sgpr_workgroup_id_z 0
		.amdhsa_system_sgpr_workgroup_info 0
		.amdhsa_system_vgpr_workitem_id 0
		.amdhsa_next_free_vgpr 201
		.amdhsa_next_free_sgpr 18
		.amdhsa_reserve_vcc 1
		.amdhsa_float_round_mode_32 0
		.amdhsa_float_round_mode_16_64 0
		.amdhsa_float_denorm_mode_32 3
		.amdhsa_float_denorm_mode_16_64 3
		.amdhsa_dx10_clamp 1
		.amdhsa_ieee_mode 1
		.amdhsa_fp16_overflow 0
		.amdhsa_workgroup_processor_mode 1
		.amdhsa_memory_ordered 1
		.amdhsa_forward_progress 0
		.amdhsa_shared_vgpr_count 0
		.amdhsa_exception_fp_ieee_invalid_op 0
		.amdhsa_exception_fp_denorm_src 0
		.amdhsa_exception_fp_ieee_div_zero 0
		.amdhsa_exception_fp_ieee_overflow 0
		.amdhsa_exception_fp_ieee_underflow 0
		.amdhsa_exception_fp_ieee_inexact 0
		.amdhsa_exception_int_div_zero 0
	.end_amdhsa_kernel
	.section	.text._ZN9rocsolver6v33100L18getri_kernel_smallILi63EfPfEEvT1_iilPiilS4_bb,"axG",@progbits,_ZN9rocsolver6v33100L18getri_kernel_smallILi63EfPfEEvT1_iilPiilS4_bb,comdat
.Lfunc_end62:
	.size	_ZN9rocsolver6v33100L18getri_kernel_smallILi63EfPfEEvT1_iilPiilS4_bb, .Lfunc_end62-_ZN9rocsolver6v33100L18getri_kernel_smallILi63EfPfEEvT1_iilPiilS4_bb
                                        ; -- End function
	.section	.AMDGPU.csdata,"",@progbits
; Kernel info:
; codeLenInByte = 51820
; NumSgprs: 20
; NumVgprs: 201
; ScratchSize: 256
; MemoryBound: 0
; FloatMode: 240
; IeeeMode: 1
; LDSByteSize: 508 bytes/workgroup (compile time only)
; SGPRBlocks: 2
; VGPRBlocks: 25
; NumSGPRsForWavesPerEU: 20
; NumVGPRsForWavesPerEU: 201
; Occupancy: 7
; WaveLimiterHint : 1
; COMPUTE_PGM_RSRC2:SCRATCH_EN: 1
; COMPUTE_PGM_RSRC2:USER_SGPR: 15
; COMPUTE_PGM_RSRC2:TRAP_HANDLER: 0
; COMPUTE_PGM_RSRC2:TGID_X_EN: 1
; COMPUTE_PGM_RSRC2:TGID_Y_EN: 0
; COMPUTE_PGM_RSRC2:TGID_Z_EN: 0
; COMPUTE_PGM_RSRC2:TIDIG_COMP_CNT: 0
	.section	.text._ZN9rocsolver6v33100L18getri_kernel_smallILi64EfPfEEvT1_iilPiilS4_bb,"axG",@progbits,_ZN9rocsolver6v33100L18getri_kernel_smallILi64EfPfEEvT1_iilPiilS4_bb,comdat
	.globl	_ZN9rocsolver6v33100L18getri_kernel_smallILi64EfPfEEvT1_iilPiilS4_bb ; -- Begin function _ZN9rocsolver6v33100L18getri_kernel_smallILi64EfPfEEvT1_iilPiilS4_bb
	.p2align	8
	.type	_ZN9rocsolver6v33100L18getri_kernel_smallILi64EfPfEEvT1_iilPiilS4_bb,@function
_ZN9rocsolver6v33100L18getri_kernel_smallILi64EfPfEEvT1_iilPiilS4_bb: ; @_ZN9rocsolver6v33100L18getri_kernel_smallILi64EfPfEEvT1_iilPiilS4_bb
; %bb.0:
	s_mov_b32 s2, exec_lo
	v_cmpx_gt_u32_e32 64, v0
	s_cbranch_execz .LBB63_264
; %bb.1:
	s_clause 0x2
	s_load_b32 s17, s[0:1], 0x38
	s_load_b128 s[8:11], s[0:1], 0x10
	s_load_b128 s[4:7], s[0:1], 0x28
	s_mov_b32 s14, s15
                                        ; implicit-def: $sgpr12_sgpr13
	s_waitcnt lgkmcnt(0)
	s_bitcmp1_b32 s17, 8
	s_cselect_b32 s16, -1, 0
	s_bfe_u32 s2, s17, 0x10008
	s_ashr_i32 s15, s15, 31
	s_cmp_eq_u32 s2, 0
	s_cbranch_scc1 .LBB63_3
; %bb.2:
	s_load_b32 s2, s[0:1], 0x20
	s_mul_i32 s3, s14, s5
	s_mul_hi_u32 s5, s14, s4
	s_mul_i32 s12, s15, s4
	s_add_i32 s3, s5, s3
	s_mul_i32 s4, s14, s4
	s_add_i32 s5, s3, s12
	s_delay_alu instid0(SALU_CYCLE_1)
	s_lshl_b64 s[4:5], s[4:5], 2
	s_waitcnt lgkmcnt(0)
	s_ashr_i32 s3, s2, 31
	s_add_u32 s4, s10, s4
	s_addc_u32 s5, s11, s5
	s_lshl_b64 s[2:3], s[2:3], 2
	s_delay_alu instid0(SALU_CYCLE_1)
	s_add_u32 s12, s4, s2
	s_addc_u32 s13, s5, s3
.LBB63_3:
	s_load_b128 s[0:3], s[0:1], 0x0
	s_mul_i32 s4, s14, s9
	s_mul_hi_u32 s5, s14, s8
	s_mul_i32 s9, s15, s8
	s_add_i32 s5, s5, s4
	s_mul_i32 s4, s14, s8
	s_add_i32 s5, s5, s9
	v_lshlrev_b32_e32 v133, 2, v0
	s_lshl_b64 s[4:5], s[4:5], 2
	s_waitcnt lgkmcnt(0)
	v_add3_u32 v2, s3, s3, v0
	s_ashr_i32 s9, s2, 31
	s_mov_b32 s8, s2
	s_add_u32 s2, s0, s4
	s_addc_u32 s4, s1, s5
	v_add_nc_u32_e32 v9, s3, v2
	s_lshl_b64 s[0:1], s[8:9], 2
	v_ashrrev_i32_e32 v3, 31, v2
	s_add_u32 s0, s2, s0
	s_addc_u32 s1, s4, s1
	v_add_nc_u32_e32 v11, s3, v9
	v_add_co_u32 v5, s2, s0, v133
	v_ashrrev_i32_e32 v10, 31, v9
	s_mov_b32 s10, s3
	s_delay_alu instid0(VALU_DEP_3) | instskip(SKIP_3) | instid1(VALU_DEP_3)
	v_add_nc_u32_e32 v13, s3, v11
	s_ashr_i32 s11, s3, 31
	v_add_co_ci_u32_e64 v6, null, s1, 0, s2
	v_lshlrev_b64 v[2:3], 2, v[2:3]
	v_add_nc_u32_e32 v15, s3, v13
	s_lshl_b64 s[4:5], s[10:11], 2
	v_lshlrev_b64 v[56:57], 2, v[9:10]
	v_add_co_u32 v7, vcc_lo, v5, s4
	s_delay_alu instid0(VALU_DEP_3) | instskip(SKIP_3) | instid1(VALU_DEP_4)
	v_add_nc_u32_e32 v17, s3, v15
	v_ashrrev_i32_e32 v12, 31, v11
	v_add_co_ci_u32_e32 v8, vcc_lo, s5, v6, vcc_lo
	v_add_co_u32 v9, vcc_lo, s0, v2
	v_add_nc_u32_e32 v19, s3, v17
	v_ashrrev_i32_e32 v14, 31, v13
	v_add_co_ci_u32_e32 v10, vcc_lo, s1, v3, vcc_lo
	v_lshlrev_b64 v[2:3], 2, v[11:12]
	s_delay_alu instid0(VALU_DEP_4) | instskip(SKIP_2) | instid1(VALU_DEP_3)
	v_add_nc_u32_e32 v21, s3, v19
	v_add_co_u32 v11, vcc_lo, s0, v56
	v_add_co_ci_u32_e32 v12, vcc_lo, s1, v57, vcc_lo
	v_add_nc_u32_e32 v23, s3, v21
	v_lshlrev_b64 v[56:57], 2, v[13:14]
	v_ashrrev_i32_e32 v16, 31, v15
	v_add_co_u32 v13, vcc_lo, s0, v2
	s_delay_alu instid0(VALU_DEP_4) | instskip(SKIP_3) | instid1(VALU_DEP_4)
	v_add_nc_u32_e32 v25, s3, v23
	v_ashrrev_i32_e32 v18, 31, v17
	v_add_co_ci_u32_e32 v14, vcc_lo, s1, v3, vcc_lo
	v_lshlrev_b64 v[2:3], 2, v[15:16]
	v_add_nc_u32_e32 v27, s3, v25
	v_add_co_u32 v15, vcc_lo, s0, v56
	v_add_co_ci_u32_e32 v16, vcc_lo, s1, v57, vcc_lo
	s_delay_alu instid0(VALU_DEP_3) | instskip(SKIP_3) | instid1(VALU_DEP_4)
	v_add_nc_u32_e32 v29, s3, v27
	v_lshlrev_b64 v[56:57], 2, v[17:18]
	v_ashrrev_i32_e32 v20, 31, v19
	v_add_co_u32 v17, vcc_lo, s0, v2
	v_add_nc_u32_e32 v31, s3, v29
	v_ashrrev_i32_e32 v22, 31, v21
	v_add_co_ci_u32_e32 v18, vcc_lo, s1, v3, vcc_lo
	v_lshlrev_b64 v[2:3], 2, v[19:20]
	s_delay_alu instid0(VALU_DEP_4) | instskip(SKIP_3) | instid1(VALU_DEP_4)
	v_add_nc_u32_e32 v33, s3, v31
	v_add_co_u32 v19, vcc_lo, s0, v56
	v_ashrrev_i32_e32 v24, 31, v23
	v_add_co_ci_u32_e32 v20, vcc_lo, s1, v57, vcc_lo
	v_add_nc_u32_e32 v35, s3, v33
	v_lshlrev_b64 v[56:57], 2, v[21:22]
	v_add_co_u32 v21, vcc_lo, s0, v2
	v_lshlrev_b64 v[71:72], 2, v[23:24]
	s_delay_alu instid0(VALU_DEP_4) | instskip(SKIP_3) | instid1(VALU_DEP_4)
	v_add_nc_u32_e32 v37, s3, v35
	v_ashrrev_i32_e32 v26, 31, v25
	v_add_co_ci_u32_e32 v22, vcc_lo, s1, v3, vcc_lo
	v_add_co_u32 v23, vcc_lo, s0, v56
	v_add_nc_u32_e32 v39, s3, v37
	v_ashrrev_i32_e32 v28, 31, v27
	v_add_co_ci_u32_e32 v24, vcc_lo, s1, v57, vcc_lo
	v_lshlrev_b64 v[56:57], 2, v[25:26]
	s_delay_alu instid0(VALU_DEP_4) | instskip(SKIP_2) | instid1(VALU_DEP_3)
	v_add_nc_u32_e32 v41, s3, v39
	v_add_co_u32 v25, vcc_lo, s0, v71
	v_add_co_ci_u32_e32 v26, vcc_lo, s1, v72, vcc_lo
	v_add_nc_u32_e32 v43, s3, v41
	v_lshlrev_b64 v[71:72], 2, v[27:28]
	v_ashrrev_i32_e32 v30, 31, v29
	v_add_co_u32 v27, vcc_lo, s0, v56
	s_delay_alu instid0(VALU_DEP_4) | instskip(SKIP_3) | instid1(VALU_DEP_4)
	v_add_nc_u32_e32 v45, s3, v43
	v_ashrrev_i32_e32 v32, 31, v31
	v_add_co_ci_u32_e32 v28, vcc_lo, s1, v57, vcc_lo
	v_lshlrev_b64 v[56:57], 2, v[29:30]
	v_add_nc_u32_e32 v47, s3, v45
	v_add_co_u32 v29, vcc_lo, s0, v71
	v_add_co_ci_u32_e32 v30, vcc_lo, s1, v72, vcc_lo
	s_delay_alu instid0(VALU_DEP_3) | instskip(SKIP_3) | instid1(VALU_DEP_4)
	v_add_nc_u32_e32 v49, s3, v47
	v_lshlrev_b64 v[71:72], 2, v[31:32]
	v_ashrrev_i32_e32 v34, 31, v33
	v_add_co_u32 v31, vcc_lo, s0, v56
	v_add_nc_u32_e32 v51, s3, v49
	v_ashrrev_i32_e32 v36, 31, v35
	v_add_co_ci_u32_e32 v32, vcc_lo, s1, v57, vcc_lo
	v_lshlrev_b64 v[56:57], 2, v[33:34]
	s_delay_alu instid0(VALU_DEP_4) | instskip(SKIP_2) | instid1(VALU_DEP_3)
	v_add_nc_u32_e32 v53, s3, v51
	v_add_co_u32 v33, vcc_lo, s0, v71
	v_add_co_ci_u32_e32 v34, vcc_lo, s1, v72, vcc_lo
	v_add_nc_u32_e32 v55, s3, v53
	v_lshlrev_b64 v[71:72], 2, v[35:36]
	v_ashrrev_i32_e32 v38, 31, v37
	v_add_co_u32 v35, vcc_lo, s0, v56
	s_delay_alu instid0(VALU_DEP_4) | instskip(SKIP_3) | instid1(VALU_DEP_4)
	v_add_nc_u32_e32 v58, s3, v55
	v_ashrrev_i32_e32 v40, 31, v39
	v_add_co_ci_u32_e32 v36, vcc_lo, s1, v57, vcc_lo
	v_lshlrev_b64 v[56:57], 2, v[37:38]
	v_add_nc_u32_e32 v60, s3, v58
	v_add_co_u32 v37, vcc_lo, s0, v71
	v_add_co_ci_u32_e32 v38, vcc_lo, s1, v72, vcc_lo
	s_delay_alu instid0(VALU_DEP_3) | instskip(SKIP_3) | instid1(VALU_DEP_4)
	v_add_nc_u32_e32 v62, s3, v60
	v_lshlrev_b64 v[71:72], 2, v[39:40]
	v_ashrrev_i32_e32 v42, 31, v41
	;; [unrolled: 25-line block ×5, first 2 shown]
	v_add_co_u32 v63, vcc_lo, s0, v86
	v_add_nc_u32_e32 v103, s3, v101
	v_ashrrev_i32_e32 v69, 31, v68
	v_add_co_ci_u32_e32 v64, vcc_lo, s1, v87, vcc_lo
	v_lshlrev_b64 v[86:87], 2, v[66:67]
	s_delay_alu instid0(VALU_DEP_4) | instskip(SKIP_3) | instid1(VALU_DEP_4)
	v_add_nc_u32_e32 v105, s3, v103
	v_add_co_u32 v65, vcc_lo, s0, v71
	v_ashrrev_i32_e32 v71, 31, v70
	v_lshlrev_b64 v[124:125], 2, v[68:69]
	v_add_nc_u32_e32 v107, s3, v105
	v_add_co_ci_u32_e32 v66, vcc_lo, s1, v72, vcc_lo
	v_add_co_u32 v67, vcc_lo, s0, v86
	s_delay_alu instid0(VALU_DEP_3) | instskip(SKIP_3) | instid1(VALU_DEP_4)
	v_add_nc_u32_e32 v109, s3, v107
	v_lshlrev_b64 v[71:72], 2, v[70:71]
	v_ashrrev_i32_e32 v74, 31, v73
	v_add_co_ci_u32_e32 v68, vcc_lo, s1, v87, vcc_lo
	v_add_nc_u32_e32 v111, s3, v109
	v_add_co_u32 v69, vcc_lo, s0, v124
	v_ashrrev_i32_e32 v76, 31, v75
	v_add_co_ci_u32_e32 v70, vcc_lo, s1, v125, vcc_lo
	s_delay_alu instid0(VALU_DEP_4) | instskip(SKIP_3) | instid1(VALU_DEP_4)
	v_add_nc_u32_e32 v113, s3, v111
	v_lshlrev_b64 v[86:87], 2, v[73:74]
	v_add_co_u32 v73, vcc_lo, s0, v71
	v_add_co_ci_u32_e32 v74, vcc_lo, s1, v72, vcc_lo
	v_add_nc_u32_e32 v115, s3, v113
	v_lshlrev_b64 v[71:72], 2, v[75:76]
	v_ashrrev_i32_e32 v78, 31, v77
	v_add_co_u32 v75, vcc_lo, s0, v86
	s_delay_alu instid0(VALU_DEP_4) | instskip(SKIP_1) | instid1(VALU_DEP_4)
	v_add_nc_u32_e32 v117, s3, v115
	v_add_co_ci_u32_e32 v76, vcc_lo, s1, v87, vcc_lo
	v_lshlrev_b64 v[86:87], 2, v[77:78]
	v_ashrrev_i32_e32 v80, 31, v79
	s_delay_alu instid0(VALU_DEP_4) | instskip(SKIP_2) | instid1(VALU_DEP_3)
	v_add_nc_u32_e32 v119, s3, v117
	v_add_co_u32 v77, vcc_lo, s0, v71
	v_add_co_ci_u32_e32 v78, vcc_lo, s1, v72, vcc_lo
	v_add_nc_u32_e32 v121, s3, v119
	v_ashrrev_i32_e32 v82, 31, v81
	v_lshlrev_b64 v[131:132], 2, v[79:80]
	v_add_co_u32 v79, vcc_lo, s0, v86
	s_delay_alu instid0(VALU_DEP_4) | instskip(SKIP_3) | instid1(VALU_DEP_4)
	v_add_nc_u32_e32 v123, s3, v121
	v_add_co_ci_u32_e32 v80, vcc_lo, s1, v87, vcc_lo
	v_lshlrev_b64 v[87:88], 2, v[81:82]
	v_ashrrev_i32_e32 v84, 31, v83
	v_add_nc_u32_e32 v126, s3, v123
	v_ashrrev_i32_e32 v86, 31, v85
	v_ashrrev_i32_e32 v90, 31, v89
	;; [unrolled: 1-line block ×4, first 2 shown]
	v_add_nc_u32_e32 v128, s3, v126
	v_ashrrev_i32_e32 v96, 31, v95
	v_lshlrev_b64 v[89:90], 2, v[89:90]
	v_lshlrev_b64 v[91:92], 2, v[91:92]
	;; [unrolled: 1-line block ×3, first 2 shown]
	v_add_nc_u32_e32 v130, s3, v128
	v_ashrrev_i32_e32 v98, 31, v97
	v_lshlrev_b64 v[95:96], 2, v[95:96]
	v_ashrrev_i32_e32 v100, 31, v99
	v_ashrrev_i32_e32 v102, 31, v101
	v_add_nc_u32_e32 v187, s3, v130
	v_lshlrev_b64 v[97:98], 2, v[97:98]
	v_ashrrev_i32_e32 v104, 31, v103
	v_lshlrev_b64 v[99:100], 2, v[99:100]
	v_lshlrev_b64 v[101:102], 2, v[101:102]
	v_add_nc_u32_e32 v124, s3, v187
	v_ashrrev_i32_e32 v106, 31, v105
	v_lshlrev_b64 v[103:104], 2, v[103:104]
	v_ashrrev_i32_e32 v108, 31, v107
	v_ashrrev_i32_e32 v110, 31, v109
	;; [unrolled: 1-line block ×3, first 2 shown]
	v_lshlrev_b64 v[105:106], 2, v[105:106]
	v_ashrrev_i32_e32 v112, 31, v111
	v_lshlrev_b64 v[107:108], 2, v[107:108]
	v_lshlrev_b64 v[109:110], 2, v[109:110]
	;; [unrolled: 1-line block ×4, first 2 shown]
	v_ashrrev_i32_e32 v114, 31, v113
	v_lshlrev_b64 v[111:112], 2, v[111:112]
	v_ashrrev_i32_e32 v116, 31, v115
	v_ashrrev_i32_e32 v118, 31, v117
	v_add_co_u32 v71, vcc_lo, s0, v71
	v_add_co_ci_u32_e32 v72, vcc_lo, s1, v72, vcc_lo
	v_add_co_u32 v81, vcc_lo, s0, v131
	v_add_co_ci_u32_e32 v82, vcc_lo, s1, v132, vcc_lo
	;; [unrolled: 2-line block ×3, first 2 shown]
	v_lshlrev_b64 v[87:88], 2, v[85:86]
	v_add_co_u32 v85, vcc_lo, s0, v124
	v_add_co_ci_u32_e32 v86, vcc_lo, s1, v125, vcc_lo
	v_lshlrev_b64 v[113:114], 2, v[113:114]
	s_delay_alu instid0(VALU_DEP_4)
	v_add_co_u32 v87, vcc_lo, s0, v87
	v_add_co_ci_u32_e32 v88, vcc_lo, s1, v88, vcc_lo
	v_add_co_u32 v89, vcc_lo, s0, v89
	v_add_co_ci_u32_e32 v90, vcc_lo, s1, v90, vcc_lo
	;; [unrolled: 2-line block ×12, first 2 shown]
	v_add_co_u32 v111, vcc_lo, s0, v111
	v_lshlrev_b64 v[115:116], 2, v[115:116]
	v_ashrrev_i32_e32 v120, 31, v119
	v_add_co_ci_u32_e32 v112, vcc_lo, s1, v112, vcc_lo
	v_add_co_u32 v113, vcc_lo, s0, v113
	v_lshlrev_b64 v[117:118], 2, v[117:118]
	v_ashrrev_i32_e32 v122, 31, v121
	v_add_co_ci_u32_e32 v114, vcc_lo, s1, v114, vcc_lo
	;; [unrolled: 4-line block ×7, first 2 shown]
	v_add_co_u32 v125, vcc_lo, s0, v125
	v_lshlrev_b64 v[129:130], 2, v[130:131]
	v_add_co_ci_u32_e32 v126, vcc_lo, s1, v126, vcc_lo
	v_add_co_u32 v127, vcc_lo, s0, v127
	v_lshlrev_b64 v[131:132], 2, v[187:188]
	v_add_co_ci_u32_e32 v128, vcc_lo, s1, v128, vcc_lo
	v_add_co_u32 v129, vcc_lo, s0, v129
	v_add_co_ci_u32_e32 v130, vcc_lo, s1, v130, vcc_lo
	s_delay_alu instid0(VALU_DEP_4)
	v_add_co_u32 v131, vcc_lo, s0, v131
	s_clause 0x1f
	global_load_b32 v1, v133, s[0:1]
	global_load_b32 v2, v[7:8], off
	global_load_b32 v3, v[9:10], off
	;; [unrolled: 1-line block ×31, first 2 shown]
	s_clause 0x18
	global_load_b32 v162, v[69:70], off
	global_load_b32 v163, v[73:74], off
	global_load_b32 v164, v[75:76], off
	global_load_b32 v165, v[77:78], off
	global_load_b32 v166, v[79:80], off
	global_load_b32 v167, v[81:82], off
	global_load_b32 v168, v[83:84], off
	global_load_b32 v169, v[85:86], off
	global_load_b32 v170, v[87:88], off
	global_load_b32 v171, v[89:90], off
	global_load_b32 v172, v[91:92], off
	global_load_b32 v173, v[93:94], off
	global_load_b32 v174, v[95:96], off
	global_load_b32 v175, v[97:98], off
	global_load_b32 v176, v[99:100], off
	global_load_b32 v177, v[101:102], off
	global_load_b32 v178, v[103:104], off
	global_load_b32 v179, v[105:106], off
	global_load_b32 v180, v[107:108], off
	global_load_b32 v181, v[109:110], off
	global_load_b32 v182, v[111:112], off
	global_load_b32 v183, v[113:114], off
	global_load_b32 v184, v[115:116], off
	global_load_b32 v185, v[117:118], off
	global_load_b32 v186, v[119:120], off
	v_add_co_ci_u32_e32 v132, vcc_lo, s1, v132, vcc_lo
	s_clause 0x6
	global_load_b32 v187, v[121:122], off
	global_load_b32 v188, v[123:124], off
	;; [unrolled: 1-line block ×7, first 2 shown]
	s_bitcmp0_b32 s17, 0
	s_mov_b32 s1, -1
	s_waitcnt vmcnt(60)
	scratch_store_b128 off, v[1:4], off
	s_waitcnt vmcnt(56)
	scratch_store_b128 off, v[134:137], off offset:16
	s_waitcnt vmcnt(52)
	scratch_store_b128 off, v[138:141], off offset:32
	;; [unrolled: 2-line block ×15, first 2 shown]
	s_cbranch_scc1 .LBB63_262
; %bb.4:
	v_cmp_eq_u32_e64 s0, 0, v0
	s_delay_alu instid0(VALU_DEP_1)
	s_and_saveexec_b32 s1, s0
	s_cbranch_execz .LBB63_6
; %bb.5:
	v_mov_b32_e32 v1, 0
	ds_store_b32 v1, v1 offset:512
.LBB63_6:
	s_or_b32 exec_lo, exec_lo, s1
	s_waitcnt lgkmcnt(0)
	s_waitcnt_vscnt null, 0x0
	s_barrier
	buffer_gl0_inv
	scratch_load_b32 v1, v133, off
	s_mov_b32 s2, exec_lo
	s_waitcnt vmcnt(0)
	v_cmpx_eq_f32_e32 0, v1
	s_cbranch_execz .LBB63_10
; %bb.7:
	v_mov_b32_e32 v1, 0
	s_mov_b32 s3, 0
	ds_load_b32 v2, v1 offset:512
	s_waitcnt lgkmcnt(0)
	v_readfirstlane_b32 s1, v2
	v_add_nc_u32_e32 v2, 1, v0
	s_delay_alu instid0(VALU_DEP_2) | instskip(NEXT) | instid1(VALU_DEP_1)
	s_cmp_eq_u32 s1, 0
	v_cmp_gt_i32_e32 vcc_lo, s1, v2
	s_cselect_b32 s4, -1, 0
	s_delay_alu instid0(SALU_CYCLE_1) | instskip(NEXT) | instid1(SALU_CYCLE_1)
	s_or_b32 s4, s4, vcc_lo
	s_and_b32 exec_lo, exec_lo, s4
	s_cbranch_execz .LBB63_10
; %bb.8:
	v_mov_b32_e32 v3, s1
.LBB63_9:                               ; =>This Inner Loop Header: Depth=1
	ds_cmpstore_rtn_b32 v3, v1, v2, v3 offset:512
	s_waitcnt lgkmcnt(0)
	v_cmp_ne_u32_e32 vcc_lo, 0, v3
	v_cmp_le_i32_e64 s1, v3, v2
	s_delay_alu instid0(VALU_DEP_1) | instskip(NEXT) | instid1(SALU_CYCLE_1)
	s_and_b32 s1, vcc_lo, s1
	s_and_b32 s1, exec_lo, s1
	s_delay_alu instid0(SALU_CYCLE_1) | instskip(NEXT) | instid1(SALU_CYCLE_1)
	s_or_b32 s3, s1, s3
	s_and_not1_b32 exec_lo, exec_lo, s3
	s_cbranch_execnz .LBB63_9
.LBB63_10:
	s_or_b32 exec_lo, exec_lo, s2
	v_mov_b32_e32 v1, 0
	s_barrier
	buffer_gl0_inv
	ds_load_b32 v2, v1 offset:512
	s_and_saveexec_b32 s1, s0
	s_cbranch_execz .LBB63_12
; %bb.11:
	s_lshl_b64 s[2:3], s[14:15], 2
	s_delay_alu instid0(SALU_CYCLE_1)
	s_add_u32 s2, s6, s2
	s_addc_u32 s3, s7, s3
	s_waitcnt lgkmcnt(0)
	global_store_b32 v1, v2, s[2:3]
.LBB63_12:
	s_or_b32 exec_lo, exec_lo, s1
	s_waitcnt lgkmcnt(0)
	v_cmp_ne_u32_e32 vcc_lo, 0, v2
	s_mov_b32 s1, 0
	s_cbranch_vccnz .LBB63_262
; %bb.13:
	v_add_nc_u32_e32 v1, 0, v133
	scratch_load_b32 v2, v1, off
	s_waitcnt vmcnt(0)
	v_div_scale_f32 v3, null, v2, v2, 1.0
	v_div_scale_f32 v135, vcc_lo, 1.0, v2, 1.0
	s_delay_alu instid0(VALU_DEP_2) | instskip(SKIP_2) | instid1(VALU_DEP_1)
	v_rcp_f32_e32 v4, v3
	s_waitcnt_depctr 0xfff
	v_fma_f32 v134, -v3, v4, 1.0
	v_fmac_f32_e32 v4, v134, v4
	s_delay_alu instid0(VALU_DEP_1) | instskip(NEXT) | instid1(VALU_DEP_1)
	v_mul_f32_e32 v134, v135, v4
	v_fma_f32 v136, -v3, v134, v135
	s_delay_alu instid0(VALU_DEP_1) | instskip(NEXT) | instid1(VALU_DEP_1)
	v_fmac_f32_e32 v134, v136, v4
	v_fma_f32 v3, -v3, v134, v135
	s_delay_alu instid0(VALU_DEP_1) | instskip(NEXT) | instid1(VALU_DEP_1)
	v_div_fmas_f32 v3, v3, v4, v134
	v_div_fixup_f32 v2, v3, v2, 1.0
	scratch_store_b32 v1, v2, off
	scratch_load_b32 v3, off, off offset:4
	v_xor_b32_e32 v4, 0x80000000, v2
	v_or_b32_e32 v2, 0x100, v133
	s_waitcnt vmcnt(0)
	ds_store_2addr_stride64_b32 v133, v4, v3 offset1:1
	s_waitcnt lgkmcnt(0)
	s_waitcnt_vscnt null, 0x0
	s_barrier
	buffer_gl0_inv
	s_and_saveexec_b32 s1, s0
	s_cbranch_execz .LBB63_15
; %bb.14:
	scratch_load_b32 v3, v1, off
	ds_load_b32 v4, v2
	v_mov_b32_e32 v134, 0
	ds_load_b32 v134, v134 offset:4
	s_waitcnt vmcnt(0) lgkmcnt(1)
	v_fma_f32 v3, v3, v4, 0
	s_waitcnt lgkmcnt(0)
	s_delay_alu instid0(VALU_DEP_1)
	v_mul_f32_e32 v3, v3, v134
	scratch_store_b32 off, v3, off offset:4
.LBB63_15:
	s_or_b32 exec_lo, exec_lo, s1
	s_waitcnt_vscnt null, 0x0
	s_barrier
	buffer_gl0_inv
	scratch_load_b32 v3, off, off offset:8
	s_mov_b32 s1, exec_lo
	s_waitcnt vmcnt(0)
	ds_store_b32 v2, v3
	s_waitcnt lgkmcnt(0)
	s_barrier
	buffer_gl0_inv
	v_cmpx_gt_u32_e32 2, v0
	s_cbranch_execz .LBB63_17
; %bb.16:
	scratch_load_b32 v134, v1, off
	scratch_load_b32 v135, off, off offset:4
	ds_load_b32 v136, v2
	v_mov_b32_e32 v3, 0
	ds_load_2addr_b32 v[3:4], v3 offset0:2 offset1:65
	s_waitcnt vmcnt(1) lgkmcnt(1)
	v_fma_f32 v134, v134, v136, 0
	s_waitcnt vmcnt(0) lgkmcnt(0)
	s_delay_alu instid0(VALU_DEP_1) | instskip(NEXT) | instid1(VALU_DEP_1)
	v_fma_f32 v4, v135, v4, v134
	v_cndmask_b32_e64 v4, v134, v4, s0
	s_delay_alu instid0(VALU_DEP_1)
	v_mul_f32_e32 v3, v4, v3
	scratch_store_b32 off, v3, off offset:8
.LBB63_17:
	s_or_b32 exec_lo, exec_lo, s1
	s_waitcnt_vscnt null, 0x0
	s_barrier
	buffer_gl0_inv
	scratch_load_b32 v4, off, off offset:12
	v_add_nc_u32_e32 v3, -1, v0
	s_mov_b32 s0, exec_lo
	s_waitcnt vmcnt(0)
	ds_store_b32 v2, v4
	s_waitcnt lgkmcnt(0)
	s_barrier
	buffer_gl0_inv
	v_cmpx_gt_u32_e32 3, v0
	s_cbranch_execz .LBB63_21
; %bb.18:
	v_add_nc_u32_e32 v134, -1, v0
	v_or_b32_e32 v135, 0x100, v133
	v_add_nc_u32_e32 v136, 0, v133
	v_mov_b32_e32 v4, 0
	s_mov_b32 s1, 0
.LBB63_19:                              ; =>This Inner Loop Header: Depth=1
	scratch_load_b32 v137, v136, off
	ds_load_b32 v138, v135
	v_add_nc_u32_e32 v134, 1, v134
	v_add_nc_u32_e32 v135, 4, v135
	v_add_nc_u32_e32 v136, 4, v136
	s_delay_alu instid0(VALU_DEP_3)
	v_cmp_lt_u32_e32 vcc_lo, 1, v134
	s_or_b32 s1, vcc_lo, s1
	s_waitcnt vmcnt(0) lgkmcnt(0)
	v_fmac_f32_e32 v4, v137, v138
	s_and_not1_b32 exec_lo, exec_lo, s1
	s_cbranch_execnz .LBB63_19
; %bb.20:
	s_or_b32 exec_lo, exec_lo, s1
	v_mov_b32_e32 v134, 0
	ds_load_b32 v134, v134 offset:12
	s_waitcnt lgkmcnt(0)
	v_mul_f32_e32 v4, v4, v134
	scratch_store_b32 off, v4, off offset:12
.LBB63_21:
	s_or_b32 exec_lo, exec_lo, s0
	s_waitcnt_vscnt null, 0x0
	s_barrier
	buffer_gl0_inv
	scratch_load_b32 v4, off, off offset:16
	s_mov_b32 s0, exec_lo
	s_waitcnt vmcnt(0)
	ds_store_b32 v2, v4
	s_waitcnt lgkmcnt(0)
	s_barrier
	buffer_gl0_inv
	v_cmpx_gt_u32_e32 4, v0
	s_cbranch_execz .LBB63_25
; %bb.22:
	v_add_nc_u32_e32 v134, -1, v0
	v_or_b32_e32 v135, 0x100, v133
	v_add_nc_u32_e32 v136, 0, v133
	v_mov_b32_e32 v4, 0
	s_mov_b32 s1, 0
.LBB63_23:                              ; =>This Inner Loop Header: Depth=1
	scratch_load_b32 v137, v136, off
	ds_load_b32 v138, v135
	v_add_nc_u32_e32 v134, 1, v134
	v_add_nc_u32_e32 v135, 4, v135
	v_add_nc_u32_e32 v136, 4, v136
	s_delay_alu instid0(VALU_DEP_3)
	v_cmp_lt_u32_e32 vcc_lo, 2, v134
	s_or_b32 s1, vcc_lo, s1
	s_waitcnt vmcnt(0) lgkmcnt(0)
	v_fmac_f32_e32 v4, v137, v138
	s_and_not1_b32 exec_lo, exec_lo, s1
	s_cbranch_execnz .LBB63_23
; %bb.24:
	s_or_b32 exec_lo, exec_lo, s1
	v_mov_b32_e32 v134, 0
	ds_load_b32 v134, v134 offset:16
	s_waitcnt lgkmcnt(0)
	v_mul_f32_e32 v4, v4, v134
	scratch_store_b32 off, v4, off offset:16
.LBB63_25:
	s_or_b32 exec_lo, exec_lo, s0
	s_waitcnt_vscnt null, 0x0
	s_barrier
	buffer_gl0_inv
	scratch_load_b32 v4, off, off offset:20
	;; [unrolled: 40-line block ×21, first 2 shown]
	s_mov_b32 s0, exec_lo
	s_waitcnt vmcnt(0)
	ds_store_b32 v2, v4
	s_waitcnt lgkmcnt(0)
	s_barrier
	buffer_gl0_inv
	v_cmpx_gt_u32_e32 24, v0
	s_cbranch_execz .LBB63_105
; %bb.102:
	v_add_nc_u32_e32 v134, -1, v0
	v_or_b32_e32 v135, 0x100, v133
	v_add_nc_u32_e32 v136, 0, v133
	v_mov_b32_e32 v4, 0
	s_mov_b32 s1, 0
.LBB63_103:                             ; =>This Inner Loop Header: Depth=1
	scratch_load_b32 v137, v136, off
	ds_load_b32 v138, v135
	v_add_nc_u32_e32 v134, 1, v134
	v_add_nc_u32_e32 v135, 4, v135
	v_add_nc_u32_e32 v136, 4, v136
	s_delay_alu instid0(VALU_DEP_3)
	v_cmp_lt_u32_e32 vcc_lo, 22, v134
	s_or_b32 s1, vcc_lo, s1
	s_waitcnt vmcnt(0) lgkmcnt(0)
	v_fmac_f32_e32 v4, v137, v138
	s_and_not1_b32 exec_lo, exec_lo, s1
	s_cbranch_execnz .LBB63_103
; %bb.104:
	s_or_b32 exec_lo, exec_lo, s1
	v_mov_b32_e32 v134, 0
	ds_load_b32 v134, v134 offset:96
	s_waitcnt lgkmcnt(0)
	v_mul_f32_e32 v4, v4, v134
	scratch_store_b32 off, v4, off offset:96
.LBB63_105:
	s_or_b32 exec_lo, exec_lo, s0
	s_waitcnt_vscnt null, 0x0
	s_barrier
	buffer_gl0_inv
	scratch_load_b32 v4, off, off offset:100
	s_mov_b32 s0, exec_lo
	s_waitcnt vmcnt(0)
	ds_store_b32 v2, v4
	s_waitcnt lgkmcnt(0)
	s_barrier
	buffer_gl0_inv
	v_cmpx_gt_u32_e32 25, v0
	s_cbranch_execz .LBB63_109
; %bb.106:
	v_add_nc_u32_e32 v134, -1, v0
	v_or_b32_e32 v135, 0x100, v133
	v_add_nc_u32_e32 v136, 0, v133
	v_mov_b32_e32 v4, 0
	s_mov_b32 s1, 0
.LBB63_107:                             ; =>This Inner Loop Header: Depth=1
	scratch_load_b32 v137, v136, off
	ds_load_b32 v138, v135
	v_add_nc_u32_e32 v134, 1, v134
	v_add_nc_u32_e32 v135, 4, v135
	v_add_nc_u32_e32 v136, 4, v136
	s_delay_alu instid0(VALU_DEP_3)
	v_cmp_lt_u32_e32 vcc_lo, 23, v134
	s_or_b32 s1, vcc_lo, s1
	s_waitcnt vmcnt(0) lgkmcnt(0)
	v_fmac_f32_e32 v4, v137, v138
	s_and_not1_b32 exec_lo, exec_lo, s1
	s_cbranch_execnz .LBB63_107
; %bb.108:
	s_or_b32 exec_lo, exec_lo, s1
	v_mov_b32_e32 v134, 0
	ds_load_b32 v134, v134 offset:100
	s_waitcnt lgkmcnt(0)
	v_mul_f32_e32 v4, v4, v134
	scratch_store_b32 off, v4, off offset:100
.LBB63_109:
	s_or_b32 exec_lo, exec_lo, s0
	s_waitcnt_vscnt null, 0x0
	s_barrier
	buffer_gl0_inv
	scratch_load_b32 v4, off, off offset:104
	;; [unrolled: 40-line block ×38, first 2 shown]
	s_mov_b32 s0, exec_lo
	s_waitcnt vmcnt(0)
	ds_store_b32 v2, v4
	s_waitcnt lgkmcnt(0)
	s_barrier
	buffer_gl0_inv
	v_cmpx_gt_u32_e32 62, v0
	s_cbranch_execz .LBB63_257
; %bb.254:
	v_add_nc_u32_e32 v134, -1, v0
	v_or_b32_e32 v135, 0x100, v133
	v_dual_mov_b32 v4, 0 :: v_dual_add_nc_u32 v133, 0, v133
	s_mov_b32 s1, 0
.LBB63_255:                             ; =>This Inner Loop Header: Depth=1
	scratch_load_b32 v136, v133, off
	ds_load_b32 v137, v135
	v_add_nc_u32_e32 v134, 1, v134
	v_add_nc_u32_e32 v135, 4, v135
	;; [unrolled: 1-line block ×3, first 2 shown]
	s_delay_alu instid0(VALU_DEP_3)
	v_cmp_lt_u32_e32 vcc_lo, 60, v134
	s_or_b32 s1, vcc_lo, s1
	s_waitcnt vmcnt(0) lgkmcnt(0)
	v_fmac_f32_e32 v4, v136, v137
	s_and_not1_b32 exec_lo, exec_lo, s1
	s_cbranch_execnz .LBB63_255
; %bb.256:
	s_or_b32 exec_lo, exec_lo, s1
	v_mov_b32_e32 v133, 0
	ds_load_b32 v133, v133 offset:248
	s_waitcnt lgkmcnt(0)
	v_mul_f32_e32 v4, v4, v133
	scratch_store_b32 off, v4, off offset:248
.LBB63_257:
	s_or_b32 exec_lo, exec_lo, s0
	s_waitcnt_vscnt null, 0x0
	s_barrier
	buffer_gl0_inv
	scratch_load_b32 v4, off, off offset:252
	s_mov_b32 s0, exec_lo
	s_waitcnt vmcnt(0)
	ds_store_b32 v2, v4
	s_waitcnt lgkmcnt(0)
	s_barrier
	buffer_gl0_inv
	v_cmpx_ne_u32_e32 63, v0
	s_cbranch_execz .LBB63_261
; %bb.258:
	v_mov_b32_e32 v4, 0
	s_mov_b32 s1, 0
.LBB63_259:                             ; =>This Inner Loop Header: Depth=1
	scratch_load_b32 v133, v1, off
	ds_load_b32 v134, v2
	v_add_nc_u32_e32 v3, 1, v3
	v_add_nc_u32_e32 v2, 4, v2
	s_waitcnt vmcnt(0) lgkmcnt(0)
	v_dual_fmac_f32 v4, v133, v134 :: v_dual_add_nc_u32 v1, 4, v1
	s_delay_alu instid0(VALU_DEP_3) | instskip(SKIP_1) | instid1(SALU_CYCLE_1)
	v_cmp_lt_u32_e32 vcc_lo, 61, v3
	s_or_b32 s1, vcc_lo, s1
	s_and_not1_b32 exec_lo, exec_lo, s1
	s_cbranch_execnz .LBB63_259
; %bb.260:
	s_or_b32 exec_lo, exec_lo, s1
	v_mov_b32_e32 v1, 0
	ds_load_b32 v1, v1 offset:252
	s_waitcnt lgkmcnt(0)
	v_mul_f32_e32 v1, v4, v1
	scratch_store_b32 off, v1, off offset:252
.LBB63_261:
	s_or_b32 exec_lo, exec_lo, s0
	s_mov_b32 s1, -1
	s_waitcnt_vscnt null, 0x0
	s_barrier
	buffer_gl0_inv
.LBB63_262:
	s_and_b32 vcc_lo, exec_lo, s1
	s_cbranch_vccz .LBB63_264
; %bb.263:
	s_lshl_b64 s[0:1], s[14:15], 2
	v_mov_b32_e32 v1, 0
	s_add_u32 s0, s6, s0
	s_addc_u32 s1, s7, s1
	global_load_b32 v1, v1, s[0:1]
	s_waitcnt vmcnt(0)
	v_cmp_ne_u32_e32 vcc_lo, 0, v1
	s_cbranch_vccz .LBB63_265
.LBB63_264:
	s_endpgm
.LBB63_265:
	v_lshl_or_b32 v1, v0, 2, 0x100
	s_mov_b32 s0, exec_lo
	v_cmpx_eq_u32_e32 63, v0
	s_cbranch_execz .LBB63_267
; %bb.266:
	scratch_load_b32 v2, off, off offset:248
	v_mov_b32_e32 v3, 0
	scratch_store_b32 off, v3, off offset:248
	s_waitcnt vmcnt(0)
	ds_store_b32 v1, v2
.LBB63_267:
	s_or_b32 exec_lo, exec_lo, s0
	s_waitcnt lgkmcnt(0)
	s_waitcnt_vscnt null, 0x0
	s_barrier
	buffer_gl0_inv
	scratch_load_b64 v[3:4], off, off offset:248
	v_mov_b32_e32 v2, 0
	s_mov_b32 s0, exec_lo
	ds_load_b32 v133, v2 offset:508
	s_waitcnt vmcnt(0) lgkmcnt(0)
	v_fma_f32 v4, v4, v133, 0
	s_delay_alu instid0(VALU_DEP_1)
	v_sub_f32_e32 v3, v3, v4
	scratch_store_b32 off, v3, off offset:248
	v_cmpx_lt_u32_e32 61, v0
	s_cbranch_execz .LBB63_269
; %bb.268:
	scratch_load_b32 v3, off, off offset:244
	scratch_store_b32 off, v2, off offset:244
	s_waitcnt vmcnt(0)
	ds_store_b32 v1, v3
.LBB63_269:
	s_or_b32 exec_lo, exec_lo, s0
	s_waitcnt lgkmcnt(0)
	s_waitcnt_vscnt null, 0x0
	s_barrier
	buffer_gl0_inv
	scratch_load_b96 v[133:135], off, off offset:244
	ds_load_b64 v[2:3], v2 offset:504
	s_mov_b32 s0, exec_lo
	s_waitcnt vmcnt(0) lgkmcnt(0)
	v_fma_f32 v2, v134, v2, 0
	s_delay_alu instid0(VALU_DEP_1) | instskip(NEXT) | instid1(VALU_DEP_1)
	v_fmac_f32_e32 v2, v135, v3
	v_sub_f32_e32 v2, v133, v2
	scratch_store_b32 off, v2, off offset:244
	v_cmpx_lt_u32_e32 60, v0
	s_cbranch_execz .LBB63_271
; %bb.270:
	scratch_load_b32 v2, off, off offset:240
	v_mov_b32_e32 v3, 0
	scratch_store_b32 off, v3, off offset:240
	s_waitcnt vmcnt(0)
	ds_store_b32 v1, v2
.LBB63_271:
	s_or_b32 exec_lo, exec_lo, s0
	s_waitcnt lgkmcnt(0)
	s_waitcnt_vscnt null, 0x0
	s_barrier
	buffer_gl0_inv
	scratch_load_b128 v[133:136], off, off offset:240
	v_mov_b32_e32 v2, 0
	ds_load_2addr_b32 v[3:4], v2 offset0:125 offset1:126
	ds_load_b32 v137, v2 offset:508
	s_mov_b32 s0, exec_lo
	s_waitcnt vmcnt(0) lgkmcnt(1)
	v_fma_f32 v3, v134, v3, 0
	s_delay_alu instid0(VALU_DEP_1) | instskip(SKIP_1) | instid1(VALU_DEP_1)
	v_fmac_f32_e32 v3, v135, v4
	s_waitcnt lgkmcnt(0)
	v_fmac_f32_e32 v3, v136, v137
	s_delay_alu instid0(VALU_DEP_1)
	v_sub_f32_e32 v3, v133, v3
	scratch_store_b32 off, v3, off offset:240
	v_cmpx_lt_u32_e32 59, v0
	s_cbranch_execz .LBB63_273
; %bb.272:
	scratch_load_b32 v3, off, off offset:236
	scratch_store_b32 off, v2, off offset:236
	s_waitcnt vmcnt(0)
	ds_store_b32 v1, v3
.LBB63_273:
	s_or_b32 exec_lo, exec_lo, s0
	s_waitcnt lgkmcnt(0)
	s_waitcnt_vscnt null, 0x0
	s_barrier
	buffer_gl0_inv
	s_clause 0x1
	scratch_load_b128 v[133:136], off, off offset:236
	scratch_load_b32 v3, off, off offset:252
	ds_load_b128 v[137:140], v2 offset:496
	s_mov_b32 s0, exec_lo
	s_waitcnt vmcnt(1) lgkmcnt(0)
	v_fma_f32 v2, v134, v137, 0
	s_delay_alu instid0(VALU_DEP_1) | instskip(NEXT) | instid1(VALU_DEP_1)
	v_fmac_f32_e32 v2, v135, v138
	v_fmac_f32_e32 v2, v136, v139
	s_waitcnt vmcnt(0)
	s_delay_alu instid0(VALU_DEP_1) | instskip(NEXT) | instid1(VALU_DEP_1)
	v_fmac_f32_e32 v2, v3, v140
	v_sub_f32_e32 v2, v133, v2
	scratch_store_b32 off, v2, off offset:236
	v_cmpx_lt_u32_e32 58, v0
	s_cbranch_execz .LBB63_275
; %bb.274:
	scratch_load_b32 v2, off, off offset:232
	v_mov_b32_e32 v3, 0
	scratch_store_b32 off, v3, off offset:232
	s_waitcnt vmcnt(0)
	ds_store_b32 v1, v2
.LBB63_275:
	s_or_b32 exec_lo, exec_lo, s0
	s_waitcnt lgkmcnt(0)
	s_waitcnt_vscnt null, 0x0
	s_barrier
	buffer_gl0_inv
	s_clause 0x1
	scratch_load_b128 v[133:136], off, off offset:232
	scratch_load_b64 v[3:4], off, off offset:248
	v_mov_b32_e32 v2, 0
	ds_load_2addr_b32 v[137:138], v2 offset0:123 offset1:124
	ds_load_2addr_b32 v[139:140], v2 offset0:125 offset1:126
	ds_load_b32 v141, v2 offset:508
	s_mov_b32 s0, exec_lo
	s_waitcnt vmcnt(1) lgkmcnt(2)
	v_fma_f32 v134, v134, v137, 0
	s_delay_alu instid0(VALU_DEP_1) | instskip(SKIP_1) | instid1(VALU_DEP_1)
	v_fmac_f32_e32 v134, v135, v138
	s_waitcnt lgkmcnt(1)
	v_fmac_f32_e32 v134, v136, v139
	s_waitcnt vmcnt(0)
	s_delay_alu instid0(VALU_DEP_1) | instskip(SKIP_1) | instid1(VALU_DEP_1)
	v_fmac_f32_e32 v134, v3, v140
	s_waitcnt lgkmcnt(0)
	v_fmac_f32_e32 v134, v4, v141
	s_delay_alu instid0(VALU_DEP_1)
	v_sub_f32_e32 v3, v133, v134
	scratch_store_b32 off, v3, off offset:232
	v_cmpx_lt_u32_e32 57, v0
	s_cbranch_execz .LBB63_277
; %bb.276:
	scratch_load_b32 v3, off, off offset:228
	scratch_store_b32 off, v2, off offset:228
	s_waitcnt vmcnt(0)
	ds_store_b32 v1, v3
.LBB63_277:
	s_or_b32 exec_lo, exec_lo, s0
	s_waitcnt lgkmcnt(0)
	s_waitcnt_vscnt null, 0x0
	s_barrier
	buffer_gl0_inv
	s_clause 0x1
	scratch_load_b128 v[133:136], off, off offset:228
	scratch_load_b96 v[141:143], off, off offset:244
	ds_load_2addr_b64 v[137:140], v2 offset0:61 offset1:62
	ds_load_b64 v[2:3], v2 offset:504
	s_mov_b32 s0, exec_lo
	s_waitcnt vmcnt(1) lgkmcnt(1)
	v_fma_f32 v4, v134, v137, 0
	s_delay_alu instid0(VALU_DEP_1) | instskip(NEXT) | instid1(VALU_DEP_1)
	v_fmac_f32_e32 v4, v135, v138
	v_fmac_f32_e32 v4, v136, v139
	s_waitcnt vmcnt(0)
	s_delay_alu instid0(VALU_DEP_1) | instskip(SKIP_1) | instid1(VALU_DEP_1)
	v_fmac_f32_e32 v4, v141, v140
	s_waitcnt lgkmcnt(0)
	v_fmac_f32_e32 v4, v142, v2
	s_delay_alu instid0(VALU_DEP_1) | instskip(NEXT) | instid1(VALU_DEP_1)
	v_fmac_f32_e32 v4, v143, v3
	v_sub_f32_e32 v2, v133, v4
	scratch_store_b32 off, v2, off offset:228
	v_cmpx_lt_u32_e32 56, v0
	s_cbranch_execz .LBB63_279
; %bb.278:
	scratch_load_b32 v2, off, off offset:224
	v_mov_b32_e32 v3, 0
	scratch_store_b32 off, v3, off offset:224
	s_waitcnt vmcnt(0)
	ds_store_b32 v1, v2
.LBB63_279:
	s_or_b32 exec_lo, exec_lo, s0
	s_waitcnt lgkmcnt(0)
	s_waitcnt_vscnt null, 0x0
	s_barrier
	buffer_gl0_inv
	s_clause 0x1
	scratch_load_b128 v[133:136], off, off offset:224
	scratch_load_b128 v[137:140], off, off offset:240
	v_mov_b32_e32 v2, 0
	ds_load_2addr_b32 v[3:4], v2 offset0:121 offset1:122
	ds_load_2addr_b32 v[141:142], v2 offset0:123 offset1:124
	;; [unrolled: 1-line block ×3, first 2 shown]
	ds_load_b32 v145, v2 offset:508
	s_mov_b32 s0, exec_lo
	s_waitcnt vmcnt(1) lgkmcnt(3)
	v_fma_f32 v3, v134, v3, 0
	s_delay_alu instid0(VALU_DEP_1) | instskip(SKIP_1) | instid1(VALU_DEP_1)
	v_fmac_f32_e32 v3, v135, v4
	s_waitcnt lgkmcnt(2)
	v_fmac_f32_e32 v3, v136, v141
	s_waitcnt vmcnt(0)
	s_delay_alu instid0(VALU_DEP_1) | instskip(SKIP_1) | instid1(VALU_DEP_1)
	v_fmac_f32_e32 v3, v137, v142
	s_waitcnt lgkmcnt(1)
	v_fmac_f32_e32 v3, v138, v143
	s_delay_alu instid0(VALU_DEP_1) | instskip(SKIP_1) | instid1(VALU_DEP_1)
	v_fmac_f32_e32 v3, v139, v144
	s_waitcnt lgkmcnt(0)
	v_fmac_f32_e32 v3, v140, v145
	s_delay_alu instid0(VALU_DEP_1)
	v_sub_f32_e32 v3, v133, v3
	scratch_store_b32 off, v3, off offset:224
	v_cmpx_lt_u32_e32 55, v0
	s_cbranch_execz .LBB63_281
; %bb.280:
	scratch_load_b32 v3, off, off offset:220
	scratch_store_b32 off, v2, off offset:220
	s_waitcnt vmcnt(0)
	ds_store_b32 v1, v3
.LBB63_281:
	s_or_b32 exec_lo, exec_lo, s0
	s_waitcnt lgkmcnt(0)
	s_waitcnt_vscnt null, 0x0
	s_barrier
	buffer_gl0_inv
	s_clause 0x2
	scratch_load_b128 v[133:136], off, off offset:220
	scratch_load_b128 v[137:140], off, off offset:236
	scratch_load_b32 v3, off, off offset:252
	ds_load_b128 v[141:144], v2 offset:480
	ds_load_b128 v[145:148], v2 offset:496
	s_mov_b32 s0, exec_lo
	s_waitcnt vmcnt(2) lgkmcnt(1)
	v_fma_f32 v2, v134, v141, 0
	s_delay_alu instid0(VALU_DEP_1) | instskip(NEXT) | instid1(VALU_DEP_1)
	v_fmac_f32_e32 v2, v135, v142
	v_fmac_f32_e32 v2, v136, v143
	s_waitcnt vmcnt(1)
	s_delay_alu instid0(VALU_DEP_1) | instskip(SKIP_1) | instid1(VALU_DEP_1)
	v_fmac_f32_e32 v2, v137, v144
	s_waitcnt lgkmcnt(0)
	v_fmac_f32_e32 v2, v138, v145
	s_delay_alu instid0(VALU_DEP_1) | instskip(NEXT) | instid1(VALU_DEP_1)
	v_fmac_f32_e32 v2, v139, v146
	v_fmac_f32_e32 v2, v140, v147
	s_waitcnt vmcnt(0)
	s_delay_alu instid0(VALU_DEP_1) | instskip(NEXT) | instid1(VALU_DEP_1)
	v_fmac_f32_e32 v2, v3, v148
	v_sub_f32_e32 v2, v133, v2
	scratch_store_b32 off, v2, off offset:220
	v_cmpx_lt_u32_e32 54, v0
	s_cbranch_execz .LBB63_283
; %bb.282:
	scratch_load_b32 v2, off, off offset:216
	v_mov_b32_e32 v3, 0
	scratch_store_b32 off, v3, off offset:216
	s_waitcnt vmcnt(0)
	ds_store_b32 v1, v2
.LBB63_283:
	s_or_b32 exec_lo, exec_lo, s0
	s_waitcnt lgkmcnt(0)
	s_waitcnt_vscnt null, 0x0
	s_barrier
	buffer_gl0_inv
	s_clause 0x2
	scratch_load_b128 v[133:136], off, off offset:216
	scratch_load_b128 v[137:140], off, off offset:232
	scratch_load_b64 v[3:4], off, off offset:248
	v_mov_b32_e32 v2, 0
	ds_load_2addr_b32 v[141:142], v2 offset0:119 offset1:120
	ds_load_2addr_b32 v[143:144], v2 offset0:121 offset1:122
	;; [unrolled: 1-line block ×4, first 2 shown]
	s_mov_b32 s0, exec_lo
	s_waitcnt vmcnt(2) lgkmcnt(3)
	v_fma_f32 v134, v134, v141, 0
	s_delay_alu instid0(VALU_DEP_1) | instskip(SKIP_4) | instid1(VALU_DEP_1)
	v_fmac_f32_e32 v134, v135, v142
	ds_load_b32 v135, v2 offset:508
	s_waitcnt lgkmcnt(3)
	v_fmac_f32_e32 v134, v136, v143
	s_waitcnt vmcnt(1)
	v_fmac_f32_e32 v134, v137, v144
	s_waitcnt lgkmcnt(2)
	s_delay_alu instid0(VALU_DEP_1) | instskip(NEXT) | instid1(VALU_DEP_1)
	v_fmac_f32_e32 v134, v138, v145
	v_fmac_f32_e32 v134, v139, v146
	s_waitcnt lgkmcnt(1)
	s_delay_alu instid0(VALU_DEP_1) | instskip(SKIP_1) | instid1(VALU_DEP_1)
	v_fmac_f32_e32 v134, v140, v147
	s_waitcnt vmcnt(0)
	v_fmac_f32_e32 v134, v3, v148
	s_waitcnt lgkmcnt(0)
	s_delay_alu instid0(VALU_DEP_1) | instskip(NEXT) | instid1(VALU_DEP_1)
	v_fmac_f32_e32 v134, v4, v135
	v_sub_f32_e32 v3, v133, v134
	scratch_store_b32 off, v3, off offset:216
	v_cmpx_lt_u32_e32 53, v0
	s_cbranch_execz .LBB63_285
; %bb.284:
	scratch_load_b32 v3, off, off offset:212
	scratch_store_b32 off, v2, off offset:212
	s_waitcnt vmcnt(0)
	ds_store_b32 v1, v3
.LBB63_285:
	s_or_b32 exec_lo, exec_lo, s0
	s_waitcnt lgkmcnt(0)
	s_waitcnt_vscnt null, 0x0
	s_barrier
	buffer_gl0_inv
	s_clause 0x2
	scratch_load_b128 v[133:136], off, off offset:212
	scratch_load_b128 v[137:140], off, off offset:228
	scratch_load_b96 v[149:151], off, off offset:244
	ds_load_2addr_b64 v[141:144], v2 offset0:59 offset1:60
	ds_load_2addr_b64 v[145:148], v2 offset0:61 offset1:62
	ds_load_b64 v[2:3], v2 offset:504
	s_mov_b32 s0, exec_lo
	s_waitcnt vmcnt(2) lgkmcnt(2)
	v_fma_f32 v4, v134, v141, 0
	s_delay_alu instid0(VALU_DEP_1) | instskip(NEXT) | instid1(VALU_DEP_1)
	v_fmac_f32_e32 v4, v135, v142
	v_fmac_f32_e32 v4, v136, v143
	s_waitcnt vmcnt(1)
	s_delay_alu instid0(VALU_DEP_1) | instskip(SKIP_1) | instid1(VALU_DEP_1)
	v_fmac_f32_e32 v4, v137, v144
	s_waitcnt lgkmcnt(1)
	v_fmac_f32_e32 v4, v138, v145
	s_delay_alu instid0(VALU_DEP_1) | instskip(NEXT) | instid1(VALU_DEP_1)
	v_fmac_f32_e32 v4, v139, v146
	v_fmac_f32_e32 v4, v140, v147
	s_waitcnt vmcnt(0)
	s_delay_alu instid0(VALU_DEP_1) | instskip(SKIP_1) | instid1(VALU_DEP_1)
	v_fmac_f32_e32 v4, v149, v148
	s_waitcnt lgkmcnt(0)
	v_fmac_f32_e32 v4, v150, v2
	s_delay_alu instid0(VALU_DEP_1) | instskip(NEXT) | instid1(VALU_DEP_1)
	v_fmac_f32_e32 v4, v151, v3
	v_sub_f32_e32 v2, v133, v4
	scratch_store_b32 off, v2, off offset:212
	v_cmpx_lt_u32_e32 52, v0
	s_cbranch_execz .LBB63_287
; %bb.286:
	scratch_load_b32 v2, off, off offset:208
	v_mov_b32_e32 v3, 0
	scratch_store_b32 off, v3, off offset:208
	s_waitcnt vmcnt(0)
	ds_store_b32 v1, v2
.LBB63_287:
	s_or_b32 exec_lo, exec_lo, s0
	s_waitcnt lgkmcnt(0)
	s_waitcnt_vscnt null, 0x0
	s_barrier
	buffer_gl0_inv
	s_clause 0x2
	scratch_load_b128 v[133:136], off, off offset:208
	scratch_load_b128 v[137:140], off, off offset:224
	;; [unrolled: 1-line block ×3, first 2 shown]
	v_mov_b32_e32 v2, 0
	ds_load_2addr_b32 v[3:4], v2 offset0:117 offset1:118
	ds_load_2addr_b32 v[145:146], v2 offset0:119 offset1:120
	;; [unrolled: 1-line block ×4, first 2 shown]
	s_mov_b32 s0, exec_lo
	s_waitcnt vmcnt(2) lgkmcnt(3)
	v_fma_f32 v134, v134, v3, 0
	s_delay_alu instid0(VALU_DEP_1)
	v_fmac_f32_e32 v134, v135, v4
	ds_load_2addr_b32 v[3:4], v2 offset0:125 offset1:126
	ds_load_b32 v135, v2 offset:508
	s_waitcnt lgkmcnt(4)
	v_fmac_f32_e32 v134, v136, v145
	s_waitcnt vmcnt(1)
	s_delay_alu instid0(VALU_DEP_1) | instskip(SKIP_1) | instid1(VALU_DEP_1)
	v_fmac_f32_e32 v134, v137, v146
	s_waitcnt lgkmcnt(3)
	v_fmac_f32_e32 v134, v138, v147
	s_delay_alu instid0(VALU_DEP_1) | instskip(SKIP_1) | instid1(VALU_DEP_1)
	v_fmac_f32_e32 v134, v139, v148
	s_waitcnt lgkmcnt(2)
	v_fmac_f32_e32 v134, v140, v149
	s_waitcnt vmcnt(0)
	s_delay_alu instid0(VALU_DEP_1) | instskip(SKIP_1) | instid1(VALU_DEP_1)
	v_fmac_f32_e32 v134, v141, v150
	s_waitcnt lgkmcnt(1)
	v_fmac_f32_e32 v134, v142, v3
	s_delay_alu instid0(VALU_DEP_1) | instskip(SKIP_1) | instid1(VALU_DEP_1)
	v_fmac_f32_e32 v134, v143, v4
	s_waitcnt lgkmcnt(0)
	v_fmac_f32_e32 v134, v144, v135
	s_delay_alu instid0(VALU_DEP_1)
	v_sub_f32_e32 v3, v133, v134
	scratch_store_b32 off, v3, off offset:208
	v_cmpx_lt_u32_e32 51, v0
	s_cbranch_execz .LBB63_289
; %bb.288:
	scratch_load_b32 v3, off, off offset:204
	scratch_store_b32 off, v2, off offset:204
	s_waitcnt vmcnt(0)
	ds_store_b32 v1, v3
.LBB63_289:
	s_or_b32 exec_lo, exec_lo, s0
	s_waitcnt lgkmcnt(0)
	s_waitcnt_vscnt null, 0x0
	s_barrier
	buffer_gl0_inv
	s_clause 0x3
	scratch_load_b128 v[133:136], off, off offset:204
	scratch_load_b128 v[137:140], off, off offset:220
	;; [unrolled: 1-line block ×3, first 2 shown]
	scratch_load_b32 v3, off, off offset:252
	ds_load_b128 v[145:148], v2 offset:464
	ds_load_b128 v[149:152], v2 offset:480
	s_mov_b32 s0, exec_lo
	s_waitcnt vmcnt(3) lgkmcnt(1)
	v_fma_f32 v4, v134, v145, 0
	s_delay_alu instid0(VALU_DEP_1) | instskip(NEXT) | instid1(VALU_DEP_1)
	v_fmac_f32_e32 v4, v135, v146
	v_fmac_f32_e32 v4, v136, v147
	s_waitcnt vmcnt(2)
	s_delay_alu instid0(VALU_DEP_1) | instskip(SKIP_3) | instid1(VALU_DEP_1)
	v_fmac_f32_e32 v4, v137, v148
	ds_load_b128 v[134:137], v2 offset:496
	s_waitcnt lgkmcnt(1)
	v_fmac_f32_e32 v4, v138, v149
	v_fmac_f32_e32 v4, v139, v150
	s_delay_alu instid0(VALU_DEP_1) | instskip(SKIP_1) | instid1(VALU_DEP_1)
	v_fmac_f32_e32 v4, v140, v151
	s_waitcnt vmcnt(1)
	v_fmac_f32_e32 v4, v141, v152
	s_waitcnt lgkmcnt(0)
	s_delay_alu instid0(VALU_DEP_1) | instskip(NEXT) | instid1(VALU_DEP_1)
	v_fmac_f32_e32 v4, v142, v134
	v_fmac_f32_e32 v4, v143, v135
	s_delay_alu instid0(VALU_DEP_1) | instskip(SKIP_1) | instid1(VALU_DEP_1)
	v_fmac_f32_e32 v4, v144, v136
	s_waitcnt vmcnt(0)
	v_fmac_f32_e32 v4, v3, v137
	s_delay_alu instid0(VALU_DEP_1)
	v_sub_f32_e32 v2, v133, v4
	scratch_store_b32 off, v2, off offset:204
	v_cmpx_lt_u32_e32 50, v0
	s_cbranch_execz .LBB63_291
; %bb.290:
	scratch_load_b32 v2, off, off offset:200
	v_mov_b32_e32 v3, 0
	scratch_store_b32 off, v3, off offset:200
	s_waitcnt vmcnt(0)
	ds_store_b32 v1, v2
.LBB63_291:
	s_or_b32 exec_lo, exec_lo, s0
	s_waitcnt lgkmcnt(0)
	s_waitcnt_vscnt null, 0x0
	s_barrier
	buffer_gl0_inv
	s_clause 0x3
	scratch_load_b128 v[133:136], off, off offset:200
	scratch_load_b128 v[137:140], off, off offset:216
	;; [unrolled: 1-line block ×3, first 2 shown]
	scratch_load_b64 v[3:4], off, off offset:248
	v_mov_b32_e32 v2, 0
	ds_load_2addr_b32 v[145:146], v2 offset0:115 offset1:116
	ds_load_2addr_b32 v[147:148], v2 offset0:117 offset1:118
	;; [unrolled: 1-line block ×4, first 2 shown]
	s_mov_b32 s0, exec_lo
	s_waitcnt vmcnt(3) lgkmcnt(3)
	v_fma_f32 v145, v134, v145, 0
	s_delay_alu instid0(VALU_DEP_1) | instskip(SKIP_4) | instid1(VALU_DEP_1)
	v_fmac_f32_e32 v145, v135, v146
	ds_load_2addr_b32 v[134:135], v2 offset0:123 offset1:124
	s_waitcnt lgkmcnt(3)
	v_fmac_f32_e32 v145, v136, v147
	s_waitcnt vmcnt(2)
	v_fmac_f32_e32 v145, v137, v148
	ds_load_2addr_b32 v[136:137], v2 offset0:125 offset1:126
	s_waitcnt lgkmcnt(3)
	v_fmac_f32_e32 v145, v138, v149
	ds_load_b32 v138, v2 offset:508
	v_fmac_f32_e32 v145, v139, v150
	s_waitcnt lgkmcnt(3)
	s_delay_alu instid0(VALU_DEP_1) | instskip(SKIP_1) | instid1(VALU_DEP_1)
	v_fmac_f32_e32 v145, v140, v151
	s_waitcnt vmcnt(1)
	v_fmac_f32_e32 v145, v141, v152
	s_waitcnt lgkmcnt(2)
	s_delay_alu instid0(VALU_DEP_1) | instskip(NEXT) | instid1(VALU_DEP_1)
	v_fmac_f32_e32 v145, v142, v134
	v_fmac_f32_e32 v145, v143, v135
	s_waitcnt lgkmcnt(1)
	s_delay_alu instid0(VALU_DEP_1) | instskip(SKIP_1) | instid1(VALU_DEP_1)
	v_fmac_f32_e32 v145, v144, v136
	s_waitcnt vmcnt(0)
	v_fmac_f32_e32 v145, v3, v137
	s_waitcnt lgkmcnt(0)
	s_delay_alu instid0(VALU_DEP_1) | instskip(NEXT) | instid1(VALU_DEP_1)
	v_fmac_f32_e32 v145, v4, v138
	v_sub_f32_e32 v3, v133, v145
	scratch_store_b32 off, v3, off offset:200
	v_cmpx_lt_u32_e32 49, v0
	s_cbranch_execz .LBB63_293
; %bb.292:
	scratch_load_b32 v3, off, off offset:196
	scratch_store_b32 off, v2, off offset:196
	s_waitcnt vmcnt(0)
	ds_store_b32 v1, v3
.LBB63_293:
	s_or_b32 exec_lo, exec_lo, s0
	s_waitcnt lgkmcnt(0)
	s_waitcnt_vscnt null, 0x0
	s_barrier
	buffer_gl0_inv
	s_clause 0x3
	scratch_load_b128 v[133:136], off, off offset:196
	scratch_load_b128 v[137:140], off, off offset:212
	;; [unrolled: 1-line block ×3, first 2 shown]
	scratch_load_b96 v[153:155], off, off offset:244
	ds_load_2addr_b64 v[145:148], v2 offset0:57 offset1:58
	ds_load_2addr_b64 v[149:152], v2 offset0:59 offset1:60
	s_mov_b32 s0, exec_lo
	s_waitcnt vmcnt(3) lgkmcnt(1)
	v_fma_f32 v4, v134, v145, 0
	s_delay_alu instid0(VALU_DEP_1) | instskip(NEXT) | instid1(VALU_DEP_1)
	v_fmac_f32_e32 v4, v135, v146
	v_fmac_f32_e32 v4, v136, v147
	s_waitcnt vmcnt(2)
	s_delay_alu instid0(VALU_DEP_1) | instskip(SKIP_4) | instid1(VALU_DEP_1)
	v_fmac_f32_e32 v4, v137, v148
	ds_load_2addr_b64 v[134:137], v2 offset0:61 offset1:62
	ds_load_b64 v[2:3], v2 offset:504
	s_waitcnt lgkmcnt(2)
	v_fmac_f32_e32 v4, v138, v149
	v_fmac_f32_e32 v4, v139, v150
	s_delay_alu instid0(VALU_DEP_1) | instskip(SKIP_1) | instid1(VALU_DEP_1)
	v_fmac_f32_e32 v4, v140, v151
	s_waitcnt vmcnt(1)
	v_fmac_f32_e32 v4, v141, v152
	s_waitcnt lgkmcnt(1)
	s_delay_alu instid0(VALU_DEP_1) | instskip(NEXT) | instid1(VALU_DEP_1)
	v_fmac_f32_e32 v4, v142, v134
	v_fmac_f32_e32 v4, v143, v135
	s_delay_alu instid0(VALU_DEP_1) | instskip(SKIP_1) | instid1(VALU_DEP_1)
	v_fmac_f32_e32 v4, v144, v136
	s_waitcnt vmcnt(0)
	v_fmac_f32_e32 v4, v153, v137
	s_waitcnt lgkmcnt(0)
	s_delay_alu instid0(VALU_DEP_1) | instskip(NEXT) | instid1(VALU_DEP_1)
	v_fmac_f32_e32 v4, v154, v2
	v_fmac_f32_e32 v4, v155, v3
	s_delay_alu instid0(VALU_DEP_1)
	v_sub_f32_e32 v2, v133, v4
	scratch_store_b32 off, v2, off offset:196
	v_cmpx_lt_u32_e32 48, v0
	s_cbranch_execz .LBB63_295
; %bb.294:
	scratch_load_b32 v2, off, off offset:192
	v_mov_b32_e32 v3, 0
	scratch_store_b32 off, v3, off offset:192
	s_waitcnt vmcnt(0)
	ds_store_b32 v1, v2
.LBB63_295:
	s_or_b32 exec_lo, exec_lo, s0
	s_waitcnt lgkmcnt(0)
	s_waitcnt_vscnt null, 0x0
	s_barrier
	buffer_gl0_inv
	s_clause 0x3
	scratch_load_b128 v[133:136], off, off offset:192
	scratch_load_b128 v[137:140], off, off offset:208
	;; [unrolled: 1-line block ×4, first 2 shown]
	v_mov_b32_e32 v2, 0
	ds_load_2addr_b32 v[3:4], v2 offset0:113 offset1:114
	ds_load_2addr_b32 v[149:150], v2 offset0:115 offset1:116
	;; [unrolled: 1-line block ×4, first 2 shown]
	s_mov_b32 s0, exec_lo
	s_waitcnt vmcnt(3) lgkmcnt(3)
	v_fma_f32 v155, v134, v3, 0
	s_delay_alu instid0(VALU_DEP_1)
	v_fmac_f32_e32 v155, v135, v4
	ds_load_2addr_b32 v[3:4], v2 offset0:121 offset1:122
	ds_load_2addr_b32 v[134:135], v2 offset0:123 offset1:124
	s_waitcnt lgkmcnt(4)
	v_fmac_f32_e32 v155, v136, v149
	s_waitcnt vmcnt(2)
	s_delay_alu instid0(VALU_DEP_1) | instskip(SKIP_1) | instid1(VALU_DEP_1)
	v_fmac_f32_e32 v155, v137, v150
	s_waitcnt lgkmcnt(3)
	v_fmac_f32_e32 v155, v138, v151
	ds_load_2addr_b32 v[136:137], v2 offset0:125 offset1:126
	ds_load_b32 v138, v2 offset:508
	v_fmac_f32_e32 v155, v139, v152
	s_waitcnt lgkmcnt(4)
	s_delay_alu instid0(VALU_DEP_1) | instskip(SKIP_1) | instid1(VALU_DEP_1)
	v_fmac_f32_e32 v155, v140, v153
	s_waitcnt vmcnt(1)
	v_fmac_f32_e32 v155, v141, v154
	s_waitcnt lgkmcnt(3)
	s_delay_alu instid0(VALU_DEP_1) | instskip(NEXT) | instid1(VALU_DEP_1)
	v_fmac_f32_e32 v155, v142, v3
	v_fmac_f32_e32 v155, v143, v4
	s_waitcnt lgkmcnt(2)
	s_delay_alu instid0(VALU_DEP_1) | instskip(SKIP_1) | instid1(VALU_DEP_1)
	v_fmac_f32_e32 v155, v144, v134
	s_waitcnt vmcnt(0)
	v_fmac_f32_e32 v155, v145, v135
	s_waitcnt lgkmcnt(1)
	s_delay_alu instid0(VALU_DEP_1) | instskip(NEXT) | instid1(VALU_DEP_1)
	v_fmac_f32_e32 v155, v146, v136
	v_fmac_f32_e32 v155, v147, v137
	s_waitcnt lgkmcnt(0)
	s_delay_alu instid0(VALU_DEP_1) | instskip(NEXT) | instid1(VALU_DEP_1)
	v_fmac_f32_e32 v155, v148, v138
	v_sub_f32_e32 v3, v133, v155
	scratch_store_b32 off, v3, off offset:192
	v_cmpx_lt_u32_e32 47, v0
	s_cbranch_execz .LBB63_297
; %bb.296:
	scratch_load_b32 v3, off, off offset:188
	scratch_store_b32 off, v2, off offset:188
	s_waitcnt vmcnt(0)
	ds_store_b32 v1, v3
.LBB63_297:
	s_or_b32 exec_lo, exec_lo, s0
	s_waitcnt lgkmcnt(0)
	s_waitcnt_vscnt null, 0x0
	s_barrier
	buffer_gl0_inv
	s_clause 0x4
	scratch_load_b128 v[133:136], off, off offset:188
	scratch_load_b128 v[137:140], off, off offset:204
	;; [unrolled: 1-line block ×4, first 2 shown]
	scratch_load_b32 v3, off, off offset:252
	ds_load_b128 v[149:152], v2 offset:448
	ds_load_b128 v[153:156], v2 offset:464
	s_mov_b32 s0, exec_lo
	s_waitcnt vmcnt(4) lgkmcnt(1)
	v_fma_f32 v4, v134, v149, 0
	s_delay_alu instid0(VALU_DEP_1) | instskip(NEXT) | instid1(VALU_DEP_1)
	v_fmac_f32_e32 v4, v135, v150
	v_fmac_f32_e32 v4, v136, v151
	s_waitcnt vmcnt(3)
	s_delay_alu instid0(VALU_DEP_1) | instskip(SKIP_3) | instid1(VALU_DEP_1)
	v_fmac_f32_e32 v4, v137, v152
	ds_load_b128 v[134:137], v2 offset:480
	s_waitcnt lgkmcnt(1)
	v_fmac_f32_e32 v4, v138, v153
	v_fmac_f32_e32 v4, v139, v154
	s_delay_alu instid0(VALU_DEP_1) | instskip(SKIP_1) | instid1(VALU_DEP_1)
	v_fmac_f32_e32 v4, v140, v155
	s_waitcnt vmcnt(2)
	v_fmac_f32_e32 v4, v141, v156
	ds_load_b128 v[138:141], v2 offset:496
	s_waitcnt lgkmcnt(1)
	v_fmac_f32_e32 v4, v142, v134
	s_delay_alu instid0(VALU_DEP_1) | instskip(NEXT) | instid1(VALU_DEP_1)
	v_fmac_f32_e32 v4, v143, v135
	v_fmac_f32_e32 v4, v144, v136
	s_waitcnt vmcnt(1)
	s_delay_alu instid0(VALU_DEP_1) | instskip(SKIP_1) | instid1(VALU_DEP_1)
	v_fmac_f32_e32 v4, v145, v137
	s_waitcnt lgkmcnt(0)
	v_fmac_f32_e32 v4, v146, v138
	s_delay_alu instid0(VALU_DEP_1) | instskip(NEXT) | instid1(VALU_DEP_1)
	v_fmac_f32_e32 v4, v147, v139
	v_fmac_f32_e32 v4, v148, v140
	s_waitcnt vmcnt(0)
	s_delay_alu instid0(VALU_DEP_1) | instskip(NEXT) | instid1(VALU_DEP_1)
	v_fmac_f32_e32 v4, v3, v141
	v_sub_f32_e32 v2, v133, v4
	scratch_store_b32 off, v2, off offset:188
	v_cmpx_lt_u32_e32 46, v0
	s_cbranch_execz .LBB63_299
; %bb.298:
	scratch_load_b32 v2, off, off offset:184
	v_mov_b32_e32 v3, 0
	scratch_store_b32 off, v3, off offset:184
	s_waitcnt vmcnt(0)
	ds_store_b32 v1, v2
.LBB63_299:
	s_or_b32 exec_lo, exec_lo, s0
	s_waitcnt lgkmcnt(0)
	s_waitcnt_vscnt null, 0x0
	s_barrier
	buffer_gl0_inv
	s_clause 0x4
	scratch_load_b128 v[133:136], off, off offset:184
	scratch_load_b128 v[137:140], off, off offset:200
	scratch_load_b128 v[141:144], off, off offset:216
	scratch_load_b128 v[145:148], off, off offset:232
	scratch_load_b64 v[3:4], off, off offset:248
	v_mov_b32_e32 v2, 0
	ds_load_2addr_b32 v[149:150], v2 offset0:111 offset1:112
	ds_load_2addr_b32 v[151:152], v2 offset0:113 offset1:114
	;; [unrolled: 1-line block ×4, first 2 shown]
	s_mov_b32 s0, exec_lo
	s_waitcnt vmcnt(4) lgkmcnt(3)
	v_fma_f32 v149, v134, v149, 0
	s_delay_alu instid0(VALU_DEP_1) | instskip(SKIP_4) | instid1(VALU_DEP_1)
	v_fmac_f32_e32 v149, v135, v150
	ds_load_2addr_b32 v[134:135], v2 offset0:119 offset1:120
	s_waitcnt lgkmcnt(3)
	v_fmac_f32_e32 v149, v136, v151
	s_waitcnt vmcnt(3)
	v_fmac_f32_e32 v149, v137, v152
	ds_load_2addr_b32 v[136:137], v2 offset0:121 offset1:122
	s_waitcnt lgkmcnt(3)
	v_fmac_f32_e32 v149, v138, v153
	s_delay_alu instid0(VALU_DEP_1) | instskip(SKIP_1) | instid1(VALU_DEP_1)
	v_fmac_f32_e32 v149, v139, v154
	s_waitcnt lgkmcnt(2)
	v_fmac_f32_e32 v149, v140, v155
	s_waitcnt vmcnt(2)
	s_delay_alu instid0(VALU_DEP_1)
	v_fmac_f32_e32 v149, v141, v156
	ds_load_2addr_b32 v[138:139], v2 offset0:123 offset1:124
	ds_load_2addr_b32 v[140:141], v2 offset0:125 offset1:126
	s_waitcnt lgkmcnt(3)
	v_fmac_f32_e32 v149, v142, v134
	ds_load_b32 v134, v2 offset:508
	v_fmac_f32_e32 v149, v143, v135
	s_waitcnt lgkmcnt(3)
	s_delay_alu instid0(VALU_DEP_1) | instskip(SKIP_1) | instid1(VALU_DEP_1)
	v_fmac_f32_e32 v149, v144, v136
	s_waitcnt vmcnt(1)
	v_fmac_f32_e32 v149, v145, v137
	s_waitcnt lgkmcnt(2)
	s_delay_alu instid0(VALU_DEP_1) | instskip(NEXT) | instid1(VALU_DEP_1)
	v_fmac_f32_e32 v149, v146, v138
	v_fmac_f32_e32 v149, v147, v139
	s_waitcnt lgkmcnt(1)
	s_delay_alu instid0(VALU_DEP_1) | instskip(SKIP_1) | instid1(VALU_DEP_1)
	v_fmac_f32_e32 v149, v148, v140
	s_waitcnt vmcnt(0)
	v_fmac_f32_e32 v149, v3, v141
	s_waitcnt lgkmcnt(0)
	s_delay_alu instid0(VALU_DEP_1) | instskip(NEXT) | instid1(VALU_DEP_1)
	v_fmac_f32_e32 v149, v4, v134
	v_sub_f32_e32 v3, v133, v149
	scratch_store_b32 off, v3, off offset:184
	v_cmpx_lt_u32_e32 45, v0
	s_cbranch_execz .LBB63_301
; %bb.300:
	scratch_load_b32 v3, off, off offset:180
	scratch_store_b32 off, v2, off offset:180
	s_waitcnt vmcnt(0)
	ds_store_b32 v1, v3
.LBB63_301:
	s_or_b32 exec_lo, exec_lo, s0
	s_waitcnt lgkmcnt(0)
	s_waitcnt_vscnt null, 0x0
	s_barrier
	buffer_gl0_inv
	s_clause 0x4
	scratch_load_b128 v[133:136], off, off offset:180
	scratch_load_b128 v[137:140], off, off offset:196
	;; [unrolled: 1-line block ×4, first 2 shown]
	scratch_load_b96 v[157:159], off, off offset:244
	ds_load_2addr_b64 v[149:152], v2 offset0:55 offset1:56
	ds_load_2addr_b64 v[153:156], v2 offset0:57 offset1:58
	s_mov_b32 s0, exec_lo
	s_waitcnt vmcnt(4) lgkmcnt(1)
	v_fma_f32 v4, v134, v149, 0
	s_delay_alu instid0(VALU_DEP_1) | instskip(NEXT) | instid1(VALU_DEP_1)
	v_fmac_f32_e32 v4, v135, v150
	v_fmac_f32_e32 v4, v136, v151
	s_waitcnt vmcnt(3)
	s_delay_alu instid0(VALU_DEP_1) | instskip(SKIP_3) | instid1(VALU_DEP_1)
	v_fmac_f32_e32 v4, v137, v152
	ds_load_2addr_b64 v[134:137], v2 offset0:59 offset1:60
	s_waitcnt lgkmcnt(1)
	v_fmac_f32_e32 v4, v138, v153
	v_fmac_f32_e32 v4, v139, v154
	s_delay_alu instid0(VALU_DEP_1) | instskip(SKIP_1) | instid1(VALU_DEP_1)
	v_fmac_f32_e32 v4, v140, v155
	s_waitcnt vmcnt(2)
	v_fmac_f32_e32 v4, v141, v156
	ds_load_2addr_b64 v[138:141], v2 offset0:61 offset1:62
	ds_load_b64 v[2:3], v2 offset:504
	s_waitcnt lgkmcnt(2)
	v_fmac_f32_e32 v4, v142, v134
	s_delay_alu instid0(VALU_DEP_1) | instskip(NEXT) | instid1(VALU_DEP_1)
	v_fmac_f32_e32 v4, v143, v135
	v_fmac_f32_e32 v4, v144, v136
	s_waitcnt vmcnt(1)
	s_delay_alu instid0(VALU_DEP_1) | instskip(SKIP_1) | instid1(VALU_DEP_1)
	v_fmac_f32_e32 v4, v145, v137
	s_waitcnt lgkmcnt(1)
	v_fmac_f32_e32 v4, v146, v138
	s_delay_alu instid0(VALU_DEP_1) | instskip(NEXT) | instid1(VALU_DEP_1)
	v_fmac_f32_e32 v4, v147, v139
	v_fmac_f32_e32 v4, v148, v140
	s_waitcnt vmcnt(0)
	s_delay_alu instid0(VALU_DEP_1) | instskip(SKIP_1) | instid1(VALU_DEP_1)
	v_fmac_f32_e32 v4, v157, v141
	s_waitcnt lgkmcnt(0)
	v_fmac_f32_e32 v4, v158, v2
	s_delay_alu instid0(VALU_DEP_1) | instskip(NEXT) | instid1(VALU_DEP_1)
	v_fmac_f32_e32 v4, v159, v3
	v_sub_f32_e32 v2, v133, v4
	scratch_store_b32 off, v2, off offset:180
	v_cmpx_lt_u32_e32 44, v0
	s_cbranch_execz .LBB63_303
; %bb.302:
	scratch_load_b32 v2, off, off offset:176
	v_mov_b32_e32 v3, 0
	scratch_store_b32 off, v3, off offset:176
	s_waitcnt vmcnt(0)
	ds_store_b32 v1, v2
.LBB63_303:
	s_or_b32 exec_lo, exec_lo, s0
	s_waitcnt lgkmcnt(0)
	s_waitcnt_vscnt null, 0x0
	s_barrier
	buffer_gl0_inv
	s_clause 0x4
	scratch_load_b128 v[133:136], off, off offset:176
	scratch_load_b128 v[137:140], off, off offset:192
	;; [unrolled: 1-line block ×5, first 2 shown]
	v_mov_b32_e32 v2, 0
	ds_load_2addr_b32 v[3:4], v2 offset0:109 offset1:110
	ds_load_2addr_b32 v[153:154], v2 offset0:111 offset1:112
	;; [unrolled: 1-line block ×4, first 2 shown]
	s_mov_b32 s0, exec_lo
	s_waitcnt vmcnt(4) lgkmcnt(3)
	v_fma_f32 v159, v134, v3, 0
	s_delay_alu instid0(VALU_DEP_1)
	v_fmac_f32_e32 v159, v135, v4
	ds_load_2addr_b32 v[3:4], v2 offset0:117 offset1:118
	ds_load_2addr_b32 v[134:135], v2 offset0:119 offset1:120
	s_waitcnt lgkmcnt(4)
	v_fmac_f32_e32 v159, v136, v153
	s_waitcnt vmcnt(3)
	s_delay_alu instid0(VALU_DEP_1) | instskip(SKIP_1) | instid1(VALU_DEP_1)
	v_fmac_f32_e32 v159, v137, v154
	s_waitcnt lgkmcnt(3)
	v_fmac_f32_e32 v159, v138, v155
	s_delay_alu instid0(VALU_DEP_1)
	v_fmac_f32_e32 v159, v139, v156
	ds_load_2addr_b32 v[136:137], v2 offset0:121 offset1:122
	ds_load_2addr_b32 v[138:139], v2 offset0:123 offset1:124
	s_waitcnt lgkmcnt(4)
	v_fmac_f32_e32 v159, v140, v157
	s_waitcnt vmcnt(2)
	s_delay_alu instid0(VALU_DEP_1) | instskip(SKIP_1) | instid1(VALU_DEP_1)
	v_fmac_f32_e32 v159, v141, v158
	s_waitcnt lgkmcnt(3)
	v_fmac_f32_e32 v159, v142, v3
	s_delay_alu instid0(VALU_DEP_1)
	v_fmac_f32_e32 v159, v143, v4
	ds_load_2addr_b32 v[3:4], v2 offset0:125 offset1:126
	s_waitcnt lgkmcnt(3)
	v_fmac_f32_e32 v159, v144, v134
	ds_load_b32 v134, v2 offset:508
	s_waitcnt vmcnt(1)
	v_fmac_f32_e32 v159, v145, v135
	s_waitcnt lgkmcnt(3)
	s_delay_alu instid0(VALU_DEP_1) | instskip(NEXT) | instid1(VALU_DEP_1)
	v_fmac_f32_e32 v159, v146, v136
	v_fmac_f32_e32 v159, v147, v137
	s_waitcnt lgkmcnt(2)
	s_delay_alu instid0(VALU_DEP_1) | instskip(SKIP_1) | instid1(VALU_DEP_1)
	v_fmac_f32_e32 v159, v148, v138
	s_waitcnt vmcnt(0)
	v_fmac_f32_e32 v159, v149, v139
	s_waitcnt lgkmcnt(1)
	s_delay_alu instid0(VALU_DEP_1) | instskip(NEXT) | instid1(VALU_DEP_1)
	v_fmac_f32_e32 v159, v150, v3
	v_fmac_f32_e32 v159, v151, v4
	s_waitcnt lgkmcnt(0)
	s_delay_alu instid0(VALU_DEP_1) | instskip(NEXT) | instid1(VALU_DEP_1)
	v_fmac_f32_e32 v159, v152, v134
	v_sub_f32_e32 v3, v133, v159
	scratch_store_b32 off, v3, off offset:176
	v_cmpx_lt_u32_e32 43, v0
	s_cbranch_execz .LBB63_305
; %bb.304:
	scratch_load_b32 v3, off, off offset:172
	scratch_store_b32 off, v2, off offset:172
	s_waitcnt vmcnt(0)
	ds_store_b32 v1, v3
.LBB63_305:
	s_or_b32 exec_lo, exec_lo, s0
	s_waitcnt lgkmcnt(0)
	s_waitcnt_vscnt null, 0x0
	s_barrier
	buffer_gl0_inv
	s_clause 0x5
	scratch_load_b128 v[133:136], off, off offset:172
	scratch_load_b128 v[137:140], off, off offset:188
	scratch_load_b128 v[141:144], off, off offset:204
	scratch_load_b128 v[145:148], off, off offset:220
	scratch_load_b128 v[149:152], off, off offset:236
	scratch_load_b32 v3, off, off offset:252
	ds_load_b128 v[153:156], v2 offset:432
	ds_load_b128 v[157:160], v2 offset:448
	s_mov_b32 s0, exec_lo
	s_waitcnt vmcnt(5) lgkmcnt(1)
	v_fma_f32 v4, v134, v153, 0
	s_delay_alu instid0(VALU_DEP_1) | instskip(NEXT) | instid1(VALU_DEP_1)
	v_fmac_f32_e32 v4, v135, v154
	v_fmac_f32_e32 v4, v136, v155
	s_waitcnt vmcnt(4)
	s_delay_alu instid0(VALU_DEP_1) | instskip(SKIP_3) | instid1(VALU_DEP_1)
	v_fmac_f32_e32 v4, v137, v156
	ds_load_b128 v[134:137], v2 offset:464
	s_waitcnt lgkmcnt(1)
	v_fmac_f32_e32 v4, v138, v157
	v_fmac_f32_e32 v4, v139, v158
	s_delay_alu instid0(VALU_DEP_1) | instskip(SKIP_1) | instid1(VALU_DEP_1)
	v_fmac_f32_e32 v4, v140, v159
	s_waitcnt vmcnt(3)
	v_fmac_f32_e32 v4, v141, v160
	ds_load_b128 v[138:141], v2 offset:480
	s_waitcnt lgkmcnt(1)
	v_fmac_f32_e32 v4, v142, v134
	s_delay_alu instid0(VALU_DEP_1) | instskip(NEXT) | instid1(VALU_DEP_1)
	v_fmac_f32_e32 v4, v143, v135
	v_fmac_f32_e32 v4, v144, v136
	s_waitcnt vmcnt(2)
	s_delay_alu instid0(VALU_DEP_1) | instskip(SKIP_3) | instid1(VALU_DEP_1)
	v_fmac_f32_e32 v4, v145, v137
	ds_load_b128 v[134:137], v2 offset:496
	s_waitcnt lgkmcnt(1)
	v_fmac_f32_e32 v4, v146, v138
	v_fmac_f32_e32 v4, v147, v139
	s_delay_alu instid0(VALU_DEP_1) | instskip(SKIP_1) | instid1(VALU_DEP_1)
	v_fmac_f32_e32 v4, v148, v140
	s_waitcnt vmcnt(1)
	v_fmac_f32_e32 v4, v149, v141
	s_waitcnt lgkmcnt(0)
	s_delay_alu instid0(VALU_DEP_1) | instskip(NEXT) | instid1(VALU_DEP_1)
	v_fmac_f32_e32 v4, v150, v134
	v_fmac_f32_e32 v4, v151, v135
	s_delay_alu instid0(VALU_DEP_1) | instskip(SKIP_1) | instid1(VALU_DEP_1)
	v_fmac_f32_e32 v4, v152, v136
	s_waitcnt vmcnt(0)
	v_fmac_f32_e32 v4, v3, v137
	s_delay_alu instid0(VALU_DEP_1)
	v_sub_f32_e32 v2, v133, v4
	scratch_store_b32 off, v2, off offset:172
	v_cmpx_lt_u32_e32 42, v0
	s_cbranch_execz .LBB63_307
; %bb.306:
	scratch_load_b32 v2, off, off offset:168
	v_mov_b32_e32 v3, 0
	scratch_store_b32 off, v3, off offset:168
	s_waitcnt vmcnt(0)
	ds_store_b32 v1, v2
.LBB63_307:
	s_or_b32 exec_lo, exec_lo, s0
	s_waitcnt lgkmcnt(0)
	s_waitcnt_vscnt null, 0x0
	s_barrier
	buffer_gl0_inv
	s_clause 0x5
	scratch_load_b128 v[133:136], off, off offset:168
	scratch_load_b128 v[137:140], off, off offset:184
	;; [unrolled: 1-line block ×5, first 2 shown]
	scratch_load_b64 v[3:4], off, off offset:248
	v_mov_b32_e32 v2, 0
	ds_load_2addr_b32 v[153:154], v2 offset0:107 offset1:108
	ds_load_2addr_b32 v[155:156], v2 offset0:109 offset1:110
	ds_load_2addr_b32 v[157:158], v2 offset0:111 offset1:112
	ds_load_2addr_b32 v[159:160], v2 offset0:113 offset1:114
	s_mov_b32 s0, exec_lo
	s_waitcnt vmcnt(5) lgkmcnt(3)
	v_fma_f32 v153, v134, v153, 0
	s_delay_alu instid0(VALU_DEP_1) | instskip(SKIP_4) | instid1(VALU_DEP_1)
	v_fmac_f32_e32 v153, v135, v154
	ds_load_2addr_b32 v[134:135], v2 offset0:115 offset1:116
	s_waitcnt lgkmcnt(3)
	v_fmac_f32_e32 v153, v136, v155
	s_waitcnt vmcnt(4)
	v_fmac_f32_e32 v153, v137, v156
	ds_load_2addr_b32 v[136:137], v2 offset0:117 offset1:118
	s_waitcnt lgkmcnt(3)
	v_fmac_f32_e32 v153, v138, v157
	s_delay_alu instid0(VALU_DEP_1) | instskip(SKIP_1) | instid1(VALU_DEP_1)
	v_fmac_f32_e32 v153, v139, v158
	s_waitcnt lgkmcnt(2)
	v_fmac_f32_e32 v153, v140, v159
	s_waitcnt vmcnt(3)
	s_delay_alu instid0(VALU_DEP_1) | instskip(SKIP_4) | instid1(VALU_DEP_1)
	v_fmac_f32_e32 v153, v141, v160
	ds_load_2addr_b32 v[138:139], v2 offset0:119 offset1:120
	ds_load_2addr_b32 v[140:141], v2 offset0:121 offset1:122
	s_waitcnt lgkmcnt(3)
	v_fmac_f32_e32 v153, v142, v134
	v_fmac_f32_e32 v153, v143, v135
	ds_load_2addr_b32 v[134:135], v2 offset0:123 offset1:124
	s_waitcnt lgkmcnt(3)
	v_fmac_f32_e32 v153, v144, v136
	s_waitcnt vmcnt(2)
	s_delay_alu instid0(VALU_DEP_1)
	v_fmac_f32_e32 v153, v145, v137
	ds_load_2addr_b32 v[136:137], v2 offset0:125 offset1:126
	s_waitcnt lgkmcnt(3)
	v_fmac_f32_e32 v153, v146, v138
	ds_load_b32 v138, v2 offset:508
	v_fmac_f32_e32 v153, v147, v139
	s_waitcnt lgkmcnt(3)
	s_delay_alu instid0(VALU_DEP_1) | instskip(SKIP_1) | instid1(VALU_DEP_1)
	v_fmac_f32_e32 v153, v148, v140
	s_waitcnt vmcnt(1)
	v_fmac_f32_e32 v153, v149, v141
	s_waitcnt lgkmcnt(2)
	s_delay_alu instid0(VALU_DEP_1) | instskip(NEXT) | instid1(VALU_DEP_1)
	v_fmac_f32_e32 v153, v150, v134
	v_fmac_f32_e32 v153, v151, v135
	s_waitcnt lgkmcnt(1)
	s_delay_alu instid0(VALU_DEP_1) | instskip(SKIP_1) | instid1(VALU_DEP_1)
	v_fmac_f32_e32 v153, v152, v136
	s_waitcnt vmcnt(0)
	v_fmac_f32_e32 v153, v3, v137
	s_waitcnt lgkmcnt(0)
	s_delay_alu instid0(VALU_DEP_1) | instskip(NEXT) | instid1(VALU_DEP_1)
	v_fmac_f32_e32 v153, v4, v138
	v_sub_f32_e32 v3, v133, v153
	scratch_store_b32 off, v3, off offset:168
	v_cmpx_lt_u32_e32 41, v0
	s_cbranch_execz .LBB63_309
; %bb.308:
	scratch_load_b32 v3, off, off offset:164
	scratch_store_b32 off, v2, off offset:164
	s_waitcnt vmcnt(0)
	ds_store_b32 v1, v3
.LBB63_309:
	s_or_b32 exec_lo, exec_lo, s0
	s_waitcnt lgkmcnt(0)
	s_waitcnt_vscnt null, 0x0
	s_barrier
	buffer_gl0_inv
	s_clause 0x5
	scratch_load_b128 v[133:136], off, off offset:164
	scratch_load_b128 v[137:140], off, off offset:180
	;; [unrolled: 1-line block ×5, first 2 shown]
	scratch_load_b96 v[161:163], off, off offset:244
	ds_load_2addr_b64 v[153:156], v2 offset0:53 offset1:54
	ds_load_2addr_b64 v[157:160], v2 offset0:55 offset1:56
	s_mov_b32 s0, exec_lo
	s_waitcnt vmcnt(5) lgkmcnt(1)
	v_fma_f32 v4, v134, v153, 0
	s_delay_alu instid0(VALU_DEP_1) | instskip(NEXT) | instid1(VALU_DEP_1)
	v_fmac_f32_e32 v4, v135, v154
	v_fmac_f32_e32 v4, v136, v155
	s_waitcnt vmcnt(4)
	s_delay_alu instid0(VALU_DEP_1) | instskip(SKIP_3) | instid1(VALU_DEP_1)
	v_fmac_f32_e32 v4, v137, v156
	ds_load_2addr_b64 v[134:137], v2 offset0:57 offset1:58
	s_waitcnt lgkmcnt(1)
	v_fmac_f32_e32 v4, v138, v157
	v_fmac_f32_e32 v4, v139, v158
	s_delay_alu instid0(VALU_DEP_1) | instskip(SKIP_1) | instid1(VALU_DEP_1)
	v_fmac_f32_e32 v4, v140, v159
	s_waitcnt vmcnt(3)
	v_fmac_f32_e32 v4, v141, v160
	ds_load_2addr_b64 v[138:141], v2 offset0:59 offset1:60
	s_waitcnt lgkmcnt(1)
	v_fmac_f32_e32 v4, v142, v134
	s_delay_alu instid0(VALU_DEP_1) | instskip(NEXT) | instid1(VALU_DEP_1)
	v_fmac_f32_e32 v4, v143, v135
	v_fmac_f32_e32 v4, v144, v136
	s_waitcnt vmcnt(2)
	s_delay_alu instid0(VALU_DEP_1) | instskip(SKIP_4) | instid1(VALU_DEP_1)
	v_fmac_f32_e32 v4, v145, v137
	ds_load_2addr_b64 v[134:137], v2 offset0:61 offset1:62
	ds_load_b64 v[2:3], v2 offset:504
	s_waitcnt lgkmcnt(2)
	v_fmac_f32_e32 v4, v146, v138
	v_fmac_f32_e32 v4, v147, v139
	s_delay_alu instid0(VALU_DEP_1) | instskip(SKIP_1) | instid1(VALU_DEP_1)
	v_fmac_f32_e32 v4, v148, v140
	s_waitcnt vmcnt(1)
	v_fmac_f32_e32 v4, v149, v141
	s_waitcnt lgkmcnt(1)
	s_delay_alu instid0(VALU_DEP_1) | instskip(NEXT) | instid1(VALU_DEP_1)
	v_fmac_f32_e32 v4, v150, v134
	v_fmac_f32_e32 v4, v151, v135
	s_delay_alu instid0(VALU_DEP_1) | instskip(SKIP_1) | instid1(VALU_DEP_1)
	v_fmac_f32_e32 v4, v152, v136
	s_waitcnt vmcnt(0)
	v_fmac_f32_e32 v4, v161, v137
	s_waitcnt lgkmcnt(0)
	s_delay_alu instid0(VALU_DEP_1) | instskip(NEXT) | instid1(VALU_DEP_1)
	v_fmac_f32_e32 v4, v162, v2
	v_fmac_f32_e32 v4, v163, v3
	s_delay_alu instid0(VALU_DEP_1)
	v_sub_f32_e32 v2, v133, v4
	scratch_store_b32 off, v2, off offset:164
	v_cmpx_lt_u32_e32 40, v0
	s_cbranch_execz .LBB63_311
; %bb.310:
	scratch_load_b32 v2, off, off offset:160
	v_mov_b32_e32 v3, 0
	scratch_store_b32 off, v3, off offset:160
	s_waitcnt vmcnt(0)
	ds_store_b32 v1, v2
.LBB63_311:
	s_or_b32 exec_lo, exec_lo, s0
	s_waitcnt lgkmcnt(0)
	s_waitcnt_vscnt null, 0x0
	s_barrier
	buffer_gl0_inv
	s_clause 0x5
	scratch_load_b128 v[133:136], off, off offset:160
	scratch_load_b128 v[137:140], off, off offset:176
	;; [unrolled: 1-line block ×6, first 2 shown]
	v_mov_b32_e32 v2, 0
	ds_load_2addr_b32 v[3:4], v2 offset0:105 offset1:106
	ds_load_2addr_b32 v[157:158], v2 offset0:107 offset1:108
	;; [unrolled: 1-line block ×4, first 2 shown]
	s_mov_b32 s0, exec_lo
	s_waitcnt vmcnt(5) lgkmcnt(3)
	v_fma_f32 v163, v134, v3, 0
	s_delay_alu instid0(VALU_DEP_1)
	v_fmac_f32_e32 v163, v135, v4
	ds_load_2addr_b32 v[3:4], v2 offset0:113 offset1:114
	ds_load_2addr_b32 v[134:135], v2 offset0:115 offset1:116
	s_waitcnt lgkmcnt(4)
	v_fmac_f32_e32 v163, v136, v157
	s_waitcnt vmcnt(4)
	s_delay_alu instid0(VALU_DEP_1) | instskip(SKIP_1) | instid1(VALU_DEP_1)
	v_fmac_f32_e32 v163, v137, v158
	s_waitcnt lgkmcnt(3)
	v_fmac_f32_e32 v163, v138, v159
	s_delay_alu instid0(VALU_DEP_1)
	v_fmac_f32_e32 v163, v139, v160
	ds_load_2addr_b32 v[136:137], v2 offset0:117 offset1:118
	ds_load_2addr_b32 v[138:139], v2 offset0:119 offset1:120
	s_waitcnt lgkmcnt(4)
	v_fmac_f32_e32 v163, v140, v161
	s_waitcnt vmcnt(3)
	s_delay_alu instid0(VALU_DEP_1) | instskip(SKIP_1) | instid1(VALU_DEP_1)
	v_fmac_f32_e32 v163, v141, v162
	s_waitcnt lgkmcnt(3)
	v_fmac_f32_e32 v163, v142, v3
	s_delay_alu instid0(VALU_DEP_1) | instskip(SKIP_4) | instid1(VALU_DEP_1)
	v_fmac_f32_e32 v163, v143, v4
	ds_load_2addr_b32 v[3:4], v2 offset0:121 offset1:122
	s_waitcnt lgkmcnt(3)
	v_fmac_f32_e32 v163, v144, v134
	s_waitcnt vmcnt(2)
	v_fmac_f32_e32 v163, v145, v135
	ds_load_2addr_b32 v[134:135], v2 offset0:123 offset1:124
	s_waitcnt lgkmcnt(3)
	v_fmac_f32_e32 v163, v146, v136
	s_delay_alu instid0(VALU_DEP_1) | instskip(SKIP_1) | instid1(VALU_DEP_1)
	v_fmac_f32_e32 v163, v147, v137
	s_waitcnt lgkmcnt(2)
	v_fmac_f32_e32 v163, v148, v138
	ds_load_2addr_b32 v[136:137], v2 offset0:125 offset1:126
	ds_load_b32 v138, v2 offset:508
	s_waitcnt vmcnt(1)
	v_fmac_f32_e32 v163, v149, v139
	s_waitcnt lgkmcnt(3)
	s_delay_alu instid0(VALU_DEP_1) | instskip(NEXT) | instid1(VALU_DEP_1)
	v_fmac_f32_e32 v163, v150, v3
	v_fmac_f32_e32 v163, v151, v4
	s_waitcnt lgkmcnt(2)
	s_delay_alu instid0(VALU_DEP_1) | instskip(SKIP_1) | instid1(VALU_DEP_1)
	v_fmac_f32_e32 v163, v152, v134
	s_waitcnt vmcnt(0)
	v_fmac_f32_e32 v163, v153, v135
	s_waitcnt lgkmcnt(1)
	s_delay_alu instid0(VALU_DEP_1) | instskip(NEXT) | instid1(VALU_DEP_1)
	v_fmac_f32_e32 v163, v154, v136
	v_fmac_f32_e32 v163, v155, v137
	s_waitcnt lgkmcnt(0)
	s_delay_alu instid0(VALU_DEP_1) | instskip(NEXT) | instid1(VALU_DEP_1)
	v_fmac_f32_e32 v163, v156, v138
	v_sub_f32_e32 v3, v133, v163
	scratch_store_b32 off, v3, off offset:160
	v_cmpx_lt_u32_e32 39, v0
	s_cbranch_execz .LBB63_313
; %bb.312:
	scratch_load_b32 v3, off, off offset:156
	scratch_store_b32 off, v2, off offset:156
	s_waitcnt vmcnt(0)
	ds_store_b32 v1, v3
.LBB63_313:
	s_or_b32 exec_lo, exec_lo, s0
	s_waitcnt lgkmcnt(0)
	s_waitcnt_vscnt null, 0x0
	s_barrier
	buffer_gl0_inv
	s_clause 0x6
	scratch_load_b128 v[133:136], off, off offset:156
	scratch_load_b128 v[137:140], off, off offset:172
	;; [unrolled: 1-line block ×6, first 2 shown]
	scratch_load_b32 v3, off, off offset:252
	ds_load_b128 v[157:160], v2 offset:416
	ds_load_b128 v[161:164], v2 offset:432
	s_mov_b32 s0, exec_lo
	s_waitcnt vmcnt(6) lgkmcnt(1)
	v_fma_f32 v4, v134, v157, 0
	s_delay_alu instid0(VALU_DEP_1) | instskip(NEXT) | instid1(VALU_DEP_1)
	v_fmac_f32_e32 v4, v135, v158
	v_fmac_f32_e32 v4, v136, v159
	s_waitcnt vmcnt(5)
	s_delay_alu instid0(VALU_DEP_1) | instskip(SKIP_3) | instid1(VALU_DEP_1)
	v_fmac_f32_e32 v4, v137, v160
	ds_load_b128 v[134:137], v2 offset:448
	s_waitcnt lgkmcnt(1)
	v_fmac_f32_e32 v4, v138, v161
	v_fmac_f32_e32 v4, v139, v162
	s_delay_alu instid0(VALU_DEP_1) | instskip(SKIP_1) | instid1(VALU_DEP_1)
	v_fmac_f32_e32 v4, v140, v163
	s_waitcnt vmcnt(4)
	v_fmac_f32_e32 v4, v141, v164
	ds_load_b128 v[138:141], v2 offset:464
	s_waitcnt lgkmcnt(1)
	v_fmac_f32_e32 v4, v142, v134
	s_delay_alu instid0(VALU_DEP_1) | instskip(NEXT) | instid1(VALU_DEP_1)
	v_fmac_f32_e32 v4, v143, v135
	v_fmac_f32_e32 v4, v144, v136
	s_waitcnt vmcnt(3)
	s_delay_alu instid0(VALU_DEP_1) | instskip(SKIP_3) | instid1(VALU_DEP_1)
	v_fmac_f32_e32 v4, v145, v137
	ds_load_b128 v[134:137], v2 offset:480
	s_waitcnt lgkmcnt(1)
	v_fmac_f32_e32 v4, v146, v138
	v_fmac_f32_e32 v4, v147, v139
	s_delay_alu instid0(VALU_DEP_1) | instskip(SKIP_1) | instid1(VALU_DEP_1)
	v_fmac_f32_e32 v4, v148, v140
	s_waitcnt vmcnt(2)
	v_fmac_f32_e32 v4, v149, v141
	ds_load_b128 v[138:141], v2 offset:496
	s_waitcnt lgkmcnt(1)
	v_fmac_f32_e32 v4, v150, v134
	s_delay_alu instid0(VALU_DEP_1) | instskip(NEXT) | instid1(VALU_DEP_1)
	v_fmac_f32_e32 v4, v151, v135
	v_fmac_f32_e32 v4, v152, v136
	s_waitcnt vmcnt(1)
	s_delay_alu instid0(VALU_DEP_1) | instskip(SKIP_1) | instid1(VALU_DEP_1)
	v_fmac_f32_e32 v4, v153, v137
	s_waitcnt lgkmcnt(0)
	v_fmac_f32_e32 v4, v154, v138
	s_delay_alu instid0(VALU_DEP_1) | instskip(NEXT) | instid1(VALU_DEP_1)
	v_fmac_f32_e32 v4, v155, v139
	v_fmac_f32_e32 v4, v156, v140
	s_waitcnt vmcnt(0)
	s_delay_alu instid0(VALU_DEP_1) | instskip(NEXT) | instid1(VALU_DEP_1)
	v_fmac_f32_e32 v4, v3, v141
	v_sub_f32_e32 v2, v133, v4
	scratch_store_b32 off, v2, off offset:156
	v_cmpx_lt_u32_e32 38, v0
	s_cbranch_execz .LBB63_315
; %bb.314:
	scratch_load_b32 v2, off, off offset:152
	v_mov_b32_e32 v3, 0
	scratch_store_b32 off, v3, off offset:152
	s_waitcnt vmcnt(0)
	ds_store_b32 v1, v2
.LBB63_315:
	s_or_b32 exec_lo, exec_lo, s0
	s_waitcnt lgkmcnt(0)
	s_waitcnt_vscnt null, 0x0
	s_barrier
	buffer_gl0_inv
	s_clause 0x6
	scratch_load_b128 v[133:136], off, off offset:152
	scratch_load_b128 v[137:140], off, off offset:168
	;; [unrolled: 1-line block ×6, first 2 shown]
	scratch_load_b64 v[3:4], off, off offset:248
	v_mov_b32_e32 v2, 0
	ds_load_2addr_b32 v[157:158], v2 offset0:103 offset1:104
	ds_load_2addr_b32 v[159:160], v2 offset0:105 offset1:106
	ds_load_2addr_b32 v[161:162], v2 offset0:107 offset1:108
	ds_load_2addr_b32 v[163:164], v2 offset0:109 offset1:110
	s_mov_b32 s0, exec_lo
	s_waitcnt vmcnt(6) lgkmcnt(3)
	v_fma_f32 v157, v134, v157, 0
	s_delay_alu instid0(VALU_DEP_1) | instskip(SKIP_4) | instid1(VALU_DEP_1)
	v_fmac_f32_e32 v157, v135, v158
	ds_load_2addr_b32 v[134:135], v2 offset0:111 offset1:112
	s_waitcnt lgkmcnt(3)
	v_fmac_f32_e32 v157, v136, v159
	s_waitcnt vmcnt(5)
	v_fmac_f32_e32 v157, v137, v160
	ds_load_2addr_b32 v[136:137], v2 offset0:113 offset1:114
	s_waitcnt lgkmcnt(3)
	v_fmac_f32_e32 v157, v138, v161
	s_delay_alu instid0(VALU_DEP_1) | instskip(SKIP_1) | instid1(VALU_DEP_1)
	v_fmac_f32_e32 v157, v139, v162
	s_waitcnt lgkmcnt(2)
	v_fmac_f32_e32 v157, v140, v163
	s_waitcnt vmcnt(4)
	s_delay_alu instid0(VALU_DEP_1) | instskip(SKIP_4) | instid1(VALU_DEP_1)
	v_fmac_f32_e32 v157, v141, v164
	ds_load_2addr_b32 v[138:139], v2 offset0:115 offset1:116
	ds_load_2addr_b32 v[140:141], v2 offset0:117 offset1:118
	s_waitcnt lgkmcnt(3)
	v_fmac_f32_e32 v157, v142, v134
	v_fmac_f32_e32 v157, v143, v135
	ds_load_2addr_b32 v[134:135], v2 offset0:119 offset1:120
	s_waitcnt lgkmcnt(3)
	v_fmac_f32_e32 v157, v144, v136
	s_waitcnt vmcnt(3)
	s_delay_alu instid0(VALU_DEP_1) | instskip(SKIP_3) | instid1(VALU_DEP_1)
	v_fmac_f32_e32 v157, v145, v137
	ds_load_2addr_b32 v[136:137], v2 offset0:121 offset1:122
	s_waitcnt lgkmcnt(3)
	v_fmac_f32_e32 v157, v146, v138
	v_fmac_f32_e32 v157, v147, v139
	s_waitcnt lgkmcnt(2)
	s_delay_alu instid0(VALU_DEP_1) | instskip(SKIP_1) | instid1(VALU_DEP_1)
	v_fmac_f32_e32 v157, v148, v140
	s_waitcnt vmcnt(2)
	v_fmac_f32_e32 v157, v149, v141
	ds_load_2addr_b32 v[138:139], v2 offset0:123 offset1:124
	ds_load_2addr_b32 v[140:141], v2 offset0:125 offset1:126
	s_waitcnt lgkmcnt(3)
	v_fmac_f32_e32 v157, v150, v134
	ds_load_b32 v134, v2 offset:508
	v_fmac_f32_e32 v157, v151, v135
	s_waitcnt lgkmcnt(3)
	s_delay_alu instid0(VALU_DEP_1) | instskip(SKIP_1) | instid1(VALU_DEP_1)
	v_fmac_f32_e32 v157, v152, v136
	s_waitcnt vmcnt(1)
	v_fmac_f32_e32 v157, v153, v137
	s_waitcnt lgkmcnt(2)
	s_delay_alu instid0(VALU_DEP_1) | instskip(NEXT) | instid1(VALU_DEP_1)
	v_fmac_f32_e32 v157, v154, v138
	v_fmac_f32_e32 v157, v155, v139
	s_waitcnt lgkmcnt(1)
	s_delay_alu instid0(VALU_DEP_1) | instskip(SKIP_1) | instid1(VALU_DEP_1)
	v_fmac_f32_e32 v157, v156, v140
	s_waitcnt vmcnt(0)
	v_fmac_f32_e32 v157, v3, v141
	s_waitcnt lgkmcnt(0)
	s_delay_alu instid0(VALU_DEP_1) | instskip(NEXT) | instid1(VALU_DEP_1)
	v_fmac_f32_e32 v157, v4, v134
	v_sub_f32_e32 v3, v133, v157
	scratch_store_b32 off, v3, off offset:152
	v_cmpx_lt_u32_e32 37, v0
	s_cbranch_execz .LBB63_317
; %bb.316:
	scratch_load_b32 v3, off, off offset:148
	scratch_store_b32 off, v2, off offset:148
	s_waitcnt vmcnt(0)
	ds_store_b32 v1, v3
.LBB63_317:
	s_or_b32 exec_lo, exec_lo, s0
	s_waitcnt lgkmcnt(0)
	s_waitcnt_vscnt null, 0x0
	s_barrier
	buffer_gl0_inv
	s_clause 0x6
	scratch_load_b128 v[133:136], off, off offset:148
	scratch_load_b128 v[137:140], off, off offset:164
	;; [unrolled: 1-line block ×6, first 2 shown]
	scratch_load_b96 v[165:167], off, off offset:244
	ds_load_2addr_b64 v[157:160], v2 offset0:51 offset1:52
	ds_load_2addr_b64 v[161:164], v2 offset0:53 offset1:54
	s_mov_b32 s0, exec_lo
	s_waitcnt vmcnt(6) lgkmcnt(1)
	v_fma_f32 v4, v134, v157, 0
	s_delay_alu instid0(VALU_DEP_1) | instskip(NEXT) | instid1(VALU_DEP_1)
	v_fmac_f32_e32 v4, v135, v158
	v_fmac_f32_e32 v4, v136, v159
	s_waitcnt vmcnt(5)
	s_delay_alu instid0(VALU_DEP_1) | instskip(SKIP_3) | instid1(VALU_DEP_1)
	v_fmac_f32_e32 v4, v137, v160
	ds_load_2addr_b64 v[134:137], v2 offset0:55 offset1:56
	s_waitcnt lgkmcnt(1)
	v_fmac_f32_e32 v4, v138, v161
	v_fmac_f32_e32 v4, v139, v162
	s_delay_alu instid0(VALU_DEP_1) | instskip(SKIP_1) | instid1(VALU_DEP_1)
	v_fmac_f32_e32 v4, v140, v163
	s_waitcnt vmcnt(4)
	v_fmac_f32_e32 v4, v141, v164
	ds_load_2addr_b64 v[138:141], v2 offset0:57 offset1:58
	s_waitcnt lgkmcnt(1)
	v_fmac_f32_e32 v4, v142, v134
	s_delay_alu instid0(VALU_DEP_1) | instskip(NEXT) | instid1(VALU_DEP_1)
	v_fmac_f32_e32 v4, v143, v135
	v_fmac_f32_e32 v4, v144, v136
	s_waitcnt vmcnt(3)
	s_delay_alu instid0(VALU_DEP_1) | instskip(SKIP_3) | instid1(VALU_DEP_1)
	v_fmac_f32_e32 v4, v145, v137
	ds_load_2addr_b64 v[134:137], v2 offset0:59 offset1:60
	s_waitcnt lgkmcnt(1)
	v_fmac_f32_e32 v4, v146, v138
	v_fmac_f32_e32 v4, v147, v139
	s_delay_alu instid0(VALU_DEP_1) | instskip(SKIP_1) | instid1(VALU_DEP_1)
	v_fmac_f32_e32 v4, v148, v140
	s_waitcnt vmcnt(2)
	v_fmac_f32_e32 v4, v149, v141
	ds_load_2addr_b64 v[138:141], v2 offset0:61 offset1:62
	ds_load_b64 v[2:3], v2 offset:504
	s_waitcnt lgkmcnt(2)
	v_fmac_f32_e32 v4, v150, v134
	s_delay_alu instid0(VALU_DEP_1) | instskip(NEXT) | instid1(VALU_DEP_1)
	v_fmac_f32_e32 v4, v151, v135
	v_fmac_f32_e32 v4, v152, v136
	s_waitcnt vmcnt(1)
	s_delay_alu instid0(VALU_DEP_1) | instskip(SKIP_1) | instid1(VALU_DEP_1)
	v_fmac_f32_e32 v4, v153, v137
	s_waitcnt lgkmcnt(1)
	v_fmac_f32_e32 v4, v154, v138
	s_delay_alu instid0(VALU_DEP_1) | instskip(NEXT) | instid1(VALU_DEP_1)
	v_fmac_f32_e32 v4, v155, v139
	v_fmac_f32_e32 v4, v156, v140
	s_waitcnt vmcnt(0)
	s_delay_alu instid0(VALU_DEP_1) | instskip(SKIP_1) | instid1(VALU_DEP_1)
	v_fmac_f32_e32 v4, v165, v141
	s_waitcnt lgkmcnt(0)
	v_fmac_f32_e32 v4, v166, v2
	s_delay_alu instid0(VALU_DEP_1) | instskip(NEXT) | instid1(VALU_DEP_1)
	v_fmac_f32_e32 v4, v167, v3
	v_sub_f32_e32 v2, v133, v4
	scratch_store_b32 off, v2, off offset:148
	v_cmpx_lt_u32_e32 36, v0
	s_cbranch_execz .LBB63_319
; %bb.318:
	scratch_load_b32 v2, off, off offset:144
	v_mov_b32_e32 v3, 0
	scratch_store_b32 off, v3, off offset:144
	s_waitcnt vmcnt(0)
	ds_store_b32 v1, v2
.LBB63_319:
	s_or_b32 exec_lo, exec_lo, s0
	s_waitcnt lgkmcnt(0)
	s_waitcnt_vscnt null, 0x0
	s_barrier
	buffer_gl0_inv
	s_clause 0x6
	scratch_load_b128 v[133:136], off, off offset:144
	scratch_load_b128 v[137:140], off, off offset:160
	;; [unrolled: 1-line block ×7, first 2 shown]
	v_mov_b32_e32 v2, 0
	ds_load_2addr_b32 v[3:4], v2 offset0:101 offset1:102
	ds_load_2addr_b32 v[161:162], v2 offset0:103 offset1:104
	;; [unrolled: 1-line block ×4, first 2 shown]
	s_mov_b32 s0, exec_lo
	s_waitcnt vmcnt(6) lgkmcnt(3)
	v_fma_f32 v167, v134, v3, 0
	s_delay_alu instid0(VALU_DEP_1)
	v_fmac_f32_e32 v167, v135, v4
	ds_load_2addr_b32 v[3:4], v2 offset0:109 offset1:110
	ds_load_2addr_b32 v[134:135], v2 offset0:111 offset1:112
	s_waitcnt lgkmcnt(4)
	v_fmac_f32_e32 v167, v136, v161
	s_waitcnt vmcnt(5)
	s_delay_alu instid0(VALU_DEP_1) | instskip(SKIP_1) | instid1(VALU_DEP_1)
	v_fmac_f32_e32 v167, v137, v162
	s_waitcnt lgkmcnt(3)
	v_fmac_f32_e32 v167, v138, v163
	s_delay_alu instid0(VALU_DEP_1)
	v_fmac_f32_e32 v167, v139, v164
	ds_load_2addr_b32 v[136:137], v2 offset0:113 offset1:114
	ds_load_2addr_b32 v[138:139], v2 offset0:115 offset1:116
	s_waitcnt lgkmcnt(4)
	v_fmac_f32_e32 v167, v140, v165
	s_waitcnt vmcnt(4)
	s_delay_alu instid0(VALU_DEP_1) | instskip(SKIP_1) | instid1(VALU_DEP_1)
	v_fmac_f32_e32 v167, v141, v166
	s_waitcnt lgkmcnt(3)
	v_fmac_f32_e32 v167, v142, v3
	s_delay_alu instid0(VALU_DEP_1) | instskip(SKIP_4) | instid1(VALU_DEP_1)
	v_fmac_f32_e32 v167, v143, v4
	ds_load_2addr_b32 v[3:4], v2 offset0:117 offset1:118
	s_waitcnt lgkmcnt(3)
	v_fmac_f32_e32 v167, v144, v134
	s_waitcnt vmcnt(3)
	v_fmac_f32_e32 v167, v145, v135
	ds_load_2addr_b32 v[134:135], v2 offset0:119 offset1:120
	s_waitcnt lgkmcnt(3)
	v_fmac_f32_e32 v167, v146, v136
	s_delay_alu instid0(VALU_DEP_1) | instskip(SKIP_1) | instid1(VALU_DEP_1)
	v_fmac_f32_e32 v167, v147, v137
	s_waitcnt lgkmcnt(2)
	v_fmac_f32_e32 v167, v148, v138
	s_waitcnt vmcnt(2)
	s_delay_alu instid0(VALU_DEP_1) | instskip(SKIP_4) | instid1(VALU_DEP_1)
	v_fmac_f32_e32 v167, v149, v139
	ds_load_2addr_b32 v[136:137], v2 offset0:121 offset1:122
	ds_load_2addr_b32 v[138:139], v2 offset0:123 offset1:124
	s_waitcnt lgkmcnt(3)
	v_fmac_f32_e32 v167, v150, v3
	v_fmac_f32_e32 v167, v151, v4
	ds_load_2addr_b32 v[3:4], v2 offset0:125 offset1:126
	s_waitcnt lgkmcnt(3)
	v_fmac_f32_e32 v167, v152, v134
	ds_load_b32 v134, v2 offset:508
	s_waitcnt vmcnt(1)
	v_fmac_f32_e32 v167, v153, v135
	s_waitcnt lgkmcnt(3)
	s_delay_alu instid0(VALU_DEP_1) | instskip(NEXT) | instid1(VALU_DEP_1)
	v_fmac_f32_e32 v167, v154, v136
	v_fmac_f32_e32 v167, v155, v137
	s_waitcnt lgkmcnt(2)
	s_delay_alu instid0(VALU_DEP_1) | instskip(SKIP_1) | instid1(VALU_DEP_1)
	v_fmac_f32_e32 v167, v156, v138
	s_waitcnt vmcnt(0)
	v_fmac_f32_e32 v167, v157, v139
	s_waitcnt lgkmcnt(1)
	s_delay_alu instid0(VALU_DEP_1) | instskip(NEXT) | instid1(VALU_DEP_1)
	v_fmac_f32_e32 v167, v158, v3
	v_fmac_f32_e32 v167, v159, v4
	s_waitcnt lgkmcnt(0)
	s_delay_alu instid0(VALU_DEP_1) | instskip(NEXT) | instid1(VALU_DEP_1)
	v_fmac_f32_e32 v167, v160, v134
	v_sub_f32_e32 v3, v133, v167
	scratch_store_b32 off, v3, off offset:144
	v_cmpx_lt_u32_e32 35, v0
	s_cbranch_execz .LBB63_321
; %bb.320:
	scratch_load_b32 v3, off, off offset:140
	scratch_store_b32 off, v2, off offset:140
	s_waitcnt vmcnt(0)
	ds_store_b32 v1, v3
.LBB63_321:
	s_or_b32 exec_lo, exec_lo, s0
	s_waitcnt lgkmcnt(0)
	s_waitcnt_vscnt null, 0x0
	s_barrier
	buffer_gl0_inv
	s_clause 0x7
	scratch_load_b128 v[133:136], off, off offset:140
	scratch_load_b128 v[137:140], off, off offset:156
	;; [unrolled: 1-line block ×7, first 2 shown]
	scratch_load_b32 v3, off, off offset:252
	ds_load_b128 v[161:164], v2 offset:400
	ds_load_b128 v[165:168], v2 offset:416
	s_mov_b32 s0, exec_lo
	s_waitcnt vmcnt(7) lgkmcnt(1)
	v_fma_f32 v4, v134, v161, 0
	s_delay_alu instid0(VALU_DEP_1) | instskip(NEXT) | instid1(VALU_DEP_1)
	v_fmac_f32_e32 v4, v135, v162
	v_fmac_f32_e32 v4, v136, v163
	s_waitcnt vmcnt(6)
	s_delay_alu instid0(VALU_DEP_1) | instskip(SKIP_3) | instid1(VALU_DEP_1)
	v_fmac_f32_e32 v4, v137, v164
	ds_load_b128 v[134:137], v2 offset:432
	s_waitcnt lgkmcnt(1)
	v_fmac_f32_e32 v4, v138, v165
	v_fmac_f32_e32 v4, v139, v166
	s_delay_alu instid0(VALU_DEP_1) | instskip(SKIP_1) | instid1(VALU_DEP_1)
	v_fmac_f32_e32 v4, v140, v167
	s_waitcnt vmcnt(5)
	v_fmac_f32_e32 v4, v141, v168
	ds_load_b128 v[138:141], v2 offset:448
	s_waitcnt lgkmcnt(1)
	v_fmac_f32_e32 v4, v142, v134
	s_delay_alu instid0(VALU_DEP_1) | instskip(NEXT) | instid1(VALU_DEP_1)
	v_fmac_f32_e32 v4, v143, v135
	v_fmac_f32_e32 v4, v144, v136
	s_waitcnt vmcnt(4)
	s_delay_alu instid0(VALU_DEP_1) | instskip(SKIP_3) | instid1(VALU_DEP_1)
	v_fmac_f32_e32 v4, v145, v137
	ds_load_b128 v[134:137], v2 offset:464
	s_waitcnt lgkmcnt(1)
	v_fmac_f32_e32 v4, v146, v138
	v_fmac_f32_e32 v4, v147, v139
	s_delay_alu instid0(VALU_DEP_1) | instskip(SKIP_1) | instid1(VALU_DEP_1)
	v_fmac_f32_e32 v4, v148, v140
	s_waitcnt vmcnt(3)
	v_fmac_f32_e32 v4, v149, v141
	ds_load_b128 v[138:141], v2 offset:480
	s_waitcnt lgkmcnt(1)
	v_fmac_f32_e32 v4, v150, v134
	s_delay_alu instid0(VALU_DEP_1) | instskip(NEXT) | instid1(VALU_DEP_1)
	v_fmac_f32_e32 v4, v151, v135
	v_fmac_f32_e32 v4, v152, v136
	s_waitcnt vmcnt(2)
	s_delay_alu instid0(VALU_DEP_1) | instskip(SKIP_3) | instid1(VALU_DEP_1)
	v_fmac_f32_e32 v4, v153, v137
	ds_load_b128 v[134:137], v2 offset:496
	s_waitcnt lgkmcnt(1)
	v_fmac_f32_e32 v4, v154, v138
	v_fmac_f32_e32 v4, v155, v139
	s_delay_alu instid0(VALU_DEP_1) | instskip(SKIP_1) | instid1(VALU_DEP_1)
	v_fmac_f32_e32 v4, v156, v140
	s_waitcnt vmcnt(1)
	v_fmac_f32_e32 v4, v157, v141
	s_waitcnt lgkmcnt(0)
	s_delay_alu instid0(VALU_DEP_1) | instskip(NEXT) | instid1(VALU_DEP_1)
	v_fmac_f32_e32 v4, v158, v134
	v_fmac_f32_e32 v4, v159, v135
	s_delay_alu instid0(VALU_DEP_1) | instskip(SKIP_1) | instid1(VALU_DEP_1)
	v_fmac_f32_e32 v4, v160, v136
	s_waitcnt vmcnt(0)
	v_fmac_f32_e32 v4, v3, v137
	s_delay_alu instid0(VALU_DEP_1)
	v_sub_f32_e32 v2, v133, v4
	scratch_store_b32 off, v2, off offset:140
	v_cmpx_lt_u32_e32 34, v0
	s_cbranch_execz .LBB63_323
; %bb.322:
	scratch_load_b32 v2, off, off offset:136
	v_mov_b32_e32 v3, 0
	scratch_store_b32 off, v3, off offset:136
	s_waitcnt vmcnt(0)
	ds_store_b32 v1, v2
.LBB63_323:
	s_or_b32 exec_lo, exec_lo, s0
	s_waitcnt lgkmcnt(0)
	s_waitcnt_vscnt null, 0x0
	s_barrier
	buffer_gl0_inv
	s_clause 0x7
	scratch_load_b128 v[133:136], off, off offset:136
	scratch_load_b128 v[137:140], off, off offset:152
	;; [unrolled: 1-line block ×7, first 2 shown]
	scratch_load_b64 v[3:4], off, off offset:248
	v_mov_b32_e32 v2, 0
	ds_load_2addr_b32 v[161:162], v2 offset0:99 offset1:100
	ds_load_2addr_b32 v[163:164], v2 offset0:101 offset1:102
	;; [unrolled: 1-line block ×4, first 2 shown]
	s_mov_b32 s0, exec_lo
	s_waitcnt vmcnt(7) lgkmcnt(3)
	v_fma_f32 v161, v134, v161, 0
	s_delay_alu instid0(VALU_DEP_1) | instskip(SKIP_4) | instid1(VALU_DEP_1)
	v_fmac_f32_e32 v161, v135, v162
	ds_load_2addr_b32 v[134:135], v2 offset0:107 offset1:108
	s_waitcnt lgkmcnt(3)
	v_fmac_f32_e32 v161, v136, v163
	s_waitcnt vmcnt(6)
	v_fmac_f32_e32 v161, v137, v164
	ds_load_2addr_b32 v[136:137], v2 offset0:109 offset1:110
	s_waitcnt lgkmcnt(3)
	v_fmac_f32_e32 v161, v138, v165
	s_delay_alu instid0(VALU_DEP_1) | instskip(SKIP_1) | instid1(VALU_DEP_1)
	v_fmac_f32_e32 v161, v139, v166
	s_waitcnt lgkmcnt(2)
	v_fmac_f32_e32 v161, v140, v167
	s_waitcnt vmcnt(5)
	s_delay_alu instid0(VALU_DEP_1) | instskip(SKIP_4) | instid1(VALU_DEP_1)
	v_fmac_f32_e32 v161, v141, v168
	ds_load_2addr_b32 v[138:139], v2 offset0:111 offset1:112
	ds_load_2addr_b32 v[140:141], v2 offset0:113 offset1:114
	s_waitcnt lgkmcnt(3)
	v_fmac_f32_e32 v161, v142, v134
	v_fmac_f32_e32 v161, v143, v135
	ds_load_2addr_b32 v[134:135], v2 offset0:115 offset1:116
	s_waitcnt lgkmcnt(3)
	v_fmac_f32_e32 v161, v144, v136
	s_waitcnt vmcnt(4)
	s_delay_alu instid0(VALU_DEP_1) | instskip(SKIP_3) | instid1(VALU_DEP_1)
	v_fmac_f32_e32 v161, v145, v137
	ds_load_2addr_b32 v[136:137], v2 offset0:117 offset1:118
	s_waitcnt lgkmcnt(3)
	v_fmac_f32_e32 v161, v146, v138
	v_fmac_f32_e32 v161, v147, v139
	s_waitcnt lgkmcnt(2)
	s_delay_alu instid0(VALU_DEP_1) | instskip(SKIP_1) | instid1(VALU_DEP_1)
	v_fmac_f32_e32 v161, v148, v140
	s_waitcnt vmcnt(3)
	v_fmac_f32_e32 v161, v149, v141
	ds_load_2addr_b32 v[138:139], v2 offset0:119 offset1:120
	ds_load_2addr_b32 v[140:141], v2 offset0:121 offset1:122
	s_waitcnt lgkmcnt(3)
	v_fmac_f32_e32 v161, v150, v134
	s_delay_alu instid0(VALU_DEP_1) | instskip(SKIP_4) | instid1(VALU_DEP_1)
	v_fmac_f32_e32 v161, v151, v135
	ds_load_2addr_b32 v[134:135], v2 offset0:123 offset1:124
	s_waitcnt lgkmcnt(3)
	v_fmac_f32_e32 v161, v152, v136
	s_waitcnt vmcnt(2)
	v_fmac_f32_e32 v161, v153, v137
	ds_load_2addr_b32 v[136:137], v2 offset0:125 offset1:126
	s_waitcnt lgkmcnt(3)
	v_fmac_f32_e32 v161, v154, v138
	ds_load_b32 v138, v2 offset:508
	v_fmac_f32_e32 v161, v155, v139
	s_waitcnt lgkmcnt(3)
	s_delay_alu instid0(VALU_DEP_1) | instskip(SKIP_1) | instid1(VALU_DEP_1)
	v_fmac_f32_e32 v161, v156, v140
	s_waitcnt vmcnt(1)
	v_fmac_f32_e32 v161, v157, v141
	s_waitcnt lgkmcnt(2)
	s_delay_alu instid0(VALU_DEP_1) | instskip(NEXT) | instid1(VALU_DEP_1)
	v_fmac_f32_e32 v161, v158, v134
	v_fmac_f32_e32 v161, v159, v135
	s_waitcnt lgkmcnt(1)
	s_delay_alu instid0(VALU_DEP_1) | instskip(SKIP_1) | instid1(VALU_DEP_1)
	v_fmac_f32_e32 v161, v160, v136
	s_waitcnt vmcnt(0)
	v_fmac_f32_e32 v161, v3, v137
	s_waitcnt lgkmcnt(0)
	s_delay_alu instid0(VALU_DEP_1) | instskip(NEXT) | instid1(VALU_DEP_1)
	v_fmac_f32_e32 v161, v4, v138
	v_sub_f32_e32 v3, v133, v161
	scratch_store_b32 off, v3, off offset:136
	v_cmpx_lt_u32_e32 33, v0
	s_cbranch_execz .LBB63_325
; %bb.324:
	scratch_load_b32 v3, off, off offset:132
	scratch_store_b32 off, v2, off offset:132
	s_waitcnt vmcnt(0)
	ds_store_b32 v1, v3
.LBB63_325:
	s_or_b32 exec_lo, exec_lo, s0
	s_waitcnt lgkmcnt(0)
	s_waitcnt_vscnt null, 0x0
	s_barrier
	buffer_gl0_inv
	s_clause 0x7
	scratch_load_b128 v[133:136], off, off offset:132
	scratch_load_b128 v[137:140], off, off offset:148
	;; [unrolled: 1-line block ×7, first 2 shown]
	scratch_load_b96 v[169:171], off, off offset:244
	ds_load_2addr_b64 v[161:164], v2 offset0:49 offset1:50
	ds_load_2addr_b64 v[165:168], v2 offset0:51 offset1:52
	s_mov_b32 s0, exec_lo
	s_waitcnt vmcnt(7) lgkmcnt(1)
	v_fma_f32 v4, v134, v161, 0
	s_delay_alu instid0(VALU_DEP_1) | instskip(NEXT) | instid1(VALU_DEP_1)
	v_fmac_f32_e32 v4, v135, v162
	v_fmac_f32_e32 v4, v136, v163
	s_waitcnt vmcnt(6)
	s_delay_alu instid0(VALU_DEP_1) | instskip(SKIP_3) | instid1(VALU_DEP_1)
	v_fmac_f32_e32 v4, v137, v164
	ds_load_2addr_b64 v[134:137], v2 offset0:53 offset1:54
	s_waitcnt lgkmcnt(1)
	v_fmac_f32_e32 v4, v138, v165
	v_fmac_f32_e32 v4, v139, v166
	s_delay_alu instid0(VALU_DEP_1) | instskip(SKIP_1) | instid1(VALU_DEP_1)
	v_fmac_f32_e32 v4, v140, v167
	s_waitcnt vmcnt(5)
	v_fmac_f32_e32 v4, v141, v168
	ds_load_2addr_b64 v[138:141], v2 offset0:55 offset1:56
	s_waitcnt lgkmcnt(1)
	v_fmac_f32_e32 v4, v142, v134
	s_delay_alu instid0(VALU_DEP_1) | instskip(NEXT) | instid1(VALU_DEP_1)
	v_fmac_f32_e32 v4, v143, v135
	v_fmac_f32_e32 v4, v144, v136
	s_waitcnt vmcnt(4)
	s_delay_alu instid0(VALU_DEP_1) | instskip(SKIP_3) | instid1(VALU_DEP_1)
	v_fmac_f32_e32 v4, v145, v137
	ds_load_2addr_b64 v[134:137], v2 offset0:57 offset1:58
	s_waitcnt lgkmcnt(1)
	v_fmac_f32_e32 v4, v146, v138
	v_fmac_f32_e32 v4, v147, v139
	s_delay_alu instid0(VALU_DEP_1) | instskip(SKIP_1) | instid1(VALU_DEP_1)
	v_fmac_f32_e32 v4, v148, v140
	s_waitcnt vmcnt(3)
	v_fmac_f32_e32 v4, v149, v141
	ds_load_2addr_b64 v[138:141], v2 offset0:59 offset1:60
	s_waitcnt lgkmcnt(1)
	v_fmac_f32_e32 v4, v150, v134
	s_delay_alu instid0(VALU_DEP_1) | instskip(NEXT) | instid1(VALU_DEP_1)
	v_fmac_f32_e32 v4, v151, v135
	v_fmac_f32_e32 v4, v152, v136
	s_waitcnt vmcnt(2)
	s_delay_alu instid0(VALU_DEP_1) | instskip(SKIP_4) | instid1(VALU_DEP_1)
	v_fmac_f32_e32 v4, v153, v137
	ds_load_2addr_b64 v[134:137], v2 offset0:61 offset1:62
	ds_load_b64 v[2:3], v2 offset:504
	s_waitcnt lgkmcnt(2)
	v_fmac_f32_e32 v4, v154, v138
	v_fmac_f32_e32 v4, v155, v139
	s_delay_alu instid0(VALU_DEP_1) | instskip(SKIP_1) | instid1(VALU_DEP_1)
	v_fmac_f32_e32 v4, v156, v140
	s_waitcnt vmcnt(1)
	v_fmac_f32_e32 v4, v157, v141
	s_waitcnt lgkmcnt(1)
	s_delay_alu instid0(VALU_DEP_1) | instskip(NEXT) | instid1(VALU_DEP_1)
	v_fmac_f32_e32 v4, v158, v134
	v_fmac_f32_e32 v4, v159, v135
	s_delay_alu instid0(VALU_DEP_1) | instskip(SKIP_1) | instid1(VALU_DEP_1)
	v_fmac_f32_e32 v4, v160, v136
	s_waitcnt vmcnt(0)
	v_fmac_f32_e32 v4, v169, v137
	s_waitcnt lgkmcnt(0)
	s_delay_alu instid0(VALU_DEP_1) | instskip(NEXT) | instid1(VALU_DEP_1)
	v_fmac_f32_e32 v4, v170, v2
	v_fmac_f32_e32 v4, v171, v3
	s_delay_alu instid0(VALU_DEP_1)
	v_sub_f32_e32 v2, v133, v4
	scratch_store_b32 off, v2, off offset:132
	v_cmpx_lt_u32_e32 32, v0
	s_cbranch_execz .LBB63_327
; %bb.326:
	scratch_load_b32 v2, off, off offset:128
	v_mov_b32_e32 v3, 0
	scratch_store_b32 off, v3, off offset:128
	s_waitcnt vmcnt(0)
	ds_store_b32 v1, v2
.LBB63_327:
	s_or_b32 exec_lo, exec_lo, s0
	s_waitcnt lgkmcnt(0)
	s_waitcnt_vscnt null, 0x0
	s_barrier
	buffer_gl0_inv
	s_clause 0x7
	scratch_load_b128 v[133:136], off, off offset:128
	scratch_load_b128 v[137:140], off, off offset:144
	;; [unrolled: 1-line block ×8, first 2 shown]
	v_mov_b32_e32 v2, 0
	ds_load_2addr_b32 v[3:4], v2 offset0:97 offset1:98
	ds_load_2addr_b32 v[165:166], v2 offset0:99 offset1:100
	;; [unrolled: 1-line block ×4, first 2 shown]
	s_mov_b32 s0, exec_lo
	s_waitcnt vmcnt(7) lgkmcnt(3)
	v_fma_f32 v171, v134, v3, 0
	s_delay_alu instid0(VALU_DEP_1)
	v_fmac_f32_e32 v171, v135, v4
	ds_load_2addr_b32 v[3:4], v2 offset0:105 offset1:106
	ds_load_2addr_b32 v[134:135], v2 offset0:107 offset1:108
	s_waitcnt lgkmcnt(4)
	v_fmac_f32_e32 v171, v136, v165
	s_waitcnt vmcnt(6)
	s_delay_alu instid0(VALU_DEP_1) | instskip(SKIP_1) | instid1(VALU_DEP_1)
	v_fmac_f32_e32 v171, v137, v166
	s_waitcnt lgkmcnt(3)
	v_fmac_f32_e32 v171, v138, v167
	s_delay_alu instid0(VALU_DEP_1)
	v_fmac_f32_e32 v171, v139, v168
	ds_load_2addr_b32 v[136:137], v2 offset0:109 offset1:110
	ds_load_2addr_b32 v[138:139], v2 offset0:111 offset1:112
	s_waitcnt lgkmcnt(4)
	v_fmac_f32_e32 v171, v140, v169
	s_waitcnt vmcnt(5)
	s_delay_alu instid0(VALU_DEP_1) | instskip(SKIP_1) | instid1(VALU_DEP_1)
	v_fmac_f32_e32 v171, v141, v170
	s_waitcnt lgkmcnt(3)
	v_fmac_f32_e32 v171, v142, v3
	s_delay_alu instid0(VALU_DEP_1) | instskip(SKIP_4) | instid1(VALU_DEP_1)
	v_fmac_f32_e32 v171, v143, v4
	ds_load_2addr_b32 v[3:4], v2 offset0:113 offset1:114
	s_waitcnt lgkmcnt(3)
	v_fmac_f32_e32 v171, v144, v134
	s_waitcnt vmcnt(4)
	v_fmac_f32_e32 v171, v145, v135
	ds_load_2addr_b32 v[134:135], v2 offset0:115 offset1:116
	s_waitcnt lgkmcnt(3)
	v_fmac_f32_e32 v171, v146, v136
	s_delay_alu instid0(VALU_DEP_1) | instskip(SKIP_1) | instid1(VALU_DEP_1)
	v_fmac_f32_e32 v171, v147, v137
	s_waitcnt lgkmcnt(2)
	v_fmac_f32_e32 v171, v148, v138
	s_waitcnt vmcnt(3)
	s_delay_alu instid0(VALU_DEP_1) | instskip(SKIP_4) | instid1(VALU_DEP_1)
	v_fmac_f32_e32 v171, v149, v139
	ds_load_2addr_b32 v[136:137], v2 offset0:117 offset1:118
	ds_load_2addr_b32 v[138:139], v2 offset0:119 offset1:120
	s_waitcnt lgkmcnt(3)
	v_fmac_f32_e32 v171, v150, v3
	v_fmac_f32_e32 v171, v151, v4
	ds_load_2addr_b32 v[3:4], v2 offset0:121 offset1:122
	s_waitcnt lgkmcnt(3)
	v_fmac_f32_e32 v171, v152, v134
	s_waitcnt vmcnt(2)
	s_delay_alu instid0(VALU_DEP_1) | instskip(SKIP_3) | instid1(VALU_DEP_1)
	v_fmac_f32_e32 v171, v153, v135
	ds_load_2addr_b32 v[134:135], v2 offset0:123 offset1:124
	s_waitcnt lgkmcnt(3)
	v_fmac_f32_e32 v171, v154, v136
	v_fmac_f32_e32 v171, v155, v137
	s_waitcnt lgkmcnt(2)
	s_delay_alu instid0(VALU_DEP_1)
	v_fmac_f32_e32 v171, v156, v138
	ds_load_2addr_b32 v[136:137], v2 offset0:125 offset1:126
	ds_load_b32 v138, v2 offset:508
	s_waitcnt vmcnt(1)
	v_fmac_f32_e32 v171, v157, v139
	s_waitcnt lgkmcnt(3)
	s_delay_alu instid0(VALU_DEP_1) | instskip(NEXT) | instid1(VALU_DEP_1)
	v_fmac_f32_e32 v171, v158, v3
	v_fmac_f32_e32 v171, v159, v4
	s_waitcnt lgkmcnt(2)
	s_delay_alu instid0(VALU_DEP_1) | instskip(SKIP_1) | instid1(VALU_DEP_1)
	v_fmac_f32_e32 v171, v160, v134
	s_waitcnt vmcnt(0)
	v_fmac_f32_e32 v171, v161, v135
	s_waitcnt lgkmcnt(1)
	s_delay_alu instid0(VALU_DEP_1) | instskip(NEXT) | instid1(VALU_DEP_1)
	v_fmac_f32_e32 v171, v162, v136
	v_fmac_f32_e32 v171, v163, v137
	s_waitcnt lgkmcnt(0)
	s_delay_alu instid0(VALU_DEP_1) | instskip(NEXT) | instid1(VALU_DEP_1)
	v_fmac_f32_e32 v171, v164, v138
	v_sub_f32_e32 v3, v133, v171
	scratch_store_b32 off, v3, off offset:128
	v_cmpx_lt_u32_e32 31, v0
	s_cbranch_execz .LBB63_329
; %bb.328:
	scratch_load_b32 v3, off, off offset:124
	scratch_store_b32 off, v2, off offset:124
	s_waitcnt vmcnt(0)
	ds_store_b32 v1, v3
.LBB63_329:
	s_or_b32 exec_lo, exec_lo, s0
	s_waitcnt lgkmcnt(0)
	s_waitcnt_vscnt null, 0x0
	s_barrier
	buffer_gl0_inv
	s_clause 0x8
	scratch_load_b128 v[133:136], off, off offset:124
	scratch_load_b128 v[137:140], off, off offset:140
	;; [unrolled: 1-line block ×8, first 2 shown]
	scratch_load_b32 v3, off, off offset:252
	ds_load_b128 v[165:168], v2 offset:384
	ds_load_b128 v[169:172], v2 offset:400
	s_mov_b32 s0, exec_lo
	s_waitcnt vmcnt(8) lgkmcnt(1)
	v_fma_f32 v4, v134, v165, 0
	s_delay_alu instid0(VALU_DEP_1) | instskip(NEXT) | instid1(VALU_DEP_1)
	v_fmac_f32_e32 v4, v135, v166
	v_fmac_f32_e32 v4, v136, v167
	s_waitcnt vmcnt(7)
	s_delay_alu instid0(VALU_DEP_1) | instskip(SKIP_3) | instid1(VALU_DEP_1)
	v_fmac_f32_e32 v4, v137, v168
	ds_load_b128 v[134:137], v2 offset:416
	s_waitcnt lgkmcnt(1)
	v_fmac_f32_e32 v4, v138, v169
	v_fmac_f32_e32 v4, v139, v170
	s_delay_alu instid0(VALU_DEP_1) | instskip(SKIP_1) | instid1(VALU_DEP_1)
	v_fmac_f32_e32 v4, v140, v171
	s_waitcnt vmcnt(6)
	v_fmac_f32_e32 v4, v141, v172
	ds_load_b128 v[138:141], v2 offset:432
	s_waitcnt lgkmcnt(1)
	v_fmac_f32_e32 v4, v142, v134
	s_delay_alu instid0(VALU_DEP_1) | instskip(NEXT) | instid1(VALU_DEP_1)
	v_fmac_f32_e32 v4, v143, v135
	v_fmac_f32_e32 v4, v144, v136
	s_waitcnt vmcnt(5)
	s_delay_alu instid0(VALU_DEP_1) | instskip(SKIP_3) | instid1(VALU_DEP_1)
	v_fmac_f32_e32 v4, v145, v137
	ds_load_b128 v[134:137], v2 offset:448
	s_waitcnt lgkmcnt(1)
	v_fmac_f32_e32 v4, v146, v138
	v_fmac_f32_e32 v4, v147, v139
	s_delay_alu instid0(VALU_DEP_1) | instskip(SKIP_1) | instid1(VALU_DEP_1)
	v_fmac_f32_e32 v4, v148, v140
	s_waitcnt vmcnt(4)
	v_fmac_f32_e32 v4, v149, v141
	ds_load_b128 v[138:141], v2 offset:464
	s_waitcnt lgkmcnt(1)
	v_fmac_f32_e32 v4, v150, v134
	;; [unrolled: 17-line block ×3, first 2 shown]
	s_delay_alu instid0(VALU_DEP_1) | instskip(NEXT) | instid1(VALU_DEP_1)
	v_fmac_f32_e32 v4, v159, v135
	v_fmac_f32_e32 v4, v160, v136
	s_waitcnt vmcnt(1)
	s_delay_alu instid0(VALU_DEP_1) | instskip(SKIP_1) | instid1(VALU_DEP_1)
	v_fmac_f32_e32 v4, v161, v137
	s_waitcnt lgkmcnt(0)
	v_fmac_f32_e32 v4, v162, v138
	s_delay_alu instid0(VALU_DEP_1) | instskip(NEXT) | instid1(VALU_DEP_1)
	v_fmac_f32_e32 v4, v163, v139
	v_fmac_f32_e32 v4, v164, v140
	s_waitcnt vmcnt(0)
	s_delay_alu instid0(VALU_DEP_1) | instskip(NEXT) | instid1(VALU_DEP_1)
	v_fmac_f32_e32 v4, v3, v141
	v_sub_f32_e32 v2, v133, v4
	scratch_store_b32 off, v2, off offset:124
	v_cmpx_lt_u32_e32 30, v0
	s_cbranch_execz .LBB63_331
; %bb.330:
	scratch_load_b32 v2, off, off offset:120
	v_mov_b32_e32 v3, 0
	scratch_store_b32 off, v3, off offset:120
	s_waitcnt vmcnt(0)
	ds_store_b32 v1, v2
.LBB63_331:
	s_or_b32 exec_lo, exec_lo, s0
	s_waitcnt lgkmcnt(0)
	s_waitcnt_vscnt null, 0x0
	s_barrier
	buffer_gl0_inv
	s_clause 0x8
	scratch_load_b128 v[133:136], off, off offset:120
	scratch_load_b128 v[137:140], off, off offset:136
	;; [unrolled: 1-line block ×8, first 2 shown]
	scratch_load_b64 v[3:4], off, off offset:248
	v_mov_b32_e32 v2, 0
	ds_load_2addr_b32 v[165:166], v2 offset0:95 offset1:96
	ds_load_2addr_b32 v[167:168], v2 offset0:97 offset1:98
	ds_load_2addr_b32 v[169:170], v2 offset0:99 offset1:100
	ds_load_2addr_b32 v[171:172], v2 offset0:101 offset1:102
	s_mov_b32 s0, exec_lo
	s_waitcnt vmcnt(8) lgkmcnt(3)
	v_fma_f32 v165, v134, v165, 0
	s_delay_alu instid0(VALU_DEP_1) | instskip(SKIP_4) | instid1(VALU_DEP_1)
	v_fmac_f32_e32 v165, v135, v166
	ds_load_2addr_b32 v[134:135], v2 offset0:103 offset1:104
	s_waitcnt lgkmcnt(3)
	v_fmac_f32_e32 v165, v136, v167
	s_waitcnt vmcnt(7)
	v_fmac_f32_e32 v165, v137, v168
	ds_load_2addr_b32 v[136:137], v2 offset0:105 offset1:106
	s_waitcnt lgkmcnt(3)
	v_fmac_f32_e32 v165, v138, v169
	s_delay_alu instid0(VALU_DEP_1) | instskip(SKIP_1) | instid1(VALU_DEP_1)
	v_fmac_f32_e32 v165, v139, v170
	s_waitcnt lgkmcnt(2)
	v_fmac_f32_e32 v165, v140, v171
	s_waitcnt vmcnt(6)
	s_delay_alu instid0(VALU_DEP_1) | instskip(SKIP_4) | instid1(VALU_DEP_1)
	v_fmac_f32_e32 v165, v141, v172
	ds_load_2addr_b32 v[138:139], v2 offset0:107 offset1:108
	ds_load_2addr_b32 v[140:141], v2 offset0:109 offset1:110
	s_waitcnt lgkmcnt(3)
	v_fmac_f32_e32 v165, v142, v134
	v_fmac_f32_e32 v165, v143, v135
	ds_load_2addr_b32 v[134:135], v2 offset0:111 offset1:112
	s_waitcnt lgkmcnt(3)
	v_fmac_f32_e32 v165, v144, v136
	s_waitcnt vmcnt(5)
	s_delay_alu instid0(VALU_DEP_1) | instskip(SKIP_3) | instid1(VALU_DEP_1)
	v_fmac_f32_e32 v165, v145, v137
	ds_load_2addr_b32 v[136:137], v2 offset0:113 offset1:114
	s_waitcnt lgkmcnt(3)
	v_fmac_f32_e32 v165, v146, v138
	v_fmac_f32_e32 v165, v147, v139
	s_waitcnt lgkmcnt(2)
	s_delay_alu instid0(VALU_DEP_1) | instskip(SKIP_1) | instid1(VALU_DEP_1)
	v_fmac_f32_e32 v165, v148, v140
	s_waitcnt vmcnt(4)
	v_fmac_f32_e32 v165, v149, v141
	ds_load_2addr_b32 v[138:139], v2 offset0:115 offset1:116
	ds_load_2addr_b32 v[140:141], v2 offset0:117 offset1:118
	s_waitcnt lgkmcnt(3)
	v_fmac_f32_e32 v165, v150, v134
	s_delay_alu instid0(VALU_DEP_1) | instskip(SKIP_4) | instid1(VALU_DEP_1)
	v_fmac_f32_e32 v165, v151, v135
	ds_load_2addr_b32 v[134:135], v2 offset0:119 offset1:120
	s_waitcnt lgkmcnt(3)
	v_fmac_f32_e32 v165, v152, v136
	s_waitcnt vmcnt(3)
	v_fmac_f32_e32 v165, v153, v137
	ds_load_2addr_b32 v[136:137], v2 offset0:121 offset1:122
	s_waitcnt lgkmcnt(3)
	v_fmac_f32_e32 v165, v154, v138
	s_delay_alu instid0(VALU_DEP_1) | instskip(SKIP_1) | instid1(VALU_DEP_1)
	v_fmac_f32_e32 v165, v155, v139
	s_waitcnt lgkmcnt(2)
	v_fmac_f32_e32 v165, v156, v140
	s_waitcnt vmcnt(2)
	s_delay_alu instid0(VALU_DEP_1)
	v_fmac_f32_e32 v165, v157, v141
	ds_load_2addr_b32 v[138:139], v2 offset0:123 offset1:124
	ds_load_2addr_b32 v[140:141], v2 offset0:125 offset1:126
	s_waitcnt lgkmcnt(3)
	v_fmac_f32_e32 v165, v158, v134
	ds_load_b32 v134, v2 offset:508
	v_fmac_f32_e32 v165, v159, v135
	s_waitcnt lgkmcnt(3)
	s_delay_alu instid0(VALU_DEP_1) | instskip(SKIP_1) | instid1(VALU_DEP_1)
	v_fmac_f32_e32 v165, v160, v136
	s_waitcnt vmcnt(1)
	v_fmac_f32_e32 v165, v161, v137
	s_waitcnt lgkmcnt(2)
	s_delay_alu instid0(VALU_DEP_1) | instskip(NEXT) | instid1(VALU_DEP_1)
	v_fmac_f32_e32 v165, v162, v138
	v_fmac_f32_e32 v165, v163, v139
	s_waitcnt lgkmcnt(1)
	s_delay_alu instid0(VALU_DEP_1) | instskip(SKIP_1) | instid1(VALU_DEP_1)
	v_fmac_f32_e32 v165, v164, v140
	s_waitcnt vmcnt(0)
	v_fmac_f32_e32 v165, v3, v141
	s_waitcnt lgkmcnt(0)
	s_delay_alu instid0(VALU_DEP_1) | instskip(NEXT) | instid1(VALU_DEP_1)
	v_fmac_f32_e32 v165, v4, v134
	v_sub_f32_e32 v3, v133, v165
	scratch_store_b32 off, v3, off offset:120
	v_cmpx_lt_u32_e32 29, v0
	s_cbranch_execz .LBB63_333
; %bb.332:
	scratch_load_b32 v3, off, off offset:116
	scratch_store_b32 off, v2, off offset:116
	s_waitcnt vmcnt(0)
	ds_store_b32 v1, v3
.LBB63_333:
	s_or_b32 exec_lo, exec_lo, s0
	s_waitcnt lgkmcnt(0)
	s_waitcnt_vscnt null, 0x0
	s_barrier
	buffer_gl0_inv
	s_clause 0x8
	scratch_load_b128 v[133:136], off, off offset:116
	scratch_load_b128 v[137:140], off, off offset:132
	;; [unrolled: 1-line block ×8, first 2 shown]
	scratch_load_b96 v[173:175], off, off offset:244
	ds_load_2addr_b64 v[165:168], v2 offset0:47 offset1:48
	ds_load_2addr_b64 v[169:172], v2 offset0:49 offset1:50
	s_mov_b32 s0, exec_lo
	s_waitcnt vmcnt(8) lgkmcnt(1)
	v_fma_f32 v4, v134, v165, 0
	s_delay_alu instid0(VALU_DEP_1) | instskip(NEXT) | instid1(VALU_DEP_1)
	v_fmac_f32_e32 v4, v135, v166
	v_fmac_f32_e32 v4, v136, v167
	s_waitcnt vmcnt(7)
	s_delay_alu instid0(VALU_DEP_1) | instskip(SKIP_3) | instid1(VALU_DEP_1)
	v_fmac_f32_e32 v4, v137, v168
	ds_load_2addr_b64 v[134:137], v2 offset0:51 offset1:52
	s_waitcnt lgkmcnt(1)
	v_fmac_f32_e32 v4, v138, v169
	v_fmac_f32_e32 v4, v139, v170
	s_delay_alu instid0(VALU_DEP_1) | instskip(SKIP_1) | instid1(VALU_DEP_1)
	v_fmac_f32_e32 v4, v140, v171
	s_waitcnt vmcnt(6)
	v_fmac_f32_e32 v4, v141, v172
	ds_load_2addr_b64 v[138:141], v2 offset0:53 offset1:54
	s_waitcnt lgkmcnt(1)
	v_fmac_f32_e32 v4, v142, v134
	s_delay_alu instid0(VALU_DEP_1) | instskip(NEXT) | instid1(VALU_DEP_1)
	v_fmac_f32_e32 v4, v143, v135
	v_fmac_f32_e32 v4, v144, v136
	s_waitcnt vmcnt(5)
	s_delay_alu instid0(VALU_DEP_1) | instskip(SKIP_3) | instid1(VALU_DEP_1)
	v_fmac_f32_e32 v4, v145, v137
	ds_load_2addr_b64 v[134:137], v2 offset0:55 offset1:56
	s_waitcnt lgkmcnt(1)
	v_fmac_f32_e32 v4, v146, v138
	v_fmac_f32_e32 v4, v147, v139
	s_delay_alu instid0(VALU_DEP_1) | instskip(SKIP_1) | instid1(VALU_DEP_1)
	v_fmac_f32_e32 v4, v148, v140
	s_waitcnt vmcnt(4)
	v_fmac_f32_e32 v4, v149, v141
	ds_load_2addr_b64 v[138:141], v2 offset0:57 offset1:58
	s_waitcnt lgkmcnt(1)
	v_fmac_f32_e32 v4, v150, v134
	s_delay_alu instid0(VALU_DEP_1) | instskip(NEXT) | instid1(VALU_DEP_1)
	v_fmac_f32_e32 v4, v151, v135
	v_fmac_f32_e32 v4, v152, v136
	s_waitcnt vmcnt(3)
	s_delay_alu instid0(VALU_DEP_1) | instskip(SKIP_3) | instid1(VALU_DEP_1)
	v_fmac_f32_e32 v4, v153, v137
	ds_load_2addr_b64 v[134:137], v2 offset0:59 offset1:60
	s_waitcnt lgkmcnt(1)
	v_fmac_f32_e32 v4, v154, v138
	v_fmac_f32_e32 v4, v155, v139
	s_delay_alu instid0(VALU_DEP_1) | instskip(SKIP_1) | instid1(VALU_DEP_1)
	v_fmac_f32_e32 v4, v156, v140
	s_waitcnt vmcnt(2)
	v_fmac_f32_e32 v4, v157, v141
	ds_load_2addr_b64 v[138:141], v2 offset0:61 offset1:62
	ds_load_b64 v[2:3], v2 offset:504
	s_waitcnt lgkmcnt(2)
	v_fmac_f32_e32 v4, v158, v134
	s_delay_alu instid0(VALU_DEP_1) | instskip(NEXT) | instid1(VALU_DEP_1)
	v_fmac_f32_e32 v4, v159, v135
	v_fmac_f32_e32 v4, v160, v136
	s_waitcnt vmcnt(1)
	s_delay_alu instid0(VALU_DEP_1) | instskip(SKIP_1) | instid1(VALU_DEP_1)
	v_fmac_f32_e32 v4, v161, v137
	s_waitcnt lgkmcnt(1)
	v_fmac_f32_e32 v4, v162, v138
	s_delay_alu instid0(VALU_DEP_1) | instskip(NEXT) | instid1(VALU_DEP_1)
	v_fmac_f32_e32 v4, v163, v139
	v_fmac_f32_e32 v4, v164, v140
	s_waitcnt vmcnt(0)
	s_delay_alu instid0(VALU_DEP_1) | instskip(SKIP_1) | instid1(VALU_DEP_1)
	v_fmac_f32_e32 v4, v173, v141
	s_waitcnt lgkmcnt(0)
	v_fmac_f32_e32 v4, v174, v2
	s_delay_alu instid0(VALU_DEP_1) | instskip(NEXT) | instid1(VALU_DEP_1)
	v_fmac_f32_e32 v4, v175, v3
	v_sub_f32_e32 v2, v133, v4
	scratch_store_b32 off, v2, off offset:116
	v_cmpx_lt_u32_e32 28, v0
	s_cbranch_execz .LBB63_335
; %bb.334:
	scratch_load_b32 v2, off, off offset:112
	v_mov_b32_e32 v3, 0
	scratch_store_b32 off, v3, off offset:112
	s_waitcnt vmcnt(0)
	ds_store_b32 v1, v2
.LBB63_335:
	s_or_b32 exec_lo, exec_lo, s0
	s_waitcnt lgkmcnt(0)
	s_waitcnt_vscnt null, 0x0
	s_barrier
	buffer_gl0_inv
	s_clause 0x8
	scratch_load_b128 v[133:136], off, off offset:112
	scratch_load_b128 v[137:140], off, off offset:128
	;; [unrolled: 1-line block ×9, first 2 shown]
	v_mov_b32_e32 v2, 0
	ds_load_2addr_b32 v[3:4], v2 offset0:93 offset1:94
	ds_load_2addr_b32 v[169:170], v2 offset0:95 offset1:96
	;; [unrolled: 1-line block ×4, first 2 shown]
	s_mov_b32 s0, exec_lo
	s_waitcnt vmcnt(8) lgkmcnt(3)
	v_fma_f32 v175, v134, v3, 0
	s_delay_alu instid0(VALU_DEP_1)
	v_fmac_f32_e32 v175, v135, v4
	ds_load_2addr_b32 v[3:4], v2 offset0:101 offset1:102
	ds_load_2addr_b32 v[134:135], v2 offset0:103 offset1:104
	s_waitcnt lgkmcnt(4)
	v_fmac_f32_e32 v175, v136, v169
	s_waitcnt vmcnt(7)
	s_delay_alu instid0(VALU_DEP_1) | instskip(SKIP_1) | instid1(VALU_DEP_1)
	v_fmac_f32_e32 v175, v137, v170
	s_waitcnt lgkmcnt(3)
	v_fmac_f32_e32 v175, v138, v171
	s_delay_alu instid0(VALU_DEP_1)
	v_fmac_f32_e32 v175, v139, v172
	ds_load_2addr_b32 v[136:137], v2 offset0:105 offset1:106
	ds_load_2addr_b32 v[138:139], v2 offset0:107 offset1:108
	s_waitcnt lgkmcnt(4)
	v_fmac_f32_e32 v175, v140, v173
	s_waitcnt vmcnt(6)
	s_delay_alu instid0(VALU_DEP_1) | instskip(SKIP_1) | instid1(VALU_DEP_1)
	v_fmac_f32_e32 v175, v141, v174
	s_waitcnt lgkmcnt(3)
	v_fmac_f32_e32 v175, v142, v3
	s_delay_alu instid0(VALU_DEP_1) | instskip(SKIP_4) | instid1(VALU_DEP_1)
	v_fmac_f32_e32 v175, v143, v4
	ds_load_2addr_b32 v[3:4], v2 offset0:109 offset1:110
	s_waitcnt lgkmcnt(3)
	v_fmac_f32_e32 v175, v144, v134
	s_waitcnt vmcnt(5)
	v_fmac_f32_e32 v175, v145, v135
	ds_load_2addr_b32 v[134:135], v2 offset0:111 offset1:112
	s_waitcnt lgkmcnt(3)
	v_fmac_f32_e32 v175, v146, v136
	s_delay_alu instid0(VALU_DEP_1) | instskip(SKIP_1) | instid1(VALU_DEP_1)
	v_fmac_f32_e32 v175, v147, v137
	s_waitcnt lgkmcnt(2)
	v_fmac_f32_e32 v175, v148, v138
	s_waitcnt vmcnt(4)
	s_delay_alu instid0(VALU_DEP_1) | instskip(SKIP_4) | instid1(VALU_DEP_1)
	v_fmac_f32_e32 v175, v149, v139
	ds_load_2addr_b32 v[136:137], v2 offset0:113 offset1:114
	ds_load_2addr_b32 v[138:139], v2 offset0:115 offset1:116
	s_waitcnt lgkmcnt(3)
	v_fmac_f32_e32 v175, v150, v3
	v_fmac_f32_e32 v175, v151, v4
	ds_load_2addr_b32 v[3:4], v2 offset0:117 offset1:118
	s_waitcnt lgkmcnt(3)
	v_fmac_f32_e32 v175, v152, v134
	s_waitcnt vmcnt(3)
	s_delay_alu instid0(VALU_DEP_1) | instskip(SKIP_3) | instid1(VALU_DEP_1)
	v_fmac_f32_e32 v175, v153, v135
	ds_load_2addr_b32 v[134:135], v2 offset0:119 offset1:120
	s_waitcnt lgkmcnt(3)
	v_fmac_f32_e32 v175, v154, v136
	v_fmac_f32_e32 v175, v155, v137
	s_waitcnt lgkmcnt(2)
	s_delay_alu instid0(VALU_DEP_1) | instskip(SKIP_1) | instid1(VALU_DEP_1)
	v_fmac_f32_e32 v175, v156, v138
	s_waitcnt vmcnt(2)
	v_fmac_f32_e32 v175, v157, v139
	ds_load_2addr_b32 v[136:137], v2 offset0:121 offset1:122
	ds_load_2addr_b32 v[138:139], v2 offset0:123 offset1:124
	s_waitcnt lgkmcnt(3)
	v_fmac_f32_e32 v175, v158, v3
	s_delay_alu instid0(VALU_DEP_1)
	v_fmac_f32_e32 v175, v159, v4
	ds_load_2addr_b32 v[3:4], v2 offset0:125 offset1:126
	s_waitcnt lgkmcnt(3)
	v_fmac_f32_e32 v175, v160, v134
	ds_load_b32 v134, v2 offset:508
	s_waitcnt vmcnt(1)
	v_fmac_f32_e32 v175, v161, v135
	s_waitcnt lgkmcnt(3)
	s_delay_alu instid0(VALU_DEP_1) | instskip(NEXT) | instid1(VALU_DEP_1)
	v_fmac_f32_e32 v175, v162, v136
	v_fmac_f32_e32 v175, v163, v137
	s_waitcnt lgkmcnt(2)
	s_delay_alu instid0(VALU_DEP_1) | instskip(SKIP_1) | instid1(VALU_DEP_1)
	v_fmac_f32_e32 v175, v164, v138
	s_waitcnt vmcnt(0)
	v_fmac_f32_e32 v175, v165, v139
	s_waitcnt lgkmcnt(1)
	s_delay_alu instid0(VALU_DEP_1) | instskip(NEXT) | instid1(VALU_DEP_1)
	v_fmac_f32_e32 v175, v166, v3
	v_fmac_f32_e32 v175, v167, v4
	s_waitcnt lgkmcnt(0)
	s_delay_alu instid0(VALU_DEP_1) | instskip(NEXT) | instid1(VALU_DEP_1)
	v_fmac_f32_e32 v175, v168, v134
	v_sub_f32_e32 v3, v133, v175
	scratch_store_b32 off, v3, off offset:112
	v_cmpx_lt_u32_e32 27, v0
	s_cbranch_execz .LBB63_337
; %bb.336:
	scratch_load_b32 v3, off, off offset:108
	scratch_store_b32 off, v2, off offset:108
	s_waitcnt vmcnt(0)
	ds_store_b32 v1, v3
.LBB63_337:
	s_or_b32 exec_lo, exec_lo, s0
	s_waitcnt lgkmcnt(0)
	s_waitcnt_vscnt null, 0x0
	s_barrier
	buffer_gl0_inv
	s_clause 0x9
	scratch_load_b128 v[133:136], off, off offset:108
	scratch_load_b128 v[137:140], off, off offset:124
	scratch_load_b128 v[141:144], off, off offset:140
	scratch_load_b128 v[145:148], off, off offset:156
	scratch_load_b128 v[149:152], off, off offset:172
	scratch_load_b128 v[153:156], off, off offset:188
	scratch_load_b128 v[157:160], off, off offset:204
	scratch_load_b128 v[161:164], off, off offset:220
	scratch_load_b128 v[165:168], off, off offset:236
	scratch_load_b32 v3, off, off offset:252
	ds_load_b128 v[169:172], v2 offset:368
	ds_load_b128 v[173:176], v2 offset:384
	s_mov_b32 s0, exec_lo
	s_waitcnt vmcnt(9) lgkmcnt(1)
	v_fma_f32 v4, v134, v169, 0
	s_delay_alu instid0(VALU_DEP_1) | instskip(NEXT) | instid1(VALU_DEP_1)
	v_fmac_f32_e32 v4, v135, v170
	v_fmac_f32_e32 v4, v136, v171
	s_waitcnt vmcnt(8)
	s_delay_alu instid0(VALU_DEP_1) | instskip(SKIP_3) | instid1(VALU_DEP_1)
	v_fmac_f32_e32 v4, v137, v172
	ds_load_b128 v[134:137], v2 offset:400
	s_waitcnt lgkmcnt(1)
	v_fmac_f32_e32 v4, v138, v173
	v_fmac_f32_e32 v4, v139, v174
	s_delay_alu instid0(VALU_DEP_1) | instskip(SKIP_1) | instid1(VALU_DEP_1)
	v_fmac_f32_e32 v4, v140, v175
	s_waitcnt vmcnt(7)
	v_fmac_f32_e32 v4, v141, v176
	ds_load_b128 v[138:141], v2 offset:416
	s_waitcnt lgkmcnt(1)
	v_fmac_f32_e32 v4, v142, v134
	s_delay_alu instid0(VALU_DEP_1) | instskip(NEXT) | instid1(VALU_DEP_1)
	v_fmac_f32_e32 v4, v143, v135
	v_fmac_f32_e32 v4, v144, v136
	s_waitcnt vmcnt(6)
	s_delay_alu instid0(VALU_DEP_1) | instskip(SKIP_3) | instid1(VALU_DEP_1)
	v_fmac_f32_e32 v4, v145, v137
	ds_load_b128 v[134:137], v2 offset:432
	s_waitcnt lgkmcnt(1)
	v_fmac_f32_e32 v4, v146, v138
	v_fmac_f32_e32 v4, v147, v139
	s_delay_alu instid0(VALU_DEP_1) | instskip(SKIP_1) | instid1(VALU_DEP_1)
	v_fmac_f32_e32 v4, v148, v140
	s_waitcnt vmcnt(5)
	v_fmac_f32_e32 v4, v149, v141
	ds_load_b128 v[138:141], v2 offset:448
	s_waitcnt lgkmcnt(1)
	v_fmac_f32_e32 v4, v150, v134
	;; [unrolled: 17-line block ×3, first 2 shown]
	s_delay_alu instid0(VALU_DEP_1) | instskip(NEXT) | instid1(VALU_DEP_1)
	v_fmac_f32_e32 v4, v159, v135
	v_fmac_f32_e32 v4, v160, v136
	s_waitcnt vmcnt(2)
	s_delay_alu instid0(VALU_DEP_1) | instskip(SKIP_3) | instid1(VALU_DEP_1)
	v_fmac_f32_e32 v4, v161, v137
	ds_load_b128 v[134:137], v2 offset:496
	s_waitcnt lgkmcnt(1)
	v_fmac_f32_e32 v4, v162, v138
	v_fmac_f32_e32 v4, v163, v139
	s_delay_alu instid0(VALU_DEP_1) | instskip(SKIP_1) | instid1(VALU_DEP_1)
	v_fmac_f32_e32 v4, v164, v140
	s_waitcnt vmcnt(1)
	v_fmac_f32_e32 v4, v165, v141
	s_waitcnt lgkmcnt(0)
	s_delay_alu instid0(VALU_DEP_1) | instskip(NEXT) | instid1(VALU_DEP_1)
	v_fmac_f32_e32 v4, v166, v134
	v_fmac_f32_e32 v4, v167, v135
	s_delay_alu instid0(VALU_DEP_1) | instskip(SKIP_1) | instid1(VALU_DEP_1)
	v_fmac_f32_e32 v4, v168, v136
	s_waitcnt vmcnt(0)
	v_fmac_f32_e32 v4, v3, v137
	s_delay_alu instid0(VALU_DEP_1)
	v_sub_f32_e32 v2, v133, v4
	scratch_store_b32 off, v2, off offset:108
	v_cmpx_lt_u32_e32 26, v0
	s_cbranch_execz .LBB63_339
; %bb.338:
	scratch_load_b32 v2, off, off offset:104
	v_mov_b32_e32 v3, 0
	scratch_store_b32 off, v3, off offset:104
	s_waitcnt vmcnt(0)
	ds_store_b32 v1, v2
.LBB63_339:
	s_or_b32 exec_lo, exec_lo, s0
	s_waitcnt lgkmcnt(0)
	s_waitcnt_vscnt null, 0x0
	s_barrier
	buffer_gl0_inv
	s_clause 0x9
	scratch_load_b128 v[133:136], off, off offset:104
	scratch_load_b128 v[137:140], off, off offset:120
	;; [unrolled: 1-line block ×9, first 2 shown]
	scratch_load_b64 v[3:4], off, off offset:248
	v_mov_b32_e32 v2, 0
	ds_load_2addr_b32 v[169:170], v2 offset0:91 offset1:92
	ds_load_2addr_b32 v[171:172], v2 offset0:93 offset1:94
	;; [unrolled: 1-line block ×4, first 2 shown]
	s_mov_b32 s0, exec_lo
	s_waitcnt vmcnt(9) lgkmcnt(3)
	v_fma_f32 v169, v134, v169, 0
	s_delay_alu instid0(VALU_DEP_1) | instskip(SKIP_4) | instid1(VALU_DEP_1)
	v_fmac_f32_e32 v169, v135, v170
	ds_load_2addr_b32 v[134:135], v2 offset0:99 offset1:100
	s_waitcnt lgkmcnt(3)
	v_fmac_f32_e32 v169, v136, v171
	s_waitcnt vmcnt(8)
	v_fmac_f32_e32 v169, v137, v172
	ds_load_2addr_b32 v[136:137], v2 offset0:101 offset1:102
	s_waitcnt lgkmcnt(3)
	v_fmac_f32_e32 v169, v138, v173
	s_delay_alu instid0(VALU_DEP_1) | instskip(SKIP_1) | instid1(VALU_DEP_1)
	v_fmac_f32_e32 v169, v139, v174
	s_waitcnt lgkmcnt(2)
	v_fmac_f32_e32 v169, v140, v175
	s_waitcnt vmcnt(7)
	s_delay_alu instid0(VALU_DEP_1) | instskip(SKIP_4) | instid1(VALU_DEP_1)
	v_fmac_f32_e32 v169, v141, v176
	ds_load_2addr_b32 v[138:139], v2 offset0:103 offset1:104
	ds_load_2addr_b32 v[140:141], v2 offset0:105 offset1:106
	s_waitcnt lgkmcnt(3)
	v_fmac_f32_e32 v169, v142, v134
	v_fmac_f32_e32 v169, v143, v135
	ds_load_2addr_b32 v[134:135], v2 offset0:107 offset1:108
	s_waitcnt lgkmcnt(3)
	v_fmac_f32_e32 v169, v144, v136
	s_waitcnt vmcnt(6)
	s_delay_alu instid0(VALU_DEP_1) | instskip(SKIP_3) | instid1(VALU_DEP_1)
	v_fmac_f32_e32 v169, v145, v137
	ds_load_2addr_b32 v[136:137], v2 offset0:109 offset1:110
	s_waitcnt lgkmcnt(3)
	v_fmac_f32_e32 v169, v146, v138
	v_fmac_f32_e32 v169, v147, v139
	s_waitcnt lgkmcnt(2)
	s_delay_alu instid0(VALU_DEP_1) | instskip(SKIP_1) | instid1(VALU_DEP_1)
	v_fmac_f32_e32 v169, v148, v140
	s_waitcnt vmcnt(5)
	v_fmac_f32_e32 v169, v149, v141
	ds_load_2addr_b32 v[138:139], v2 offset0:111 offset1:112
	ds_load_2addr_b32 v[140:141], v2 offset0:113 offset1:114
	s_waitcnt lgkmcnt(3)
	v_fmac_f32_e32 v169, v150, v134
	s_delay_alu instid0(VALU_DEP_1) | instskip(SKIP_4) | instid1(VALU_DEP_1)
	v_fmac_f32_e32 v169, v151, v135
	ds_load_2addr_b32 v[134:135], v2 offset0:115 offset1:116
	s_waitcnt lgkmcnt(3)
	v_fmac_f32_e32 v169, v152, v136
	s_waitcnt vmcnt(4)
	v_fmac_f32_e32 v169, v153, v137
	ds_load_2addr_b32 v[136:137], v2 offset0:117 offset1:118
	s_waitcnt lgkmcnt(3)
	v_fmac_f32_e32 v169, v154, v138
	s_delay_alu instid0(VALU_DEP_1) | instskip(SKIP_1) | instid1(VALU_DEP_1)
	v_fmac_f32_e32 v169, v155, v139
	s_waitcnt lgkmcnt(2)
	v_fmac_f32_e32 v169, v156, v140
	s_waitcnt vmcnt(3)
	s_delay_alu instid0(VALU_DEP_1) | instskip(SKIP_4) | instid1(VALU_DEP_1)
	v_fmac_f32_e32 v169, v157, v141
	ds_load_2addr_b32 v[138:139], v2 offset0:119 offset1:120
	ds_load_2addr_b32 v[140:141], v2 offset0:121 offset1:122
	s_waitcnt lgkmcnt(3)
	v_fmac_f32_e32 v169, v158, v134
	v_fmac_f32_e32 v169, v159, v135
	ds_load_2addr_b32 v[134:135], v2 offset0:123 offset1:124
	s_waitcnt lgkmcnt(3)
	v_fmac_f32_e32 v169, v160, v136
	s_waitcnt vmcnt(2)
	s_delay_alu instid0(VALU_DEP_1)
	v_fmac_f32_e32 v169, v161, v137
	ds_load_2addr_b32 v[136:137], v2 offset0:125 offset1:126
	s_waitcnt lgkmcnt(3)
	v_fmac_f32_e32 v169, v162, v138
	ds_load_b32 v138, v2 offset:508
	v_fmac_f32_e32 v169, v163, v139
	s_waitcnt lgkmcnt(3)
	s_delay_alu instid0(VALU_DEP_1) | instskip(SKIP_1) | instid1(VALU_DEP_1)
	v_fmac_f32_e32 v169, v164, v140
	s_waitcnt vmcnt(1)
	v_fmac_f32_e32 v169, v165, v141
	s_waitcnt lgkmcnt(2)
	s_delay_alu instid0(VALU_DEP_1) | instskip(NEXT) | instid1(VALU_DEP_1)
	v_fmac_f32_e32 v169, v166, v134
	v_fmac_f32_e32 v169, v167, v135
	s_waitcnt lgkmcnt(1)
	s_delay_alu instid0(VALU_DEP_1) | instskip(SKIP_1) | instid1(VALU_DEP_1)
	v_fmac_f32_e32 v169, v168, v136
	s_waitcnt vmcnt(0)
	v_fmac_f32_e32 v169, v3, v137
	s_waitcnt lgkmcnt(0)
	s_delay_alu instid0(VALU_DEP_1) | instskip(NEXT) | instid1(VALU_DEP_1)
	v_fmac_f32_e32 v169, v4, v138
	v_sub_f32_e32 v3, v133, v169
	scratch_store_b32 off, v3, off offset:104
	v_cmpx_lt_u32_e32 25, v0
	s_cbranch_execz .LBB63_341
; %bb.340:
	scratch_load_b32 v3, off, off offset:100
	scratch_store_b32 off, v2, off offset:100
	s_waitcnt vmcnt(0)
	ds_store_b32 v1, v3
.LBB63_341:
	s_or_b32 exec_lo, exec_lo, s0
	s_waitcnt lgkmcnt(0)
	s_waitcnt_vscnt null, 0x0
	s_barrier
	buffer_gl0_inv
	s_clause 0x9
	scratch_load_b128 v[133:136], off, off offset:100
	scratch_load_b128 v[137:140], off, off offset:116
	;; [unrolled: 1-line block ×9, first 2 shown]
	scratch_load_b96 v[177:179], off, off offset:244
	ds_load_2addr_b64 v[169:172], v2 offset0:45 offset1:46
	ds_load_2addr_b64 v[173:176], v2 offset0:47 offset1:48
	s_mov_b32 s0, exec_lo
	s_waitcnt vmcnt(9) lgkmcnt(1)
	v_fma_f32 v4, v134, v169, 0
	s_delay_alu instid0(VALU_DEP_1) | instskip(NEXT) | instid1(VALU_DEP_1)
	v_fmac_f32_e32 v4, v135, v170
	v_fmac_f32_e32 v4, v136, v171
	s_waitcnt vmcnt(8)
	s_delay_alu instid0(VALU_DEP_1) | instskip(SKIP_3) | instid1(VALU_DEP_1)
	v_fmac_f32_e32 v4, v137, v172
	ds_load_2addr_b64 v[134:137], v2 offset0:49 offset1:50
	s_waitcnt lgkmcnt(1)
	v_fmac_f32_e32 v4, v138, v173
	v_fmac_f32_e32 v4, v139, v174
	s_delay_alu instid0(VALU_DEP_1) | instskip(SKIP_1) | instid1(VALU_DEP_1)
	v_fmac_f32_e32 v4, v140, v175
	s_waitcnt vmcnt(7)
	v_fmac_f32_e32 v4, v141, v176
	ds_load_2addr_b64 v[138:141], v2 offset0:51 offset1:52
	s_waitcnt lgkmcnt(1)
	v_fmac_f32_e32 v4, v142, v134
	s_delay_alu instid0(VALU_DEP_1) | instskip(NEXT) | instid1(VALU_DEP_1)
	v_fmac_f32_e32 v4, v143, v135
	v_fmac_f32_e32 v4, v144, v136
	s_waitcnt vmcnt(6)
	s_delay_alu instid0(VALU_DEP_1) | instskip(SKIP_3) | instid1(VALU_DEP_1)
	v_fmac_f32_e32 v4, v145, v137
	ds_load_2addr_b64 v[134:137], v2 offset0:53 offset1:54
	s_waitcnt lgkmcnt(1)
	v_fmac_f32_e32 v4, v146, v138
	v_fmac_f32_e32 v4, v147, v139
	s_delay_alu instid0(VALU_DEP_1) | instskip(SKIP_1) | instid1(VALU_DEP_1)
	v_fmac_f32_e32 v4, v148, v140
	s_waitcnt vmcnt(5)
	v_fmac_f32_e32 v4, v149, v141
	ds_load_2addr_b64 v[138:141], v2 offset0:55 offset1:56
	s_waitcnt lgkmcnt(1)
	v_fmac_f32_e32 v4, v150, v134
	;; [unrolled: 17-line block ×3, first 2 shown]
	s_delay_alu instid0(VALU_DEP_1) | instskip(NEXT) | instid1(VALU_DEP_1)
	v_fmac_f32_e32 v4, v159, v135
	v_fmac_f32_e32 v4, v160, v136
	s_waitcnt vmcnt(2)
	s_delay_alu instid0(VALU_DEP_1) | instskip(SKIP_4) | instid1(VALU_DEP_1)
	v_fmac_f32_e32 v4, v161, v137
	ds_load_2addr_b64 v[134:137], v2 offset0:61 offset1:62
	ds_load_b64 v[2:3], v2 offset:504
	s_waitcnt lgkmcnt(2)
	v_fmac_f32_e32 v4, v162, v138
	v_fmac_f32_e32 v4, v163, v139
	s_delay_alu instid0(VALU_DEP_1) | instskip(SKIP_1) | instid1(VALU_DEP_1)
	v_fmac_f32_e32 v4, v164, v140
	s_waitcnt vmcnt(1)
	v_fmac_f32_e32 v4, v165, v141
	s_waitcnt lgkmcnt(1)
	s_delay_alu instid0(VALU_DEP_1) | instskip(NEXT) | instid1(VALU_DEP_1)
	v_fmac_f32_e32 v4, v166, v134
	v_fmac_f32_e32 v4, v167, v135
	s_delay_alu instid0(VALU_DEP_1) | instskip(SKIP_1) | instid1(VALU_DEP_1)
	v_fmac_f32_e32 v4, v168, v136
	s_waitcnt vmcnt(0)
	v_fmac_f32_e32 v4, v177, v137
	s_waitcnt lgkmcnt(0)
	s_delay_alu instid0(VALU_DEP_1) | instskip(NEXT) | instid1(VALU_DEP_1)
	v_fmac_f32_e32 v4, v178, v2
	v_fmac_f32_e32 v4, v179, v3
	s_delay_alu instid0(VALU_DEP_1)
	v_sub_f32_e32 v2, v133, v4
	scratch_store_b32 off, v2, off offset:100
	v_cmpx_lt_u32_e32 24, v0
	s_cbranch_execz .LBB63_343
; %bb.342:
	scratch_load_b32 v2, off, off offset:96
	v_mov_b32_e32 v3, 0
	scratch_store_b32 off, v3, off offset:96
	s_waitcnt vmcnt(0)
	ds_store_b32 v1, v2
.LBB63_343:
	s_or_b32 exec_lo, exec_lo, s0
	s_waitcnt lgkmcnt(0)
	s_waitcnt_vscnt null, 0x0
	s_barrier
	buffer_gl0_inv
	s_clause 0x9
	scratch_load_b128 v[133:136], off, off offset:96
	scratch_load_b128 v[137:140], off, off offset:112
	;; [unrolled: 1-line block ×10, first 2 shown]
	v_mov_b32_e32 v2, 0
	ds_load_2addr_b32 v[3:4], v2 offset0:89 offset1:90
	ds_load_2addr_b32 v[173:174], v2 offset0:91 offset1:92
	;; [unrolled: 1-line block ×4, first 2 shown]
	s_mov_b32 s0, exec_lo
	s_waitcnt vmcnt(9) lgkmcnt(3)
	v_fma_f32 v179, v134, v3, 0
	s_delay_alu instid0(VALU_DEP_1)
	v_fmac_f32_e32 v179, v135, v4
	ds_load_2addr_b32 v[3:4], v2 offset0:97 offset1:98
	ds_load_2addr_b32 v[134:135], v2 offset0:99 offset1:100
	s_waitcnt lgkmcnt(4)
	v_fmac_f32_e32 v179, v136, v173
	s_waitcnt vmcnt(8)
	s_delay_alu instid0(VALU_DEP_1) | instskip(SKIP_1) | instid1(VALU_DEP_1)
	v_fmac_f32_e32 v179, v137, v174
	s_waitcnt lgkmcnt(3)
	v_fmac_f32_e32 v179, v138, v175
	s_delay_alu instid0(VALU_DEP_1)
	v_fmac_f32_e32 v179, v139, v176
	ds_load_2addr_b32 v[136:137], v2 offset0:101 offset1:102
	ds_load_2addr_b32 v[138:139], v2 offset0:103 offset1:104
	s_waitcnt lgkmcnt(4)
	v_fmac_f32_e32 v179, v140, v177
	s_waitcnt vmcnt(7)
	s_delay_alu instid0(VALU_DEP_1) | instskip(SKIP_1) | instid1(VALU_DEP_1)
	v_fmac_f32_e32 v179, v141, v178
	s_waitcnt lgkmcnt(3)
	v_fmac_f32_e32 v179, v142, v3
	s_delay_alu instid0(VALU_DEP_1) | instskip(SKIP_4) | instid1(VALU_DEP_1)
	v_fmac_f32_e32 v179, v143, v4
	ds_load_2addr_b32 v[3:4], v2 offset0:105 offset1:106
	s_waitcnt lgkmcnt(3)
	v_fmac_f32_e32 v179, v144, v134
	s_waitcnt vmcnt(6)
	v_fmac_f32_e32 v179, v145, v135
	ds_load_2addr_b32 v[134:135], v2 offset0:107 offset1:108
	s_waitcnt lgkmcnt(3)
	v_fmac_f32_e32 v179, v146, v136
	s_delay_alu instid0(VALU_DEP_1) | instskip(SKIP_1) | instid1(VALU_DEP_1)
	v_fmac_f32_e32 v179, v147, v137
	s_waitcnt lgkmcnt(2)
	v_fmac_f32_e32 v179, v148, v138
	s_waitcnt vmcnt(5)
	s_delay_alu instid0(VALU_DEP_1) | instskip(SKIP_4) | instid1(VALU_DEP_1)
	v_fmac_f32_e32 v179, v149, v139
	ds_load_2addr_b32 v[136:137], v2 offset0:109 offset1:110
	ds_load_2addr_b32 v[138:139], v2 offset0:111 offset1:112
	s_waitcnt lgkmcnt(3)
	v_fmac_f32_e32 v179, v150, v3
	v_fmac_f32_e32 v179, v151, v4
	ds_load_2addr_b32 v[3:4], v2 offset0:113 offset1:114
	s_waitcnt lgkmcnt(3)
	v_fmac_f32_e32 v179, v152, v134
	s_waitcnt vmcnt(4)
	s_delay_alu instid0(VALU_DEP_1) | instskip(SKIP_3) | instid1(VALU_DEP_1)
	v_fmac_f32_e32 v179, v153, v135
	ds_load_2addr_b32 v[134:135], v2 offset0:115 offset1:116
	s_waitcnt lgkmcnt(3)
	v_fmac_f32_e32 v179, v154, v136
	v_fmac_f32_e32 v179, v155, v137
	s_waitcnt lgkmcnt(2)
	s_delay_alu instid0(VALU_DEP_1) | instskip(SKIP_1) | instid1(VALU_DEP_1)
	v_fmac_f32_e32 v179, v156, v138
	s_waitcnt vmcnt(3)
	v_fmac_f32_e32 v179, v157, v139
	ds_load_2addr_b32 v[136:137], v2 offset0:117 offset1:118
	ds_load_2addr_b32 v[138:139], v2 offset0:119 offset1:120
	s_waitcnt lgkmcnt(3)
	v_fmac_f32_e32 v179, v158, v3
	s_delay_alu instid0(VALU_DEP_1) | instskip(SKIP_4) | instid1(VALU_DEP_1)
	v_fmac_f32_e32 v179, v159, v4
	ds_load_2addr_b32 v[3:4], v2 offset0:121 offset1:122
	s_waitcnt lgkmcnt(3)
	v_fmac_f32_e32 v179, v160, v134
	s_waitcnt vmcnt(2)
	v_fmac_f32_e32 v179, v161, v135
	ds_load_2addr_b32 v[134:135], v2 offset0:123 offset1:124
	s_waitcnt lgkmcnt(3)
	v_fmac_f32_e32 v179, v162, v136
	s_delay_alu instid0(VALU_DEP_1) | instskip(SKIP_1) | instid1(VALU_DEP_1)
	v_fmac_f32_e32 v179, v163, v137
	s_waitcnt lgkmcnt(2)
	v_fmac_f32_e32 v179, v164, v138
	ds_load_2addr_b32 v[136:137], v2 offset0:125 offset1:126
	ds_load_b32 v138, v2 offset:508
	s_waitcnt vmcnt(1)
	v_fmac_f32_e32 v179, v165, v139
	s_waitcnt lgkmcnt(3)
	s_delay_alu instid0(VALU_DEP_1) | instskip(NEXT) | instid1(VALU_DEP_1)
	v_fmac_f32_e32 v179, v166, v3
	v_fmac_f32_e32 v179, v167, v4
	s_waitcnt lgkmcnt(2)
	s_delay_alu instid0(VALU_DEP_1) | instskip(SKIP_1) | instid1(VALU_DEP_1)
	v_fmac_f32_e32 v179, v168, v134
	s_waitcnt vmcnt(0)
	v_fmac_f32_e32 v179, v169, v135
	s_waitcnt lgkmcnt(1)
	s_delay_alu instid0(VALU_DEP_1) | instskip(NEXT) | instid1(VALU_DEP_1)
	v_fmac_f32_e32 v179, v170, v136
	v_fmac_f32_e32 v179, v171, v137
	s_waitcnt lgkmcnt(0)
	s_delay_alu instid0(VALU_DEP_1) | instskip(NEXT) | instid1(VALU_DEP_1)
	v_fmac_f32_e32 v179, v172, v138
	v_sub_f32_e32 v3, v133, v179
	scratch_store_b32 off, v3, off offset:96
	v_cmpx_lt_u32_e32 23, v0
	s_cbranch_execz .LBB63_345
; %bb.344:
	scratch_load_b32 v3, off, off offset:92
	scratch_store_b32 off, v2, off offset:92
	s_waitcnt vmcnt(0)
	ds_store_b32 v1, v3
.LBB63_345:
	s_or_b32 exec_lo, exec_lo, s0
	s_waitcnt lgkmcnt(0)
	s_waitcnt_vscnt null, 0x0
	s_barrier
	buffer_gl0_inv
	s_clause 0xa
	scratch_load_b128 v[133:136], off, off offset:92
	scratch_load_b128 v[137:140], off, off offset:108
	;; [unrolled: 1-line block ×10, first 2 shown]
	scratch_load_b32 v3, off, off offset:252
	ds_load_b128 v[173:176], v2 offset:352
	ds_load_b128 v[177:180], v2 offset:368
	s_mov_b32 s0, exec_lo
	s_waitcnt vmcnt(10) lgkmcnt(1)
	v_fma_f32 v4, v134, v173, 0
	s_delay_alu instid0(VALU_DEP_1) | instskip(NEXT) | instid1(VALU_DEP_1)
	v_fmac_f32_e32 v4, v135, v174
	v_fmac_f32_e32 v4, v136, v175
	s_waitcnt vmcnt(9)
	s_delay_alu instid0(VALU_DEP_1) | instskip(SKIP_3) | instid1(VALU_DEP_1)
	v_fmac_f32_e32 v4, v137, v176
	ds_load_b128 v[134:137], v2 offset:384
	s_waitcnt lgkmcnt(1)
	v_fmac_f32_e32 v4, v138, v177
	v_fmac_f32_e32 v4, v139, v178
	s_delay_alu instid0(VALU_DEP_1) | instskip(SKIP_1) | instid1(VALU_DEP_1)
	v_fmac_f32_e32 v4, v140, v179
	s_waitcnt vmcnt(8)
	v_fmac_f32_e32 v4, v141, v180
	ds_load_b128 v[138:141], v2 offset:400
	s_waitcnt lgkmcnt(1)
	v_fmac_f32_e32 v4, v142, v134
	s_delay_alu instid0(VALU_DEP_1) | instskip(NEXT) | instid1(VALU_DEP_1)
	v_fmac_f32_e32 v4, v143, v135
	v_fmac_f32_e32 v4, v144, v136
	s_waitcnt vmcnt(7)
	s_delay_alu instid0(VALU_DEP_1) | instskip(SKIP_3) | instid1(VALU_DEP_1)
	v_fmac_f32_e32 v4, v145, v137
	ds_load_b128 v[134:137], v2 offset:416
	s_waitcnt lgkmcnt(1)
	v_fmac_f32_e32 v4, v146, v138
	v_fmac_f32_e32 v4, v147, v139
	s_delay_alu instid0(VALU_DEP_1) | instskip(SKIP_1) | instid1(VALU_DEP_1)
	v_fmac_f32_e32 v4, v148, v140
	s_waitcnt vmcnt(6)
	v_fmac_f32_e32 v4, v149, v141
	ds_load_b128 v[138:141], v2 offset:432
	s_waitcnt lgkmcnt(1)
	v_fmac_f32_e32 v4, v150, v134
	;; [unrolled: 17-line block ×4, first 2 shown]
	s_delay_alu instid0(VALU_DEP_1) | instskip(NEXT) | instid1(VALU_DEP_1)
	v_fmac_f32_e32 v4, v167, v135
	v_fmac_f32_e32 v4, v168, v136
	s_waitcnt vmcnt(1)
	s_delay_alu instid0(VALU_DEP_1) | instskip(SKIP_1) | instid1(VALU_DEP_1)
	v_fmac_f32_e32 v4, v169, v137
	s_waitcnt lgkmcnt(0)
	v_fmac_f32_e32 v4, v170, v138
	s_delay_alu instid0(VALU_DEP_1) | instskip(NEXT) | instid1(VALU_DEP_1)
	v_fmac_f32_e32 v4, v171, v139
	v_fmac_f32_e32 v4, v172, v140
	s_waitcnt vmcnt(0)
	s_delay_alu instid0(VALU_DEP_1) | instskip(NEXT) | instid1(VALU_DEP_1)
	v_fmac_f32_e32 v4, v3, v141
	v_sub_f32_e32 v2, v133, v4
	scratch_store_b32 off, v2, off offset:92
	v_cmpx_lt_u32_e32 22, v0
	s_cbranch_execz .LBB63_347
; %bb.346:
	scratch_load_b32 v2, off, off offset:88
	v_mov_b32_e32 v3, 0
	scratch_store_b32 off, v3, off offset:88
	s_waitcnt vmcnt(0)
	ds_store_b32 v1, v2
.LBB63_347:
	s_or_b32 exec_lo, exec_lo, s0
	s_waitcnt lgkmcnt(0)
	s_waitcnt_vscnt null, 0x0
	s_barrier
	buffer_gl0_inv
	s_clause 0xa
	scratch_load_b128 v[133:136], off, off offset:88
	scratch_load_b128 v[137:140], off, off offset:104
	;; [unrolled: 1-line block ×10, first 2 shown]
	scratch_load_b64 v[3:4], off, off offset:248
	v_mov_b32_e32 v2, 0
	ds_load_2addr_b32 v[173:174], v2 offset0:87 offset1:88
	ds_load_2addr_b32 v[175:176], v2 offset0:89 offset1:90
	ds_load_2addr_b32 v[177:178], v2 offset0:91 offset1:92
	ds_load_2addr_b32 v[179:180], v2 offset0:93 offset1:94
	s_mov_b32 s0, exec_lo
	s_waitcnt vmcnt(10) lgkmcnt(3)
	v_fma_f32 v173, v134, v173, 0
	s_delay_alu instid0(VALU_DEP_1) | instskip(SKIP_4) | instid1(VALU_DEP_1)
	v_fmac_f32_e32 v173, v135, v174
	ds_load_2addr_b32 v[134:135], v2 offset0:95 offset1:96
	s_waitcnt lgkmcnt(3)
	v_fmac_f32_e32 v173, v136, v175
	s_waitcnt vmcnt(9)
	v_fmac_f32_e32 v173, v137, v176
	ds_load_2addr_b32 v[136:137], v2 offset0:97 offset1:98
	s_waitcnt lgkmcnt(3)
	v_fmac_f32_e32 v173, v138, v177
	s_delay_alu instid0(VALU_DEP_1) | instskip(SKIP_1) | instid1(VALU_DEP_1)
	v_fmac_f32_e32 v173, v139, v178
	s_waitcnt lgkmcnt(2)
	v_fmac_f32_e32 v173, v140, v179
	s_waitcnt vmcnt(8)
	s_delay_alu instid0(VALU_DEP_1) | instskip(SKIP_4) | instid1(VALU_DEP_1)
	v_fmac_f32_e32 v173, v141, v180
	ds_load_2addr_b32 v[138:139], v2 offset0:99 offset1:100
	ds_load_2addr_b32 v[140:141], v2 offset0:101 offset1:102
	s_waitcnt lgkmcnt(3)
	v_fmac_f32_e32 v173, v142, v134
	v_fmac_f32_e32 v173, v143, v135
	ds_load_2addr_b32 v[134:135], v2 offset0:103 offset1:104
	s_waitcnt lgkmcnt(3)
	v_fmac_f32_e32 v173, v144, v136
	s_waitcnt vmcnt(7)
	s_delay_alu instid0(VALU_DEP_1) | instskip(SKIP_3) | instid1(VALU_DEP_1)
	v_fmac_f32_e32 v173, v145, v137
	ds_load_2addr_b32 v[136:137], v2 offset0:105 offset1:106
	s_waitcnt lgkmcnt(3)
	v_fmac_f32_e32 v173, v146, v138
	v_fmac_f32_e32 v173, v147, v139
	s_waitcnt lgkmcnt(2)
	s_delay_alu instid0(VALU_DEP_1) | instskip(SKIP_1) | instid1(VALU_DEP_1)
	v_fmac_f32_e32 v173, v148, v140
	s_waitcnt vmcnt(6)
	v_fmac_f32_e32 v173, v149, v141
	ds_load_2addr_b32 v[138:139], v2 offset0:107 offset1:108
	ds_load_2addr_b32 v[140:141], v2 offset0:109 offset1:110
	s_waitcnt lgkmcnt(3)
	v_fmac_f32_e32 v173, v150, v134
	s_delay_alu instid0(VALU_DEP_1) | instskip(SKIP_4) | instid1(VALU_DEP_1)
	v_fmac_f32_e32 v173, v151, v135
	ds_load_2addr_b32 v[134:135], v2 offset0:111 offset1:112
	s_waitcnt lgkmcnt(3)
	v_fmac_f32_e32 v173, v152, v136
	s_waitcnt vmcnt(5)
	v_fmac_f32_e32 v173, v153, v137
	ds_load_2addr_b32 v[136:137], v2 offset0:113 offset1:114
	s_waitcnt lgkmcnt(3)
	v_fmac_f32_e32 v173, v154, v138
	s_delay_alu instid0(VALU_DEP_1) | instskip(SKIP_1) | instid1(VALU_DEP_1)
	v_fmac_f32_e32 v173, v155, v139
	s_waitcnt lgkmcnt(2)
	v_fmac_f32_e32 v173, v156, v140
	s_waitcnt vmcnt(4)
	s_delay_alu instid0(VALU_DEP_1) | instskip(SKIP_4) | instid1(VALU_DEP_1)
	v_fmac_f32_e32 v173, v157, v141
	ds_load_2addr_b32 v[138:139], v2 offset0:115 offset1:116
	ds_load_2addr_b32 v[140:141], v2 offset0:117 offset1:118
	s_waitcnt lgkmcnt(3)
	v_fmac_f32_e32 v173, v158, v134
	v_fmac_f32_e32 v173, v159, v135
	ds_load_2addr_b32 v[134:135], v2 offset0:119 offset1:120
	s_waitcnt lgkmcnt(3)
	v_fmac_f32_e32 v173, v160, v136
	s_waitcnt vmcnt(3)
	s_delay_alu instid0(VALU_DEP_1) | instskip(SKIP_3) | instid1(VALU_DEP_1)
	v_fmac_f32_e32 v173, v161, v137
	ds_load_2addr_b32 v[136:137], v2 offset0:121 offset1:122
	s_waitcnt lgkmcnt(3)
	v_fmac_f32_e32 v173, v162, v138
	v_fmac_f32_e32 v173, v163, v139
	s_waitcnt lgkmcnt(2)
	s_delay_alu instid0(VALU_DEP_1) | instskip(SKIP_1) | instid1(VALU_DEP_1)
	v_fmac_f32_e32 v173, v164, v140
	s_waitcnt vmcnt(2)
	v_fmac_f32_e32 v173, v165, v141
	ds_load_2addr_b32 v[138:139], v2 offset0:123 offset1:124
	ds_load_2addr_b32 v[140:141], v2 offset0:125 offset1:126
	s_waitcnt lgkmcnt(3)
	v_fmac_f32_e32 v173, v166, v134
	ds_load_b32 v134, v2 offset:508
	v_fmac_f32_e32 v173, v167, v135
	s_waitcnt lgkmcnt(3)
	s_delay_alu instid0(VALU_DEP_1) | instskip(SKIP_1) | instid1(VALU_DEP_1)
	v_fmac_f32_e32 v173, v168, v136
	s_waitcnt vmcnt(1)
	v_fmac_f32_e32 v173, v169, v137
	s_waitcnt lgkmcnt(2)
	s_delay_alu instid0(VALU_DEP_1) | instskip(NEXT) | instid1(VALU_DEP_1)
	v_fmac_f32_e32 v173, v170, v138
	v_fmac_f32_e32 v173, v171, v139
	s_waitcnt lgkmcnt(1)
	s_delay_alu instid0(VALU_DEP_1) | instskip(SKIP_1) | instid1(VALU_DEP_1)
	v_fmac_f32_e32 v173, v172, v140
	s_waitcnt vmcnt(0)
	v_fmac_f32_e32 v173, v3, v141
	s_waitcnt lgkmcnt(0)
	s_delay_alu instid0(VALU_DEP_1) | instskip(NEXT) | instid1(VALU_DEP_1)
	v_fmac_f32_e32 v173, v4, v134
	v_sub_f32_e32 v3, v133, v173
	scratch_store_b32 off, v3, off offset:88
	v_cmpx_lt_u32_e32 21, v0
	s_cbranch_execz .LBB63_349
; %bb.348:
	scratch_load_b32 v3, off, off offset:84
	scratch_store_b32 off, v2, off offset:84
	s_waitcnt vmcnt(0)
	ds_store_b32 v1, v3
.LBB63_349:
	s_or_b32 exec_lo, exec_lo, s0
	s_waitcnt lgkmcnt(0)
	s_waitcnt_vscnt null, 0x0
	s_barrier
	buffer_gl0_inv
	s_clause 0xa
	scratch_load_b128 v[133:136], off, off offset:84
	scratch_load_b128 v[137:140], off, off offset:100
	;; [unrolled: 1-line block ×10, first 2 shown]
	scratch_load_b96 v[181:183], off, off offset:244
	ds_load_2addr_b64 v[173:176], v2 offset0:43 offset1:44
	ds_load_2addr_b64 v[177:180], v2 offset0:45 offset1:46
	s_mov_b32 s0, exec_lo
	s_waitcnt vmcnt(10) lgkmcnt(1)
	v_fma_f32 v4, v134, v173, 0
	s_delay_alu instid0(VALU_DEP_1) | instskip(NEXT) | instid1(VALU_DEP_1)
	v_fmac_f32_e32 v4, v135, v174
	v_fmac_f32_e32 v4, v136, v175
	s_waitcnt vmcnt(9)
	s_delay_alu instid0(VALU_DEP_1) | instskip(SKIP_3) | instid1(VALU_DEP_1)
	v_fmac_f32_e32 v4, v137, v176
	ds_load_2addr_b64 v[134:137], v2 offset0:47 offset1:48
	s_waitcnt lgkmcnt(1)
	v_fmac_f32_e32 v4, v138, v177
	v_fmac_f32_e32 v4, v139, v178
	s_delay_alu instid0(VALU_DEP_1) | instskip(SKIP_1) | instid1(VALU_DEP_1)
	v_fmac_f32_e32 v4, v140, v179
	s_waitcnt vmcnt(8)
	v_fmac_f32_e32 v4, v141, v180
	ds_load_2addr_b64 v[138:141], v2 offset0:49 offset1:50
	s_waitcnt lgkmcnt(1)
	v_fmac_f32_e32 v4, v142, v134
	s_delay_alu instid0(VALU_DEP_1) | instskip(NEXT) | instid1(VALU_DEP_1)
	v_fmac_f32_e32 v4, v143, v135
	v_fmac_f32_e32 v4, v144, v136
	s_waitcnt vmcnt(7)
	s_delay_alu instid0(VALU_DEP_1) | instskip(SKIP_3) | instid1(VALU_DEP_1)
	v_fmac_f32_e32 v4, v145, v137
	ds_load_2addr_b64 v[134:137], v2 offset0:51 offset1:52
	s_waitcnt lgkmcnt(1)
	v_fmac_f32_e32 v4, v146, v138
	v_fmac_f32_e32 v4, v147, v139
	s_delay_alu instid0(VALU_DEP_1) | instskip(SKIP_1) | instid1(VALU_DEP_1)
	v_fmac_f32_e32 v4, v148, v140
	s_waitcnt vmcnt(6)
	v_fmac_f32_e32 v4, v149, v141
	ds_load_2addr_b64 v[138:141], v2 offset0:53 offset1:54
	s_waitcnt lgkmcnt(1)
	v_fmac_f32_e32 v4, v150, v134
	;; [unrolled: 17-line block ×3, first 2 shown]
	s_delay_alu instid0(VALU_DEP_1) | instskip(NEXT) | instid1(VALU_DEP_1)
	v_fmac_f32_e32 v4, v159, v135
	v_fmac_f32_e32 v4, v160, v136
	s_waitcnt vmcnt(3)
	s_delay_alu instid0(VALU_DEP_1) | instskip(SKIP_3) | instid1(VALU_DEP_1)
	v_fmac_f32_e32 v4, v161, v137
	ds_load_2addr_b64 v[134:137], v2 offset0:59 offset1:60
	s_waitcnt lgkmcnt(1)
	v_fmac_f32_e32 v4, v162, v138
	v_fmac_f32_e32 v4, v163, v139
	s_delay_alu instid0(VALU_DEP_1) | instskip(SKIP_1) | instid1(VALU_DEP_1)
	v_fmac_f32_e32 v4, v164, v140
	s_waitcnt vmcnt(2)
	v_fmac_f32_e32 v4, v165, v141
	ds_load_2addr_b64 v[138:141], v2 offset0:61 offset1:62
	ds_load_b64 v[2:3], v2 offset:504
	s_waitcnt lgkmcnt(2)
	v_fmac_f32_e32 v4, v166, v134
	s_delay_alu instid0(VALU_DEP_1) | instskip(NEXT) | instid1(VALU_DEP_1)
	v_fmac_f32_e32 v4, v167, v135
	v_fmac_f32_e32 v4, v168, v136
	s_waitcnt vmcnt(1)
	s_delay_alu instid0(VALU_DEP_1) | instskip(SKIP_1) | instid1(VALU_DEP_1)
	v_fmac_f32_e32 v4, v169, v137
	s_waitcnt lgkmcnt(1)
	v_fmac_f32_e32 v4, v170, v138
	s_delay_alu instid0(VALU_DEP_1) | instskip(NEXT) | instid1(VALU_DEP_1)
	v_fmac_f32_e32 v4, v171, v139
	v_fmac_f32_e32 v4, v172, v140
	s_waitcnt vmcnt(0)
	s_delay_alu instid0(VALU_DEP_1) | instskip(SKIP_1) | instid1(VALU_DEP_1)
	v_fmac_f32_e32 v4, v181, v141
	s_waitcnt lgkmcnt(0)
	v_fmac_f32_e32 v4, v182, v2
	s_delay_alu instid0(VALU_DEP_1) | instskip(NEXT) | instid1(VALU_DEP_1)
	v_fmac_f32_e32 v4, v183, v3
	v_sub_f32_e32 v2, v133, v4
	scratch_store_b32 off, v2, off offset:84
	v_cmpx_lt_u32_e32 20, v0
	s_cbranch_execz .LBB63_351
; %bb.350:
	scratch_load_b32 v2, off, off offset:80
	v_mov_b32_e32 v3, 0
	scratch_store_b32 off, v3, off offset:80
	s_waitcnt vmcnt(0)
	ds_store_b32 v1, v2
.LBB63_351:
	s_or_b32 exec_lo, exec_lo, s0
	s_waitcnt lgkmcnt(0)
	s_waitcnt_vscnt null, 0x0
	s_barrier
	buffer_gl0_inv
	s_clause 0xa
	scratch_load_b128 v[133:136], off, off offset:80
	scratch_load_b128 v[137:140], off, off offset:96
	scratch_load_b128 v[141:144], off, off offset:112
	scratch_load_b128 v[145:148], off, off offset:128
	scratch_load_b128 v[149:152], off, off offset:144
	scratch_load_b128 v[153:156], off, off offset:160
	scratch_load_b128 v[157:160], off, off offset:176
	scratch_load_b128 v[161:164], off, off offset:192
	scratch_load_b128 v[165:168], off, off offset:208
	scratch_load_b128 v[169:172], off, off offset:224
	scratch_load_b128 v[173:176], off, off offset:240
	v_mov_b32_e32 v2, 0
	ds_load_2addr_b32 v[3:4], v2 offset0:85 offset1:86
	ds_load_2addr_b32 v[177:178], v2 offset0:87 offset1:88
	;; [unrolled: 1-line block ×4, first 2 shown]
	s_mov_b32 s0, exec_lo
	s_waitcnt vmcnt(10) lgkmcnt(3)
	v_fma_f32 v183, v134, v3, 0
	s_delay_alu instid0(VALU_DEP_1)
	v_fmac_f32_e32 v183, v135, v4
	ds_load_2addr_b32 v[3:4], v2 offset0:93 offset1:94
	ds_load_2addr_b32 v[134:135], v2 offset0:95 offset1:96
	s_waitcnt lgkmcnt(4)
	v_fmac_f32_e32 v183, v136, v177
	s_waitcnt vmcnt(9)
	s_delay_alu instid0(VALU_DEP_1) | instskip(SKIP_1) | instid1(VALU_DEP_1)
	v_fmac_f32_e32 v183, v137, v178
	s_waitcnt lgkmcnt(3)
	v_fmac_f32_e32 v183, v138, v179
	s_delay_alu instid0(VALU_DEP_1)
	v_fmac_f32_e32 v183, v139, v180
	ds_load_2addr_b32 v[136:137], v2 offset0:97 offset1:98
	ds_load_2addr_b32 v[138:139], v2 offset0:99 offset1:100
	s_waitcnt lgkmcnt(4)
	v_fmac_f32_e32 v183, v140, v181
	s_waitcnt vmcnt(8)
	s_delay_alu instid0(VALU_DEP_1) | instskip(SKIP_1) | instid1(VALU_DEP_1)
	v_fmac_f32_e32 v183, v141, v182
	s_waitcnt lgkmcnt(3)
	v_fmac_f32_e32 v183, v142, v3
	s_delay_alu instid0(VALU_DEP_1) | instskip(SKIP_4) | instid1(VALU_DEP_1)
	v_fmac_f32_e32 v183, v143, v4
	ds_load_2addr_b32 v[3:4], v2 offset0:101 offset1:102
	s_waitcnt lgkmcnt(3)
	v_fmac_f32_e32 v183, v144, v134
	s_waitcnt vmcnt(7)
	v_fmac_f32_e32 v183, v145, v135
	ds_load_2addr_b32 v[134:135], v2 offset0:103 offset1:104
	s_waitcnt lgkmcnt(3)
	v_fmac_f32_e32 v183, v146, v136
	s_delay_alu instid0(VALU_DEP_1) | instskip(SKIP_1) | instid1(VALU_DEP_1)
	v_fmac_f32_e32 v183, v147, v137
	s_waitcnt lgkmcnt(2)
	v_fmac_f32_e32 v183, v148, v138
	s_waitcnt vmcnt(6)
	s_delay_alu instid0(VALU_DEP_1) | instskip(SKIP_4) | instid1(VALU_DEP_1)
	v_fmac_f32_e32 v183, v149, v139
	ds_load_2addr_b32 v[136:137], v2 offset0:105 offset1:106
	ds_load_2addr_b32 v[138:139], v2 offset0:107 offset1:108
	s_waitcnt lgkmcnt(3)
	v_fmac_f32_e32 v183, v150, v3
	v_fmac_f32_e32 v183, v151, v4
	ds_load_2addr_b32 v[3:4], v2 offset0:109 offset1:110
	s_waitcnt lgkmcnt(3)
	v_fmac_f32_e32 v183, v152, v134
	s_waitcnt vmcnt(5)
	s_delay_alu instid0(VALU_DEP_1) | instskip(SKIP_3) | instid1(VALU_DEP_1)
	v_fmac_f32_e32 v183, v153, v135
	ds_load_2addr_b32 v[134:135], v2 offset0:111 offset1:112
	s_waitcnt lgkmcnt(3)
	v_fmac_f32_e32 v183, v154, v136
	v_fmac_f32_e32 v183, v155, v137
	s_waitcnt lgkmcnt(2)
	s_delay_alu instid0(VALU_DEP_1) | instskip(SKIP_1) | instid1(VALU_DEP_1)
	v_fmac_f32_e32 v183, v156, v138
	s_waitcnt vmcnt(4)
	v_fmac_f32_e32 v183, v157, v139
	ds_load_2addr_b32 v[136:137], v2 offset0:113 offset1:114
	ds_load_2addr_b32 v[138:139], v2 offset0:115 offset1:116
	s_waitcnt lgkmcnt(3)
	v_fmac_f32_e32 v183, v158, v3
	s_delay_alu instid0(VALU_DEP_1) | instskip(SKIP_4) | instid1(VALU_DEP_1)
	v_fmac_f32_e32 v183, v159, v4
	ds_load_2addr_b32 v[3:4], v2 offset0:117 offset1:118
	s_waitcnt lgkmcnt(3)
	v_fmac_f32_e32 v183, v160, v134
	s_waitcnt vmcnt(3)
	v_fmac_f32_e32 v183, v161, v135
	ds_load_2addr_b32 v[134:135], v2 offset0:119 offset1:120
	s_waitcnt lgkmcnt(3)
	v_fmac_f32_e32 v183, v162, v136
	s_delay_alu instid0(VALU_DEP_1) | instskip(SKIP_1) | instid1(VALU_DEP_1)
	v_fmac_f32_e32 v183, v163, v137
	s_waitcnt lgkmcnt(2)
	v_fmac_f32_e32 v183, v164, v138
	s_waitcnt vmcnt(2)
	s_delay_alu instid0(VALU_DEP_1) | instskip(SKIP_4) | instid1(VALU_DEP_1)
	v_fmac_f32_e32 v183, v165, v139
	ds_load_2addr_b32 v[136:137], v2 offset0:121 offset1:122
	ds_load_2addr_b32 v[138:139], v2 offset0:123 offset1:124
	s_waitcnt lgkmcnt(3)
	v_fmac_f32_e32 v183, v166, v3
	v_fmac_f32_e32 v183, v167, v4
	ds_load_2addr_b32 v[3:4], v2 offset0:125 offset1:126
	s_waitcnt lgkmcnt(3)
	v_fmac_f32_e32 v183, v168, v134
	ds_load_b32 v134, v2 offset:508
	s_waitcnt vmcnt(1)
	v_fmac_f32_e32 v183, v169, v135
	s_waitcnt lgkmcnt(3)
	s_delay_alu instid0(VALU_DEP_1) | instskip(NEXT) | instid1(VALU_DEP_1)
	v_fmac_f32_e32 v183, v170, v136
	v_fmac_f32_e32 v183, v171, v137
	s_waitcnt lgkmcnt(2)
	s_delay_alu instid0(VALU_DEP_1) | instskip(SKIP_1) | instid1(VALU_DEP_1)
	v_fmac_f32_e32 v183, v172, v138
	s_waitcnt vmcnt(0)
	v_fmac_f32_e32 v183, v173, v139
	s_waitcnt lgkmcnt(1)
	s_delay_alu instid0(VALU_DEP_1) | instskip(NEXT) | instid1(VALU_DEP_1)
	v_fmac_f32_e32 v183, v174, v3
	v_fmac_f32_e32 v183, v175, v4
	s_waitcnt lgkmcnt(0)
	s_delay_alu instid0(VALU_DEP_1) | instskip(NEXT) | instid1(VALU_DEP_1)
	v_fmac_f32_e32 v183, v176, v134
	v_sub_f32_e32 v3, v133, v183
	scratch_store_b32 off, v3, off offset:80
	v_cmpx_lt_u32_e32 19, v0
	s_cbranch_execz .LBB63_353
; %bb.352:
	scratch_load_b32 v3, off, off offset:76
	scratch_store_b32 off, v2, off offset:76
	s_waitcnt vmcnt(0)
	ds_store_b32 v1, v3
.LBB63_353:
	s_or_b32 exec_lo, exec_lo, s0
	s_waitcnt lgkmcnt(0)
	s_waitcnt_vscnt null, 0x0
	s_barrier
	buffer_gl0_inv
	s_clause 0xb
	scratch_load_b128 v[133:136], off, off offset:76
	scratch_load_b128 v[137:140], off, off offset:92
	;; [unrolled: 1-line block ×11, first 2 shown]
	scratch_load_b32 v3, off, off offset:252
	ds_load_b128 v[177:180], v2 offset:336
	ds_load_b128 v[181:184], v2 offset:352
	s_mov_b32 s0, exec_lo
	s_waitcnt vmcnt(11) lgkmcnt(1)
	v_fma_f32 v4, v134, v177, 0
	s_delay_alu instid0(VALU_DEP_1) | instskip(NEXT) | instid1(VALU_DEP_1)
	v_fmac_f32_e32 v4, v135, v178
	v_fmac_f32_e32 v4, v136, v179
	s_waitcnt vmcnt(10)
	s_delay_alu instid0(VALU_DEP_1) | instskip(SKIP_3) | instid1(VALU_DEP_1)
	v_fmac_f32_e32 v4, v137, v180
	ds_load_b128 v[134:137], v2 offset:368
	s_waitcnt lgkmcnt(1)
	v_fmac_f32_e32 v4, v138, v181
	v_fmac_f32_e32 v4, v139, v182
	s_delay_alu instid0(VALU_DEP_1) | instskip(SKIP_1) | instid1(VALU_DEP_1)
	v_fmac_f32_e32 v4, v140, v183
	s_waitcnt vmcnt(9)
	v_fmac_f32_e32 v4, v141, v184
	ds_load_b128 v[138:141], v2 offset:384
	s_waitcnt lgkmcnt(1)
	v_fmac_f32_e32 v4, v142, v134
	s_delay_alu instid0(VALU_DEP_1) | instskip(NEXT) | instid1(VALU_DEP_1)
	v_fmac_f32_e32 v4, v143, v135
	v_fmac_f32_e32 v4, v144, v136
	s_waitcnt vmcnt(8)
	s_delay_alu instid0(VALU_DEP_1) | instskip(SKIP_3) | instid1(VALU_DEP_1)
	v_fmac_f32_e32 v4, v145, v137
	ds_load_b128 v[134:137], v2 offset:400
	s_waitcnt lgkmcnt(1)
	v_fmac_f32_e32 v4, v146, v138
	v_fmac_f32_e32 v4, v147, v139
	s_delay_alu instid0(VALU_DEP_1) | instskip(SKIP_1) | instid1(VALU_DEP_1)
	v_fmac_f32_e32 v4, v148, v140
	s_waitcnt vmcnt(7)
	v_fmac_f32_e32 v4, v149, v141
	ds_load_b128 v[138:141], v2 offset:416
	s_waitcnt lgkmcnt(1)
	v_fmac_f32_e32 v4, v150, v134
	;; [unrolled: 17-line block ×4, first 2 shown]
	s_delay_alu instid0(VALU_DEP_1) | instskip(NEXT) | instid1(VALU_DEP_1)
	v_fmac_f32_e32 v4, v167, v135
	v_fmac_f32_e32 v4, v168, v136
	s_waitcnt vmcnt(2)
	s_delay_alu instid0(VALU_DEP_1) | instskip(SKIP_3) | instid1(VALU_DEP_1)
	v_fmac_f32_e32 v4, v169, v137
	ds_load_b128 v[134:137], v2 offset:496
	s_waitcnt lgkmcnt(1)
	v_fmac_f32_e32 v4, v170, v138
	v_fmac_f32_e32 v4, v171, v139
	s_delay_alu instid0(VALU_DEP_1) | instskip(SKIP_1) | instid1(VALU_DEP_1)
	v_fmac_f32_e32 v4, v172, v140
	s_waitcnt vmcnt(1)
	v_fmac_f32_e32 v4, v173, v141
	s_waitcnt lgkmcnt(0)
	s_delay_alu instid0(VALU_DEP_1) | instskip(NEXT) | instid1(VALU_DEP_1)
	v_fmac_f32_e32 v4, v174, v134
	v_fmac_f32_e32 v4, v175, v135
	s_delay_alu instid0(VALU_DEP_1) | instskip(SKIP_1) | instid1(VALU_DEP_1)
	v_fmac_f32_e32 v4, v176, v136
	s_waitcnt vmcnt(0)
	v_fmac_f32_e32 v4, v3, v137
	s_delay_alu instid0(VALU_DEP_1)
	v_sub_f32_e32 v2, v133, v4
	scratch_store_b32 off, v2, off offset:76
	v_cmpx_lt_u32_e32 18, v0
	s_cbranch_execz .LBB63_355
; %bb.354:
	scratch_load_b32 v2, off, off offset:72
	v_mov_b32_e32 v3, 0
	scratch_store_b32 off, v3, off offset:72
	s_waitcnt vmcnt(0)
	ds_store_b32 v1, v2
.LBB63_355:
	s_or_b32 exec_lo, exec_lo, s0
	s_waitcnt lgkmcnt(0)
	s_waitcnt_vscnt null, 0x0
	s_barrier
	buffer_gl0_inv
	s_clause 0xb
	scratch_load_b128 v[133:136], off, off offset:72
	scratch_load_b128 v[137:140], off, off offset:88
	;; [unrolled: 1-line block ×11, first 2 shown]
	scratch_load_b64 v[3:4], off, off offset:248
	v_mov_b32_e32 v2, 0
	ds_load_2addr_b32 v[177:178], v2 offset0:83 offset1:84
	ds_load_2addr_b32 v[179:180], v2 offset0:85 offset1:86
	;; [unrolled: 1-line block ×4, first 2 shown]
	s_mov_b32 s0, exec_lo
	s_waitcnt vmcnt(11) lgkmcnt(3)
	v_fma_f32 v177, v134, v177, 0
	s_delay_alu instid0(VALU_DEP_1) | instskip(SKIP_4) | instid1(VALU_DEP_1)
	v_fmac_f32_e32 v177, v135, v178
	ds_load_2addr_b32 v[134:135], v2 offset0:91 offset1:92
	s_waitcnt lgkmcnt(3)
	v_fmac_f32_e32 v177, v136, v179
	s_waitcnt vmcnt(10)
	v_fmac_f32_e32 v177, v137, v180
	ds_load_2addr_b32 v[136:137], v2 offset0:93 offset1:94
	s_waitcnt lgkmcnt(3)
	v_fmac_f32_e32 v177, v138, v181
	s_delay_alu instid0(VALU_DEP_1) | instskip(SKIP_1) | instid1(VALU_DEP_1)
	v_fmac_f32_e32 v177, v139, v182
	s_waitcnt lgkmcnt(2)
	v_fmac_f32_e32 v177, v140, v183
	s_waitcnt vmcnt(9)
	s_delay_alu instid0(VALU_DEP_1) | instskip(SKIP_4) | instid1(VALU_DEP_1)
	v_fmac_f32_e32 v177, v141, v184
	ds_load_2addr_b32 v[138:139], v2 offset0:95 offset1:96
	ds_load_2addr_b32 v[140:141], v2 offset0:97 offset1:98
	s_waitcnt lgkmcnt(3)
	v_fmac_f32_e32 v177, v142, v134
	v_fmac_f32_e32 v177, v143, v135
	ds_load_2addr_b32 v[134:135], v2 offset0:99 offset1:100
	s_waitcnt lgkmcnt(3)
	v_fmac_f32_e32 v177, v144, v136
	s_waitcnt vmcnt(8)
	s_delay_alu instid0(VALU_DEP_1) | instskip(SKIP_3) | instid1(VALU_DEP_1)
	v_fmac_f32_e32 v177, v145, v137
	ds_load_2addr_b32 v[136:137], v2 offset0:101 offset1:102
	s_waitcnt lgkmcnt(3)
	v_fmac_f32_e32 v177, v146, v138
	v_fmac_f32_e32 v177, v147, v139
	s_waitcnt lgkmcnt(2)
	s_delay_alu instid0(VALU_DEP_1) | instskip(SKIP_1) | instid1(VALU_DEP_1)
	v_fmac_f32_e32 v177, v148, v140
	s_waitcnt vmcnt(7)
	v_fmac_f32_e32 v177, v149, v141
	ds_load_2addr_b32 v[138:139], v2 offset0:103 offset1:104
	ds_load_2addr_b32 v[140:141], v2 offset0:105 offset1:106
	s_waitcnt lgkmcnt(3)
	v_fmac_f32_e32 v177, v150, v134
	s_delay_alu instid0(VALU_DEP_1) | instskip(SKIP_4) | instid1(VALU_DEP_1)
	v_fmac_f32_e32 v177, v151, v135
	ds_load_2addr_b32 v[134:135], v2 offset0:107 offset1:108
	s_waitcnt lgkmcnt(3)
	v_fmac_f32_e32 v177, v152, v136
	s_waitcnt vmcnt(6)
	v_fmac_f32_e32 v177, v153, v137
	ds_load_2addr_b32 v[136:137], v2 offset0:109 offset1:110
	s_waitcnt lgkmcnt(3)
	v_fmac_f32_e32 v177, v154, v138
	s_delay_alu instid0(VALU_DEP_1) | instskip(SKIP_1) | instid1(VALU_DEP_1)
	v_fmac_f32_e32 v177, v155, v139
	s_waitcnt lgkmcnt(2)
	v_fmac_f32_e32 v177, v156, v140
	s_waitcnt vmcnt(5)
	s_delay_alu instid0(VALU_DEP_1) | instskip(SKIP_4) | instid1(VALU_DEP_1)
	v_fmac_f32_e32 v177, v157, v141
	ds_load_2addr_b32 v[138:139], v2 offset0:111 offset1:112
	ds_load_2addr_b32 v[140:141], v2 offset0:113 offset1:114
	s_waitcnt lgkmcnt(3)
	v_fmac_f32_e32 v177, v158, v134
	v_fmac_f32_e32 v177, v159, v135
	ds_load_2addr_b32 v[134:135], v2 offset0:115 offset1:116
	s_waitcnt lgkmcnt(3)
	v_fmac_f32_e32 v177, v160, v136
	s_waitcnt vmcnt(4)
	s_delay_alu instid0(VALU_DEP_1) | instskip(SKIP_3) | instid1(VALU_DEP_1)
	v_fmac_f32_e32 v177, v161, v137
	ds_load_2addr_b32 v[136:137], v2 offset0:117 offset1:118
	s_waitcnt lgkmcnt(3)
	v_fmac_f32_e32 v177, v162, v138
	v_fmac_f32_e32 v177, v163, v139
	s_waitcnt lgkmcnt(2)
	s_delay_alu instid0(VALU_DEP_1) | instskip(SKIP_1) | instid1(VALU_DEP_1)
	v_fmac_f32_e32 v177, v164, v140
	s_waitcnt vmcnt(3)
	v_fmac_f32_e32 v177, v165, v141
	ds_load_2addr_b32 v[138:139], v2 offset0:119 offset1:120
	ds_load_2addr_b32 v[140:141], v2 offset0:121 offset1:122
	s_waitcnt lgkmcnt(3)
	v_fmac_f32_e32 v177, v166, v134
	s_delay_alu instid0(VALU_DEP_1) | instskip(SKIP_4) | instid1(VALU_DEP_1)
	v_fmac_f32_e32 v177, v167, v135
	ds_load_2addr_b32 v[134:135], v2 offset0:123 offset1:124
	s_waitcnt lgkmcnt(3)
	v_fmac_f32_e32 v177, v168, v136
	s_waitcnt vmcnt(2)
	v_fmac_f32_e32 v177, v169, v137
	ds_load_2addr_b32 v[136:137], v2 offset0:125 offset1:126
	s_waitcnt lgkmcnt(3)
	v_fmac_f32_e32 v177, v170, v138
	ds_load_b32 v138, v2 offset:508
	v_fmac_f32_e32 v177, v171, v139
	s_waitcnt lgkmcnt(3)
	s_delay_alu instid0(VALU_DEP_1) | instskip(SKIP_1) | instid1(VALU_DEP_1)
	v_fmac_f32_e32 v177, v172, v140
	s_waitcnt vmcnt(1)
	v_fmac_f32_e32 v177, v173, v141
	s_waitcnt lgkmcnt(2)
	s_delay_alu instid0(VALU_DEP_1) | instskip(NEXT) | instid1(VALU_DEP_1)
	v_fmac_f32_e32 v177, v174, v134
	v_fmac_f32_e32 v177, v175, v135
	s_waitcnt lgkmcnt(1)
	s_delay_alu instid0(VALU_DEP_1) | instskip(SKIP_1) | instid1(VALU_DEP_1)
	v_fmac_f32_e32 v177, v176, v136
	s_waitcnt vmcnt(0)
	v_fmac_f32_e32 v177, v3, v137
	s_waitcnt lgkmcnt(0)
	s_delay_alu instid0(VALU_DEP_1) | instskip(NEXT) | instid1(VALU_DEP_1)
	v_fmac_f32_e32 v177, v4, v138
	v_sub_f32_e32 v3, v133, v177
	scratch_store_b32 off, v3, off offset:72
	v_cmpx_lt_u32_e32 17, v0
	s_cbranch_execz .LBB63_357
; %bb.356:
	scratch_load_b32 v3, off, off offset:68
	scratch_store_b32 off, v2, off offset:68
	s_waitcnt vmcnt(0)
	ds_store_b32 v1, v3
.LBB63_357:
	s_or_b32 exec_lo, exec_lo, s0
	s_waitcnt lgkmcnt(0)
	s_waitcnt_vscnt null, 0x0
	s_barrier
	buffer_gl0_inv
	s_clause 0xb
	scratch_load_b128 v[133:136], off, off offset:68
	scratch_load_b128 v[137:140], off, off offset:84
	;; [unrolled: 1-line block ×11, first 2 shown]
	scratch_load_b96 v[185:187], off, off offset:244
	ds_load_2addr_b64 v[177:180], v2 offset0:41 offset1:42
	ds_load_2addr_b64 v[181:184], v2 offset0:43 offset1:44
	s_mov_b32 s0, exec_lo
	s_waitcnt vmcnt(11) lgkmcnt(1)
	v_fma_f32 v4, v134, v177, 0
	s_delay_alu instid0(VALU_DEP_1) | instskip(NEXT) | instid1(VALU_DEP_1)
	v_fmac_f32_e32 v4, v135, v178
	v_fmac_f32_e32 v4, v136, v179
	s_waitcnt vmcnt(10)
	s_delay_alu instid0(VALU_DEP_1) | instskip(SKIP_3) | instid1(VALU_DEP_1)
	v_fmac_f32_e32 v4, v137, v180
	ds_load_2addr_b64 v[134:137], v2 offset0:45 offset1:46
	s_waitcnt lgkmcnt(1)
	v_fmac_f32_e32 v4, v138, v181
	v_fmac_f32_e32 v4, v139, v182
	s_delay_alu instid0(VALU_DEP_1) | instskip(SKIP_1) | instid1(VALU_DEP_1)
	v_fmac_f32_e32 v4, v140, v183
	s_waitcnt vmcnt(9)
	v_fmac_f32_e32 v4, v141, v184
	ds_load_2addr_b64 v[138:141], v2 offset0:47 offset1:48
	s_waitcnt lgkmcnt(1)
	v_fmac_f32_e32 v4, v142, v134
	s_delay_alu instid0(VALU_DEP_1) | instskip(NEXT) | instid1(VALU_DEP_1)
	v_fmac_f32_e32 v4, v143, v135
	v_fmac_f32_e32 v4, v144, v136
	s_waitcnt vmcnt(8)
	s_delay_alu instid0(VALU_DEP_1) | instskip(SKIP_3) | instid1(VALU_DEP_1)
	v_fmac_f32_e32 v4, v145, v137
	ds_load_2addr_b64 v[134:137], v2 offset0:49 offset1:50
	s_waitcnt lgkmcnt(1)
	v_fmac_f32_e32 v4, v146, v138
	v_fmac_f32_e32 v4, v147, v139
	s_delay_alu instid0(VALU_DEP_1) | instskip(SKIP_1) | instid1(VALU_DEP_1)
	v_fmac_f32_e32 v4, v148, v140
	s_waitcnt vmcnt(7)
	v_fmac_f32_e32 v4, v149, v141
	ds_load_2addr_b64 v[138:141], v2 offset0:51 offset1:52
	s_waitcnt lgkmcnt(1)
	v_fmac_f32_e32 v4, v150, v134
	s_delay_alu instid0(VALU_DEP_1) | instskip(NEXT) | instid1(VALU_DEP_1)
	v_fmac_f32_e32 v4, v151, v135
	v_fmac_f32_e32 v4, v152, v136
	s_waitcnt vmcnt(6)
	s_delay_alu instid0(VALU_DEP_1) | instskip(SKIP_3) | instid1(VALU_DEP_1)
	v_fmac_f32_e32 v4, v153, v137
	ds_load_2addr_b64 v[134:137], v2 offset0:53 offset1:54
	s_waitcnt lgkmcnt(1)
	v_fmac_f32_e32 v4, v154, v138
	v_fmac_f32_e32 v4, v155, v139
	s_delay_alu instid0(VALU_DEP_1) | instskip(SKIP_1) | instid1(VALU_DEP_1)
	v_fmac_f32_e32 v4, v156, v140
	s_waitcnt vmcnt(5)
	v_fmac_f32_e32 v4, v157, v141
	ds_load_2addr_b64 v[138:141], v2 offset0:55 offset1:56
	s_waitcnt lgkmcnt(1)
	v_fmac_f32_e32 v4, v158, v134
	s_delay_alu instid0(VALU_DEP_1) | instskip(NEXT) | instid1(VALU_DEP_1)
	v_fmac_f32_e32 v4, v159, v135
	v_fmac_f32_e32 v4, v160, v136
	s_waitcnt vmcnt(4)
	s_delay_alu instid0(VALU_DEP_1) | instskip(SKIP_3) | instid1(VALU_DEP_1)
	v_fmac_f32_e32 v4, v161, v137
	ds_load_2addr_b64 v[134:137], v2 offset0:57 offset1:58
	s_waitcnt lgkmcnt(1)
	v_fmac_f32_e32 v4, v162, v138
	v_fmac_f32_e32 v4, v163, v139
	s_delay_alu instid0(VALU_DEP_1) | instskip(SKIP_1) | instid1(VALU_DEP_1)
	v_fmac_f32_e32 v4, v164, v140
	s_waitcnt vmcnt(3)
	v_fmac_f32_e32 v4, v165, v141
	ds_load_2addr_b64 v[138:141], v2 offset0:59 offset1:60
	s_waitcnt lgkmcnt(1)
	v_fmac_f32_e32 v4, v166, v134
	s_delay_alu instid0(VALU_DEP_1) | instskip(NEXT) | instid1(VALU_DEP_1)
	v_fmac_f32_e32 v4, v167, v135
	v_fmac_f32_e32 v4, v168, v136
	s_waitcnt vmcnt(2)
	s_delay_alu instid0(VALU_DEP_1) | instskip(SKIP_4) | instid1(VALU_DEP_1)
	v_fmac_f32_e32 v4, v169, v137
	ds_load_2addr_b64 v[134:137], v2 offset0:61 offset1:62
	ds_load_b64 v[2:3], v2 offset:504
	s_waitcnt lgkmcnt(2)
	v_fmac_f32_e32 v4, v170, v138
	v_fmac_f32_e32 v4, v171, v139
	s_delay_alu instid0(VALU_DEP_1) | instskip(SKIP_1) | instid1(VALU_DEP_1)
	v_fmac_f32_e32 v4, v172, v140
	s_waitcnt vmcnt(1)
	v_fmac_f32_e32 v4, v173, v141
	s_waitcnt lgkmcnt(1)
	s_delay_alu instid0(VALU_DEP_1) | instskip(NEXT) | instid1(VALU_DEP_1)
	v_fmac_f32_e32 v4, v174, v134
	v_fmac_f32_e32 v4, v175, v135
	s_delay_alu instid0(VALU_DEP_1) | instskip(SKIP_1) | instid1(VALU_DEP_1)
	v_fmac_f32_e32 v4, v176, v136
	s_waitcnt vmcnt(0)
	v_fmac_f32_e32 v4, v185, v137
	s_waitcnt lgkmcnt(0)
	s_delay_alu instid0(VALU_DEP_1) | instskip(NEXT) | instid1(VALU_DEP_1)
	v_fmac_f32_e32 v4, v186, v2
	v_fmac_f32_e32 v4, v187, v3
	s_delay_alu instid0(VALU_DEP_1)
	v_sub_f32_e32 v2, v133, v4
	scratch_store_b32 off, v2, off offset:68
	v_cmpx_lt_u32_e32 16, v0
	s_cbranch_execz .LBB63_359
; %bb.358:
	scratch_load_b32 v2, off, off offset:64
	v_mov_b32_e32 v3, 0
	scratch_store_b32 off, v3, off offset:64
	s_waitcnt vmcnt(0)
	ds_store_b32 v1, v2
.LBB63_359:
	s_or_b32 exec_lo, exec_lo, s0
	s_waitcnt lgkmcnt(0)
	s_waitcnt_vscnt null, 0x0
	s_barrier
	buffer_gl0_inv
	s_clause 0xb
	scratch_load_b128 v[133:136], off, off offset:64
	scratch_load_b128 v[137:140], off, off offset:80
	;; [unrolled: 1-line block ×12, first 2 shown]
	v_mov_b32_e32 v2, 0
	ds_load_2addr_b32 v[3:4], v2 offset0:81 offset1:82
	ds_load_2addr_b32 v[181:182], v2 offset0:83 offset1:84
	;; [unrolled: 1-line block ×4, first 2 shown]
	s_mov_b32 s0, exec_lo
	s_waitcnt vmcnt(11) lgkmcnt(3)
	v_fma_f32 v187, v134, v3, 0
	s_delay_alu instid0(VALU_DEP_1)
	v_fmac_f32_e32 v187, v135, v4
	ds_load_2addr_b32 v[3:4], v2 offset0:89 offset1:90
	ds_load_2addr_b32 v[134:135], v2 offset0:91 offset1:92
	s_waitcnt lgkmcnt(4)
	v_fmac_f32_e32 v187, v136, v181
	s_waitcnt vmcnt(10)
	s_delay_alu instid0(VALU_DEP_1) | instskip(SKIP_1) | instid1(VALU_DEP_1)
	v_fmac_f32_e32 v187, v137, v182
	s_waitcnt lgkmcnt(3)
	v_fmac_f32_e32 v187, v138, v183
	s_delay_alu instid0(VALU_DEP_1)
	v_fmac_f32_e32 v187, v139, v184
	ds_load_2addr_b32 v[136:137], v2 offset0:93 offset1:94
	ds_load_2addr_b32 v[138:139], v2 offset0:95 offset1:96
	s_waitcnt lgkmcnt(4)
	v_fmac_f32_e32 v187, v140, v185
	s_waitcnt vmcnt(9)
	s_delay_alu instid0(VALU_DEP_1) | instskip(SKIP_1) | instid1(VALU_DEP_1)
	v_fmac_f32_e32 v187, v141, v186
	s_waitcnt lgkmcnt(3)
	v_fmac_f32_e32 v187, v142, v3
	s_delay_alu instid0(VALU_DEP_1) | instskip(SKIP_4) | instid1(VALU_DEP_1)
	v_fmac_f32_e32 v187, v143, v4
	ds_load_2addr_b32 v[3:4], v2 offset0:97 offset1:98
	s_waitcnt lgkmcnt(3)
	v_fmac_f32_e32 v187, v144, v134
	s_waitcnt vmcnt(8)
	v_fmac_f32_e32 v187, v145, v135
	ds_load_2addr_b32 v[134:135], v2 offset0:99 offset1:100
	s_waitcnt lgkmcnt(3)
	v_fmac_f32_e32 v187, v146, v136
	s_delay_alu instid0(VALU_DEP_1) | instskip(SKIP_1) | instid1(VALU_DEP_1)
	v_fmac_f32_e32 v187, v147, v137
	s_waitcnt lgkmcnt(2)
	v_fmac_f32_e32 v187, v148, v138
	s_waitcnt vmcnt(7)
	s_delay_alu instid0(VALU_DEP_1) | instskip(SKIP_4) | instid1(VALU_DEP_1)
	v_fmac_f32_e32 v187, v149, v139
	ds_load_2addr_b32 v[136:137], v2 offset0:101 offset1:102
	ds_load_2addr_b32 v[138:139], v2 offset0:103 offset1:104
	s_waitcnt lgkmcnt(3)
	v_fmac_f32_e32 v187, v150, v3
	v_fmac_f32_e32 v187, v151, v4
	ds_load_2addr_b32 v[3:4], v2 offset0:105 offset1:106
	s_waitcnt lgkmcnt(3)
	v_fmac_f32_e32 v187, v152, v134
	s_waitcnt vmcnt(6)
	s_delay_alu instid0(VALU_DEP_1) | instskip(SKIP_3) | instid1(VALU_DEP_1)
	v_fmac_f32_e32 v187, v153, v135
	ds_load_2addr_b32 v[134:135], v2 offset0:107 offset1:108
	s_waitcnt lgkmcnt(3)
	v_fmac_f32_e32 v187, v154, v136
	v_fmac_f32_e32 v187, v155, v137
	s_waitcnt lgkmcnt(2)
	s_delay_alu instid0(VALU_DEP_1) | instskip(SKIP_1) | instid1(VALU_DEP_1)
	v_fmac_f32_e32 v187, v156, v138
	s_waitcnt vmcnt(5)
	v_fmac_f32_e32 v187, v157, v139
	ds_load_2addr_b32 v[136:137], v2 offset0:109 offset1:110
	ds_load_2addr_b32 v[138:139], v2 offset0:111 offset1:112
	s_waitcnt lgkmcnt(3)
	v_fmac_f32_e32 v187, v158, v3
	s_delay_alu instid0(VALU_DEP_1) | instskip(SKIP_4) | instid1(VALU_DEP_1)
	v_fmac_f32_e32 v187, v159, v4
	ds_load_2addr_b32 v[3:4], v2 offset0:113 offset1:114
	s_waitcnt lgkmcnt(3)
	v_fmac_f32_e32 v187, v160, v134
	s_waitcnt vmcnt(4)
	v_fmac_f32_e32 v187, v161, v135
	ds_load_2addr_b32 v[134:135], v2 offset0:115 offset1:116
	s_waitcnt lgkmcnt(3)
	v_fmac_f32_e32 v187, v162, v136
	s_delay_alu instid0(VALU_DEP_1) | instskip(SKIP_1) | instid1(VALU_DEP_1)
	v_fmac_f32_e32 v187, v163, v137
	s_waitcnt lgkmcnt(2)
	v_fmac_f32_e32 v187, v164, v138
	s_waitcnt vmcnt(3)
	s_delay_alu instid0(VALU_DEP_1) | instskip(SKIP_4) | instid1(VALU_DEP_1)
	v_fmac_f32_e32 v187, v165, v139
	ds_load_2addr_b32 v[136:137], v2 offset0:117 offset1:118
	ds_load_2addr_b32 v[138:139], v2 offset0:119 offset1:120
	s_waitcnt lgkmcnt(3)
	v_fmac_f32_e32 v187, v166, v3
	v_fmac_f32_e32 v187, v167, v4
	ds_load_2addr_b32 v[3:4], v2 offset0:121 offset1:122
	s_waitcnt lgkmcnt(3)
	v_fmac_f32_e32 v187, v168, v134
	s_waitcnt vmcnt(2)
	s_delay_alu instid0(VALU_DEP_1) | instskip(SKIP_3) | instid1(VALU_DEP_1)
	v_fmac_f32_e32 v187, v169, v135
	ds_load_2addr_b32 v[134:135], v2 offset0:123 offset1:124
	s_waitcnt lgkmcnt(3)
	v_fmac_f32_e32 v187, v170, v136
	v_fmac_f32_e32 v187, v171, v137
	s_waitcnt lgkmcnt(2)
	s_delay_alu instid0(VALU_DEP_1)
	v_fmac_f32_e32 v187, v172, v138
	ds_load_2addr_b32 v[136:137], v2 offset0:125 offset1:126
	ds_load_b32 v138, v2 offset:508
	s_waitcnt vmcnt(1)
	v_fmac_f32_e32 v187, v173, v139
	s_waitcnt lgkmcnt(3)
	s_delay_alu instid0(VALU_DEP_1) | instskip(NEXT) | instid1(VALU_DEP_1)
	v_fmac_f32_e32 v187, v174, v3
	v_fmac_f32_e32 v187, v175, v4
	s_waitcnt lgkmcnt(2)
	s_delay_alu instid0(VALU_DEP_1) | instskip(SKIP_1) | instid1(VALU_DEP_1)
	v_fmac_f32_e32 v187, v176, v134
	s_waitcnt vmcnt(0)
	v_fmac_f32_e32 v187, v177, v135
	s_waitcnt lgkmcnt(1)
	s_delay_alu instid0(VALU_DEP_1) | instskip(NEXT) | instid1(VALU_DEP_1)
	v_fmac_f32_e32 v187, v178, v136
	v_fmac_f32_e32 v187, v179, v137
	s_waitcnt lgkmcnt(0)
	s_delay_alu instid0(VALU_DEP_1) | instskip(NEXT) | instid1(VALU_DEP_1)
	v_fmac_f32_e32 v187, v180, v138
	v_sub_f32_e32 v3, v133, v187
	scratch_store_b32 off, v3, off offset:64
	v_cmpx_lt_u32_e32 15, v0
	s_cbranch_execz .LBB63_361
; %bb.360:
	scratch_load_b32 v3, off, off offset:60
	scratch_store_b32 off, v2, off offset:60
	s_waitcnt vmcnt(0)
	ds_store_b32 v1, v3
.LBB63_361:
	s_or_b32 exec_lo, exec_lo, s0
	s_waitcnt lgkmcnt(0)
	s_waitcnt_vscnt null, 0x0
	s_barrier
	buffer_gl0_inv
	s_clause 0xc
	scratch_load_b128 v[133:136], off, off offset:60
	scratch_load_b128 v[137:140], off, off offset:76
	;; [unrolled: 1-line block ×12, first 2 shown]
	scratch_load_b32 v3, off, off offset:252
	ds_load_b128 v[181:184], v2 offset:320
	ds_load_b128 v[185:188], v2 offset:336
	s_mov_b32 s0, exec_lo
	s_waitcnt vmcnt(12) lgkmcnt(1)
	v_fma_f32 v4, v134, v181, 0
	s_delay_alu instid0(VALU_DEP_1) | instskip(NEXT) | instid1(VALU_DEP_1)
	v_fmac_f32_e32 v4, v135, v182
	v_fmac_f32_e32 v4, v136, v183
	s_waitcnt vmcnt(11)
	s_delay_alu instid0(VALU_DEP_1) | instskip(SKIP_3) | instid1(VALU_DEP_1)
	v_fmac_f32_e32 v4, v137, v184
	ds_load_b128 v[134:137], v2 offset:352
	s_waitcnt lgkmcnt(1)
	v_fmac_f32_e32 v4, v138, v185
	v_fmac_f32_e32 v4, v139, v186
	s_delay_alu instid0(VALU_DEP_1) | instskip(SKIP_1) | instid1(VALU_DEP_1)
	v_fmac_f32_e32 v4, v140, v187
	s_waitcnt vmcnt(10)
	v_fmac_f32_e32 v4, v141, v188
	ds_load_b128 v[138:141], v2 offset:368
	s_waitcnt lgkmcnt(1)
	v_fmac_f32_e32 v4, v142, v134
	s_delay_alu instid0(VALU_DEP_1) | instskip(NEXT) | instid1(VALU_DEP_1)
	v_fmac_f32_e32 v4, v143, v135
	v_fmac_f32_e32 v4, v144, v136
	s_waitcnt vmcnt(9)
	s_delay_alu instid0(VALU_DEP_1) | instskip(SKIP_3) | instid1(VALU_DEP_1)
	v_fmac_f32_e32 v4, v145, v137
	ds_load_b128 v[134:137], v2 offset:384
	s_waitcnt lgkmcnt(1)
	v_fmac_f32_e32 v4, v146, v138
	v_fmac_f32_e32 v4, v147, v139
	s_delay_alu instid0(VALU_DEP_1) | instskip(SKIP_1) | instid1(VALU_DEP_1)
	v_fmac_f32_e32 v4, v148, v140
	s_waitcnt vmcnt(8)
	v_fmac_f32_e32 v4, v149, v141
	ds_load_b128 v[138:141], v2 offset:400
	s_waitcnt lgkmcnt(1)
	v_fmac_f32_e32 v4, v150, v134
	s_delay_alu instid0(VALU_DEP_1) | instskip(NEXT) | instid1(VALU_DEP_1)
	v_fmac_f32_e32 v4, v151, v135
	v_fmac_f32_e32 v4, v152, v136
	s_waitcnt vmcnt(7)
	s_delay_alu instid0(VALU_DEP_1) | instskip(SKIP_3) | instid1(VALU_DEP_1)
	v_fmac_f32_e32 v4, v153, v137
	ds_load_b128 v[134:137], v2 offset:416
	s_waitcnt lgkmcnt(1)
	v_fmac_f32_e32 v4, v154, v138
	v_fmac_f32_e32 v4, v155, v139
	s_delay_alu instid0(VALU_DEP_1) | instskip(SKIP_1) | instid1(VALU_DEP_1)
	v_fmac_f32_e32 v4, v156, v140
	s_waitcnt vmcnt(6)
	v_fmac_f32_e32 v4, v157, v141
	ds_load_b128 v[138:141], v2 offset:432
	s_waitcnt lgkmcnt(1)
	v_fmac_f32_e32 v4, v158, v134
	s_delay_alu instid0(VALU_DEP_1) | instskip(NEXT) | instid1(VALU_DEP_1)
	v_fmac_f32_e32 v4, v159, v135
	v_fmac_f32_e32 v4, v160, v136
	s_waitcnt vmcnt(5)
	s_delay_alu instid0(VALU_DEP_1) | instskip(SKIP_3) | instid1(VALU_DEP_1)
	v_fmac_f32_e32 v4, v161, v137
	ds_load_b128 v[134:137], v2 offset:448
	s_waitcnt lgkmcnt(1)
	v_fmac_f32_e32 v4, v162, v138
	v_fmac_f32_e32 v4, v163, v139
	s_delay_alu instid0(VALU_DEP_1) | instskip(SKIP_1) | instid1(VALU_DEP_1)
	v_fmac_f32_e32 v4, v164, v140
	s_waitcnt vmcnt(4)
	v_fmac_f32_e32 v4, v165, v141
	ds_load_b128 v[138:141], v2 offset:464
	s_waitcnt lgkmcnt(1)
	v_fmac_f32_e32 v4, v166, v134
	s_delay_alu instid0(VALU_DEP_1) | instskip(NEXT) | instid1(VALU_DEP_1)
	v_fmac_f32_e32 v4, v167, v135
	v_fmac_f32_e32 v4, v168, v136
	s_waitcnt vmcnt(3)
	s_delay_alu instid0(VALU_DEP_1) | instskip(SKIP_3) | instid1(VALU_DEP_1)
	v_fmac_f32_e32 v4, v169, v137
	ds_load_b128 v[134:137], v2 offset:480
	s_waitcnt lgkmcnt(1)
	v_fmac_f32_e32 v4, v170, v138
	v_fmac_f32_e32 v4, v171, v139
	s_delay_alu instid0(VALU_DEP_1) | instskip(SKIP_1) | instid1(VALU_DEP_1)
	v_fmac_f32_e32 v4, v172, v140
	s_waitcnt vmcnt(2)
	v_fmac_f32_e32 v4, v173, v141
	ds_load_b128 v[138:141], v2 offset:496
	s_waitcnt lgkmcnt(1)
	v_fmac_f32_e32 v4, v174, v134
	s_delay_alu instid0(VALU_DEP_1) | instskip(NEXT) | instid1(VALU_DEP_1)
	v_fmac_f32_e32 v4, v175, v135
	v_fmac_f32_e32 v4, v176, v136
	s_waitcnt vmcnt(1)
	s_delay_alu instid0(VALU_DEP_1) | instskip(SKIP_1) | instid1(VALU_DEP_1)
	v_fmac_f32_e32 v4, v177, v137
	s_waitcnt lgkmcnt(0)
	v_fmac_f32_e32 v4, v178, v138
	s_delay_alu instid0(VALU_DEP_1) | instskip(NEXT) | instid1(VALU_DEP_1)
	v_fmac_f32_e32 v4, v179, v139
	v_fmac_f32_e32 v4, v180, v140
	s_waitcnt vmcnt(0)
	s_delay_alu instid0(VALU_DEP_1) | instskip(NEXT) | instid1(VALU_DEP_1)
	v_fmac_f32_e32 v4, v3, v141
	v_sub_f32_e32 v2, v133, v4
	scratch_store_b32 off, v2, off offset:60
	v_cmpx_lt_u32_e32 14, v0
	s_cbranch_execz .LBB63_363
; %bb.362:
	scratch_load_b32 v2, off, off offset:56
	v_mov_b32_e32 v3, 0
	scratch_store_b32 off, v3, off offset:56
	s_waitcnt vmcnt(0)
	ds_store_b32 v1, v2
.LBB63_363:
	s_or_b32 exec_lo, exec_lo, s0
	s_waitcnt lgkmcnt(0)
	s_waitcnt_vscnt null, 0x0
	s_barrier
	buffer_gl0_inv
	s_clause 0xc
	scratch_load_b128 v[133:136], off, off offset:56
	scratch_load_b128 v[137:140], off, off offset:72
	;; [unrolled: 1-line block ×12, first 2 shown]
	scratch_load_b64 v[3:4], off, off offset:248
	v_mov_b32_e32 v2, 0
	ds_load_2addr_b32 v[181:182], v2 offset0:79 offset1:80
	ds_load_2addr_b32 v[183:184], v2 offset0:81 offset1:82
	;; [unrolled: 1-line block ×4, first 2 shown]
	s_mov_b32 s0, exec_lo
	s_waitcnt vmcnt(12) lgkmcnt(3)
	v_fma_f32 v181, v134, v181, 0
	s_delay_alu instid0(VALU_DEP_1) | instskip(SKIP_4) | instid1(VALU_DEP_1)
	v_fmac_f32_e32 v181, v135, v182
	ds_load_2addr_b32 v[134:135], v2 offset0:87 offset1:88
	s_waitcnt lgkmcnt(3)
	v_fmac_f32_e32 v181, v136, v183
	s_waitcnt vmcnt(11)
	v_fmac_f32_e32 v181, v137, v184
	ds_load_2addr_b32 v[136:137], v2 offset0:89 offset1:90
	s_waitcnt lgkmcnt(3)
	v_fmac_f32_e32 v181, v138, v185
	s_delay_alu instid0(VALU_DEP_1) | instskip(SKIP_1) | instid1(VALU_DEP_1)
	v_fmac_f32_e32 v181, v139, v186
	s_waitcnt lgkmcnt(2)
	v_fmac_f32_e32 v181, v140, v187
	s_waitcnt vmcnt(10)
	s_delay_alu instid0(VALU_DEP_1) | instskip(SKIP_4) | instid1(VALU_DEP_1)
	v_fmac_f32_e32 v181, v141, v188
	ds_load_2addr_b32 v[138:139], v2 offset0:91 offset1:92
	ds_load_2addr_b32 v[140:141], v2 offset0:93 offset1:94
	s_waitcnt lgkmcnt(3)
	v_fmac_f32_e32 v181, v142, v134
	v_fmac_f32_e32 v181, v143, v135
	ds_load_2addr_b32 v[134:135], v2 offset0:95 offset1:96
	s_waitcnt lgkmcnt(3)
	v_fmac_f32_e32 v181, v144, v136
	s_waitcnt vmcnt(9)
	s_delay_alu instid0(VALU_DEP_1) | instskip(SKIP_3) | instid1(VALU_DEP_1)
	v_fmac_f32_e32 v181, v145, v137
	ds_load_2addr_b32 v[136:137], v2 offset0:97 offset1:98
	s_waitcnt lgkmcnt(3)
	v_fmac_f32_e32 v181, v146, v138
	v_fmac_f32_e32 v181, v147, v139
	s_waitcnt lgkmcnt(2)
	s_delay_alu instid0(VALU_DEP_1) | instskip(SKIP_1) | instid1(VALU_DEP_1)
	v_fmac_f32_e32 v181, v148, v140
	s_waitcnt vmcnt(8)
	v_fmac_f32_e32 v181, v149, v141
	ds_load_2addr_b32 v[138:139], v2 offset0:99 offset1:100
	ds_load_2addr_b32 v[140:141], v2 offset0:101 offset1:102
	s_waitcnt lgkmcnt(3)
	v_fmac_f32_e32 v181, v150, v134
	s_delay_alu instid0(VALU_DEP_1) | instskip(SKIP_4) | instid1(VALU_DEP_1)
	v_fmac_f32_e32 v181, v151, v135
	ds_load_2addr_b32 v[134:135], v2 offset0:103 offset1:104
	s_waitcnt lgkmcnt(3)
	v_fmac_f32_e32 v181, v152, v136
	s_waitcnt vmcnt(7)
	v_fmac_f32_e32 v181, v153, v137
	ds_load_2addr_b32 v[136:137], v2 offset0:105 offset1:106
	s_waitcnt lgkmcnt(3)
	v_fmac_f32_e32 v181, v154, v138
	s_delay_alu instid0(VALU_DEP_1) | instskip(SKIP_1) | instid1(VALU_DEP_1)
	v_fmac_f32_e32 v181, v155, v139
	s_waitcnt lgkmcnt(2)
	v_fmac_f32_e32 v181, v156, v140
	s_waitcnt vmcnt(6)
	s_delay_alu instid0(VALU_DEP_1) | instskip(SKIP_4) | instid1(VALU_DEP_1)
	v_fmac_f32_e32 v181, v157, v141
	ds_load_2addr_b32 v[138:139], v2 offset0:107 offset1:108
	ds_load_2addr_b32 v[140:141], v2 offset0:109 offset1:110
	s_waitcnt lgkmcnt(3)
	v_fmac_f32_e32 v181, v158, v134
	v_fmac_f32_e32 v181, v159, v135
	ds_load_2addr_b32 v[134:135], v2 offset0:111 offset1:112
	s_waitcnt lgkmcnt(3)
	v_fmac_f32_e32 v181, v160, v136
	s_waitcnt vmcnt(5)
	s_delay_alu instid0(VALU_DEP_1) | instskip(SKIP_3) | instid1(VALU_DEP_1)
	v_fmac_f32_e32 v181, v161, v137
	ds_load_2addr_b32 v[136:137], v2 offset0:113 offset1:114
	s_waitcnt lgkmcnt(3)
	v_fmac_f32_e32 v181, v162, v138
	v_fmac_f32_e32 v181, v163, v139
	s_waitcnt lgkmcnt(2)
	s_delay_alu instid0(VALU_DEP_1) | instskip(SKIP_1) | instid1(VALU_DEP_1)
	v_fmac_f32_e32 v181, v164, v140
	s_waitcnt vmcnt(4)
	v_fmac_f32_e32 v181, v165, v141
	ds_load_2addr_b32 v[138:139], v2 offset0:115 offset1:116
	ds_load_2addr_b32 v[140:141], v2 offset0:117 offset1:118
	s_waitcnt lgkmcnt(3)
	v_fmac_f32_e32 v181, v166, v134
	s_delay_alu instid0(VALU_DEP_1) | instskip(SKIP_4) | instid1(VALU_DEP_1)
	v_fmac_f32_e32 v181, v167, v135
	ds_load_2addr_b32 v[134:135], v2 offset0:119 offset1:120
	s_waitcnt lgkmcnt(3)
	v_fmac_f32_e32 v181, v168, v136
	s_waitcnt vmcnt(3)
	v_fmac_f32_e32 v181, v169, v137
	ds_load_2addr_b32 v[136:137], v2 offset0:121 offset1:122
	s_waitcnt lgkmcnt(3)
	v_fmac_f32_e32 v181, v170, v138
	s_delay_alu instid0(VALU_DEP_1) | instskip(SKIP_1) | instid1(VALU_DEP_1)
	v_fmac_f32_e32 v181, v171, v139
	s_waitcnt lgkmcnt(2)
	v_fmac_f32_e32 v181, v172, v140
	s_waitcnt vmcnt(2)
	s_delay_alu instid0(VALU_DEP_1)
	v_fmac_f32_e32 v181, v173, v141
	ds_load_2addr_b32 v[138:139], v2 offset0:123 offset1:124
	ds_load_2addr_b32 v[140:141], v2 offset0:125 offset1:126
	s_waitcnt lgkmcnt(3)
	v_fmac_f32_e32 v181, v174, v134
	ds_load_b32 v134, v2 offset:508
	v_fmac_f32_e32 v181, v175, v135
	s_waitcnt lgkmcnt(3)
	s_delay_alu instid0(VALU_DEP_1) | instskip(SKIP_1) | instid1(VALU_DEP_1)
	v_fmac_f32_e32 v181, v176, v136
	s_waitcnt vmcnt(1)
	v_fmac_f32_e32 v181, v177, v137
	s_waitcnt lgkmcnt(2)
	s_delay_alu instid0(VALU_DEP_1) | instskip(NEXT) | instid1(VALU_DEP_1)
	v_fmac_f32_e32 v181, v178, v138
	v_fmac_f32_e32 v181, v179, v139
	s_waitcnt lgkmcnt(1)
	s_delay_alu instid0(VALU_DEP_1) | instskip(SKIP_1) | instid1(VALU_DEP_1)
	v_fmac_f32_e32 v181, v180, v140
	s_waitcnt vmcnt(0)
	v_fmac_f32_e32 v181, v3, v141
	s_waitcnt lgkmcnt(0)
	s_delay_alu instid0(VALU_DEP_1) | instskip(NEXT) | instid1(VALU_DEP_1)
	v_fmac_f32_e32 v181, v4, v134
	v_sub_f32_e32 v3, v133, v181
	scratch_store_b32 off, v3, off offset:56
	v_cmpx_lt_u32_e32 13, v0
	s_cbranch_execz .LBB63_365
; %bb.364:
	scratch_load_b32 v3, off, off offset:52
	scratch_store_b32 off, v2, off offset:52
	s_waitcnt vmcnt(0)
	ds_store_b32 v1, v3
.LBB63_365:
	s_or_b32 exec_lo, exec_lo, s0
	s_waitcnt lgkmcnt(0)
	s_waitcnt_vscnt null, 0x0
	s_barrier
	buffer_gl0_inv
	s_clause 0xc
	scratch_load_b128 v[133:136], off, off offset:52
	scratch_load_b128 v[137:140], off, off offset:68
	;; [unrolled: 1-line block ×12, first 2 shown]
	scratch_load_b96 v[189:191], off, off offset:244
	ds_load_2addr_b64 v[181:184], v2 offset0:39 offset1:40
	ds_load_2addr_b64 v[185:188], v2 offset0:41 offset1:42
	s_mov_b32 s0, exec_lo
	s_waitcnt vmcnt(12) lgkmcnt(1)
	v_fma_f32 v4, v134, v181, 0
	s_delay_alu instid0(VALU_DEP_1) | instskip(NEXT) | instid1(VALU_DEP_1)
	v_fmac_f32_e32 v4, v135, v182
	v_fmac_f32_e32 v4, v136, v183
	s_waitcnt vmcnt(11)
	s_delay_alu instid0(VALU_DEP_1) | instskip(SKIP_3) | instid1(VALU_DEP_1)
	v_fmac_f32_e32 v4, v137, v184
	ds_load_2addr_b64 v[134:137], v2 offset0:43 offset1:44
	s_waitcnt lgkmcnt(1)
	v_fmac_f32_e32 v4, v138, v185
	v_fmac_f32_e32 v4, v139, v186
	s_delay_alu instid0(VALU_DEP_1) | instskip(SKIP_1) | instid1(VALU_DEP_1)
	v_fmac_f32_e32 v4, v140, v187
	s_waitcnt vmcnt(10)
	v_fmac_f32_e32 v4, v141, v188
	ds_load_2addr_b64 v[138:141], v2 offset0:45 offset1:46
	s_waitcnt lgkmcnt(1)
	v_fmac_f32_e32 v4, v142, v134
	s_delay_alu instid0(VALU_DEP_1) | instskip(NEXT) | instid1(VALU_DEP_1)
	v_fmac_f32_e32 v4, v143, v135
	v_fmac_f32_e32 v4, v144, v136
	s_waitcnt vmcnt(9)
	s_delay_alu instid0(VALU_DEP_1) | instskip(SKIP_3) | instid1(VALU_DEP_1)
	v_fmac_f32_e32 v4, v145, v137
	ds_load_2addr_b64 v[134:137], v2 offset0:47 offset1:48
	s_waitcnt lgkmcnt(1)
	v_fmac_f32_e32 v4, v146, v138
	v_fmac_f32_e32 v4, v147, v139
	s_delay_alu instid0(VALU_DEP_1) | instskip(SKIP_1) | instid1(VALU_DEP_1)
	v_fmac_f32_e32 v4, v148, v140
	s_waitcnt vmcnt(8)
	v_fmac_f32_e32 v4, v149, v141
	ds_load_2addr_b64 v[138:141], v2 offset0:49 offset1:50
	s_waitcnt lgkmcnt(1)
	v_fmac_f32_e32 v4, v150, v134
	;; [unrolled: 17-line block ×4, first 2 shown]
	s_delay_alu instid0(VALU_DEP_1) | instskip(NEXT) | instid1(VALU_DEP_1)
	v_fmac_f32_e32 v4, v167, v135
	v_fmac_f32_e32 v4, v168, v136
	s_waitcnt vmcnt(3)
	s_delay_alu instid0(VALU_DEP_1) | instskip(SKIP_3) | instid1(VALU_DEP_1)
	v_fmac_f32_e32 v4, v169, v137
	ds_load_2addr_b64 v[134:137], v2 offset0:59 offset1:60
	s_waitcnt lgkmcnt(1)
	v_fmac_f32_e32 v4, v170, v138
	v_fmac_f32_e32 v4, v171, v139
	s_delay_alu instid0(VALU_DEP_1) | instskip(SKIP_1) | instid1(VALU_DEP_1)
	v_fmac_f32_e32 v4, v172, v140
	s_waitcnt vmcnt(2)
	v_fmac_f32_e32 v4, v173, v141
	ds_load_2addr_b64 v[138:141], v2 offset0:61 offset1:62
	ds_load_b64 v[2:3], v2 offset:504
	s_waitcnt lgkmcnt(2)
	v_fmac_f32_e32 v4, v174, v134
	s_delay_alu instid0(VALU_DEP_1) | instskip(NEXT) | instid1(VALU_DEP_1)
	v_fmac_f32_e32 v4, v175, v135
	v_fmac_f32_e32 v4, v176, v136
	s_waitcnt vmcnt(1)
	s_delay_alu instid0(VALU_DEP_1) | instskip(SKIP_1) | instid1(VALU_DEP_1)
	v_fmac_f32_e32 v4, v177, v137
	s_waitcnt lgkmcnt(1)
	v_fmac_f32_e32 v4, v178, v138
	s_delay_alu instid0(VALU_DEP_1) | instskip(NEXT) | instid1(VALU_DEP_1)
	v_fmac_f32_e32 v4, v179, v139
	v_fmac_f32_e32 v4, v180, v140
	s_waitcnt vmcnt(0)
	s_delay_alu instid0(VALU_DEP_1) | instskip(SKIP_1) | instid1(VALU_DEP_1)
	v_fmac_f32_e32 v4, v189, v141
	s_waitcnt lgkmcnt(0)
	v_fmac_f32_e32 v4, v190, v2
	s_delay_alu instid0(VALU_DEP_1) | instskip(NEXT) | instid1(VALU_DEP_1)
	v_fmac_f32_e32 v4, v191, v3
	v_sub_f32_e32 v2, v133, v4
	scratch_store_b32 off, v2, off offset:52
	v_cmpx_lt_u32_e32 12, v0
	s_cbranch_execz .LBB63_367
; %bb.366:
	scratch_load_b32 v2, off, off offset:48
	v_mov_b32_e32 v3, 0
	scratch_store_b32 off, v3, off offset:48
	s_waitcnt vmcnt(0)
	ds_store_b32 v1, v2
.LBB63_367:
	s_or_b32 exec_lo, exec_lo, s0
	s_waitcnt lgkmcnt(0)
	s_waitcnt_vscnt null, 0x0
	s_barrier
	buffer_gl0_inv
	s_clause 0xc
	scratch_load_b128 v[133:136], off, off offset:48
	scratch_load_b128 v[137:140], off, off offset:64
	;; [unrolled: 1-line block ×13, first 2 shown]
	v_mov_b32_e32 v2, 0
	ds_load_2addr_b32 v[3:4], v2 offset0:77 offset1:78
	ds_load_2addr_b32 v[185:186], v2 offset0:79 offset1:80
	;; [unrolled: 1-line block ×4, first 2 shown]
	s_mov_b32 s0, exec_lo
	s_waitcnt vmcnt(12) lgkmcnt(3)
	v_fma_f32 v191, v134, v3, 0
	s_delay_alu instid0(VALU_DEP_1)
	v_fmac_f32_e32 v191, v135, v4
	ds_load_2addr_b32 v[3:4], v2 offset0:85 offset1:86
	ds_load_2addr_b32 v[134:135], v2 offset0:87 offset1:88
	s_waitcnt lgkmcnt(4)
	v_fmac_f32_e32 v191, v136, v185
	s_waitcnt vmcnt(11)
	s_delay_alu instid0(VALU_DEP_1) | instskip(SKIP_1) | instid1(VALU_DEP_1)
	v_fmac_f32_e32 v191, v137, v186
	s_waitcnt lgkmcnt(3)
	v_fmac_f32_e32 v191, v138, v187
	s_delay_alu instid0(VALU_DEP_1)
	v_fmac_f32_e32 v191, v139, v188
	ds_load_2addr_b32 v[136:137], v2 offset0:89 offset1:90
	ds_load_2addr_b32 v[138:139], v2 offset0:91 offset1:92
	s_waitcnt lgkmcnt(4)
	v_fmac_f32_e32 v191, v140, v189
	s_waitcnt vmcnt(10)
	s_delay_alu instid0(VALU_DEP_1) | instskip(SKIP_1) | instid1(VALU_DEP_1)
	v_fmac_f32_e32 v191, v141, v190
	s_waitcnt lgkmcnt(3)
	v_fmac_f32_e32 v191, v142, v3
	s_delay_alu instid0(VALU_DEP_1) | instskip(SKIP_4) | instid1(VALU_DEP_1)
	v_fmac_f32_e32 v191, v143, v4
	ds_load_2addr_b32 v[3:4], v2 offset0:93 offset1:94
	s_waitcnt lgkmcnt(3)
	v_fmac_f32_e32 v191, v144, v134
	s_waitcnt vmcnt(9)
	v_fmac_f32_e32 v191, v145, v135
	ds_load_2addr_b32 v[134:135], v2 offset0:95 offset1:96
	s_waitcnt lgkmcnt(3)
	v_fmac_f32_e32 v191, v146, v136
	s_delay_alu instid0(VALU_DEP_1) | instskip(SKIP_1) | instid1(VALU_DEP_1)
	v_fmac_f32_e32 v191, v147, v137
	s_waitcnt lgkmcnt(2)
	v_fmac_f32_e32 v191, v148, v138
	s_waitcnt vmcnt(8)
	s_delay_alu instid0(VALU_DEP_1) | instskip(SKIP_4) | instid1(VALU_DEP_1)
	v_fmac_f32_e32 v191, v149, v139
	ds_load_2addr_b32 v[136:137], v2 offset0:97 offset1:98
	ds_load_2addr_b32 v[138:139], v2 offset0:99 offset1:100
	s_waitcnt lgkmcnt(3)
	v_fmac_f32_e32 v191, v150, v3
	v_fmac_f32_e32 v191, v151, v4
	ds_load_2addr_b32 v[3:4], v2 offset0:101 offset1:102
	s_waitcnt lgkmcnt(3)
	v_fmac_f32_e32 v191, v152, v134
	s_waitcnt vmcnt(7)
	s_delay_alu instid0(VALU_DEP_1) | instskip(SKIP_3) | instid1(VALU_DEP_1)
	v_fmac_f32_e32 v191, v153, v135
	ds_load_2addr_b32 v[134:135], v2 offset0:103 offset1:104
	s_waitcnt lgkmcnt(3)
	v_fmac_f32_e32 v191, v154, v136
	v_fmac_f32_e32 v191, v155, v137
	s_waitcnt lgkmcnt(2)
	s_delay_alu instid0(VALU_DEP_1) | instskip(SKIP_1) | instid1(VALU_DEP_1)
	v_fmac_f32_e32 v191, v156, v138
	s_waitcnt vmcnt(6)
	v_fmac_f32_e32 v191, v157, v139
	ds_load_2addr_b32 v[136:137], v2 offset0:105 offset1:106
	ds_load_2addr_b32 v[138:139], v2 offset0:107 offset1:108
	s_waitcnt lgkmcnt(3)
	v_fmac_f32_e32 v191, v158, v3
	s_delay_alu instid0(VALU_DEP_1) | instskip(SKIP_4) | instid1(VALU_DEP_1)
	v_fmac_f32_e32 v191, v159, v4
	ds_load_2addr_b32 v[3:4], v2 offset0:109 offset1:110
	s_waitcnt lgkmcnt(3)
	v_fmac_f32_e32 v191, v160, v134
	s_waitcnt vmcnt(5)
	v_fmac_f32_e32 v191, v161, v135
	ds_load_2addr_b32 v[134:135], v2 offset0:111 offset1:112
	s_waitcnt lgkmcnt(3)
	v_fmac_f32_e32 v191, v162, v136
	s_delay_alu instid0(VALU_DEP_1) | instskip(SKIP_1) | instid1(VALU_DEP_1)
	v_fmac_f32_e32 v191, v163, v137
	s_waitcnt lgkmcnt(2)
	v_fmac_f32_e32 v191, v164, v138
	s_waitcnt vmcnt(4)
	s_delay_alu instid0(VALU_DEP_1) | instskip(SKIP_4) | instid1(VALU_DEP_1)
	v_fmac_f32_e32 v191, v165, v139
	ds_load_2addr_b32 v[136:137], v2 offset0:113 offset1:114
	ds_load_2addr_b32 v[138:139], v2 offset0:115 offset1:116
	s_waitcnt lgkmcnt(3)
	v_fmac_f32_e32 v191, v166, v3
	v_fmac_f32_e32 v191, v167, v4
	ds_load_2addr_b32 v[3:4], v2 offset0:117 offset1:118
	s_waitcnt lgkmcnt(3)
	v_fmac_f32_e32 v191, v168, v134
	s_waitcnt vmcnt(3)
	s_delay_alu instid0(VALU_DEP_1) | instskip(SKIP_3) | instid1(VALU_DEP_1)
	v_fmac_f32_e32 v191, v169, v135
	ds_load_2addr_b32 v[134:135], v2 offset0:119 offset1:120
	s_waitcnt lgkmcnt(3)
	v_fmac_f32_e32 v191, v170, v136
	v_fmac_f32_e32 v191, v171, v137
	s_waitcnt lgkmcnt(2)
	s_delay_alu instid0(VALU_DEP_1) | instskip(SKIP_1) | instid1(VALU_DEP_1)
	v_fmac_f32_e32 v191, v172, v138
	s_waitcnt vmcnt(2)
	v_fmac_f32_e32 v191, v173, v139
	ds_load_2addr_b32 v[136:137], v2 offset0:121 offset1:122
	ds_load_2addr_b32 v[138:139], v2 offset0:123 offset1:124
	s_waitcnt lgkmcnt(3)
	v_fmac_f32_e32 v191, v174, v3
	s_delay_alu instid0(VALU_DEP_1)
	v_fmac_f32_e32 v191, v175, v4
	ds_load_2addr_b32 v[3:4], v2 offset0:125 offset1:126
	s_waitcnt lgkmcnt(3)
	v_fmac_f32_e32 v191, v176, v134
	ds_load_b32 v134, v2 offset:508
	s_waitcnt vmcnt(1)
	v_fmac_f32_e32 v191, v177, v135
	s_waitcnt lgkmcnt(3)
	s_delay_alu instid0(VALU_DEP_1) | instskip(NEXT) | instid1(VALU_DEP_1)
	v_fmac_f32_e32 v191, v178, v136
	v_fmac_f32_e32 v191, v179, v137
	s_waitcnt lgkmcnt(2)
	s_delay_alu instid0(VALU_DEP_1) | instskip(SKIP_1) | instid1(VALU_DEP_1)
	v_fmac_f32_e32 v191, v180, v138
	s_waitcnt vmcnt(0)
	v_fmac_f32_e32 v191, v181, v139
	s_waitcnt lgkmcnt(1)
	s_delay_alu instid0(VALU_DEP_1) | instskip(NEXT) | instid1(VALU_DEP_1)
	v_fmac_f32_e32 v191, v182, v3
	v_fmac_f32_e32 v191, v183, v4
	s_waitcnt lgkmcnt(0)
	s_delay_alu instid0(VALU_DEP_1) | instskip(NEXT) | instid1(VALU_DEP_1)
	v_fmac_f32_e32 v191, v184, v134
	v_sub_f32_e32 v3, v133, v191
	scratch_store_b32 off, v3, off offset:48
	v_cmpx_lt_u32_e32 11, v0
	s_cbranch_execz .LBB63_369
; %bb.368:
	scratch_load_b32 v3, off, off offset:44
	scratch_store_b32 off, v2, off offset:44
	s_waitcnt vmcnt(0)
	ds_store_b32 v1, v3
.LBB63_369:
	s_or_b32 exec_lo, exec_lo, s0
	s_waitcnt lgkmcnt(0)
	s_waitcnt_vscnt null, 0x0
	s_barrier
	buffer_gl0_inv
	s_clause 0xd
	scratch_load_b128 v[133:136], off, off offset:44
	scratch_load_b128 v[137:140], off, off offset:60
	scratch_load_b128 v[141:144], off, off offset:76
	scratch_load_b128 v[145:148], off, off offset:92
	scratch_load_b128 v[149:152], off, off offset:108
	scratch_load_b128 v[153:156], off, off offset:124
	scratch_load_b128 v[157:160], off, off offset:140
	scratch_load_b128 v[161:164], off, off offset:156
	scratch_load_b128 v[165:168], off, off offset:172
	scratch_load_b128 v[169:172], off, off offset:188
	scratch_load_b128 v[173:176], off, off offset:204
	scratch_load_b128 v[177:180], off, off offset:220
	scratch_load_b128 v[181:184], off, off offset:236
	scratch_load_b32 v3, off, off offset:252
	ds_load_b128 v[185:188], v2 offset:304
	ds_load_b128 v[189:192], v2 offset:320
	s_mov_b32 s0, exec_lo
	s_waitcnt vmcnt(13) lgkmcnt(1)
	v_fma_f32 v4, v134, v185, 0
	s_delay_alu instid0(VALU_DEP_1) | instskip(NEXT) | instid1(VALU_DEP_1)
	v_fmac_f32_e32 v4, v135, v186
	v_fmac_f32_e32 v4, v136, v187
	s_waitcnt vmcnt(12)
	s_delay_alu instid0(VALU_DEP_1) | instskip(SKIP_3) | instid1(VALU_DEP_1)
	v_fmac_f32_e32 v4, v137, v188
	ds_load_b128 v[134:137], v2 offset:336
	s_waitcnt lgkmcnt(1)
	v_fmac_f32_e32 v4, v138, v189
	v_fmac_f32_e32 v4, v139, v190
	s_delay_alu instid0(VALU_DEP_1) | instskip(SKIP_1) | instid1(VALU_DEP_1)
	v_fmac_f32_e32 v4, v140, v191
	s_waitcnt vmcnt(11)
	v_fmac_f32_e32 v4, v141, v192
	ds_load_b128 v[138:141], v2 offset:352
	s_waitcnt lgkmcnt(1)
	v_fmac_f32_e32 v4, v142, v134
	s_delay_alu instid0(VALU_DEP_1) | instskip(NEXT) | instid1(VALU_DEP_1)
	v_fmac_f32_e32 v4, v143, v135
	v_fmac_f32_e32 v4, v144, v136
	s_waitcnt vmcnt(10)
	s_delay_alu instid0(VALU_DEP_1) | instskip(SKIP_3) | instid1(VALU_DEP_1)
	v_fmac_f32_e32 v4, v145, v137
	ds_load_b128 v[134:137], v2 offset:368
	s_waitcnt lgkmcnt(1)
	v_fmac_f32_e32 v4, v146, v138
	v_fmac_f32_e32 v4, v147, v139
	s_delay_alu instid0(VALU_DEP_1) | instskip(SKIP_1) | instid1(VALU_DEP_1)
	v_fmac_f32_e32 v4, v148, v140
	s_waitcnt vmcnt(9)
	v_fmac_f32_e32 v4, v149, v141
	ds_load_b128 v[138:141], v2 offset:384
	s_waitcnt lgkmcnt(1)
	v_fmac_f32_e32 v4, v150, v134
	;; [unrolled: 17-line block ×5, first 2 shown]
	s_delay_alu instid0(VALU_DEP_1) | instskip(NEXT) | instid1(VALU_DEP_1)
	v_fmac_f32_e32 v4, v175, v135
	v_fmac_f32_e32 v4, v176, v136
	s_waitcnt vmcnt(2)
	s_delay_alu instid0(VALU_DEP_1) | instskip(SKIP_3) | instid1(VALU_DEP_1)
	v_fmac_f32_e32 v4, v177, v137
	ds_load_b128 v[134:137], v2 offset:496
	s_waitcnt lgkmcnt(1)
	v_fmac_f32_e32 v4, v178, v138
	v_fmac_f32_e32 v4, v179, v139
	s_delay_alu instid0(VALU_DEP_1) | instskip(SKIP_1) | instid1(VALU_DEP_1)
	v_fmac_f32_e32 v4, v180, v140
	s_waitcnt vmcnt(1)
	v_fmac_f32_e32 v4, v181, v141
	s_waitcnt lgkmcnt(0)
	s_delay_alu instid0(VALU_DEP_1) | instskip(NEXT) | instid1(VALU_DEP_1)
	v_fmac_f32_e32 v4, v182, v134
	v_fmac_f32_e32 v4, v183, v135
	s_delay_alu instid0(VALU_DEP_1) | instskip(SKIP_1) | instid1(VALU_DEP_1)
	v_fmac_f32_e32 v4, v184, v136
	s_waitcnt vmcnt(0)
	v_fmac_f32_e32 v4, v3, v137
	s_delay_alu instid0(VALU_DEP_1)
	v_sub_f32_e32 v2, v133, v4
	scratch_store_b32 off, v2, off offset:44
	v_cmpx_lt_u32_e32 10, v0
	s_cbranch_execz .LBB63_371
; %bb.370:
	scratch_load_b32 v2, off, off offset:40
	v_mov_b32_e32 v3, 0
	scratch_store_b32 off, v3, off offset:40
	s_waitcnt vmcnt(0)
	ds_store_b32 v1, v2
.LBB63_371:
	s_or_b32 exec_lo, exec_lo, s0
	s_waitcnt lgkmcnt(0)
	s_waitcnt_vscnt null, 0x0
	s_barrier
	buffer_gl0_inv
	s_clause 0xd
	scratch_load_b128 v[133:136], off, off offset:40
	scratch_load_b128 v[137:140], off, off offset:56
	;; [unrolled: 1-line block ×13, first 2 shown]
	scratch_load_b64 v[3:4], off, off offset:248
	v_mov_b32_e32 v2, 0
	ds_load_2addr_b32 v[185:186], v2 offset0:75 offset1:76
	ds_load_2addr_b32 v[187:188], v2 offset0:77 offset1:78
	;; [unrolled: 1-line block ×4, first 2 shown]
	s_mov_b32 s0, exec_lo
	s_waitcnt vmcnt(13) lgkmcnt(3)
	v_fma_f32 v185, v134, v185, 0
	s_delay_alu instid0(VALU_DEP_1) | instskip(SKIP_4) | instid1(VALU_DEP_1)
	v_fmac_f32_e32 v185, v135, v186
	ds_load_2addr_b32 v[134:135], v2 offset0:83 offset1:84
	s_waitcnt lgkmcnt(3)
	v_fmac_f32_e32 v185, v136, v187
	s_waitcnt vmcnt(12)
	v_fmac_f32_e32 v185, v137, v188
	ds_load_2addr_b32 v[136:137], v2 offset0:85 offset1:86
	s_waitcnt lgkmcnt(3)
	v_fmac_f32_e32 v185, v138, v189
	s_delay_alu instid0(VALU_DEP_1) | instskip(SKIP_1) | instid1(VALU_DEP_1)
	v_fmac_f32_e32 v185, v139, v190
	s_waitcnt lgkmcnt(2)
	v_fmac_f32_e32 v185, v140, v191
	s_waitcnt vmcnt(11)
	s_delay_alu instid0(VALU_DEP_1) | instskip(SKIP_4) | instid1(VALU_DEP_1)
	v_fmac_f32_e32 v185, v141, v192
	ds_load_2addr_b32 v[138:139], v2 offset0:87 offset1:88
	ds_load_2addr_b32 v[140:141], v2 offset0:89 offset1:90
	s_waitcnt lgkmcnt(3)
	v_fmac_f32_e32 v185, v142, v134
	v_fmac_f32_e32 v185, v143, v135
	ds_load_2addr_b32 v[134:135], v2 offset0:91 offset1:92
	s_waitcnt lgkmcnt(3)
	v_fmac_f32_e32 v185, v144, v136
	s_waitcnt vmcnt(10)
	s_delay_alu instid0(VALU_DEP_1) | instskip(SKIP_3) | instid1(VALU_DEP_1)
	v_fmac_f32_e32 v185, v145, v137
	ds_load_2addr_b32 v[136:137], v2 offset0:93 offset1:94
	s_waitcnt lgkmcnt(3)
	v_fmac_f32_e32 v185, v146, v138
	v_fmac_f32_e32 v185, v147, v139
	s_waitcnt lgkmcnt(2)
	s_delay_alu instid0(VALU_DEP_1) | instskip(SKIP_1) | instid1(VALU_DEP_1)
	v_fmac_f32_e32 v185, v148, v140
	s_waitcnt vmcnt(9)
	v_fmac_f32_e32 v185, v149, v141
	ds_load_2addr_b32 v[138:139], v2 offset0:95 offset1:96
	ds_load_2addr_b32 v[140:141], v2 offset0:97 offset1:98
	s_waitcnt lgkmcnt(3)
	v_fmac_f32_e32 v185, v150, v134
	s_delay_alu instid0(VALU_DEP_1) | instskip(SKIP_4) | instid1(VALU_DEP_1)
	v_fmac_f32_e32 v185, v151, v135
	ds_load_2addr_b32 v[134:135], v2 offset0:99 offset1:100
	s_waitcnt lgkmcnt(3)
	v_fmac_f32_e32 v185, v152, v136
	s_waitcnt vmcnt(8)
	v_fmac_f32_e32 v185, v153, v137
	ds_load_2addr_b32 v[136:137], v2 offset0:101 offset1:102
	s_waitcnt lgkmcnt(3)
	v_fmac_f32_e32 v185, v154, v138
	s_delay_alu instid0(VALU_DEP_1) | instskip(SKIP_1) | instid1(VALU_DEP_1)
	v_fmac_f32_e32 v185, v155, v139
	s_waitcnt lgkmcnt(2)
	v_fmac_f32_e32 v185, v156, v140
	s_waitcnt vmcnt(7)
	s_delay_alu instid0(VALU_DEP_1) | instskip(SKIP_4) | instid1(VALU_DEP_1)
	v_fmac_f32_e32 v185, v157, v141
	ds_load_2addr_b32 v[138:139], v2 offset0:103 offset1:104
	ds_load_2addr_b32 v[140:141], v2 offset0:105 offset1:106
	s_waitcnt lgkmcnt(3)
	v_fmac_f32_e32 v185, v158, v134
	v_fmac_f32_e32 v185, v159, v135
	ds_load_2addr_b32 v[134:135], v2 offset0:107 offset1:108
	s_waitcnt lgkmcnt(3)
	v_fmac_f32_e32 v185, v160, v136
	s_waitcnt vmcnt(6)
	s_delay_alu instid0(VALU_DEP_1) | instskip(SKIP_3) | instid1(VALU_DEP_1)
	v_fmac_f32_e32 v185, v161, v137
	ds_load_2addr_b32 v[136:137], v2 offset0:109 offset1:110
	s_waitcnt lgkmcnt(3)
	v_fmac_f32_e32 v185, v162, v138
	v_fmac_f32_e32 v185, v163, v139
	s_waitcnt lgkmcnt(2)
	s_delay_alu instid0(VALU_DEP_1) | instskip(SKIP_1) | instid1(VALU_DEP_1)
	v_fmac_f32_e32 v185, v164, v140
	s_waitcnt vmcnt(5)
	v_fmac_f32_e32 v185, v165, v141
	ds_load_2addr_b32 v[138:139], v2 offset0:111 offset1:112
	ds_load_2addr_b32 v[140:141], v2 offset0:113 offset1:114
	s_waitcnt lgkmcnt(3)
	v_fmac_f32_e32 v185, v166, v134
	s_delay_alu instid0(VALU_DEP_1) | instskip(SKIP_4) | instid1(VALU_DEP_1)
	v_fmac_f32_e32 v185, v167, v135
	ds_load_2addr_b32 v[134:135], v2 offset0:115 offset1:116
	s_waitcnt lgkmcnt(3)
	v_fmac_f32_e32 v185, v168, v136
	s_waitcnt vmcnt(4)
	v_fmac_f32_e32 v185, v169, v137
	ds_load_2addr_b32 v[136:137], v2 offset0:117 offset1:118
	s_waitcnt lgkmcnt(3)
	v_fmac_f32_e32 v185, v170, v138
	s_delay_alu instid0(VALU_DEP_1) | instskip(SKIP_1) | instid1(VALU_DEP_1)
	v_fmac_f32_e32 v185, v171, v139
	s_waitcnt lgkmcnt(2)
	v_fmac_f32_e32 v185, v172, v140
	s_waitcnt vmcnt(3)
	s_delay_alu instid0(VALU_DEP_1) | instskip(SKIP_4) | instid1(VALU_DEP_1)
	v_fmac_f32_e32 v185, v173, v141
	ds_load_2addr_b32 v[138:139], v2 offset0:119 offset1:120
	ds_load_2addr_b32 v[140:141], v2 offset0:121 offset1:122
	s_waitcnt lgkmcnt(3)
	v_fmac_f32_e32 v185, v174, v134
	v_fmac_f32_e32 v185, v175, v135
	ds_load_2addr_b32 v[134:135], v2 offset0:123 offset1:124
	s_waitcnt lgkmcnt(3)
	v_fmac_f32_e32 v185, v176, v136
	s_waitcnt vmcnt(2)
	s_delay_alu instid0(VALU_DEP_1)
	v_fmac_f32_e32 v185, v177, v137
	ds_load_2addr_b32 v[136:137], v2 offset0:125 offset1:126
	s_waitcnt lgkmcnt(3)
	v_fmac_f32_e32 v185, v178, v138
	ds_load_b32 v138, v2 offset:508
	v_fmac_f32_e32 v185, v179, v139
	s_waitcnt lgkmcnt(3)
	s_delay_alu instid0(VALU_DEP_1) | instskip(SKIP_1) | instid1(VALU_DEP_1)
	v_fmac_f32_e32 v185, v180, v140
	s_waitcnt vmcnt(1)
	v_fmac_f32_e32 v185, v181, v141
	s_waitcnt lgkmcnt(2)
	s_delay_alu instid0(VALU_DEP_1) | instskip(NEXT) | instid1(VALU_DEP_1)
	v_fmac_f32_e32 v185, v182, v134
	v_fmac_f32_e32 v185, v183, v135
	s_waitcnt lgkmcnt(1)
	s_delay_alu instid0(VALU_DEP_1) | instskip(SKIP_1) | instid1(VALU_DEP_1)
	v_fmac_f32_e32 v185, v184, v136
	s_waitcnt vmcnt(0)
	v_fmac_f32_e32 v185, v3, v137
	s_waitcnt lgkmcnt(0)
	s_delay_alu instid0(VALU_DEP_1) | instskip(NEXT) | instid1(VALU_DEP_1)
	v_fmac_f32_e32 v185, v4, v138
	v_sub_f32_e32 v3, v133, v185
	scratch_store_b32 off, v3, off offset:40
	v_cmpx_lt_u32_e32 9, v0
	s_cbranch_execz .LBB63_373
; %bb.372:
	scratch_load_b32 v3, off, off offset:36
	scratch_store_b32 off, v2, off offset:36
	s_waitcnt vmcnt(0)
	ds_store_b32 v1, v3
.LBB63_373:
	s_or_b32 exec_lo, exec_lo, s0
	s_waitcnt lgkmcnt(0)
	s_waitcnt_vscnt null, 0x0
	s_barrier
	buffer_gl0_inv
	s_clause 0xd
	scratch_load_b128 v[133:136], off, off offset:36
	scratch_load_b128 v[137:140], off, off offset:52
	;; [unrolled: 1-line block ×13, first 2 shown]
	scratch_load_b96 v[193:195], off, off offset:244
	ds_load_2addr_b64 v[185:188], v2 offset0:37 offset1:38
	ds_load_2addr_b64 v[189:192], v2 offset0:39 offset1:40
	s_mov_b32 s0, exec_lo
	s_waitcnt vmcnt(13) lgkmcnt(1)
	v_fma_f32 v4, v134, v185, 0
	s_delay_alu instid0(VALU_DEP_1) | instskip(NEXT) | instid1(VALU_DEP_1)
	v_fmac_f32_e32 v4, v135, v186
	v_fmac_f32_e32 v4, v136, v187
	s_waitcnt vmcnt(12)
	s_delay_alu instid0(VALU_DEP_1) | instskip(SKIP_3) | instid1(VALU_DEP_1)
	v_fmac_f32_e32 v4, v137, v188
	ds_load_2addr_b64 v[134:137], v2 offset0:41 offset1:42
	s_waitcnt lgkmcnt(1)
	v_fmac_f32_e32 v4, v138, v189
	v_fmac_f32_e32 v4, v139, v190
	s_delay_alu instid0(VALU_DEP_1) | instskip(SKIP_1) | instid1(VALU_DEP_1)
	v_fmac_f32_e32 v4, v140, v191
	s_waitcnt vmcnt(11)
	v_fmac_f32_e32 v4, v141, v192
	ds_load_2addr_b64 v[138:141], v2 offset0:43 offset1:44
	s_waitcnt lgkmcnt(1)
	v_fmac_f32_e32 v4, v142, v134
	s_delay_alu instid0(VALU_DEP_1) | instskip(NEXT) | instid1(VALU_DEP_1)
	v_fmac_f32_e32 v4, v143, v135
	v_fmac_f32_e32 v4, v144, v136
	s_waitcnt vmcnt(10)
	s_delay_alu instid0(VALU_DEP_1) | instskip(SKIP_3) | instid1(VALU_DEP_1)
	v_fmac_f32_e32 v4, v145, v137
	ds_load_2addr_b64 v[134:137], v2 offset0:45 offset1:46
	s_waitcnt lgkmcnt(1)
	v_fmac_f32_e32 v4, v146, v138
	v_fmac_f32_e32 v4, v147, v139
	s_delay_alu instid0(VALU_DEP_1) | instskip(SKIP_1) | instid1(VALU_DEP_1)
	v_fmac_f32_e32 v4, v148, v140
	s_waitcnt vmcnt(9)
	v_fmac_f32_e32 v4, v149, v141
	ds_load_2addr_b64 v[138:141], v2 offset0:47 offset1:48
	s_waitcnt lgkmcnt(1)
	v_fmac_f32_e32 v4, v150, v134
	s_delay_alu instid0(VALU_DEP_1) | instskip(NEXT) | instid1(VALU_DEP_1)
	v_fmac_f32_e32 v4, v151, v135
	v_fmac_f32_e32 v4, v152, v136
	s_waitcnt vmcnt(8)
	s_delay_alu instid0(VALU_DEP_1) | instskip(SKIP_3) | instid1(VALU_DEP_1)
	v_fmac_f32_e32 v4, v153, v137
	ds_load_2addr_b64 v[134:137], v2 offset0:49 offset1:50
	s_waitcnt lgkmcnt(1)
	v_fmac_f32_e32 v4, v154, v138
	v_fmac_f32_e32 v4, v155, v139
	s_delay_alu instid0(VALU_DEP_1) | instskip(SKIP_1) | instid1(VALU_DEP_1)
	v_fmac_f32_e32 v4, v156, v140
	s_waitcnt vmcnt(7)
	v_fmac_f32_e32 v4, v157, v141
	ds_load_2addr_b64 v[138:141], v2 offset0:51 offset1:52
	s_waitcnt lgkmcnt(1)
	v_fmac_f32_e32 v4, v158, v134
	s_delay_alu instid0(VALU_DEP_1) | instskip(NEXT) | instid1(VALU_DEP_1)
	v_fmac_f32_e32 v4, v159, v135
	v_fmac_f32_e32 v4, v160, v136
	s_waitcnt vmcnt(6)
	s_delay_alu instid0(VALU_DEP_1) | instskip(SKIP_3) | instid1(VALU_DEP_1)
	v_fmac_f32_e32 v4, v161, v137
	ds_load_2addr_b64 v[134:137], v2 offset0:53 offset1:54
	s_waitcnt lgkmcnt(1)
	v_fmac_f32_e32 v4, v162, v138
	v_fmac_f32_e32 v4, v163, v139
	s_delay_alu instid0(VALU_DEP_1) | instskip(SKIP_1) | instid1(VALU_DEP_1)
	v_fmac_f32_e32 v4, v164, v140
	s_waitcnt vmcnt(5)
	v_fmac_f32_e32 v4, v165, v141
	ds_load_2addr_b64 v[138:141], v2 offset0:55 offset1:56
	s_waitcnt lgkmcnt(1)
	v_fmac_f32_e32 v4, v166, v134
	s_delay_alu instid0(VALU_DEP_1) | instskip(NEXT) | instid1(VALU_DEP_1)
	v_fmac_f32_e32 v4, v167, v135
	v_fmac_f32_e32 v4, v168, v136
	s_waitcnt vmcnt(4)
	s_delay_alu instid0(VALU_DEP_1) | instskip(SKIP_3) | instid1(VALU_DEP_1)
	v_fmac_f32_e32 v4, v169, v137
	ds_load_2addr_b64 v[134:137], v2 offset0:57 offset1:58
	s_waitcnt lgkmcnt(1)
	v_fmac_f32_e32 v4, v170, v138
	v_fmac_f32_e32 v4, v171, v139
	s_delay_alu instid0(VALU_DEP_1) | instskip(SKIP_1) | instid1(VALU_DEP_1)
	v_fmac_f32_e32 v4, v172, v140
	s_waitcnt vmcnt(3)
	v_fmac_f32_e32 v4, v173, v141
	ds_load_2addr_b64 v[138:141], v2 offset0:59 offset1:60
	s_waitcnt lgkmcnt(1)
	v_fmac_f32_e32 v4, v174, v134
	s_delay_alu instid0(VALU_DEP_1) | instskip(NEXT) | instid1(VALU_DEP_1)
	v_fmac_f32_e32 v4, v175, v135
	v_fmac_f32_e32 v4, v176, v136
	s_waitcnt vmcnt(2)
	s_delay_alu instid0(VALU_DEP_1) | instskip(SKIP_4) | instid1(VALU_DEP_1)
	v_fmac_f32_e32 v4, v177, v137
	ds_load_2addr_b64 v[134:137], v2 offset0:61 offset1:62
	ds_load_b64 v[2:3], v2 offset:504
	s_waitcnt lgkmcnt(2)
	v_fmac_f32_e32 v4, v178, v138
	v_fmac_f32_e32 v4, v179, v139
	s_delay_alu instid0(VALU_DEP_1) | instskip(SKIP_1) | instid1(VALU_DEP_1)
	v_fmac_f32_e32 v4, v180, v140
	s_waitcnt vmcnt(1)
	v_fmac_f32_e32 v4, v181, v141
	s_waitcnt lgkmcnt(1)
	s_delay_alu instid0(VALU_DEP_1) | instskip(NEXT) | instid1(VALU_DEP_1)
	v_fmac_f32_e32 v4, v182, v134
	v_fmac_f32_e32 v4, v183, v135
	s_delay_alu instid0(VALU_DEP_1) | instskip(SKIP_1) | instid1(VALU_DEP_1)
	v_fmac_f32_e32 v4, v184, v136
	s_waitcnt vmcnt(0)
	v_fmac_f32_e32 v4, v193, v137
	s_waitcnt lgkmcnt(0)
	s_delay_alu instid0(VALU_DEP_1) | instskip(NEXT) | instid1(VALU_DEP_1)
	v_fmac_f32_e32 v4, v194, v2
	v_fmac_f32_e32 v4, v195, v3
	s_delay_alu instid0(VALU_DEP_1)
	v_sub_f32_e32 v2, v133, v4
	scratch_store_b32 off, v2, off offset:36
	v_cmpx_lt_u32_e32 8, v0
	s_cbranch_execz .LBB63_375
; %bb.374:
	scratch_load_b32 v2, off, off offset:32
	v_mov_b32_e32 v3, 0
	scratch_store_b32 off, v3, off offset:32
	s_waitcnt vmcnt(0)
	ds_store_b32 v1, v2
.LBB63_375:
	s_or_b32 exec_lo, exec_lo, s0
	s_waitcnt lgkmcnt(0)
	s_waitcnt_vscnt null, 0x0
	s_barrier
	buffer_gl0_inv
	s_clause 0xd
	scratch_load_b128 v[133:136], off, off offset:32
	scratch_load_b128 v[137:140], off, off offset:48
	;; [unrolled: 1-line block ×14, first 2 shown]
	v_mov_b32_e32 v2, 0
	ds_load_2addr_b32 v[3:4], v2 offset0:73 offset1:74
	ds_load_2addr_b32 v[189:190], v2 offset0:75 offset1:76
	;; [unrolled: 1-line block ×4, first 2 shown]
	s_mov_b32 s0, exec_lo
	s_waitcnt vmcnt(13) lgkmcnt(3)
	v_fma_f32 v195, v134, v3, 0
	s_delay_alu instid0(VALU_DEP_1)
	v_fmac_f32_e32 v195, v135, v4
	ds_load_2addr_b32 v[3:4], v2 offset0:81 offset1:82
	ds_load_2addr_b32 v[134:135], v2 offset0:83 offset1:84
	s_waitcnt lgkmcnt(4)
	v_fmac_f32_e32 v195, v136, v189
	s_waitcnt vmcnt(12)
	s_delay_alu instid0(VALU_DEP_1) | instskip(SKIP_1) | instid1(VALU_DEP_1)
	v_fmac_f32_e32 v195, v137, v190
	s_waitcnt lgkmcnt(3)
	v_fmac_f32_e32 v195, v138, v191
	s_delay_alu instid0(VALU_DEP_1)
	v_fmac_f32_e32 v195, v139, v192
	ds_load_2addr_b32 v[136:137], v2 offset0:85 offset1:86
	ds_load_2addr_b32 v[138:139], v2 offset0:87 offset1:88
	s_waitcnt lgkmcnt(4)
	v_fmac_f32_e32 v195, v140, v193
	s_waitcnt vmcnt(11)
	s_delay_alu instid0(VALU_DEP_1) | instskip(SKIP_1) | instid1(VALU_DEP_1)
	v_fmac_f32_e32 v195, v141, v194
	s_waitcnt lgkmcnt(3)
	v_fmac_f32_e32 v195, v142, v3
	s_delay_alu instid0(VALU_DEP_1) | instskip(SKIP_4) | instid1(VALU_DEP_1)
	v_fmac_f32_e32 v195, v143, v4
	ds_load_2addr_b32 v[3:4], v2 offset0:89 offset1:90
	s_waitcnt lgkmcnt(3)
	v_fmac_f32_e32 v195, v144, v134
	s_waitcnt vmcnt(10)
	v_fmac_f32_e32 v195, v145, v135
	ds_load_2addr_b32 v[134:135], v2 offset0:91 offset1:92
	s_waitcnt lgkmcnt(3)
	v_fmac_f32_e32 v195, v146, v136
	s_delay_alu instid0(VALU_DEP_1) | instskip(SKIP_1) | instid1(VALU_DEP_1)
	v_fmac_f32_e32 v195, v147, v137
	s_waitcnt lgkmcnt(2)
	v_fmac_f32_e32 v195, v148, v138
	s_waitcnt vmcnt(9)
	s_delay_alu instid0(VALU_DEP_1) | instskip(SKIP_4) | instid1(VALU_DEP_1)
	v_fmac_f32_e32 v195, v149, v139
	ds_load_2addr_b32 v[136:137], v2 offset0:93 offset1:94
	ds_load_2addr_b32 v[138:139], v2 offset0:95 offset1:96
	s_waitcnt lgkmcnt(3)
	v_fmac_f32_e32 v195, v150, v3
	v_fmac_f32_e32 v195, v151, v4
	ds_load_2addr_b32 v[3:4], v2 offset0:97 offset1:98
	s_waitcnt lgkmcnt(3)
	v_fmac_f32_e32 v195, v152, v134
	s_waitcnt vmcnt(8)
	s_delay_alu instid0(VALU_DEP_1) | instskip(SKIP_3) | instid1(VALU_DEP_1)
	v_fmac_f32_e32 v195, v153, v135
	ds_load_2addr_b32 v[134:135], v2 offset0:99 offset1:100
	s_waitcnt lgkmcnt(3)
	v_fmac_f32_e32 v195, v154, v136
	v_fmac_f32_e32 v195, v155, v137
	s_waitcnt lgkmcnt(2)
	s_delay_alu instid0(VALU_DEP_1) | instskip(SKIP_1) | instid1(VALU_DEP_1)
	v_fmac_f32_e32 v195, v156, v138
	s_waitcnt vmcnt(7)
	v_fmac_f32_e32 v195, v157, v139
	ds_load_2addr_b32 v[136:137], v2 offset0:101 offset1:102
	ds_load_2addr_b32 v[138:139], v2 offset0:103 offset1:104
	s_waitcnt lgkmcnt(3)
	v_fmac_f32_e32 v195, v158, v3
	s_delay_alu instid0(VALU_DEP_1) | instskip(SKIP_4) | instid1(VALU_DEP_1)
	v_fmac_f32_e32 v195, v159, v4
	ds_load_2addr_b32 v[3:4], v2 offset0:105 offset1:106
	s_waitcnt lgkmcnt(3)
	v_fmac_f32_e32 v195, v160, v134
	s_waitcnt vmcnt(6)
	v_fmac_f32_e32 v195, v161, v135
	ds_load_2addr_b32 v[134:135], v2 offset0:107 offset1:108
	s_waitcnt lgkmcnt(3)
	v_fmac_f32_e32 v195, v162, v136
	s_delay_alu instid0(VALU_DEP_1) | instskip(SKIP_1) | instid1(VALU_DEP_1)
	v_fmac_f32_e32 v195, v163, v137
	s_waitcnt lgkmcnt(2)
	v_fmac_f32_e32 v195, v164, v138
	s_waitcnt vmcnt(5)
	s_delay_alu instid0(VALU_DEP_1) | instskip(SKIP_4) | instid1(VALU_DEP_1)
	v_fmac_f32_e32 v195, v165, v139
	ds_load_2addr_b32 v[136:137], v2 offset0:109 offset1:110
	ds_load_2addr_b32 v[138:139], v2 offset0:111 offset1:112
	s_waitcnt lgkmcnt(3)
	v_fmac_f32_e32 v195, v166, v3
	v_fmac_f32_e32 v195, v167, v4
	ds_load_2addr_b32 v[3:4], v2 offset0:113 offset1:114
	s_waitcnt lgkmcnt(3)
	v_fmac_f32_e32 v195, v168, v134
	s_waitcnt vmcnt(4)
	s_delay_alu instid0(VALU_DEP_1) | instskip(SKIP_3) | instid1(VALU_DEP_1)
	v_fmac_f32_e32 v195, v169, v135
	ds_load_2addr_b32 v[134:135], v2 offset0:115 offset1:116
	s_waitcnt lgkmcnt(3)
	v_fmac_f32_e32 v195, v170, v136
	v_fmac_f32_e32 v195, v171, v137
	s_waitcnt lgkmcnt(2)
	s_delay_alu instid0(VALU_DEP_1) | instskip(SKIP_1) | instid1(VALU_DEP_1)
	v_fmac_f32_e32 v195, v172, v138
	s_waitcnt vmcnt(3)
	v_fmac_f32_e32 v195, v173, v139
	ds_load_2addr_b32 v[136:137], v2 offset0:117 offset1:118
	ds_load_2addr_b32 v[138:139], v2 offset0:119 offset1:120
	s_waitcnt lgkmcnt(3)
	v_fmac_f32_e32 v195, v174, v3
	s_delay_alu instid0(VALU_DEP_1) | instskip(SKIP_4) | instid1(VALU_DEP_1)
	v_fmac_f32_e32 v195, v175, v4
	ds_load_2addr_b32 v[3:4], v2 offset0:121 offset1:122
	s_waitcnt lgkmcnt(3)
	v_fmac_f32_e32 v195, v176, v134
	s_waitcnt vmcnt(2)
	v_fmac_f32_e32 v195, v177, v135
	ds_load_2addr_b32 v[134:135], v2 offset0:123 offset1:124
	s_waitcnt lgkmcnt(3)
	v_fmac_f32_e32 v195, v178, v136
	s_delay_alu instid0(VALU_DEP_1) | instskip(SKIP_1) | instid1(VALU_DEP_1)
	v_fmac_f32_e32 v195, v179, v137
	s_waitcnt lgkmcnt(2)
	v_fmac_f32_e32 v195, v180, v138
	ds_load_2addr_b32 v[136:137], v2 offset0:125 offset1:126
	ds_load_b32 v138, v2 offset:508
	s_waitcnt vmcnt(1)
	v_fmac_f32_e32 v195, v181, v139
	s_waitcnt lgkmcnt(3)
	s_delay_alu instid0(VALU_DEP_1) | instskip(NEXT) | instid1(VALU_DEP_1)
	v_fmac_f32_e32 v195, v182, v3
	v_fmac_f32_e32 v195, v183, v4
	s_waitcnt lgkmcnt(2)
	s_delay_alu instid0(VALU_DEP_1) | instskip(SKIP_1) | instid1(VALU_DEP_1)
	v_fmac_f32_e32 v195, v184, v134
	s_waitcnt vmcnt(0)
	v_fmac_f32_e32 v195, v185, v135
	s_waitcnt lgkmcnt(1)
	s_delay_alu instid0(VALU_DEP_1) | instskip(NEXT) | instid1(VALU_DEP_1)
	v_fmac_f32_e32 v195, v186, v136
	v_fmac_f32_e32 v195, v187, v137
	s_waitcnt lgkmcnt(0)
	s_delay_alu instid0(VALU_DEP_1) | instskip(NEXT) | instid1(VALU_DEP_1)
	v_fmac_f32_e32 v195, v188, v138
	v_sub_f32_e32 v3, v133, v195
	scratch_store_b32 off, v3, off offset:32
	v_cmpx_lt_u32_e32 7, v0
	s_cbranch_execz .LBB63_377
; %bb.376:
	scratch_load_b32 v3, off, off offset:28
	scratch_store_b32 off, v2, off offset:28
	s_waitcnt vmcnt(0)
	ds_store_b32 v1, v3
.LBB63_377:
	s_or_b32 exec_lo, exec_lo, s0
	s_waitcnt lgkmcnt(0)
	s_waitcnt_vscnt null, 0x0
	s_barrier
	buffer_gl0_inv
	s_clause 0xe
	scratch_load_b128 v[133:136], off, off offset:28
	scratch_load_b128 v[137:140], off, off offset:44
	;; [unrolled: 1-line block ×14, first 2 shown]
	scratch_load_b32 v3, off, off offset:252
	ds_load_b128 v[189:192], v2 offset:288
	ds_load_b128 v[193:196], v2 offset:304
	s_mov_b32 s0, exec_lo
	s_waitcnt vmcnt(14) lgkmcnt(1)
	v_fma_f32 v4, v134, v189, 0
	s_delay_alu instid0(VALU_DEP_1) | instskip(NEXT) | instid1(VALU_DEP_1)
	v_fmac_f32_e32 v4, v135, v190
	v_fmac_f32_e32 v4, v136, v191
	s_waitcnt vmcnt(13)
	s_delay_alu instid0(VALU_DEP_1) | instskip(SKIP_3) | instid1(VALU_DEP_1)
	v_fmac_f32_e32 v4, v137, v192
	ds_load_b128 v[134:137], v2 offset:320
	s_waitcnt lgkmcnt(1)
	v_fmac_f32_e32 v4, v138, v193
	v_fmac_f32_e32 v4, v139, v194
	s_delay_alu instid0(VALU_DEP_1) | instskip(SKIP_1) | instid1(VALU_DEP_1)
	v_fmac_f32_e32 v4, v140, v195
	s_waitcnt vmcnt(12)
	v_fmac_f32_e32 v4, v141, v196
	ds_load_b128 v[138:141], v2 offset:336
	s_waitcnt lgkmcnt(1)
	v_fmac_f32_e32 v4, v142, v134
	s_delay_alu instid0(VALU_DEP_1) | instskip(NEXT) | instid1(VALU_DEP_1)
	v_fmac_f32_e32 v4, v143, v135
	v_fmac_f32_e32 v4, v144, v136
	s_waitcnt vmcnt(11)
	s_delay_alu instid0(VALU_DEP_1) | instskip(SKIP_3) | instid1(VALU_DEP_1)
	v_fmac_f32_e32 v4, v145, v137
	ds_load_b128 v[134:137], v2 offset:352
	s_waitcnt lgkmcnt(1)
	v_fmac_f32_e32 v4, v146, v138
	v_fmac_f32_e32 v4, v147, v139
	s_delay_alu instid0(VALU_DEP_1) | instskip(SKIP_1) | instid1(VALU_DEP_1)
	v_fmac_f32_e32 v4, v148, v140
	s_waitcnt vmcnt(10)
	v_fmac_f32_e32 v4, v149, v141
	ds_load_b128 v[138:141], v2 offset:368
	s_waitcnt lgkmcnt(1)
	v_fmac_f32_e32 v4, v150, v134
	;; [unrolled: 17-line block ×6, first 2 shown]
	s_delay_alu instid0(VALU_DEP_1) | instskip(NEXT) | instid1(VALU_DEP_1)
	v_fmac_f32_e32 v4, v183, v135
	v_fmac_f32_e32 v4, v184, v136
	s_waitcnt vmcnt(1)
	s_delay_alu instid0(VALU_DEP_1) | instskip(SKIP_1) | instid1(VALU_DEP_1)
	v_fmac_f32_e32 v4, v185, v137
	s_waitcnt lgkmcnt(0)
	v_fmac_f32_e32 v4, v186, v138
	s_delay_alu instid0(VALU_DEP_1) | instskip(NEXT) | instid1(VALU_DEP_1)
	v_fmac_f32_e32 v4, v187, v139
	v_fmac_f32_e32 v4, v188, v140
	s_waitcnt vmcnt(0)
	s_delay_alu instid0(VALU_DEP_1) | instskip(NEXT) | instid1(VALU_DEP_1)
	v_fmac_f32_e32 v4, v3, v141
	v_sub_f32_e32 v2, v133, v4
	scratch_store_b32 off, v2, off offset:28
	v_cmpx_lt_u32_e32 6, v0
	s_cbranch_execz .LBB63_379
; %bb.378:
	scratch_load_b32 v2, off, off offset:24
	v_mov_b32_e32 v3, 0
	scratch_store_b32 off, v3, off offset:24
	s_waitcnt vmcnt(0)
	ds_store_b32 v1, v2
.LBB63_379:
	s_or_b32 exec_lo, exec_lo, s0
	s_waitcnt lgkmcnt(0)
	s_waitcnt_vscnt null, 0x0
	s_barrier
	buffer_gl0_inv
	s_clause 0xe
	scratch_load_b128 v[133:136], off, off offset:24
	scratch_load_b128 v[137:140], off, off offset:40
	;; [unrolled: 1-line block ×14, first 2 shown]
	scratch_load_b64 v[3:4], off, off offset:248
	v_mov_b32_e32 v2, 0
	ds_load_2addr_b32 v[189:190], v2 offset0:71 offset1:72
	ds_load_2addr_b32 v[191:192], v2 offset0:73 offset1:74
	;; [unrolled: 1-line block ×4, first 2 shown]
	s_mov_b32 s0, exec_lo
	s_waitcnt vmcnt(14) lgkmcnt(3)
	v_fma_f32 v189, v134, v189, 0
	s_delay_alu instid0(VALU_DEP_1) | instskip(SKIP_4) | instid1(VALU_DEP_1)
	v_fmac_f32_e32 v189, v135, v190
	ds_load_2addr_b32 v[134:135], v2 offset0:79 offset1:80
	s_waitcnt lgkmcnt(3)
	v_fmac_f32_e32 v189, v136, v191
	s_waitcnt vmcnt(13)
	v_fmac_f32_e32 v189, v137, v192
	ds_load_2addr_b32 v[136:137], v2 offset0:81 offset1:82
	s_waitcnt lgkmcnt(3)
	v_fmac_f32_e32 v189, v138, v193
	s_delay_alu instid0(VALU_DEP_1) | instskip(SKIP_1) | instid1(VALU_DEP_1)
	v_fmac_f32_e32 v189, v139, v194
	s_waitcnt lgkmcnt(2)
	v_fmac_f32_e32 v189, v140, v195
	s_waitcnt vmcnt(12)
	s_delay_alu instid0(VALU_DEP_1) | instskip(SKIP_4) | instid1(VALU_DEP_1)
	v_fmac_f32_e32 v189, v141, v196
	ds_load_2addr_b32 v[138:139], v2 offset0:83 offset1:84
	ds_load_2addr_b32 v[140:141], v2 offset0:85 offset1:86
	s_waitcnt lgkmcnt(3)
	v_fmac_f32_e32 v189, v142, v134
	v_fmac_f32_e32 v189, v143, v135
	ds_load_2addr_b32 v[134:135], v2 offset0:87 offset1:88
	s_waitcnt lgkmcnt(3)
	v_fmac_f32_e32 v189, v144, v136
	s_waitcnt vmcnt(11)
	s_delay_alu instid0(VALU_DEP_1) | instskip(SKIP_3) | instid1(VALU_DEP_1)
	v_fmac_f32_e32 v189, v145, v137
	ds_load_2addr_b32 v[136:137], v2 offset0:89 offset1:90
	s_waitcnt lgkmcnt(3)
	v_fmac_f32_e32 v189, v146, v138
	v_fmac_f32_e32 v189, v147, v139
	s_waitcnt lgkmcnt(2)
	s_delay_alu instid0(VALU_DEP_1) | instskip(SKIP_1) | instid1(VALU_DEP_1)
	v_fmac_f32_e32 v189, v148, v140
	s_waitcnt vmcnt(10)
	v_fmac_f32_e32 v189, v149, v141
	ds_load_2addr_b32 v[138:139], v2 offset0:91 offset1:92
	ds_load_2addr_b32 v[140:141], v2 offset0:93 offset1:94
	s_waitcnt lgkmcnt(3)
	v_fmac_f32_e32 v189, v150, v134
	s_delay_alu instid0(VALU_DEP_1) | instskip(SKIP_4) | instid1(VALU_DEP_1)
	v_fmac_f32_e32 v189, v151, v135
	ds_load_2addr_b32 v[134:135], v2 offset0:95 offset1:96
	s_waitcnt lgkmcnt(3)
	v_fmac_f32_e32 v189, v152, v136
	s_waitcnt vmcnt(9)
	v_fmac_f32_e32 v189, v153, v137
	ds_load_2addr_b32 v[136:137], v2 offset0:97 offset1:98
	s_waitcnt lgkmcnt(3)
	v_fmac_f32_e32 v189, v154, v138
	s_delay_alu instid0(VALU_DEP_1) | instskip(SKIP_1) | instid1(VALU_DEP_1)
	v_fmac_f32_e32 v189, v155, v139
	s_waitcnt lgkmcnt(2)
	v_fmac_f32_e32 v189, v156, v140
	s_waitcnt vmcnt(8)
	s_delay_alu instid0(VALU_DEP_1) | instskip(SKIP_4) | instid1(VALU_DEP_1)
	v_fmac_f32_e32 v189, v157, v141
	ds_load_2addr_b32 v[138:139], v2 offset0:99 offset1:100
	ds_load_2addr_b32 v[140:141], v2 offset0:101 offset1:102
	s_waitcnt lgkmcnt(3)
	v_fmac_f32_e32 v189, v158, v134
	v_fmac_f32_e32 v189, v159, v135
	ds_load_2addr_b32 v[134:135], v2 offset0:103 offset1:104
	s_waitcnt lgkmcnt(3)
	v_fmac_f32_e32 v189, v160, v136
	s_waitcnt vmcnt(7)
	s_delay_alu instid0(VALU_DEP_1) | instskip(SKIP_3) | instid1(VALU_DEP_1)
	v_fmac_f32_e32 v189, v161, v137
	ds_load_2addr_b32 v[136:137], v2 offset0:105 offset1:106
	s_waitcnt lgkmcnt(3)
	v_fmac_f32_e32 v189, v162, v138
	v_fmac_f32_e32 v189, v163, v139
	s_waitcnt lgkmcnt(2)
	s_delay_alu instid0(VALU_DEP_1) | instskip(SKIP_1) | instid1(VALU_DEP_1)
	v_fmac_f32_e32 v189, v164, v140
	s_waitcnt vmcnt(6)
	v_fmac_f32_e32 v189, v165, v141
	ds_load_2addr_b32 v[138:139], v2 offset0:107 offset1:108
	ds_load_2addr_b32 v[140:141], v2 offset0:109 offset1:110
	s_waitcnt lgkmcnt(3)
	v_fmac_f32_e32 v189, v166, v134
	;; [unrolled: 41-line block ×3, first 2 shown]
	ds_load_b32 v134, v2 offset:508
	v_fmac_f32_e32 v189, v183, v135
	s_waitcnt lgkmcnt(3)
	s_delay_alu instid0(VALU_DEP_1) | instskip(SKIP_1) | instid1(VALU_DEP_1)
	v_fmac_f32_e32 v189, v184, v136
	s_waitcnt vmcnt(1)
	v_fmac_f32_e32 v189, v185, v137
	s_waitcnt lgkmcnt(2)
	s_delay_alu instid0(VALU_DEP_1) | instskip(NEXT) | instid1(VALU_DEP_1)
	v_fmac_f32_e32 v189, v186, v138
	v_fmac_f32_e32 v189, v187, v139
	s_waitcnt lgkmcnt(1)
	s_delay_alu instid0(VALU_DEP_1) | instskip(SKIP_1) | instid1(VALU_DEP_1)
	v_fmac_f32_e32 v189, v188, v140
	s_waitcnt vmcnt(0)
	v_fmac_f32_e32 v189, v3, v141
	s_waitcnt lgkmcnt(0)
	s_delay_alu instid0(VALU_DEP_1) | instskip(NEXT) | instid1(VALU_DEP_1)
	v_fmac_f32_e32 v189, v4, v134
	v_sub_f32_e32 v3, v133, v189
	scratch_store_b32 off, v3, off offset:24
	v_cmpx_lt_u32_e32 5, v0
	s_cbranch_execz .LBB63_381
; %bb.380:
	scratch_load_b32 v3, off, off offset:20
	scratch_store_b32 off, v2, off offset:20
	s_waitcnt vmcnt(0)
	ds_store_b32 v1, v3
.LBB63_381:
	s_or_b32 exec_lo, exec_lo, s0
	s_waitcnt lgkmcnt(0)
	s_waitcnt_vscnt null, 0x0
	s_barrier
	buffer_gl0_inv
	s_clause 0xe
	scratch_load_b128 v[133:136], off, off offset:20
	scratch_load_b128 v[137:140], off, off offset:36
	;; [unrolled: 1-line block ×14, first 2 shown]
	scratch_load_b96 v[197:199], off, off offset:244
	ds_load_2addr_b64 v[189:192], v2 offset0:35 offset1:36
	ds_load_2addr_b64 v[193:196], v2 offset0:37 offset1:38
	s_mov_b32 s0, exec_lo
	s_waitcnt vmcnt(14) lgkmcnt(1)
	v_fma_f32 v4, v134, v189, 0
	s_delay_alu instid0(VALU_DEP_1) | instskip(NEXT) | instid1(VALU_DEP_1)
	v_fmac_f32_e32 v4, v135, v190
	v_fmac_f32_e32 v4, v136, v191
	s_waitcnt vmcnt(13)
	s_delay_alu instid0(VALU_DEP_1) | instskip(SKIP_3) | instid1(VALU_DEP_1)
	v_fmac_f32_e32 v4, v137, v192
	ds_load_2addr_b64 v[134:137], v2 offset0:39 offset1:40
	s_waitcnt lgkmcnt(1)
	v_fmac_f32_e32 v4, v138, v193
	v_fmac_f32_e32 v4, v139, v194
	s_delay_alu instid0(VALU_DEP_1) | instskip(SKIP_1) | instid1(VALU_DEP_1)
	v_fmac_f32_e32 v4, v140, v195
	s_waitcnt vmcnt(12)
	v_fmac_f32_e32 v4, v141, v196
	ds_load_2addr_b64 v[138:141], v2 offset0:41 offset1:42
	s_waitcnt lgkmcnt(1)
	v_fmac_f32_e32 v4, v142, v134
	s_delay_alu instid0(VALU_DEP_1) | instskip(NEXT) | instid1(VALU_DEP_1)
	v_fmac_f32_e32 v4, v143, v135
	v_fmac_f32_e32 v4, v144, v136
	s_waitcnt vmcnt(11)
	s_delay_alu instid0(VALU_DEP_1) | instskip(SKIP_3) | instid1(VALU_DEP_1)
	v_fmac_f32_e32 v4, v145, v137
	ds_load_2addr_b64 v[134:137], v2 offset0:43 offset1:44
	s_waitcnt lgkmcnt(1)
	v_fmac_f32_e32 v4, v146, v138
	v_fmac_f32_e32 v4, v147, v139
	s_delay_alu instid0(VALU_DEP_1) | instskip(SKIP_1) | instid1(VALU_DEP_1)
	v_fmac_f32_e32 v4, v148, v140
	s_waitcnt vmcnt(10)
	v_fmac_f32_e32 v4, v149, v141
	ds_load_2addr_b64 v[138:141], v2 offset0:45 offset1:46
	s_waitcnt lgkmcnt(1)
	v_fmac_f32_e32 v4, v150, v134
	;; [unrolled: 17-line block ×5, first 2 shown]
	s_delay_alu instid0(VALU_DEP_1) | instskip(NEXT) | instid1(VALU_DEP_1)
	v_fmac_f32_e32 v4, v175, v135
	v_fmac_f32_e32 v4, v176, v136
	s_waitcnt vmcnt(3)
	s_delay_alu instid0(VALU_DEP_1) | instskip(SKIP_3) | instid1(VALU_DEP_1)
	v_fmac_f32_e32 v4, v177, v137
	ds_load_2addr_b64 v[134:137], v2 offset0:59 offset1:60
	s_waitcnt lgkmcnt(1)
	v_fmac_f32_e32 v4, v178, v138
	v_fmac_f32_e32 v4, v179, v139
	s_delay_alu instid0(VALU_DEP_1) | instskip(SKIP_1) | instid1(VALU_DEP_1)
	v_fmac_f32_e32 v4, v180, v140
	s_waitcnt vmcnt(2)
	v_fmac_f32_e32 v4, v181, v141
	ds_load_2addr_b64 v[138:141], v2 offset0:61 offset1:62
	ds_load_b64 v[2:3], v2 offset:504
	s_waitcnt lgkmcnt(2)
	v_fmac_f32_e32 v4, v182, v134
	s_delay_alu instid0(VALU_DEP_1) | instskip(NEXT) | instid1(VALU_DEP_1)
	v_fmac_f32_e32 v4, v183, v135
	v_fmac_f32_e32 v4, v184, v136
	s_waitcnt vmcnt(1)
	s_delay_alu instid0(VALU_DEP_1) | instskip(SKIP_1) | instid1(VALU_DEP_1)
	v_fmac_f32_e32 v4, v185, v137
	s_waitcnt lgkmcnt(1)
	v_fmac_f32_e32 v4, v186, v138
	s_delay_alu instid0(VALU_DEP_1) | instskip(NEXT) | instid1(VALU_DEP_1)
	v_fmac_f32_e32 v4, v187, v139
	v_fmac_f32_e32 v4, v188, v140
	s_waitcnt vmcnt(0)
	s_delay_alu instid0(VALU_DEP_1) | instskip(SKIP_1) | instid1(VALU_DEP_1)
	v_fmac_f32_e32 v4, v197, v141
	s_waitcnt lgkmcnt(0)
	v_fmac_f32_e32 v4, v198, v2
	s_delay_alu instid0(VALU_DEP_1) | instskip(NEXT) | instid1(VALU_DEP_1)
	v_fmac_f32_e32 v4, v199, v3
	v_sub_f32_e32 v2, v133, v4
	scratch_store_b32 off, v2, off offset:20
	v_cmpx_lt_u32_e32 4, v0
	s_cbranch_execz .LBB63_383
; %bb.382:
	scratch_load_b32 v2, off, off offset:16
	v_mov_b32_e32 v3, 0
	scratch_store_b32 off, v3, off offset:16
	s_waitcnt vmcnt(0)
	ds_store_b32 v1, v2
.LBB63_383:
	s_or_b32 exec_lo, exec_lo, s0
	s_waitcnt lgkmcnt(0)
	s_waitcnt_vscnt null, 0x0
	s_barrier
	buffer_gl0_inv
	s_clause 0xe
	scratch_load_b128 v[133:136], off, off offset:16
	scratch_load_b128 v[137:140], off, off offset:32
	;; [unrolled: 1-line block ×15, first 2 shown]
	v_mov_b32_e32 v2, 0
	ds_load_2addr_b32 v[3:4], v2 offset0:69 offset1:70
	ds_load_2addr_b32 v[193:194], v2 offset0:71 offset1:72
	;; [unrolled: 1-line block ×4, first 2 shown]
	s_mov_b32 s0, exec_lo
	s_waitcnt vmcnt(14) lgkmcnt(3)
	v_fma_f32 v199, v134, v3, 0
	s_delay_alu instid0(VALU_DEP_1)
	v_fmac_f32_e32 v199, v135, v4
	ds_load_2addr_b32 v[3:4], v2 offset0:77 offset1:78
	ds_load_2addr_b32 v[134:135], v2 offset0:79 offset1:80
	s_waitcnt lgkmcnt(4)
	v_fmac_f32_e32 v199, v136, v193
	s_waitcnt vmcnt(13)
	s_delay_alu instid0(VALU_DEP_1) | instskip(SKIP_1) | instid1(VALU_DEP_1)
	v_fmac_f32_e32 v199, v137, v194
	s_waitcnt lgkmcnt(3)
	v_fmac_f32_e32 v199, v138, v195
	s_delay_alu instid0(VALU_DEP_1)
	v_fmac_f32_e32 v199, v139, v196
	ds_load_2addr_b32 v[136:137], v2 offset0:81 offset1:82
	ds_load_2addr_b32 v[138:139], v2 offset0:83 offset1:84
	s_waitcnt lgkmcnt(4)
	v_fmac_f32_e32 v199, v140, v197
	s_waitcnt vmcnt(12)
	s_delay_alu instid0(VALU_DEP_1) | instskip(SKIP_1) | instid1(VALU_DEP_1)
	v_fmac_f32_e32 v199, v141, v198
	s_waitcnt lgkmcnt(3)
	v_fmac_f32_e32 v199, v142, v3
	s_delay_alu instid0(VALU_DEP_1) | instskip(SKIP_4) | instid1(VALU_DEP_1)
	v_fmac_f32_e32 v199, v143, v4
	ds_load_2addr_b32 v[3:4], v2 offset0:85 offset1:86
	s_waitcnt lgkmcnt(3)
	v_fmac_f32_e32 v199, v144, v134
	s_waitcnt vmcnt(11)
	v_fmac_f32_e32 v199, v145, v135
	ds_load_2addr_b32 v[134:135], v2 offset0:87 offset1:88
	s_waitcnt lgkmcnt(3)
	v_fmac_f32_e32 v199, v146, v136
	s_delay_alu instid0(VALU_DEP_1) | instskip(SKIP_1) | instid1(VALU_DEP_1)
	v_fmac_f32_e32 v199, v147, v137
	s_waitcnt lgkmcnt(2)
	v_fmac_f32_e32 v199, v148, v138
	s_waitcnt vmcnt(10)
	s_delay_alu instid0(VALU_DEP_1) | instskip(SKIP_4) | instid1(VALU_DEP_1)
	v_fmac_f32_e32 v199, v149, v139
	ds_load_2addr_b32 v[136:137], v2 offset0:89 offset1:90
	ds_load_2addr_b32 v[138:139], v2 offset0:91 offset1:92
	s_waitcnt lgkmcnt(3)
	v_fmac_f32_e32 v199, v150, v3
	v_fmac_f32_e32 v199, v151, v4
	ds_load_2addr_b32 v[3:4], v2 offset0:93 offset1:94
	s_waitcnt lgkmcnt(3)
	v_fmac_f32_e32 v199, v152, v134
	s_waitcnt vmcnt(9)
	s_delay_alu instid0(VALU_DEP_1) | instskip(SKIP_3) | instid1(VALU_DEP_1)
	v_fmac_f32_e32 v199, v153, v135
	ds_load_2addr_b32 v[134:135], v2 offset0:95 offset1:96
	s_waitcnt lgkmcnt(3)
	v_fmac_f32_e32 v199, v154, v136
	v_fmac_f32_e32 v199, v155, v137
	s_waitcnt lgkmcnt(2)
	s_delay_alu instid0(VALU_DEP_1) | instskip(SKIP_1) | instid1(VALU_DEP_1)
	v_fmac_f32_e32 v199, v156, v138
	s_waitcnt vmcnt(8)
	v_fmac_f32_e32 v199, v157, v139
	ds_load_2addr_b32 v[136:137], v2 offset0:97 offset1:98
	ds_load_2addr_b32 v[138:139], v2 offset0:99 offset1:100
	s_waitcnt lgkmcnt(3)
	v_fmac_f32_e32 v199, v158, v3
	s_delay_alu instid0(VALU_DEP_1) | instskip(SKIP_4) | instid1(VALU_DEP_1)
	v_fmac_f32_e32 v199, v159, v4
	ds_load_2addr_b32 v[3:4], v2 offset0:101 offset1:102
	s_waitcnt lgkmcnt(3)
	v_fmac_f32_e32 v199, v160, v134
	s_waitcnt vmcnt(7)
	v_fmac_f32_e32 v199, v161, v135
	ds_load_2addr_b32 v[134:135], v2 offset0:103 offset1:104
	s_waitcnt lgkmcnt(3)
	v_fmac_f32_e32 v199, v162, v136
	s_delay_alu instid0(VALU_DEP_1) | instskip(SKIP_1) | instid1(VALU_DEP_1)
	v_fmac_f32_e32 v199, v163, v137
	s_waitcnt lgkmcnt(2)
	v_fmac_f32_e32 v199, v164, v138
	s_waitcnt vmcnt(6)
	s_delay_alu instid0(VALU_DEP_1) | instskip(SKIP_4) | instid1(VALU_DEP_1)
	v_fmac_f32_e32 v199, v165, v139
	ds_load_2addr_b32 v[136:137], v2 offset0:105 offset1:106
	ds_load_2addr_b32 v[138:139], v2 offset0:107 offset1:108
	s_waitcnt lgkmcnt(3)
	v_fmac_f32_e32 v199, v166, v3
	v_fmac_f32_e32 v199, v167, v4
	ds_load_2addr_b32 v[3:4], v2 offset0:109 offset1:110
	s_waitcnt lgkmcnt(3)
	v_fmac_f32_e32 v199, v168, v134
	s_waitcnt vmcnt(5)
	s_delay_alu instid0(VALU_DEP_1) | instskip(SKIP_3) | instid1(VALU_DEP_1)
	v_fmac_f32_e32 v199, v169, v135
	ds_load_2addr_b32 v[134:135], v2 offset0:111 offset1:112
	s_waitcnt lgkmcnt(3)
	v_fmac_f32_e32 v199, v170, v136
	v_fmac_f32_e32 v199, v171, v137
	s_waitcnt lgkmcnt(2)
	s_delay_alu instid0(VALU_DEP_1) | instskip(SKIP_1) | instid1(VALU_DEP_1)
	v_fmac_f32_e32 v199, v172, v138
	s_waitcnt vmcnt(4)
	v_fmac_f32_e32 v199, v173, v139
	ds_load_2addr_b32 v[136:137], v2 offset0:113 offset1:114
	ds_load_2addr_b32 v[138:139], v2 offset0:115 offset1:116
	s_waitcnt lgkmcnt(3)
	v_fmac_f32_e32 v199, v174, v3
	s_delay_alu instid0(VALU_DEP_1) | instskip(SKIP_4) | instid1(VALU_DEP_1)
	v_fmac_f32_e32 v199, v175, v4
	ds_load_2addr_b32 v[3:4], v2 offset0:117 offset1:118
	s_waitcnt lgkmcnt(3)
	v_fmac_f32_e32 v199, v176, v134
	s_waitcnt vmcnt(3)
	v_fmac_f32_e32 v199, v177, v135
	ds_load_2addr_b32 v[134:135], v2 offset0:119 offset1:120
	s_waitcnt lgkmcnt(3)
	v_fmac_f32_e32 v199, v178, v136
	s_delay_alu instid0(VALU_DEP_1) | instskip(SKIP_1) | instid1(VALU_DEP_1)
	v_fmac_f32_e32 v199, v179, v137
	s_waitcnt lgkmcnt(2)
	v_fmac_f32_e32 v199, v180, v138
	s_waitcnt vmcnt(2)
	s_delay_alu instid0(VALU_DEP_1) | instskip(SKIP_4) | instid1(VALU_DEP_1)
	v_fmac_f32_e32 v199, v181, v139
	ds_load_2addr_b32 v[136:137], v2 offset0:121 offset1:122
	ds_load_2addr_b32 v[138:139], v2 offset0:123 offset1:124
	s_waitcnt lgkmcnt(3)
	v_fmac_f32_e32 v199, v182, v3
	v_fmac_f32_e32 v199, v183, v4
	ds_load_2addr_b32 v[3:4], v2 offset0:125 offset1:126
	s_waitcnt lgkmcnt(3)
	v_fmac_f32_e32 v199, v184, v134
	ds_load_b32 v134, v2 offset:508
	s_waitcnt vmcnt(1)
	v_fmac_f32_e32 v199, v185, v135
	s_waitcnt lgkmcnt(3)
	s_delay_alu instid0(VALU_DEP_1) | instskip(NEXT) | instid1(VALU_DEP_1)
	v_fmac_f32_e32 v199, v186, v136
	v_fmac_f32_e32 v199, v187, v137
	s_waitcnt lgkmcnt(2)
	s_delay_alu instid0(VALU_DEP_1) | instskip(SKIP_1) | instid1(VALU_DEP_1)
	v_fmac_f32_e32 v199, v188, v138
	s_waitcnt vmcnt(0)
	v_fmac_f32_e32 v199, v189, v139
	s_waitcnt lgkmcnt(1)
	s_delay_alu instid0(VALU_DEP_1) | instskip(NEXT) | instid1(VALU_DEP_1)
	v_fmac_f32_e32 v199, v190, v3
	v_fmac_f32_e32 v199, v191, v4
	s_waitcnt lgkmcnt(0)
	s_delay_alu instid0(VALU_DEP_1) | instskip(NEXT) | instid1(VALU_DEP_1)
	v_fmac_f32_e32 v199, v192, v134
	v_sub_f32_e32 v3, v133, v199
	scratch_store_b32 off, v3, off offset:16
	v_cmpx_lt_u32_e32 3, v0
	s_cbranch_execz .LBB63_385
; %bb.384:
	scratch_load_b32 v3, off, off offset:12
	scratch_store_b32 off, v2, off offset:12
	s_waitcnt vmcnt(0)
	ds_store_b32 v1, v3
.LBB63_385:
	s_or_b32 exec_lo, exec_lo, s0
	s_waitcnt lgkmcnt(0)
	s_waitcnt_vscnt null, 0x0
	s_barrier
	buffer_gl0_inv
	s_clause 0xf
	scratch_load_b128 v[133:136], off, off offset:12
	scratch_load_b128 v[137:140], off, off offset:28
	scratch_load_b128 v[141:144], off, off offset:44
	scratch_load_b128 v[145:148], off, off offset:60
	scratch_load_b128 v[149:152], off, off offset:76
	scratch_load_b128 v[153:156], off, off offset:92
	scratch_load_b128 v[157:160], off, off offset:108
	scratch_load_b128 v[161:164], off, off offset:124
	scratch_load_b128 v[165:168], off, off offset:140
	scratch_load_b128 v[169:172], off, off offset:156
	scratch_load_b128 v[173:176], off, off offset:172
	scratch_load_b128 v[177:180], off, off offset:188
	scratch_load_b128 v[181:184], off, off offset:204
	scratch_load_b128 v[185:188], off, off offset:220
	scratch_load_b128 v[189:192], off, off offset:236
	scratch_load_b32 v3, off, off offset:252
	ds_load_b128 v[193:196], v2 offset:272
	ds_load_b128 v[197:200], v2 offset:288
	s_mov_b32 s0, exec_lo
	s_waitcnt vmcnt(15) lgkmcnt(1)
	v_fma_f32 v4, v134, v193, 0
	s_delay_alu instid0(VALU_DEP_1) | instskip(NEXT) | instid1(VALU_DEP_1)
	v_fmac_f32_e32 v4, v135, v194
	v_fmac_f32_e32 v4, v136, v195
	s_waitcnt vmcnt(14)
	s_delay_alu instid0(VALU_DEP_1) | instskip(SKIP_3) | instid1(VALU_DEP_1)
	v_fmac_f32_e32 v4, v137, v196
	ds_load_b128 v[134:137], v2 offset:304
	s_waitcnt lgkmcnt(1)
	v_fmac_f32_e32 v4, v138, v197
	v_fmac_f32_e32 v4, v139, v198
	s_delay_alu instid0(VALU_DEP_1) | instskip(SKIP_1) | instid1(VALU_DEP_1)
	v_fmac_f32_e32 v4, v140, v199
	s_waitcnt vmcnt(13)
	v_fmac_f32_e32 v4, v141, v200
	ds_load_b128 v[138:141], v2 offset:320
	s_waitcnt lgkmcnt(1)
	v_fmac_f32_e32 v4, v142, v134
	s_delay_alu instid0(VALU_DEP_1) | instskip(NEXT) | instid1(VALU_DEP_1)
	v_fmac_f32_e32 v4, v143, v135
	v_fmac_f32_e32 v4, v144, v136
	s_waitcnt vmcnt(12)
	s_delay_alu instid0(VALU_DEP_1) | instskip(SKIP_3) | instid1(VALU_DEP_1)
	v_fmac_f32_e32 v4, v145, v137
	ds_load_b128 v[134:137], v2 offset:336
	s_waitcnt lgkmcnt(1)
	v_fmac_f32_e32 v4, v146, v138
	v_fmac_f32_e32 v4, v147, v139
	s_delay_alu instid0(VALU_DEP_1) | instskip(SKIP_1) | instid1(VALU_DEP_1)
	v_fmac_f32_e32 v4, v148, v140
	s_waitcnt vmcnt(11)
	v_fmac_f32_e32 v4, v149, v141
	ds_load_b128 v[138:141], v2 offset:352
	s_waitcnt lgkmcnt(1)
	v_fmac_f32_e32 v4, v150, v134
	;; [unrolled: 17-line block ×6, first 2 shown]
	s_delay_alu instid0(VALU_DEP_1) | instskip(NEXT) | instid1(VALU_DEP_1)
	v_fmac_f32_e32 v4, v183, v135
	v_fmac_f32_e32 v4, v184, v136
	s_waitcnt vmcnt(2)
	s_delay_alu instid0(VALU_DEP_1) | instskip(SKIP_3) | instid1(VALU_DEP_1)
	v_fmac_f32_e32 v4, v185, v137
	ds_load_b128 v[134:137], v2 offset:496
	s_waitcnt lgkmcnt(1)
	v_fmac_f32_e32 v4, v186, v138
	v_fmac_f32_e32 v4, v187, v139
	s_delay_alu instid0(VALU_DEP_1) | instskip(SKIP_1) | instid1(VALU_DEP_1)
	v_fmac_f32_e32 v4, v188, v140
	s_waitcnt vmcnt(1)
	v_fmac_f32_e32 v4, v189, v141
	s_waitcnt lgkmcnt(0)
	s_delay_alu instid0(VALU_DEP_1) | instskip(NEXT) | instid1(VALU_DEP_1)
	v_fmac_f32_e32 v4, v190, v134
	v_fmac_f32_e32 v4, v191, v135
	s_delay_alu instid0(VALU_DEP_1) | instskip(SKIP_1) | instid1(VALU_DEP_1)
	v_fmac_f32_e32 v4, v192, v136
	s_waitcnt vmcnt(0)
	v_fmac_f32_e32 v4, v3, v137
	s_delay_alu instid0(VALU_DEP_1)
	v_sub_f32_e32 v2, v133, v4
	scratch_store_b32 off, v2, off offset:12
	v_cmpx_lt_u32_e32 2, v0
	s_cbranch_execz .LBB63_387
; %bb.386:
	scratch_load_b32 v2, off, off offset:8
	v_mov_b32_e32 v3, 0
	scratch_store_b32 off, v3, off offset:8
	s_waitcnt vmcnt(0)
	ds_store_b32 v1, v2
.LBB63_387:
	s_or_b32 exec_lo, exec_lo, s0
	s_waitcnt lgkmcnt(0)
	s_waitcnt_vscnt null, 0x0
	s_barrier
	buffer_gl0_inv
	s_clause 0xe
	scratch_load_b128 v[133:136], off, off offset:8
	scratch_load_b128 v[137:140], off, off offset:24
	;; [unrolled: 1-line block ×15, first 2 shown]
	v_mov_b32_e32 v2, 0
	scratch_load_b64 v[193:194], off, off offset:248
	s_mov_b32 s0, exec_lo
	ds_load_2addr_b32 v[3:4], v2 offset0:67 offset1:68
	s_waitcnt vmcnt(15) lgkmcnt(0)
	v_fma_f32 v201, v134, v3, 0
	s_delay_alu instid0(VALU_DEP_1)
	v_fmac_f32_e32 v201, v135, v4
	ds_load_2addr_b32 v[195:196], v2 offset0:69 offset1:70
	ds_load_2addr_b32 v[197:198], v2 offset0:71 offset1:72
	;; [unrolled: 1-line block ×5, first 2 shown]
	s_waitcnt lgkmcnt(4)
	v_fmac_f32_e32 v201, v136, v195
	s_waitcnt vmcnt(14)
	s_delay_alu instid0(VALU_DEP_1) | instskip(SKIP_1) | instid1(VALU_DEP_1)
	v_fmac_f32_e32 v201, v137, v196
	s_waitcnt lgkmcnt(3)
	v_fmac_f32_e32 v201, v138, v197
	s_delay_alu instid0(VALU_DEP_1)
	v_fmac_f32_e32 v201, v139, v198
	ds_load_2addr_b32 v[136:137], v2 offset0:79 offset1:80
	ds_load_2addr_b32 v[138:139], v2 offset0:81 offset1:82
	s_waitcnt lgkmcnt(4)
	v_fmac_f32_e32 v201, v140, v199
	s_waitcnt vmcnt(13)
	s_delay_alu instid0(VALU_DEP_1) | instskip(SKIP_1) | instid1(VALU_DEP_1)
	v_fmac_f32_e32 v201, v141, v200
	s_waitcnt lgkmcnt(3)
	v_fmac_f32_e32 v201, v142, v3
	s_delay_alu instid0(VALU_DEP_1) | instskip(SKIP_4) | instid1(VALU_DEP_1)
	v_fmac_f32_e32 v201, v143, v4
	ds_load_2addr_b32 v[3:4], v2 offset0:83 offset1:84
	s_waitcnt lgkmcnt(3)
	v_fmac_f32_e32 v201, v144, v134
	s_waitcnt vmcnt(12)
	v_fmac_f32_e32 v201, v145, v135
	ds_load_2addr_b32 v[134:135], v2 offset0:85 offset1:86
	s_waitcnt lgkmcnt(3)
	v_fmac_f32_e32 v201, v146, v136
	s_delay_alu instid0(VALU_DEP_1) | instskip(SKIP_1) | instid1(VALU_DEP_1)
	v_fmac_f32_e32 v201, v147, v137
	s_waitcnt lgkmcnt(2)
	v_fmac_f32_e32 v201, v148, v138
	s_waitcnt vmcnt(11)
	s_delay_alu instid0(VALU_DEP_1) | instskip(SKIP_4) | instid1(VALU_DEP_1)
	v_fmac_f32_e32 v201, v149, v139
	ds_load_2addr_b32 v[136:137], v2 offset0:87 offset1:88
	ds_load_2addr_b32 v[138:139], v2 offset0:89 offset1:90
	s_waitcnt lgkmcnt(3)
	v_fmac_f32_e32 v201, v150, v3
	v_fmac_f32_e32 v201, v151, v4
	ds_load_2addr_b32 v[3:4], v2 offset0:91 offset1:92
	s_waitcnt lgkmcnt(3)
	v_fmac_f32_e32 v201, v152, v134
	s_waitcnt vmcnt(10)
	s_delay_alu instid0(VALU_DEP_1) | instskip(SKIP_3) | instid1(VALU_DEP_1)
	v_fmac_f32_e32 v201, v153, v135
	ds_load_2addr_b32 v[134:135], v2 offset0:93 offset1:94
	s_waitcnt lgkmcnt(3)
	v_fmac_f32_e32 v201, v154, v136
	v_fmac_f32_e32 v201, v155, v137
	s_waitcnt lgkmcnt(2)
	s_delay_alu instid0(VALU_DEP_1) | instskip(SKIP_1) | instid1(VALU_DEP_1)
	v_fmac_f32_e32 v201, v156, v138
	s_waitcnt vmcnt(9)
	v_fmac_f32_e32 v201, v157, v139
	ds_load_2addr_b32 v[136:137], v2 offset0:95 offset1:96
	ds_load_2addr_b32 v[138:139], v2 offset0:97 offset1:98
	s_waitcnt lgkmcnt(3)
	v_fmac_f32_e32 v201, v158, v3
	s_delay_alu instid0(VALU_DEP_1) | instskip(SKIP_4) | instid1(VALU_DEP_1)
	v_fmac_f32_e32 v201, v159, v4
	ds_load_2addr_b32 v[3:4], v2 offset0:99 offset1:100
	s_waitcnt lgkmcnt(3)
	v_fmac_f32_e32 v201, v160, v134
	s_waitcnt vmcnt(8)
	v_fmac_f32_e32 v201, v161, v135
	ds_load_2addr_b32 v[134:135], v2 offset0:101 offset1:102
	s_waitcnt lgkmcnt(3)
	v_fmac_f32_e32 v201, v162, v136
	s_delay_alu instid0(VALU_DEP_1) | instskip(SKIP_1) | instid1(VALU_DEP_1)
	v_fmac_f32_e32 v201, v163, v137
	s_waitcnt lgkmcnt(2)
	v_fmac_f32_e32 v201, v164, v138
	s_waitcnt vmcnt(7)
	s_delay_alu instid0(VALU_DEP_1) | instskip(SKIP_4) | instid1(VALU_DEP_1)
	v_fmac_f32_e32 v201, v165, v139
	ds_load_2addr_b32 v[136:137], v2 offset0:103 offset1:104
	ds_load_2addr_b32 v[138:139], v2 offset0:105 offset1:106
	s_waitcnt lgkmcnt(3)
	v_fmac_f32_e32 v201, v166, v3
	v_fmac_f32_e32 v201, v167, v4
	ds_load_2addr_b32 v[3:4], v2 offset0:107 offset1:108
	s_waitcnt lgkmcnt(3)
	v_fmac_f32_e32 v201, v168, v134
	s_waitcnt vmcnt(6)
	s_delay_alu instid0(VALU_DEP_1) | instskip(SKIP_3) | instid1(VALU_DEP_1)
	v_fmac_f32_e32 v201, v169, v135
	ds_load_2addr_b32 v[134:135], v2 offset0:109 offset1:110
	s_waitcnt lgkmcnt(3)
	v_fmac_f32_e32 v201, v170, v136
	v_fmac_f32_e32 v201, v171, v137
	s_waitcnt lgkmcnt(2)
	s_delay_alu instid0(VALU_DEP_1) | instskip(SKIP_1) | instid1(VALU_DEP_1)
	v_fmac_f32_e32 v201, v172, v138
	s_waitcnt vmcnt(5)
	v_fmac_f32_e32 v201, v173, v139
	ds_load_2addr_b32 v[136:137], v2 offset0:111 offset1:112
	ds_load_2addr_b32 v[138:139], v2 offset0:113 offset1:114
	s_waitcnt lgkmcnt(3)
	v_fmac_f32_e32 v201, v174, v3
	s_delay_alu instid0(VALU_DEP_1) | instskip(SKIP_4) | instid1(VALU_DEP_1)
	v_fmac_f32_e32 v201, v175, v4
	ds_load_2addr_b32 v[3:4], v2 offset0:115 offset1:116
	s_waitcnt lgkmcnt(3)
	v_fmac_f32_e32 v201, v176, v134
	s_waitcnt vmcnt(4)
	v_fmac_f32_e32 v201, v177, v135
	ds_load_2addr_b32 v[134:135], v2 offset0:117 offset1:118
	s_waitcnt lgkmcnt(3)
	v_fmac_f32_e32 v201, v178, v136
	s_delay_alu instid0(VALU_DEP_1) | instskip(SKIP_1) | instid1(VALU_DEP_1)
	v_fmac_f32_e32 v201, v179, v137
	s_waitcnt lgkmcnt(2)
	v_fmac_f32_e32 v201, v180, v138
	s_waitcnt vmcnt(3)
	s_delay_alu instid0(VALU_DEP_1) | instskip(SKIP_4) | instid1(VALU_DEP_1)
	v_fmac_f32_e32 v201, v181, v139
	ds_load_2addr_b32 v[136:137], v2 offset0:119 offset1:120
	ds_load_2addr_b32 v[138:139], v2 offset0:121 offset1:122
	s_waitcnt lgkmcnt(3)
	v_fmac_f32_e32 v201, v182, v3
	v_fmac_f32_e32 v201, v183, v4
	ds_load_2addr_b32 v[3:4], v2 offset0:123 offset1:124
	s_waitcnt lgkmcnt(3)
	v_fmac_f32_e32 v201, v184, v134
	s_waitcnt vmcnt(2)
	s_delay_alu instid0(VALU_DEP_1)
	v_fmac_f32_e32 v201, v185, v135
	ds_load_2addr_b32 v[134:135], v2 offset0:125 offset1:126
	s_waitcnt lgkmcnt(3)
	v_fmac_f32_e32 v201, v186, v136
	ds_load_b32 v136, v2 offset:508
	v_fmac_f32_e32 v201, v187, v137
	s_waitcnt lgkmcnt(3)
	s_delay_alu instid0(VALU_DEP_1) | instskip(SKIP_1) | instid1(VALU_DEP_1)
	v_fmac_f32_e32 v201, v188, v138
	s_waitcnt vmcnt(1)
	v_fmac_f32_e32 v201, v189, v139
	s_waitcnt lgkmcnt(2)
	s_delay_alu instid0(VALU_DEP_1) | instskip(NEXT) | instid1(VALU_DEP_1)
	v_fmac_f32_e32 v201, v190, v3
	v_fmac_f32_e32 v201, v191, v4
	s_waitcnt lgkmcnt(1)
	s_delay_alu instid0(VALU_DEP_1) | instskip(SKIP_1) | instid1(VALU_DEP_1)
	v_fmac_f32_e32 v201, v192, v134
	s_waitcnt vmcnt(0)
	v_fmac_f32_e32 v201, v193, v135
	s_waitcnt lgkmcnt(0)
	s_delay_alu instid0(VALU_DEP_1) | instskip(NEXT) | instid1(VALU_DEP_1)
	v_fmac_f32_e32 v201, v194, v136
	v_sub_f32_e32 v3, v133, v201
	scratch_store_b32 off, v3, off offset:8
	v_cmpx_lt_u32_e32 1, v0
	s_cbranch_execz .LBB63_389
; %bb.388:
	scratch_load_b32 v3, off, off offset:4
	scratch_store_b32 off, v2, off offset:4
	s_waitcnt vmcnt(0)
	ds_store_b32 v1, v3
.LBB63_389:
	s_or_b32 exec_lo, exec_lo, s0
	s_waitcnt lgkmcnt(0)
	s_waitcnt_vscnt null, 0x0
	s_barrier
	buffer_gl0_inv
	s_clause 0xf
	scratch_load_b128 v[133:136], off, off offset:4
	scratch_load_b128 v[137:140], off, off offset:20
	;; [unrolled: 1-line block ×15, first 2 shown]
	scratch_load_b96 v[201:203], off, off offset:244
	ds_load_2addr_b64 v[193:196], v2 offset0:33 offset1:34
	ds_load_2addr_b64 v[197:200], v2 offset0:35 offset1:36
	s_mov_b32 s0, exec_lo
	s_waitcnt vmcnt(15) lgkmcnt(1)
	v_fma_f32 v4, v134, v193, 0
	s_delay_alu instid0(VALU_DEP_1) | instskip(NEXT) | instid1(VALU_DEP_1)
	v_fmac_f32_e32 v4, v135, v194
	v_fmac_f32_e32 v4, v136, v195
	s_waitcnt vmcnt(14)
	s_delay_alu instid0(VALU_DEP_1) | instskip(SKIP_3) | instid1(VALU_DEP_1)
	v_fmac_f32_e32 v4, v137, v196
	ds_load_2addr_b64 v[134:137], v2 offset0:37 offset1:38
	s_waitcnt lgkmcnt(1)
	v_fmac_f32_e32 v4, v138, v197
	v_fmac_f32_e32 v4, v139, v198
	s_delay_alu instid0(VALU_DEP_1) | instskip(SKIP_1) | instid1(VALU_DEP_1)
	v_fmac_f32_e32 v4, v140, v199
	s_waitcnt vmcnt(13)
	v_fmac_f32_e32 v4, v141, v200
	ds_load_2addr_b64 v[138:141], v2 offset0:39 offset1:40
	s_waitcnt lgkmcnt(1)
	v_fmac_f32_e32 v4, v142, v134
	s_delay_alu instid0(VALU_DEP_1) | instskip(NEXT) | instid1(VALU_DEP_1)
	v_fmac_f32_e32 v4, v143, v135
	v_fmac_f32_e32 v4, v144, v136
	s_waitcnt vmcnt(12)
	s_delay_alu instid0(VALU_DEP_1) | instskip(SKIP_3) | instid1(VALU_DEP_1)
	v_fmac_f32_e32 v4, v145, v137
	ds_load_2addr_b64 v[134:137], v2 offset0:41 offset1:42
	s_waitcnt lgkmcnt(1)
	v_fmac_f32_e32 v4, v146, v138
	v_fmac_f32_e32 v4, v147, v139
	s_delay_alu instid0(VALU_DEP_1) | instskip(SKIP_1) | instid1(VALU_DEP_1)
	v_fmac_f32_e32 v4, v148, v140
	s_waitcnt vmcnt(11)
	v_fmac_f32_e32 v4, v149, v141
	ds_load_2addr_b64 v[138:141], v2 offset0:43 offset1:44
	s_waitcnt lgkmcnt(1)
	v_fmac_f32_e32 v4, v150, v134
	;; [unrolled: 17-line block ×6, first 2 shown]
	s_delay_alu instid0(VALU_DEP_1) | instskip(NEXT) | instid1(VALU_DEP_1)
	v_fmac_f32_e32 v4, v183, v135
	v_fmac_f32_e32 v4, v184, v136
	s_waitcnt vmcnt(2)
	s_delay_alu instid0(VALU_DEP_1) | instskip(SKIP_4) | instid1(VALU_DEP_1)
	v_fmac_f32_e32 v4, v185, v137
	ds_load_2addr_b64 v[134:137], v2 offset0:61 offset1:62
	ds_load_b64 v[2:3], v2 offset:504
	s_waitcnt lgkmcnt(2)
	v_fmac_f32_e32 v4, v186, v138
	v_fmac_f32_e32 v4, v187, v139
	s_delay_alu instid0(VALU_DEP_1) | instskip(SKIP_1) | instid1(VALU_DEP_1)
	v_fmac_f32_e32 v4, v188, v140
	s_waitcnt vmcnt(1)
	v_fmac_f32_e32 v4, v189, v141
	s_waitcnt lgkmcnt(1)
	s_delay_alu instid0(VALU_DEP_1) | instskip(NEXT) | instid1(VALU_DEP_1)
	v_fmac_f32_e32 v4, v190, v134
	v_fmac_f32_e32 v4, v191, v135
	s_delay_alu instid0(VALU_DEP_1) | instskip(SKIP_1) | instid1(VALU_DEP_1)
	v_fmac_f32_e32 v4, v192, v136
	s_waitcnt vmcnt(0)
	v_fmac_f32_e32 v4, v201, v137
	s_waitcnt lgkmcnt(0)
	s_delay_alu instid0(VALU_DEP_1) | instskip(NEXT) | instid1(VALU_DEP_1)
	v_fmac_f32_e32 v4, v202, v2
	v_fmac_f32_e32 v4, v203, v3
	s_delay_alu instid0(VALU_DEP_1)
	v_sub_f32_e32 v2, v133, v4
	scratch_store_b32 off, v2, off offset:4
	v_cmpx_ne_u32_e32 0, v0
	s_cbranch_execz .LBB63_391
; %bb.390:
	scratch_load_b32 v0, off, off
	v_mov_b32_e32 v2, 0
	scratch_store_b32 off, v2, off
	s_waitcnt vmcnt(0)
	ds_store_b32 v1, v0
.LBB63_391:
	s_or_b32 exec_lo, exec_lo, s0
	s_waitcnt lgkmcnt(0)
	s_waitcnt_vscnt null, 0x0
	s_barrier
	buffer_gl0_inv
	s_clause 0xe
	scratch_load_b128 v[133:136], off, off
	scratch_load_b128 v[137:140], off, off offset:16
	scratch_load_b128 v[141:144], off, off offset:32
	;; [unrolled: 1-line block ×14, first 2 shown]
	v_mov_b32_e32 v4, 0
	scratch_load_b128 v[0:3], off, off offset:240
	s_and_b32 vcc_lo, exec_lo, s16
	ds_load_2addr_b32 v[193:194], v4 offset0:65 offset1:66
	s_waitcnt vmcnt(15) lgkmcnt(0)
	v_fma_f32 v193, v134, v193, 0
	s_delay_alu instid0(VALU_DEP_1)
	v_fmac_f32_e32 v193, v135, v194
	ds_load_2addr_b32 v[195:196], v4 offset0:67 offset1:68
	ds_load_2addr_b32 v[197:198], v4 offset0:69 offset1:70
	;; [unrolled: 1-line block ×4, first 2 shown]
	s_waitcnt lgkmcnt(3)
	v_fmac_f32_e32 v193, v136, v195
	s_waitcnt vmcnt(14)
	s_delay_alu instid0(VALU_DEP_1) | instskip(SKIP_3) | instid1(VALU_DEP_1)
	v_fmac_f32_e32 v193, v137, v196
	ds_load_2addr_b32 v[136:137], v4 offset0:75 offset1:76
	s_waitcnt lgkmcnt(3)
	v_fmac_f32_e32 v193, v138, v197
	v_fmac_f32_e32 v193, v139, v198
	s_waitcnt lgkmcnt(2)
	s_delay_alu instid0(VALU_DEP_1) | instskip(SKIP_1) | instid1(VALU_DEP_1)
	v_fmac_f32_e32 v193, v140, v199
	s_waitcnt vmcnt(13)
	v_fmac_f32_e32 v193, v141, v200
	ds_load_2addr_b32 v[138:139], v4 offset0:77 offset1:78
	ds_load_2addr_b32 v[140:141], v4 offset0:79 offset1:80
	s_waitcnt lgkmcnt(3)
	v_fmac_f32_e32 v193, v142, v134
	s_delay_alu instid0(VALU_DEP_1) | instskip(SKIP_4) | instid1(VALU_DEP_1)
	v_fmac_f32_e32 v193, v143, v135
	ds_load_2addr_b32 v[134:135], v4 offset0:81 offset1:82
	s_waitcnt lgkmcnt(3)
	v_fmac_f32_e32 v193, v144, v136
	s_waitcnt vmcnt(12)
	v_fmac_f32_e32 v193, v145, v137
	ds_load_2addr_b32 v[136:137], v4 offset0:83 offset1:84
	s_waitcnt lgkmcnt(3)
	v_fmac_f32_e32 v193, v146, v138
	s_delay_alu instid0(VALU_DEP_1) | instskip(SKIP_1) | instid1(VALU_DEP_1)
	v_fmac_f32_e32 v193, v147, v139
	s_waitcnt lgkmcnt(2)
	v_fmac_f32_e32 v193, v148, v140
	s_waitcnt vmcnt(11)
	s_delay_alu instid0(VALU_DEP_1) | instskip(SKIP_4) | instid1(VALU_DEP_1)
	v_fmac_f32_e32 v193, v149, v141
	ds_load_2addr_b32 v[138:139], v4 offset0:85 offset1:86
	ds_load_2addr_b32 v[140:141], v4 offset0:87 offset1:88
	s_waitcnt lgkmcnt(3)
	v_fmac_f32_e32 v193, v150, v134
	v_fmac_f32_e32 v193, v151, v135
	ds_load_2addr_b32 v[134:135], v4 offset0:89 offset1:90
	s_waitcnt lgkmcnt(3)
	v_fmac_f32_e32 v193, v152, v136
	s_waitcnt vmcnt(10)
	s_delay_alu instid0(VALU_DEP_1) | instskip(SKIP_3) | instid1(VALU_DEP_1)
	v_fmac_f32_e32 v193, v153, v137
	ds_load_2addr_b32 v[136:137], v4 offset0:91 offset1:92
	s_waitcnt lgkmcnt(3)
	v_fmac_f32_e32 v193, v154, v138
	v_fmac_f32_e32 v193, v155, v139
	s_waitcnt lgkmcnt(2)
	s_delay_alu instid0(VALU_DEP_1) | instskip(SKIP_1) | instid1(VALU_DEP_1)
	v_fmac_f32_e32 v193, v156, v140
	s_waitcnt vmcnt(9)
	v_fmac_f32_e32 v193, v157, v141
	ds_load_2addr_b32 v[138:139], v4 offset0:93 offset1:94
	ds_load_2addr_b32 v[140:141], v4 offset0:95 offset1:96
	s_waitcnt lgkmcnt(3)
	v_fmac_f32_e32 v193, v158, v134
	s_delay_alu instid0(VALU_DEP_1) | instskip(SKIP_4) | instid1(VALU_DEP_1)
	v_fmac_f32_e32 v193, v159, v135
	ds_load_2addr_b32 v[134:135], v4 offset0:97 offset1:98
	s_waitcnt lgkmcnt(3)
	v_fmac_f32_e32 v193, v160, v136
	s_waitcnt vmcnt(8)
	v_fmac_f32_e32 v193, v161, v137
	ds_load_2addr_b32 v[136:137], v4 offset0:99 offset1:100
	s_waitcnt lgkmcnt(3)
	v_fmac_f32_e32 v193, v162, v138
	s_delay_alu instid0(VALU_DEP_1) | instskip(SKIP_1) | instid1(VALU_DEP_1)
	v_fmac_f32_e32 v193, v163, v139
	s_waitcnt lgkmcnt(2)
	v_fmac_f32_e32 v193, v164, v140
	s_waitcnt vmcnt(7)
	s_delay_alu instid0(VALU_DEP_1) | instskip(SKIP_4) | instid1(VALU_DEP_1)
	v_fmac_f32_e32 v193, v165, v141
	ds_load_2addr_b32 v[138:139], v4 offset0:101 offset1:102
	ds_load_2addr_b32 v[140:141], v4 offset0:103 offset1:104
	s_waitcnt lgkmcnt(3)
	v_fmac_f32_e32 v193, v166, v134
	v_fmac_f32_e32 v193, v167, v135
	ds_load_2addr_b32 v[134:135], v4 offset0:105 offset1:106
	;; [unrolled: 41-line block ×3, first 2 shown]
	s_waitcnt lgkmcnt(3)
	v_fmac_f32_e32 v193, v184, v136
	s_waitcnt vmcnt(2)
	s_delay_alu instid0(VALU_DEP_1) | instskip(SKIP_3) | instid1(VALU_DEP_1)
	v_fmac_f32_e32 v193, v185, v137
	ds_load_2addr_b32 v[136:137], v4 offset0:123 offset1:124
	s_waitcnt lgkmcnt(3)
	v_fmac_f32_e32 v193, v186, v138
	v_fmac_f32_e32 v193, v187, v139
	ds_load_2addr_b32 v[138:139], v4 offset0:125 offset1:126
	ds_load_b32 v4, v4 offset:508
	s_waitcnt lgkmcnt(4)
	v_fmac_f32_e32 v193, v188, v140
	s_waitcnt vmcnt(1)
	s_delay_alu instid0(VALU_DEP_1) | instskip(SKIP_1) | instid1(VALU_DEP_1)
	v_fmac_f32_e32 v193, v189, v141
	s_waitcnt lgkmcnt(3)
	v_fmac_f32_e32 v193, v190, v134
	s_delay_alu instid0(VALU_DEP_1) | instskip(SKIP_1) | instid1(VALU_DEP_1)
	v_fmac_f32_e32 v193, v191, v135
	s_waitcnt lgkmcnt(2)
	v_fmac_f32_e32 v193, v192, v136
	s_waitcnt vmcnt(0)
	s_delay_alu instid0(VALU_DEP_1) | instskip(SKIP_1) | instid1(VALU_DEP_1)
	v_fmac_f32_e32 v193, v0, v137
	s_waitcnt lgkmcnt(1)
	v_fmac_f32_e32 v193, v1, v138
	s_delay_alu instid0(VALU_DEP_1) | instskip(SKIP_1) | instid1(VALU_DEP_1)
	v_fmac_f32_e32 v193, v2, v139
	s_waitcnt lgkmcnt(0)
	v_fmac_f32_e32 v193, v3, v4
	s_delay_alu instid0(VALU_DEP_1)
	v_sub_f32_e32 v0, v133, v193
	scratch_store_b32 off, v0, off
	s_cbranch_vccz .LBB63_519
; %bb.392:
	v_dual_mov_b32 v0, s12 :: v_dual_mov_b32 v1, s13
	s_mov_b32 s0, exec_lo
	flat_load_b32 v0, v[0:1] offset:248
	s_waitcnt vmcnt(0) lgkmcnt(0)
	v_cmpx_ne_u32_e32 63, v0
	s_cbranch_execz .LBB63_394
; %bb.393:
	v_lshl_add_u32 v0, v0, 2, 0
	scratch_load_b32 v1, v0, off offset:-4
	s_waitcnt vmcnt(0)
	scratch_store_b32 off, v1, off offset:248
	scratch_store_b32 v0, v2, off offset:-4
.LBB63_394:
	s_or_b32 exec_lo, exec_lo, s0
	v_dual_mov_b32 v0, s12 :: v_dual_mov_b32 v1, s13
	s_mov_b32 s0, exec_lo
	flat_load_b32 v0, v[0:1] offset:244
	s_waitcnt vmcnt(0) lgkmcnt(0)
	v_cmpx_ne_u32_e32 62, v0
	s_cbranch_execz .LBB63_396
; %bb.395:
	v_lshl_add_u32 v0, v0, 2, 0
	scratch_load_b32 v1, v0, off offset:-4
	scratch_load_b32 v2, off, off offset:244
	s_waitcnt vmcnt(1)
	scratch_store_b32 off, v1, off offset:244
	s_waitcnt vmcnt(0)
	scratch_store_b32 v0, v2, off offset:-4
.LBB63_396:
	s_or_b32 exec_lo, exec_lo, s0
	v_dual_mov_b32 v0, s12 :: v_dual_mov_b32 v1, s13
	s_mov_b32 s0, exec_lo
	flat_load_b32 v0, v[0:1] offset:240
	s_waitcnt vmcnt(0) lgkmcnt(0)
	v_cmpx_ne_u32_e32 61, v0
	s_cbranch_execz .LBB63_398
; %bb.397:
	v_lshl_add_u32 v0, v0, 2, 0
	scratch_load_b32 v1, v0, off offset:-4
	scratch_load_b32 v2, off, off offset:240
	s_waitcnt vmcnt(1)
	scratch_store_b32 off, v1, off offset:240
	s_waitcnt vmcnt(0)
	scratch_store_b32 v0, v2, off offset:-4
.LBB63_398:
	;; [unrolled: 16-line block ×61, first 2 shown]
	s_or_b32 exec_lo, exec_lo, s0
	v_dual_mov_b32 v0, s12 :: v_dual_mov_b32 v1, s13
	s_mov_b32 s0, exec_lo
	flat_load_b32 v1, v[0:1]
	scratch_load_b32 v0, off, off
	s_waitcnt vmcnt(1) lgkmcnt(0)
	v_cmpx_ne_u32_e32 1, v1
	s_cbranch_execz .LBB63_518
; %bb.517:
	v_lshl_add_u32 v1, v1, 2, 0
	scratch_load_b32 v2, v1, off offset:-4
	s_waitcnt vmcnt(0)
	scratch_store_b32 off, v2, off
	scratch_store_b32 v1, v0, off offset:-4
	scratch_load_b32 v0, off, off
.LBB63_518:
	s_or_b32 exec_lo, exec_lo, s0
.LBB63_519:
	s_clause 0xf
	scratch_load_b128 v[1:4], off, off offset:4
	scratch_load_b128 v[133:136], off, off offset:20
	;; [unrolled: 1-line block ×15, first 2 shown]
	scratch_load_b96 v[189:191], off, off offset:244
	s_waitcnt vmcnt(16)
	global_store_b32 v[5:6], v0, off
	s_waitcnt vmcnt(15)
	s_clause 0x3
	global_store_b32 v[7:8], v1, off
	global_store_b32 v[9:10], v2, off
	global_store_b32 v[11:12], v3, off
	global_store_b32 v[13:14], v4, off
	s_waitcnt vmcnt(14)
	s_clause 0x3
	global_store_b32 v[15:16], v133, off
	global_store_b32 v[17:18], v134, off
	global_store_b32 v[19:20], v135, off
	;; [unrolled: 6-line block ×16, first 2 shown]
	s_endpgm
	.section	.rodata,"a",@progbits
	.p2align	6, 0x0
	.amdhsa_kernel _ZN9rocsolver6v33100L18getri_kernel_smallILi64EfPfEEvT1_iilPiilS4_bb
		.amdhsa_group_segment_fixed_size 516
		.amdhsa_private_segment_fixed_size 272
		.amdhsa_kernarg_size 60
		.amdhsa_user_sgpr_count 15
		.amdhsa_user_sgpr_dispatch_ptr 0
		.amdhsa_user_sgpr_queue_ptr 0
		.amdhsa_user_sgpr_kernarg_segment_ptr 1
		.amdhsa_user_sgpr_dispatch_id 0
		.amdhsa_user_sgpr_private_segment_size 0
		.amdhsa_wavefront_size32 1
		.amdhsa_uses_dynamic_stack 0
		.amdhsa_enable_private_segment 1
		.amdhsa_system_sgpr_workgroup_id_x 1
		.amdhsa_system_sgpr_workgroup_id_y 0
		.amdhsa_system_sgpr_workgroup_id_z 0
		.amdhsa_system_sgpr_workgroup_info 0
		.amdhsa_system_vgpr_workitem_id 0
		.amdhsa_next_free_vgpr 204
		.amdhsa_next_free_sgpr 18
		.amdhsa_reserve_vcc 1
		.amdhsa_float_round_mode_32 0
		.amdhsa_float_round_mode_16_64 0
		.amdhsa_float_denorm_mode_32 3
		.amdhsa_float_denorm_mode_16_64 3
		.amdhsa_dx10_clamp 1
		.amdhsa_ieee_mode 1
		.amdhsa_fp16_overflow 0
		.amdhsa_workgroup_processor_mode 1
		.amdhsa_memory_ordered 1
		.amdhsa_forward_progress 0
		.amdhsa_shared_vgpr_count 0
		.amdhsa_exception_fp_ieee_invalid_op 0
		.amdhsa_exception_fp_denorm_src 0
		.amdhsa_exception_fp_ieee_div_zero 0
		.amdhsa_exception_fp_ieee_overflow 0
		.amdhsa_exception_fp_ieee_underflow 0
		.amdhsa_exception_fp_ieee_inexact 0
		.amdhsa_exception_int_div_zero 0
	.end_amdhsa_kernel
	.section	.text._ZN9rocsolver6v33100L18getri_kernel_smallILi64EfPfEEvT1_iilPiilS4_bb,"axG",@progbits,_ZN9rocsolver6v33100L18getri_kernel_smallILi64EfPfEEvT1_iilPiilS4_bb,comdat
.Lfunc_end63:
	.size	_ZN9rocsolver6v33100L18getri_kernel_smallILi64EfPfEEvT1_iilPiilS4_bb, .Lfunc_end63-_ZN9rocsolver6v33100L18getri_kernel_smallILi64EfPfEEvT1_iilPiilS4_bb
                                        ; -- End function
	.section	.AMDGPU.csdata,"",@progbits
; Kernel info:
; codeLenInByte = 53104
; NumSgprs: 20
; NumVgprs: 204
; ScratchSize: 272
; MemoryBound: 0
; FloatMode: 240
; IeeeMode: 1
; LDSByteSize: 516 bytes/workgroup (compile time only)
; SGPRBlocks: 2
; VGPRBlocks: 25
; NumSGPRsForWavesPerEU: 20
; NumVGPRsForWavesPerEU: 204
; Occupancy: 7
; WaveLimiterHint : 1
; COMPUTE_PGM_RSRC2:SCRATCH_EN: 1
; COMPUTE_PGM_RSRC2:USER_SGPR: 15
; COMPUTE_PGM_RSRC2:TRAP_HANDLER: 0
; COMPUTE_PGM_RSRC2:TGID_X_EN: 1
; COMPUTE_PGM_RSRC2:TGID_Y_EN: 0
; COMPUTE_PGM_RSRC2:TGID_Z_EN: 0
; COMPUTE_PGM_RSRC2:TIDIG_COMP_CNT: 0
	.section	.text._ZN9rocsolver6v33100L18getri_kernel_smallILi1EfPKPfEEvT1_iilPiilS6_bb,"axG",@progbits,_ZN9rocsolver6v33100L18getri_kernel_smallILi1EfPKPfEEvT1_iilPiilS6_bb,comdat
	.globl	_ZN9rocsolver6v33100L18getri_kernel_smallILi1EfPKPfEEvT1_iilPiilS6_bb ; -- Begin function _ZN9rocsolver6v33100L18getri_kernel_smallILi1EfPKPfEEvT1_iilPiilS6_bb
	.p2align	8
	.type	_ZN9rocsolver6v33100L18getri_kernel_smallILi1EfPKPfEEvT1_iilPiilS6_bb,@function
_ZN9rocsolver6v33100L18getri_kernel_smallILi1EfPKPfEEvT1_iilPiilS6_bb: ; @_ZN9rocsolver6v33100L18getri_kernel_smallILi1EfPKPfEEvT1_iilPiilS6_bb
; %bb.0:
	s_mov_b32 s8, 0
	s_mov_b32 s2, exec_lo
	v_cmpx_eq_u32_e32 0, v0
	s_cbranch_execz .LBB64_12
; %bb.1:
	s_clause 0x3
	s_load_b32 s2, s[0:1], 0x8
	s_load_b32 s5, s[0:1], 0x38
	s_load_b64 s[10:11], s[0:1], 0x0
	s_load_b64 s[6:7], s[0:1], 0x30
	s_mov_b32 s4, s15
	s_waitcnt lgkmcnt(0)
	s_ashr_i32 s3, s2, 31
	s_bitcmp1_b32 s5, 0
	s_cselect_b32 s9, -1, 0
	s_ashr_i32 s5, s15, 31
	s_delay_alu instid0(SALU_CYCLE_1) | instskip(NEXT) | instid1(SALU_CYCLE_1)
	s_lshl_b64 s[0:1], s[4:5], 3
	s_add_u32 s0, s10, s0
	s_addc_u32 s1, s11, s1
	s_lshl_b64 s[2:3], s[2:3], 2
	s_load_b64 s[0:1], s[0:1], 0x0
	s_waitcnt lgkmcnt(0)
	s_add_u32 s2, s0, s2
	s_addc_u32 s3, s1, s3
	s_and_b32 vcc_lo, exec_lo, s9
	s_load_b32 s1, s[2:3], 0x0
	s_cbranch_vccnz .LBB64_4
; %bb.2:
	s_lshl_b64 s[8:9], s[4:5], 2
	s_delay_alu instid0(SALU_CYCLE_1)
	s_add_u32 s8, s6, s8
	s_addc_u32 s9, s7, s9
	s_load_b32 s0, s[8:9], 0x0
	s_mov_b32 s8, -1
	s_waitcnt lgkmcnt(0)
	s_cmp_eq_u32 s0, 0
	s_cselect_b32 s0, -1, 0
	s_cbranch_execz .LBB64_5
; %bb.3:
	s_waitcnt lgkmcnt(0)
	v_mov_b32_e32 v0, s1
	s_and_b32 vcc_lo, exec_lo, s8
	s_cbranch_vccz .LBB64_12
	s_branch .LBB64_14
.LBB64_4:
                                        ; implicit-def: $sgpr0
.LBB64_5:
	s_waitcnt lgkmcnt(0)
	v_cmp_neq_f32_e64 s0, s1, 0
	v_mov_b32_e32 v0, 0
	s_delay_alu instid0(VALU_DEP_2)
	s_and_b32 vcc_lo, exec_lo, s0
	ds_store_b32 v0, v0
	s_waitcnt lgkmcnt(0)
	s_barrier
	buffer_gl0_inv
	s_cbranch_vccnz .LBB64_10
; %bb.6:
	ds_load_b32 v1, v0
	s_waitcnt lgkmcnt(0)
	v_cmp_ne_u32_e32 vcc_lo, 0, v1
	v_cmp_gt_i32_e64 s0, 2, v1
	s_delay_alu instid0(VALU_DEP_1) | instskip(NEXT) | instid1(SALU_CYCLE_1)
	s_and_b32 s0, vcc_lo, s0
	s_and_b32 vcc_lo, exec_lo, s0
	s_cbranch_vccnz .LBB64_10
; %bb.7:
	v_dual_mov_b32 v2, 1 :: v_dual_mov_b32 v3, 0
	s_mov_b32 s9, 0
.LBB64_8:                               ; =>This Inner Loop Header: Depth=1
	ds_cmpstore_rtn_b32 v1, v3, v2, v1
	s_waitcnt lgkmcnt(0)
	v_cmp_ne_u32_e32 vcc_lo, 0, v1
	v_cmp_gt_i32_e64 s0, 2, v1
	s_delay_alu instid0(VALU_DEP_1) | instskip(NEXT) | instid1(SALU_CYCLE_1)
	s_and_b32 s0, vcc_lo, s0
	s_and_b32 s0, exec_lo, s0
	s_delay_alu instid0(SALU_CYCLE_1) | instskip(NEXT) | instid1(SALU_CYCLE_1)
	s_or_b32 s9, s0, s9
	s_and_not1_b32 exec_lo, exec_lo, s9
	s_cbranch_execnz .LBB64_8
; %bb.9:
	s_or_b32 exec_lo, exec_lo, s9
.LBB64_10:
	s_barrier
	buffer_gl0_inv
	ds_load_b32 v1, v0
	s_lshl_b64 s[4:5], s[4:5], 2
	s_delay_alu instid0(SALU_CYCLE_1)
	s_add_u32 s4, s6, s4
	s_addc_u32 s5, s7, s5
	s_waitcnt lgkmcnt(0)
	v_cmp_ne_u32_e32 vcc_lo, 0, v1
	global_store_b32 v0, v1, s[4:5]
	s_cbranch_vccz .LBB64_13
; %bb.11:
                                        ; implicit-def: $vgpr0
                                        ; implicit-def: $sgpr0
	s_and_b32 vcc_lo, exec_lo, s8
	s_cbranch_vccnz .LBB64_14
.LBB64_12:
	s_nop 0
	s_sendmsg sendmsg(MSG_DEALLOC_VGPRS)
	s_endpgm
.LBB64_13:
	v_div_scale_f32 v0, null, s1, s1, 1.0
	s_mov_b32 s0, -1
	s_delay_alu instid0(VALU_DEP_1) | instskip(SKIP_2) | instid1(VALU_DEP_1)
	v_rcp_f32_e32 v1, v0
	s_waitcnt_depctr 0xfff
	v_fma_f32 v2, -v0, v1, 1.0
	v_fmac_f32_e32 v1, v2, v1
	v_div_scale_f32 v2, vcc_lo, 1.0, s1, 1.0
	s_delay_alu instid0(VALU_DEP_1) | instskip(NEXT) | instid1(VALU_DEP_1)
	v_mul_f32_e32 v3, v2, v1
	v_fma_f32 v4, -v0, v3, v2
	s_delay_alu instid0(VALU_DEP_1) | instskip(NEXT) | instid1(VALU_DEP_1)
	v_fmac_f32_e32 v3, v4, v1
	v_fma_f32 v0, -v0, v3, v2
	s_delay_alu instid0(VALU_DEP_1) | instskip(NEXT) | instid1(VALU_DEP_1)
	v_div_fmas_f32 v0, v0, v1, v3
	v_div_fixup_f32 v0, v0, s1, 1.0
	s_cbranch_execz .LBB64_12
.LBB64_14:
	s_and_not1_b32 vcc_lo, exec_lo, s0
	s_cbranch_vccnz .LBB64_12
; %bb.15:
	v_mov_b32_e32 v1, 0
	global_store_b32 v1, v0, s[2:3]
	s_nop 0
	s_sendmsg sendmsg(MSG_DEALLOC_VGPRS)
	s_endpgm
	.section	.rodata,"a",@progbits
	.p2align	6, 0x0
	.amdhsa_kernel _ZN9rocsolver6v33100L18getri_kernel_smallILi1EfPKPfEEvT1_iilPiilS6_bb
		.amdhsa_group_segment_fixed_size 4
		.amdhsa_private_segment_fixed_size 0
		.amdhsa_kernarg_size 60
		.amdhsa_user_sgpr_count 15
		.amdhsa_user_sgpr_dispatch_ptr 0
		.amdhsa_user_sgpr_queue_ptr 0
		.amdhsa_user_sgpr_kernarg_segment_ptr 1
		.amdhsa_user_sgpr_dispatch_id 0
		.amdhsa_user_sgpr_private_segment_size 0
		.amdhsa_wavefront_size32 1
		.amdhsa_uses_dynamic_stack 0
		.amdhsa_enable_private_segment 0
		.amdhsa_system_sgpr_workgroup_id_x 1
		.amdhsa_system_sgpr_workgroup_id_y 0
		.amdhsa_system_sgpr_workgroup_id_z 0
		.amdhsa_system_sgpr_workgroup_info 0
		.amdhsa_system_vgpr_workitem_id 0
		.amdhsa_next_free_vgpr 5
		.amdhsa_next_free_sgpr 16
		.amdhsa_reserve_vcc 1
		.amdhsa_float_round_mode_32 0
		.amdhsa_float_round_mode_16_64 0
		.amdhsa_float_denorm_mode_32 3
		.amdhsa_float_denorm_mode_16_64 3
		.amdhsa_dx10_clamp 1
		.amdhsa_ieee_mode 1
		.amdhsa_fp16_overflow 0
		.amdhsa_workgroup_processor_mode 1
		.amdhsa_memory_ordered 1
		.amdhsa_forward_progress 0
		.amdhsa_shared_vgpr_count 0
		.amdhsa_exception_fp_ieee_invalid_op 0
		.amdhsa_exception_fp_denorm_src 0
		.amdhsa_exception_fp_ieee_div_zero 0
		.amdhsa_exception_fp_ieee_overflow 0
		.amdhsa_exception_fp_ieee_underflow 0
		.amdhsa_exception_fp_ieee_inexact 0
		.amdhsa_exception_int_div_zero 0
	.end_amdhsa_kernel
	.section	.text._ZN9rocsolver6v33100L18getri_kernel_smallILi1EfPKPfEEvT1_iilPiilS6_bb,"axG",@progbits,_ZN9rocsolver6v33100L18getri_kernel_smallILi1EfPKPfEEvT1_iilPiilS6_bb,comdat
.Lfunc_end64:
	.size	_ZN9rocsolver6v33100L18getri_kernel_smallILi1EfPKPfEEvT1_iilPiilS6_bb, .Lfunc_end64-_ZN9rocsolver6v33100L18getri_kernel_smallILi1EfPKPfEEvT1_iilPiilS6_bb
                                        ; -- End function
	.section	.AMDGPU.csdata,"",@progbits
; Kernel info:
; codeLenInByte = 564
; NumSgprs: 18
; NumVgprs: 5
; ScratchSize: 0
; MemoryBound: 0
; FloatMode: 240
; IeeeMode: 1
; LDSByteSize: 4 bytes/workgroup (compile time only)
; SGPRBlocks: 2
; VGPRBlocks: 0
; NumSGPRsForWavesPerEU: 18
; NumVGPRsForWavesPerEU: 5
; Occupancy: 16
; WaveLimiterHint : 1
; COMPUTE_PGM_RSRC2:SCRATCH_EN: 0
; COMPUTE_PGM_RSRC2:USER_SGPR: 15
; COMPUTE_PGM_RSRC2:TRAP_HANDLER: 0
; COMPUTE_PGM_RSRC2:TGID_X_EN: 1
; COMPUTE_PGM_RSRC2:TGID_Y_EN: 0
; COMPUTE_PGM_RSRC2:TGID_Z_EN: 0
; COMPUTE_PGM_RSRC2:TIDIG_COMP_CNT: 0
	.section	.text._ZN9rocsolver6v33100L18getri_kernel_smallILi2EfPKPfEEvT1_iilPiilS6_bb,"axG",@progbits,_ZN9rocsolver6v33100L18getri_kernel_smallILi2EfPKPfEEvT1_iilPiilS6_bb,comdat
	.globl	_ZN9rocsolver6v33100L18getri_kernel_smallILi2EfPKPfEEvT1_iilPiilS6_bb ; -- Begin function _ZN9rocsolver6v33100L18getri_kernel_smallILi2EfPKPfEEvT1_iilPiilS6_bb
	.p2align	8
	.type	_ZN9rocsolver6v33100L18getri_kernel_smallILi2EfPKPfEEvT1_iilPiilS6_bb,@function
_ZN9rocsolver6v33100L18getri_kernel_smallILi2EfPKPfEEvT1_iilPiilS6_bb: ; @_ZN9rocsolver6v33100L18getri_kernel_smallILi2EfPKPfEEvT1_iilPiilS6_bb
; %bb.0:
	s_mov_b32 s3, exec_lo
	v_cmpx_gt_u32_e32 2, v0
	s_cbranch_execz .LBB65_16
; %bb.1:
	s_clause 0x1
	s_load_b32 s13, s[0:1], 0x38
	s_load_b64 s[8:9], s[0:1], 0x0
	s_mov_b32 s2, s15
	s_load_b128 s[4:7], s[0:1], 0x28
	s_waitcnt lgkmcnt(0)
	s_bitcmp1_b32 s13, 8
	s_cselect_b32 s12, -1, 0
	s_ashr_i32 s3, s15, 31
	s_delay_alu instid0(SALU_CYCLE_1) | instskip(NEXT) | instid1(SALU_CYCLE_1)
	s_lshl_b64 s[10:11], s[2:3], 3
	s_add_u32 s8, s8, s10
	s_addc_u32 s9, s9, s11
	s_load_b64 s[10:11], s[8:9], 0x0
	s_bfe_u32 s8, s13, 0x10008
	s_delay_alu instid0(SALU_CYCLE_1)
	s_cmp_eq_u32 s8, 0
                                        ; implicit-def: $sgpr8_sgpr9
	s_cbranch_scc1 .LBB65_3
; %bb.2:
	s_clause 0x1
	s_load_b32 s8, s[0:1], 0x20
	s_load_b64 s[14:15], s[0:1], 0x18
	s_mul_i32 s5, s2, s5
	s_mul_hi_u32 s9, s2, s4
	s_mul_i32 s16, s3, s4
	s_add_i32 s5, s9, s5
	s_mul_i32 s4, s2, s4
	s_add_i32 s5, s5, s16
	s_delay_alu instid0(SALU_CYCLE_1)
	s_lshl_b64 s[4:5], s[4:5], 2
	s_waitcnt lgkmcnt(0)
	s_ashr_i32 s9, s8, 31
	s_add_u32 s14, s14, s4
	s_addc_u32 s15, s15, s5
	s_lshl_b64 s[4:5], s[8:9], 2
	s_delay_alu instid0(SALU_CYCLE_1)
	s_add_u32 s8, s14, s4
	s_addc_u32 s9, s15, s5
.LBB65_3:
	s_load_b64 s[0:1], s[0:1], 0x8
	v_lshlrev_b32_e32 v7, 2, v0
	s_waitcnt lgkmcnt(0)
	s_ashr_i32 s5, s0, 31
	s_mov_b32 s4, s0
	s_mov_b32 s0, s1
	s_lshl_b64 s[4:5], s[4:5], 2
	s_delay_alu instid0(SALU_CYCLE_1)
	s_add_u32 s4, s10, s4
	s_addc_u32 s5, s11, s5
	v_add_co_u32 v1, s10, s4, v7
	s_ashr_i32 s1, s1, 31
	v_add_co_ci_u32_e64 v2, null, s5, 0, s10
	s_lshl_b64 s[0:1], s[0:1], 2
	s_bitcmp0_b32 s13, 0
	v_add_co_u32 v3, vcc_lo, v1, s0
	s_delay_alu instid0(VALU_DEP_2)
	v_add_co_ci_u32_e32 v4, vcc_lo, s1, v2, vcc_lo
	s_clause 0x1
	global_load_b32 v5, v7, s[4:5]
	global_load_b32 v6, v[3:4], off
	s_mov_b32 s0, -1
	s_cbranch_scc1 .LBB65_14
; %bb.4:
	v_cmp_eq_u32_e64 s0, 0, v0
	s_delay_alu instid0(VALU_DEP_1)
	s_and_saveexec_b32 s1, s0
	s_cbranch_execz .LBB65_6
; %bb.5:
	v_mov_b32_e32 v8, 0
	ds_store_b32 v8, v8 offset:16
.LBB65_6:
	s_or_b32 exec_lo, exec_lo, s1
	v_cmp_eq_u32_e32 vcc_lo, 1, v0
	s_mov_b32 s4, exec_lo
	s_waitcnt vmcnt(0) lgkmcnt(0)
	s_barrier
	buffer_gl0_inv
	v_cndmask_b32_e32 v8, v5, v6, vcc_lo
	s_delay_alu instid0(VALU_DEP_1)
	v_cmpx_eq_f32_e32 0, v8
	s_cbranch_execz .LBB65_10
; %bb.7:
	v_mov_b32_e32 v9, 0
	ds_load_b32 v10, v9 offset:16
	s_waitcnt lgkmcnt(0)
	v_readfirstlane_b32 s1, v10
	v_add_nc_u32_e32 v10, 1, v0
	s_delay_alu instid0(VALU_DEP_2) | instskip(NEXT) | instid1(VALU_DEP_1)
	s_cmp_eq_u32 s1, 0
	v_cmp_gt_i32_e32 vcc_lo, s1, v10
	s_cselect_b32 s5, -1, 0
	s_delay_alu instid0(SALU_CYCLE_1) | instskip(NEXT) | instid1(SALU_CYCLE_1)
	s_or_b32 s5, s5, vcc_lo
	s_and_b32 exec_lo, exec_lo, s5
	s_cbranch_execz .LBB65_10
; %bb.8:
	v_mov_b32_e32 v11, s1
	s_mov_b32 s5, 0
.LBB65_9:                               ; =>This Inner Loop Header: Depth=1
	ds_cmpstore_rtn_b32 v11, v9, v10, v11 offset:16
	s_waitcnt lgkmcnt(0)
	v_cmp_ne_u32_e32 vcc_lo, 0, v11
	v_cmp_le_i32_e64 s1, v11, v10
	s_delay_alu instid0(VALU_DEP_1) | instskip(NEXT) | instid1(SALU_CYCLE_1)
	s_and_b32 s1, vcc_lo, s1
	s_and_b32 s1, exec_lo, s1
	s_delay_alu instid0(SALU_CYCLE_1) | instskip(NEXT) | instid1(SALU_CYCLE_1)
	s_or_b32 s5, s1, s5
	s_and_not1_b32 exec_lo, exec_lo, s5
	s_cbranch_execnz .LBB65_9
.LBB65_10:
	s_or_b32 exec_lo, exec_lo, s4
	v_mov_b32_e32 v9, 0
	s_barrier
	buffer_gl0_inv
	ds_load_b32 v10, v9 offset:16
	s_and_saveexec_b32 s1, s0
	s_cbranch_execz .LBB65_12
; %bb.11:
	s_lshl_b64 s[4:5], s[2:3], 2
	s_delay_alu instid0(SALU_CYCLE_1)
	s_add_u32 s4, s6, s4
	s_addc_u32 s5, s7, s5
	s_waitcnt lgkmcnt(0)
	global_store_b32 v9, v10, s[4:5]
.LBB65_12:
	s_or_b32 exec_lo, exec_lo, s1
	s_waitcnt lgkmcnt(0)
	v_cmp_ne_u32_e32 vcc_lo, 0, v10
	s_cbranch_vccz .LBB65_17
; %bb.13:
	s_mov_b32 s0, 0
                                        ; implicit-def: $vgpr5_vgpr6
.LBB65_14:
	s_delay_alu instid0(SALU_CYCLE_1)
	s_and_b32 vcc_lo, exec_lo, s0
	s_cbranch_vccz .LBB65_16
.LBB65_15:
	s_lshl_b64 s[0:1], s[2:3], 2
	v_mov_b32_e32 v7, 0
	s_add_u32 s0, s6, s0
	s_addc_u32 s1, s7, s1
	global_load_b32 v7, v7, s[0:1]
	s_waitcnt vmcnt(0)
	v_cmp_ne_u32_e32 vcc_lo, 0, v7
	s_cbranch_vccz .LBB65_18
.LBB65_16:
	s_nop 0
	s_sendmsg sendmsg(MSG_DEALLOC_VGPRS)
	s_endpgm
.LBB65_17:
	v_div_scale_f32 v9, null, v8, v8, 1.0
	v_div_scale_f32 v12, vcc_lo, 1.0, v8, 1.0
	s_delay_alu instid0(VALU_DEP_2) | instskip(SKIP_2) | instid1(VALU_DEP_1)
	v_rcp_f32_e32 v10, v9
	s_waitcnt_depctr 0xfff
	v_fma_f32 v11, -v9, v10, 1.0
	v_fmac_f32_e32 v10, v11, v10
	s_delay_alu instid0(VALU_DEP_1) | instskip(NEXT) | instid1(VALU_DEP_1)
	v_mul_f32_e32 v11, v12, v10
	v_fma_f32 v13, -v9, v11, v12
	s_delay_alu instid0(VALU_DEP_1) | instskip(NEXT) | instid1(VALU_DEP_1)
	v_fmac_f32_e32 v11, v13, v10
	v_fma_f32 v9, -v9, v11, v12
	s_delay_alu instid0(VALU_DEP_1) | instskip(SKIP_2) | instid1(VALU_DEP_3)
	v_div_fmas_f32 v9, v9, v10, v11
	v_mov_b32_e32 v10, 0
	v_cmp_eq_u32_e32 vcc_lo, 1, v0
	v_div_fixup_f32 v8, v9, v8, 1.0
	s_delay_alu instid0(VALU_DEP_1)
	v_cndmask_b32_e32 v9, v6, v8, vcc_lo
	v_xor_b32_e32 v6, 0x80000000, v8
	v_cmp_eq_u32_e32 vcc_lo, 0, v0
	ds_store_2addr_b32 v7, v6, v9 offset1:2
	s_waitcnt lgkmcnt(0)
	s_waitcnt_vscnt null, 0x0
	s_barrier
	buffer_gl0_inv
	ds_load_2addr_b32 v[6:7], v10 offset0:1 offset1:2
	v_cndmask_b32_e32 v5, v5, v8, vcc_lo
	s_waitcnt lgkmcnt(0)
	s_barrier
	buffer_gl0_inv
	v_fma_f32 v7, v5, v7, 0
	s_delay_alu instid0(VALU_DEP_1) | instskip(NEXT) | instid1(VALU_DEP_1)
	v_mul_f32_e32 v6, v7, v6
	v_cndmask_b32_e64 v6, v9, v6, s0
	s_cbranch_execnz .LBB65_15
	s_branch .LBB65_16
.LBB65_18:
	s_mov_b32 s0, exec_lo
	v_cmpx_eq_u32_e32 1, v0
	s_cbranch_execz .LBB65_20
; %bb.19:
	v_dual_mov_b32 v7, 0 :: v_dual_mov_b32 v8, v6
	ds_store_b32 v7, v5 offset:12
	v_dual_mov_b32 v5, v7 :: v_dual_mov_b32 v6, v8
.LBB65_20:
	s_or_b32 exec_lo, exec_lo, s0
	v_mov_b32_e32 v0, 0
	s_waitcnt lgkmcnt(0)
	s_waitcnt_vscnt null, 0x0
	s_barrier
	buffer_gl0_inv
	s_and_not1_b32 vcc_lo, exec_lo, s12
	ds_load_b32 v0, v0 offset:12
	s_waitcnt lgkmcnt(0)
	v_fma_f32 v0, v6, v0, 0
	s_delay_alu instid0(VALU_DEP_1)
	v_sub_f32_e32 v5, v5, v0
	s_cbranch_vccnz .LBB65_22
; %bb.21:
	v_dual_mov_b32 v7, s8 :: v_dual_mov_b32 v8, s9
	flat_load_b32 v0, v[7:8]
	s_waitcnt vmcnt(0) lgkmcnt(0)
	v_add_nc_u32_e32 v0, -1, v0
	s_delay_alu instid0(VALU_DEP_1) | instskip(SKIP_2) | instid1(VALU_DEP_2)
	v_cmp_eq_u32_e32 vcc_lo, 1, v0
	v_dual_cndmask_b32 v7, v5, v6 :: v_dual_cndmask_b32 v8, v6, v5
	v_cmp_eq_u32_e32 vcc_lo, 0, v0
	v_cndmask_b32_e32 v0, v7, v5, vcc_lo
	s_delay_alu instid0(VALU_DEP_3) | instskip(NEXT) | instid1(VALU_DEP_2)
	v_cndmask_b32_e32 v6, v8, v6, vcc_lo
	v_cndmask_b32_e32 v5, v0, v5, vcc_lo
.LBB65_22:
	s_clause 0x1
	global_store_b32 v[1:2], v5, off
	global_store_b32 v[3:4], v6, off
	s_nop 0
	s_sendmsg sendmsg(MSG_DEALLOC_VGPRS)
	s_endpgm
	.section	.rodata,"a",@progbits
	.p2align	6, 0x0
	.amdhsa_kernel _ZN9rocsolver6v33100L18getri_kernel_smallILi2EfPKPfEEvT1_iilPiilS6_bb
		.amdhsa_group_segment_fixed_size 20
		.amdhsa_private_segment_fixed_size 0
		.amdhsa_kernarg_size 60
		.amdhsa_user_sgpr_count 15
		.amdhsa_user_sgpr_dispatch_ptr 0
		.amdhsa_user_sgpr_queue_ptr 0
		.amdhsa_user_sgpr_kernarg_segment_ptr 1
		.amdhsa_user_sgpr_dispatch_id 0
		.amdhsa_user_sgpr_private_segment_size 0
		.amdhsa_wavefront_size32 1
		.amdhsa_uses_dynamic_stack 0
		.amdhsa_enable_private_segment 0
		.amdhsa_system_sgpr_workgroup_id_x 1
		.amdhsa_system_sgpr_workgroup_id_y 0
		.amdhsa_system_sgpr_workgroup_id_z 0
		.amdhsa_system_sgpr_workgroup_info 0
		.amdhsa_system_vgpr_workitem_id 0
		.amdhsa_next_free_vgpr 14
		.amdhsa_next_free_sgpr 17
		.amdhsa_reserve_vcc 1
		.amdhsa_float_round_mode_32 0
		.amdhsa_float_round_mode_16_64 0
		.amdhsa_float_denorm_mode_32 3
		.amdhsa_float_denorm_mode_16_64 3
		.amdhsa_dx10_clamp 1
		.amdhsa_ieee_mode 1
		.amdhsa_fp16_overflow 0
		.amdhsa_workgroup_processor_mode 1
		.amdhsa_memory_ordered 1
		.amdhsa_forward_progress 0
		.amdhsa_shared_vgpr_count 0
		.amdhsa_exception_fp_ieee_invalid_op 0
		.amdhsa_exception_fp_denorm_src 0
		.amdhsa_exception_fp_ieee_div_zero 0
		.amdhsa_exception_fp_ieee_overflow 0
		.amdhsa_exception_fp_ieee_underflow 0
		.amdhsa_exception_fp_ieee_inexact 0
		.amdhsa_exception_int_div_zero 0
	.end_amdhsa_kernel
	.section	.text._ZN9rocsolver6v33100L18getri_kernel_smallILi2EfPKPfEEvT1_iilPiilS6_bb,"axG",@progbits,_ZN9rocsolver6v33100L18getri_kernel_smallILi2EfPKPfEEvT1_iilPiilS6_bb,comdat
.Lfunc_end65:
	.size	_ZN9rocsolver6v33100L18getri_kernel_smallILi2EfPKPfEEvT1_iilPiilS6_bb, .Lfunc_end65-_ZN9rocsolver6v33100L18getri_kernel_smallILi2EfPKPfEEvT1_iilPiilS6_bb
                                        ; -- End function
	.section	.AMDGPU.csdata,"",@progbits
; Kernel info:
; codeLenInByte = 1040
; NumSgprs: 19
; NumVgprs: 14
; ScratchSize: 0
; MemoryBound: 0
; FloatMode: 240
; IeeeMode: 1
; LDSByteSize: 20 bytes/workgroup (compile time only)
; SGPRBlocks: 2
; VGPRBlocks: 1
; NumSGPRsForWavesPerEU: 19
; NumVGPRsForWavesPerEU: 14
; Occupancy: 16
; WaveLimiterHint : 1
; COMPUTE_PGM_RSRC2:SCRATCH_EN: 0
; COMPUTE_PGM_RSRC2:USER_SGPR: 15
; COMPUTE_PGM_RSRC2:TRAP_HANDLER: 0
; COMPUTE_PGM_RSRC2:TGID_X_EN: 1
; COMPUTE_PGM_RSRC2:TGID_Y_EN: 0
; COMPUTE_PGM_RSRC2:TGID_Z_EN: 0
; COMPUTE_PGM_RSRC2:TIDIG_COMP_CNT: 0
	.section	.text._ZN9rocsolver6v33100L18getri_kernel_smallILi3EfPKPfEEvT1_iilPiilS6_bb,"axG",@progbits,_ZN9rocsolver6v33100L18getri_kernel_smallILi3EfPKPfEEvT1_iilPiilS6_bb,comdat
	.globl	_ZN9rocsolver6v33100L18getri_kernel_smallILi3EfPKPfEEvT1_iilPiilS6_bb ; -- Begin function _ZN9rocsolver6v33100L18getri_kernel_smallILi3EfPKPfEEvT1_iilPiilS6_bb
	.p2align	8
	.type	_ZN9rocsolver6v33100L18getri_kernel_smallILi3EfPKPfEEvT1_iilPiilS6_bb,@function
_ZN9rocsolver6v33100L18getri_kernel_smallILi3EfPKPfEEvT1_iilPiilS6_bb: ; @_ZN9rocsolver6v33100L18getri_kernel_smallILi3EfPKPfEEvT1_iilPiilS6_bb
; %bb.0:
	s_mov_b32 s2, exec_lo
	v_cmpx_gt_u32_e32 3, v0
	s_cbranch_execz .LBB66_16
; %bb.1:
	s_clause 0x1
	s_load_b32 s13, s[0:1], 0x38
	s_load_b64 s[2:3], s[0:1], 0x0
	s_mov_b32 s8, s15
	s_load_b128 s[4:7], s[0:1], 0x28
	s_waitcnt lgkmcnt(0)
	s_bitcmp1_b32 s13, 8
	s_cselect_b32 s12, -1, 0
	s_ashr_i32 s9, s15, 31
	s_delay_alu instid0(SALU_CYCLE_1) | instskip(NEXT) | instid1(SALU_CYCLE_1)
	s_lshl_b64 s[10:11], s[8:9], 3
	s_add_u32 s2, s2, s10
	s_addc_u32 s3, s3, s11
	s_load_b64 s[10:11], s[2:3], 0x0
	s_bfe_u32 s2, s13, 0x10008
	s_delay_alu instid0(SALU_CYCLE_1)
	s_cmp_eq_u32 s2, 0
                                        ; implicit-def: $sgpr2_sgpr3
	s_cbranch_scc1 .LBB66_3
; %bb.2:
	s_clause 0x1
	s_load_b32 s2, s[0:1], 0x20
	s_load_b64 s[14:15], s[0:1], 0x18
	s_mul_i32 s3, s8, s5
	s_mul_hi_u32 s5, s8, s4
	s_mul_i32 s16, s9, s4
	s_add_i32 s3, s5, s3
	s_mul_i32 s4, s8, s4
	s_add_i32 s5, s3, s16
	s_delay_alu instid0(SALU_CYCLE_1)
	s_lshl_b64 s[4:5], s[4:5], 2
	s_waitcnt lgkmcnt(0)
	s_ashr_i32 s3, s2, 31
	s_add_u32 s4, s14, s4
	s_addc_u32 s5, s15, s5
	s_lshl_b64 s[2:3], s[2:3], 2
	s_delay_alu instid0(SALU_CYCLE_1)
	s_add_u32 s2, s4, s2
	s_addc_u32 s3, s5, s3
.LBB66_3:
	s_load_b64 s[0:1], s[0:1], 0x8
	v_lshlrev_b32_e32 v10, 2, v0
	s_waitcnt lgkmcnt(0)
	v_add3_u32 v1, s1, s1, v0
	s_ashr_i32 s5, s0, 31
	s_mov_b32 s4, s0
	s_mov_b32 s0, s1
	s_lshl_b64 s[4:5], s[4:5], 2
	v_ashrrev_i32_e32 v2, 31, v1
	s_add_u32 s4, s10, s4
	s_addc_u32 s5, s11, s5
	v_add_co_u32 v4, s10, s4, v10
	s_ashr_i32 s1, s1, 31
	v_add_co_ci_u32_e64 v5, null, s5, 0, s10
	v_lshlrev_b64 v[1:2], 2, v[1:2]
	s_lshl_b64 s[0:1], s[0:1], 2
	s_bitcmp0_b32 s13, 0
	v_add_co_u32 v6, vcc_lo, v4, s0
	v_add_co_ci_u32_e32 v7, vcc_lo, s1, v5, vcc_lo
	s_delay_alu instid0(VALU_DEP_3)
	v_add_co_u32 v8, vcc_lo, s4, v1
	v_add_co_ci_u32_e32 v9, vcc_lo, s5, v2, vcc_lo
	s_clause 0x2
	global_load_b32 v2, v[6:7], off
	global_load_b32 v1, v10, s[4:5]
	global_load_b32 v3, v[8:9], off
	s_mov_b32 s0, -1
	s_cbranch_scc1 .LBB66_14
; %bb.4:
	v_cmp_eq_u32_e64 s0, 0, v0
	s_delay_alu instid0(VALU_DEP_1)
	s_and_saveexec_b32 s1, s0
	s_cbranch_execz .LBB66_6
; %bb.5:
	v_mov_b32_e32 v11, 0
	ds_store_b32 v11, v11 offset:12
.LBB66_6:
	s_or_b32 exec_lo, exec_lo, s1
	v_cmp_eq_u32_e32 vcc_lo, 1, v0
	s_mov_b32 s4, exec_lo
	s_waitcnt vmcnt(0) lgkmcnt(0)
	s_barrier
	buffer_gl0_inv
	v_cndmask_b32_e32 v11, v1, v2, vcc_lo
	v_cmp_eq_u32_e32 vcc_lo, 2, v0
	s_delay_alu instid0(VALU_DEP_2) | instskip(NEXT) | instid1(VALU_DEP_1)
	v_cndmask_b32_e32 v11, v11, v3, vcc_lo
	v_cmpx_eq_f32_e32 0, v11
	s_cbranch_execz .LBB66_10
; %bb.7:
	v_mov_b32_e32 v12, 0
	ds_load_b32 v13, v12 offset:12
	s_waitcnt lgkmcnt(0)
	v_readfirstlane_b32 s1, v13
	v_add_nc_u32_e32 v13, 1, v0
	s_delay_alu instid0(VALU_DEP_2) | instskip(NEXT) | instid1(VALU_DEP_1)
	s_cmp_eq_u32 s1, 0
	v_cmp_gt_i32_e32 vcc_lo, s1, v13
	s_cselect_b32 s5, -1, 0
	s_delay_alu instid0(SALU_CYCLE_1) | instskip(NEXT) | instid1(SALU_CYCLE_1)
	s_or_b32 s5, s5, vcc_lo
	s_and_b32 exec_lo, exec_lo, s5
	s_cbranch_execz .LBB66_10
; %bb.8:
	v_mov_b32_e32 v14, s1
	s_mov_b32 s5, 0
.LBB66_9:                               ; =>This Inner Loop Header: Depth=1
	ds_cmpstore_rtn_b32 v14, v12, v13, v14 offset:12
	s_waitcnt lgkmcnt(0)
	v_cmp_ne_u32_e32 vcc_lo, 0, v14
	v_cmp_le_i32_e64 s1, v14, v13
	s_delay_alu instid0(VALU_DEP_1) | instskip(NEXT) | instid1(SALU_CYCLE_1)
	s_and_b32 s1, vcc_lo, s1
	s_and_b32 s1, exec_lo, s1
	s_delay_alu instid0(SALU_CYCLE_1) | instskip(NEXT) | instid1(SALU_CYCLE_1)
	s_or_b32 s5, s1, s5
	s_and_not1_b32 exec_lo, exec_lo, s5
	s_cbranch_execnz .LBB66_9
.LBB66_10:
	s_or_b32 exec_lo, exec_lo, s4
	v_mov_b32_e32 v12, 0
	s_barrier
	buffer_gl0_inv
	ds_load_b32 v13, v12 offset:12
	s_and_saveexec_b32 s1, s0
	s_cbranch_execz .LBB66_12
; %bb.11:
	s_lshl_b64 s[4:5], s[8:9], 2
	s_delay_alu instid0(SALU_CYCLE_1)
	s_add_u32 s4, s6, s4
	s_addc_u32 s5, s7, s5
	s_waitcnt lgkmcnt(0)
	global_store_b32 v12, v13, s[4:5]
.LBB66_12:
	s_or_b32 exec_lo, exec_lo, s1
	s_waitcnt lgkmcnt(0)
	v_cmp_ne_u32_e32 vcc_lo, 0, v13
	s_cbranch_vccz .LBB66_17
; %bb.13:
	s_mov_b32 s0, 0
                                        ; implicit-def: $vgpr1_vgpr2_vgpr3
.LBB66_14:
	s_delay_alu instid0(SALU_CYCLE_1)
	s_and_b32 vcc_lo, exec_lo, s0
	s_cbranch_vccz .LBB66_16
.LBB66_15:
	s_lshl_b64 s[0:1], s[8:9], 2
	v_mov_b32_e32 v10, 0
	s_add_u32 s0, s6, s0
	s_addc_u32 s1, s7, s1
	global_load_b32 v10, v10, s[0:1]
	s_waitcnt vmcnt(0)
	v_cmp_ne_u32_e32 vcc_lo, 0, v10
	s_cbranch_vccz .LBB66_22
.LBB66_16:
	s_nop 0
	s_sendmsg sendmsg(MSG_DEALLOC_VGPRS)
	s_endpgm
.LBB66_17:
	v_div_scale_f32 v12, null, v11, v11, 1.0
	v_div_scale_f32 v15, vcc_lo, 1.0, v11, 1.0
	s_delay_alu instid0(VALU_DEP_2) | instskip(SKIP_2) | instid1(VALU_DEP_1)
	v_rcp_f32_e32 v13, v12
	s_waitcnt_depctr 0xfff
	v_fma_f32 v14, -v12, v13, 1.0
	v_fmac_f32_e32 v13, v14, v13
	s_delay_alu instid0(VALU_DEP_1) | instskip(NEXT) | instid1(VALU_DEP_1)
	v_mul_f32_e32 v14, v15, v13
	v_fma_f32 v16, -v12, v14, v15
	s_delay_alu instid0(VALU_DEP_1) | instskip(NEXT) | instid1(VALU_DEP_1)
	v_fmac_f32_e32 v14, v16, v13
	v_fma_f32 v12, -v12, v14, v15
	s_delay_alu instid0(VALU_DEP_1) | instskip(SKIP_1) | instid1(VALU_DEP_2)
	v_div_fmas_f32 v12, v12, v13, v14
	v_cmp_eq_u32_e32 vcc_lo, 1, v0
	v_div_fixup_f32 v12, v12, v11, 1.0
	s_delay_alu instid0(VALU_DEP_1)
	v_dual_cndmask_b32 v2, v2, v12 :: v_dual_add_nc_u32 v11, 16, v10
	v_cmp_eq_u32_e32 vcc_lo, 2, v0
	v_xor_b32_e32 v13, 0x80000000, v12
	v_cndmask_b32_e32 v3, v3, v12, vcc_lo
	v_cmp_eq_u32_e32 vcc_lo, 0, v0
	ds_store_2addr_b32 v10, v13, v2 offset1:4
	s_waitcnt lgkmcnt(0)
	s_waitcnt_vscnt null, 0x0
	s_barrier
	buffer_gl0_inv
	v_cndmask_b32_e32 v1, v1, v12, vcc_lo
	s_and_saveexec_b32 s1, s0
	s_cbranch_execz .LBB66_19
; %bb.18:
	v_mov_b32_e32 v2, 0
	ds_load_b32 v10, v11
	ds_load_b32 v2, v2 offset:4
	s_waitcnt lgkmcnt(1)
	v_fma_f32 v10, v12, v10, 0
	s_waitcnt lgkmcnt(0)
	s_delay_alu instid0(VALU_DEP_1)
	v_mul_f32_e32 v2, v10, v2
.LBB66_19:
	s_or_b32 exec_lo, exec_lo, s1
	s_delay_alu instid0(SALU_CYCLE_1)
	s_mov_b32 s1, exec_lo
	s_barrier
	buffer_gl0_inv
	ds_store_b32 v11, v3
	s_waitcnt lgkmcnt(0)
	s_barrier
	buffer_gl0_inv
	v_cmpx_ne_u32_e32 2, v0
	s_cbranch_execz .LBB66_21
; %bb.20:
	ds_load_b32 v12, v11
	v_cmp_eq_u32_e32 vcc_lo, 1, v0
	v_dual_mov_b32 v10, 0 :: v_dual_cndmask_b32 v13, v1, v2
	ds_load_2addr_b32 v[10:11], v10 offset0:2 offset1:5
	v_cmp_eq_u32_e32 vcc_lo, 2, v0
	v_cndmask_b32_e32 v3, v13, v3, vcc_lo
	s_waitcnt lgkmcnt(1)
	s_delay_alu instid0(VALU_DEP_1) | instskip(SKIP_1) | instid1(VALU_DEP_1)
	v_fma_f32 v3, v3, v12, 0
	s_waitcnt lgkmcnt(0)
	v_fma_f32 v11, v2, v11, v3
	s_delay_alu instid0(VALU_DEP_1) | instskip(NEXT) | instid1(VALU_DEP_1)
	v_cndmask_b32_e64 v3, v3, v11, s0
	v_mul_f32_e32 v3, v3, v10
.LBB66_21:
	s_or_b32 exec_lo, exec_lo, s1
	s_barrier
	buffer_gl0_inv
	s_cbranch_execnz .LBB66_15
	s_branch .LBB66_16
.LBB66_22:
	v_lshl_add_u32 v10, v0, 2, 16
	s_mov_b32 s0, exec_lo
	v_cmpx_eq_u32_e32 2, v0
	s_cbranch_execz .LBB66_24
; %bb.23:
	s_mov_b32 s1, 0
	ds_store_b32 v10, v2
	v_mov_b32_e32 v2, s1
.LBB66_24:
	s_or_b32 exec_lo, exec_lo, s0
	v_mov_b32_e32 v11, 0
	s_waitcnt lgkmcnt(0)
	s_waitcnt_vscnt null, 0x0
	s_barrier
	buffer_gl0_inv
	s_mov_b32 s1, 0
	ds_load_b32 v12, v11 offset:24
	s_mov_b32 s0, exec_lo
	s_waitcnt lgkmcnt(0)
	v_fma_f32 v12, v3, v12, 0
	s_delay_alu instid0(VALU_DEP_1)
	v_sub_f32_e32 v2, v2, v12
	v_cmpx_ne_u32_e32 0, v0
	s_cbranch_execz .LBB66_26
; %bb.25:
	s_delay_alu instid0(VALU_DEP_2)
	v_dual_mov_b32 v14, v3 :: v_dual_mov_b32 v13, v2
	v_mov_b32_e32 v12, v1
	v_mov_b32_e32 v12, s1
	ds_store_b32 v10, v1
	v_dual_mov_b32 v1, v12 :: v_dual_mov_b32 v2, v13
	v_mov_b32_e32 v3, v14
.LBB66_26:
	s_or_b32 exec_lo, exec_lo, s0
	s_waitcnt lgkmcnt(0)
	s_barrier
	buffer_gl0_inv
	ds_load_2addr_b32 v[10:11], v11 offset0:5 offset1:6
	s_and_b32 vcc_lo, exec_lo, s12
	s_waitcnt lgkmcnt(0)
	v_fma_f32 v0, v2, v10, 0
	s_delay_alu instid0(VALU_DEP_1) | instskip(NEXT) | instid1(VALU_DEP_1)
	v_fmac_f32_e32 v0, v3, v11
	v_sub_f32_e32 v1, v1, v0
	s_cbranch_vccz .LBB66_32
; %bb.27:
	v_dual_mov_b32 v11, s3 :: v_dual_mov_b32 v10, s2
	s_mov_b32 s1, exec_lo
	flat_load_b32 v0, v[10:11] offset:4
	s_waitcnt vmcnt(0) lgkmcnt(0)
	v_add_nc_u32_e32 v0, -1, v0
	s_delay_alu instid0(VALU_DEP_1)
	v_cmpx_ne_u32_e32 1, v0
; %bb.28:
	v_cmp_eq_u32_e32 vcc_lo, 1, v0
	v_cmp_eq_u32_e64 s0, 2, v0
	v_cndmask_b32_e32 v10, v1, v2, vcc_lo
	s_delay_alu instid0(VALU_DEP_2) | instskip(NEXT) | instid1(VALU_DEP_2)
	v_cndmask_b32_e64 v12, v3, v2, s0
	v_cndmask_b32_e64 v10, v10, v3, s0
	s_delay_alu instid0(VALU_DEP_1) | instskip(SKIP_2) | instid1(VALU_DEP_1)
	v_cndmask_b32_e32 v11, v10, v2, vcc_lo
	v_cmp_eq_u32_e32 vcc_lo, 0, v0
	v_cndmask_b32_e32 v10, v1, v2, vcc_lo
	v_dual_mov_b32 v1, v10 :: v_dual_mov_b32 v2, v11
	v_mov_b32_e32 v3, v12
; %bb.29:
	s_or_b32 exec_lo, exec_lo, s1
	v_dual_mov_b32 v11, s3 :: v_dual_mov_b32 v10, s2
	s_mov_b32 s1, exec_lo
	flat_load_b32 v0, v[10:11]
	s_waitcnt vmcnt(0) lgkmcnt(0)
	v_add_nc_u32_e32 v0, -1, v0
	s_delay_alu instid0(VALU_DEP_1)
	v_cmpx_ne_u32_e32 0, v0
; %bb.30:
	v_cmp_eq_u32_e32 vcc_lo, 1, v0
	v_cmp_eq_u32_e64 s0, 2, v0
	v_dual_cndmask_b32 v10, v1, v2 :: v_dual_cndmask_b32 v11, v2, v1
	s_delay_alu instid0(VALU_DEP_2) | instskip(NEXT) | instid1(VALU_DEP_2)
	v_cndmask_b32_e64 v12, v3, v1, s0
	v_cndmask_b32_e64 v10, v10, v3, s0
	v_cmp_eq_u32_e64 s0, 0, v0
	s_delay_alu instid0(VALU_DEP_1) | instskip(NEXT) | instid1(VALU_DEP_1)
	v_cndmask_b32_e64 v10, v10, v1, s0
	v_dual_mov_b32 v1, v10 :: v_dual_mov_b32 v2, v11
	v_mov_b32_e32 v3, v12
; %bb.31:
	s_or_b32 exec_lo, exec_lo, s1
.LBB66_32:
	s_clause 0x2
	global_store_b32 v[4:5], v1, off
	global_store_b32 v[6:7], v2, off
	;; [unrolled: 1-line block ×3, first 2 shown]
	s_nop 0
	s_sendmsg sendmsg(MSG_DEALLOC_VGPRS)
	s_endpgm
	.section	.rodata,"a",@progbits
	.p2align	6, 0x0
	.amdhsa_kernel _ZN9rocsolver6v33100L18getri_kernel_smallILi3EfPKPfEEvT1_iilPiilS6_bb
		.amdhsa_group_segment_fixed_size 28
		.amdhsa_private_segment_fixed_size 0
		.amdhsa_kernarg_size 60
		.amdhsa_user_sgpr_count 15
		.amdhsa_user_sgpr_dispatch_ptr 0
		.amdhsa_user_sgpr_queue_ptr 0
		.amdhsa_user_sgpr_kernarg_segment_ptr 1
		.amdhsa_user_sgpr_dispatch_id 0
		.amdhsa_user_sgpr_private_segment_size 0
		.amdhsa_wavefront_size32 1
		.amdhsa_uses_dynamic_stack 0
		.amdhsa_enable_private_segment 0
		.amdhsa_system_sgpr_workgroup_id_x 1
		.amdhsa_system_sgpr_workgroup_id_y 0
		.amdhsa_system_sgpr_workgroup_id_z 0
		.amdhsa_system_sgpr_workgroup_info 0
		.amdhsa_system_vgpr_workitem_id 0
		.amdhsa_next_free_vgpr 17
		.amdhsa_next_free_sgpr 17
		.amdhsa_reserve_vcc 1
		.amdhsa_float_round_mode_32 0
		.amdhsa_float_round_mode_16_64 0
		.amdhsa_float_denorm_mode_32 3
		.amdhsa_float_denorm_mode_16_64 3
		.amdhsa_dx10_clamp 1
		.amdhsa_ieee_mode 1
		.amdhsa_fp16_overflow 0
		.amdhsa_workgroup_processor_mode 1
		.amdhsa_memory_ordered 1
		.amdhsa_forward_progress 0
		.amdhsa_shared_vgpr_count 0
		.amdhsa_exception_fp_ieee_invalid_op 0
		.amdhsa_exception_fp_denorm_src 0
		.amdhsa_exception_fp_ieee_div_zero 0
		.amdhsa_exception_fp_ieee_overflow 0
		.amdhsa_exception_fp_ieee_underflow 0
		.amdhsa_exception_fp_ieee_inexact 0
		.amdhsa_exception_int_div_zero 0
	.end_amdhsa_kernel
	.section	.text._ZN9rocsolver6v33100L18getri_kernel_smallILi3EfPKPfEEvT1_iilPiilS6_bb,"axG",@progbits,_ZN9rocsolver6v33100L18getri_kernel_smallILi3EfPKPfEEvT1_iilPiilS6_bb,comdat
.Lfunc_end66:
	.size	_ZN9rocsolver6v33100L18getri_kernel_smallILi3EfPKPfEEvT1_iilPiilS6_bb, .Lfunc_end66-_ZN9rocsolver6v33100L18getri_kernel_smallILi3EfPKPfEEvT1_iilPiilS6_bb
                                        ; -- End function
	.section	.AMDGPU.csdata,"",@progbits
; Kernel info:
; codeLenInByte = 1520
; NumSgprs: 19
; NumVgprs: 17
; ScratchSize: 0
; MemoryBound: 0
; FloatMode: 240
; IeeeMode: 1
; LDSByteSize: 28 bytes/workgroup (compile time only)
; SGPRBlocks: 2
; VGPRBlocks: 2
; NumSGPRsForWavesPerEU: 19
; NumVGPRsForWavesPerEU: 17
; Occupancy: 16
; WaveLimiterHint : 1
; COMPUTE_PGM_RSRC2:SCRATCH_EN: 0
; COMPUTE_PGM_RSRC2:USER_SGPR: 15
; COMPUTE_PGM_RSRC2:TRAP_HANDLER: 0
; COMPUTE_PGM_RSRC2:TGID_X_EN: 1
; COMPUTE_PGM_RSRC2:TGID_Y_EN: 0
; COMPUTE_PGM_RSRC2:TGID_Z_EN: 0
; COMPUTE_PGM_RSRC2:TIDIG_COMP_CNT: 0
	.section	.text._ZN9rocsolver6v33100L18getri_kernel_smallILi4EfPKPfEEvT1_iilPiilS6_bb,"axG",@progbits,_ZN9rocsolver6v33100L18getri_kernel_smallILi4EfPKPfEEvT1_iilPiilS6_bb,comdat
	.globl	_ZN9rocsolver6v33100L18getri_kernel_smallILi4EfPKPfEEvT1_iilPiilS6_bb ; -- Begin function _ZN9rocsolver6v33100L18getri_kernel_smallILi4EfPKPfEEvT1_iilPiilS6_bb
	.p2align	8
	.type	_ZN9rocsolver6v33100L18getri_kernel_smallILi4EfPKPfEEvT1_iilPiilS6_bb,@function
_ZN9rocsolver6v33100L18getri_kernel_smallILi4EfPKPfEEvT1_iilPiilS6_bb: ; @_ZN9rocsolver6v33100L18getri_kernel_smallILi4EfPKPfEEvT1_iilPiilS6_bb
; %bb.0:
	s_mov_b32 s2, exec_lo
	v_cmpx_gt_u32_e32 4, v0
	s_cbranch_execz .LBB67_16
; %bb.1:
	s_clause 0x1
	s_load_b32 s13, s[0:1], 0x38
	s_load_b64 s[2:3], s[0:1], 0x0
	s_mov_b32 s8, s15
	s_load_b128 s[4:7], s[0:1], 0x28
	s_waitcnt lgkmcnt(0)
	s_bitcmp1_b32 s13, 8
	s_cselect_b32 s12, -1, 0
	s_ashr_i32 s9, s15, 31
	s_delay_alu instid0(SALU_CYCLE_1) | instskip(NEXT) | instid1(SALU_CYCLE_1)
	s_lshl_b64 s[10:11], s[8:9], 3
	s_add_u32 s2, s2, s10
	s_addc_u32 s3, s3, s11
	s_load_b64 s[10:11], s[2:3], 0x0
	s_bfe_u32 s2, s13, 0x10008
	s_delay_alu instid0(SALU_CYCLE_1)
	s_cmp_eq_u32 s2, 0
                                        ; implicit-def: $sgpr2_sgpr3
	s_cbranch_scc1 .LBB67_3
; %bb.2:
	s_clause 0x1
	s_load_b32 s2, s[0:1], 0x20
	s_load_b64 s[14:15], s[0:1], 0x18
	s_mul_i32 s3, s8, s5
	s_mul_hi_u32 s5, s8, s4
	s_mul_i32 s16, s9, s4
	s_add_i32 s3, s5, s3
	s_mul_i32 s4, s8, s4
	s_add_i32 s5, s3, s16
	s_delay_alu instid0(SALU_CYCLE_1)
	s_lshl_b64 s[4:5], s[4:5], 2
	s_waitcnt lgkmcnt(0)
	s_ashr_i32 s3, s2, 31
	s_add_u32 s4, s14, s4
	s_addc_u32 s5, s15, s5
	s_lshl_b64 s[2:3], s[2:3], 2
	s_delay_alu instid0(SALU_CYCLE_1)
	s_add_u32 s2, s4, s2
	s_addc_u32 s3, s5, s3
.LBB67_3:
	s_load_b64 s[0:1], s[0:1], 0x8
	v_lshlrev_b32_e32 v14, 2, v0
	s_waitcnt lgkmcnt(0)
	v_add3_u32 v1, s1, s1, v0
	s_ashr_i32 s5, s0, 31
	s_mov_b32 s4, s0
	s_mov_b32 s14, s1
	s_lshl_b64 s[4:5], s[4:5], 2
	v_add_nc_u32_e32 v3, s1, v1
	v_ashrrev_i32_e32 v2, 31, v1
	s_add_u32 s4, s10, s4
	s_addc_u32 s5, s11, s5
	v_add_co_u32 v6, s0, s4, v14
	v_ashrrev_i32_e32 v4, 31, v3
	s_ashr_i32 s15, s1, 31
	v_add_co_ci_u32_e64 v7, null, s5, 0, s0
	v_lshlrev_b64 v[1:2], 2, v[1:2]
	s_lshl_b64 s[0:1], s[14:15], 2
	v_lshlrev_b64 v[3:4], 2, v[3:4]
	v_add_co_u32 v8, vcc_lo, v6, s0
	v_add_co_ci_u32_e32 v9, vcc_lo, s1, v7, vcc_lo
	s_delay_alu instid0(VALU_DEP_4)
	v_add_co_u32 v10, vcc_lo, s4, v1
	v_mov_b32_e32 v1, 0
	v_add_co_ci_u32_e32 v11, vcc_lo, s5, v2, vcc_lo
	v_add_co_u32 v12, vcc_lo, s4, v3
	v_add_co_ci_u32_e32 v13, vcc_lo, s5, v4, vcc_lo
	s_clause 0x3
	global_load_b32 v3, v[8:9], off
	global_load_b32 v4, v[10:11], off
	global_load_b32 v2, v14, s[4:5]
	global_load_b32 v5, v[12:13], off
	s_bitcmp0_b32 s13, 0
	s_mov_b32 s0, -1
	s_cbranch_scc1 .LBB67_14
; %bb.4:
	v_cmp_eq_u32_e64 s0, 0, v0
	s_delay_alu instid0(VALU_DEP_1)
	s_and_saveexec_b32 s1, s0
	s_cbranch_execz .LBB67_6
; %bb.5:
	v_mov_b32_e32 v15, 0
	ds_store_b32 v15, v15 offset:32
.LBB67_6:
	s_or_b32 exec_lo, exec_lo, s1
	v_cmp_eq_u32_e32 vcc_lo, 1, v0
	s_mov_b32 s4, exec_lo
	s_waitcnt vmcnt(0) lgkmcnt(0)
	s_barrier
	buffer_gl0_inv
	v_cndmask_b32_e32 v15, v2, v3, vcc_lo
	v_cmp_eq_u32_e32 vcc_lo, 2, v0
	s_delay_alu instid0(VALU_DEP_2) | instskip(SKIP_1) | instid1(VALU_DEP_2)
	v_cndmask_b32_e32 v15, v15, v4, vcc_lo
	v_cmp_eq_u32_e32 vcc_lo, 3, v0
	v_cndmask_b32_e32 v15, v15, v5, vcc_lo
	s_delay_alu instid0(VALU_DEP_1)
	v_cmpx_eq_f32_e32 0, v15
	s_cbranch_execz .LBB67_10
; %bb.7:
	v_mov_b32_e32 v16, 0
	ds_load_b32 v17, v16 offset:32
	s_waitcnt lgkmcnt(0)
	v_readfirstlane_b32 s1, v17
	v_add_nc_u32_e32 v17, 1, v0
	s_delay_alu instid0(VALU_DEP_2) | instskip(NEXT) | instid1(VALU_DEP_1)
	s_cmp_eq_u32 s1, 0
	v_cmp_gt_i32_e32 vcc_lo, s1, v17
	s_cselect_b32 s5, -1, 0
	s_delay_alu instid0(SALU_CYCLE_1) | instskip(NEXT) | instid1(SALU_CYCLE_1)
	s_or_b32 s5, s5, vcc_lo
	s_and_b32 exec_lo, exec_lo, s5
	s_cbranch_execz .LBB67_10
; %bb.8:
	v_mov_b32_e32 v18, s1
	s_mov_b32 s5, 0
.LBB67_9:                               ; =>This Inner Loop Header: Depth=1
	ds_cmpstore_rtn_b32 v18, v16, v17, v18 offset:32
	s_waitcnt lgkmcnt(0)
	v_cmp_ne_u32_e32 vcc_lo, 0, v18
	v_cmp_le_i32_e64 s1, v18, v17
	s_delay_alu instid0(VALU_DEP_1) | instskip(NEXT) | instid1(SALU_CYCLE_1)
	s_and_b32 s1, vcc_lo, s1
	s_and_b32 s1, exec_lo, s1
	s_delay_alu instid0(SALU_CYCLE_1) | instskip(NEXT) | instid1(SALU_CYCLE_1)
	s_or_b32 s5, s1, s5
	s_and_not1_b32 exec_lo, exec_lo, s5
	s_cbranch_execnz .LBB67_9
.LBB67_10:
	s_or_b32 exec_lo, exec_lo, s4
	v_mov_b32_e32 v16, 0
	s_barrier
	buffer_gl0_inv
	ds_load_b32 v17, v16 offset:32
	s_and_saveexec_b32 s1, s0
	s_cbranch_execz .LBB67_12
; %bb.11:
	s_lshl_b64 s[4:5], s[8:9], 2
	s_delay_alu instid0(SALU_CYCLE_1)
	s_add_u32 s4, s6, s4
	s_addc_u32 s5, s7, s5
	s_waitcnt lgkmcnt(0)
	global_store_b32 v16, v17, s[4:5]
.LBB67_12:
	s_or_b32 exec_lo, exec_lo, s1
	s_waitcnt lgkmcnt(0)
	v_cmp_ne_u32_e32 vcc_lo, 0, v17
	s_cbranch_vccz .LBB67_17
; %bb.13:
	s_mov_b32 s0, 0
                                        ; implicit-def: $vgpr2_vgpr3_vgpr4_vgpr5
.LBB67_14:
	s_delay_alu instid0(SALU_CYCLE_1)
	s_and_b32 vcc_lo, exec_lo, s0
	s_cbranch_vccz .LBB67_16
.LBB67_15:
	s_lshl_b64 s[0:1], s[8:9], 2
	v_mov_b32_e32 v1, 0
	s_add_u32 s0, s6, s0
	s_addc_u32 s1, s7, s1
	global_load_b32 v1, v1, s[0:1]
	s_waitcnt vmcnt(0)
	v_cmp_ne_u32_e32 vcc_lo, 0, v1
	s_cbranch_vccz .LBB67_26
.LBB67_16:
	s_nop 0
	s_sendmsg sendmsg(MSG_DEALLOC_VGPRS)
	s_endpgm
.LBB67_17:
	v_div_scale_f32 v16, null, v15, v15, 1.0
	v_div_scale_f32 v19, vcc_lo, 1.0, v15, 1.0
	s_delay_alu instid0(VALU_DEP_2) | instskip(SKIP_2) | instid1(VALU_DEP_1)
	v_rcp_f32_e32 v17, v16
	s_waitcnt_depctr 0xfff
	v_fma_f32 v18, -v16, v17, 1.0
	v_fmac_f32_e32 v17, v18, v17
	s_delay_alu instid0(VALU_DEP_1) | instskip(NEXT) | instid1(VALU_DEP_1)
	v_mul_f32_e32 v18, v19, v17
	v_fma_f32 v20, -v16, v18, v19
	s_delay_alu instid0(VALU_DEP_1) | instskip(NEXT) | instid1(VALU_DEP_1)
	v_fmac_f32_e32 v18, v20, v17
	v_fma_f32 v16, -v16, v18, v19
	s_delay_alu instid0(VALU_DEP_1) | instskip(SKIP_1) | instid1(VALU_DEP_2)
	v_div_fmas_f32 v16, v16, v17, v18
	v_cmp_eq_u32_e32 vcc_lo, 3, v0
	v_div_fixup_f32 v16, v16, v15, 1.0
	v_add_nc_u32_e32 v15, 16, v14
	s_delay_alu instid0(VALU_DEP_2)
	v_cndmask_b32_e32 v5, v5, v16, vcc_lo
	v_cmp_eq_u32_e32 vcc_lo, 1, v0
	v_xor_b32_e32 v17, 0x80000000, v16
	v_cndmask_b32_e32 v3, v3, v16, vcc_lo
	v_cmp_eq_u32_e32 vcc_lo, 2, v0
	ds_store_2addr_b32 v14, v17, v3 offset1:4
	v_cndmask_b32_e32 v4, v4, v16, vcc_lo
	v_cmp_eq_u32_e32 vcc_lo, 0, v0
	s_waitcnt lgkmcnt(0)
	s_waitcnt_vscnt null, 0x0
	s_barrier
	buffer_gl0_inv
	v_cndmask_b32_e32 v2, v2, v16, vcc_lo
	s_and_saveexec_b32 s1, s0
	s_cbranch_execz .LBB67_19
; %bb.18:
	v_mov_b32_e32 v3, 0
	ds_load_b32 v14, v15
	ds_load_b32 v3, v3 offset:4
	s_waitcnt lgkmcnt(1)
	v_fma_f32 v14, v16, v14, 0
	s_waitcnt lgkmcnt(0)
	s_delay_alu instid0(VALU_DEP_1)
	v_mul_f32_e32 v3, v14, v3
.LBB67_19:
	s_or_b32 exec_lo, exec_lo, s1
	s_delay_alu instid0(SALU_CYCLE_1)
	s_mov_b32 s1, exec_lo
	s_barrier
	buffer_gl0_inv
	ds_store_b32 v15, v4
	s_waitcnt lgkmcnt(0)
	s_barrier
	buffer_gl0_inv
	v_cmpx_gt_u32_e32 2, v0
	s_cbranch_execz .LBB67_21
; %bb.20:
	ds_load_b32 v14, v15
	v_mov_b32_e32 v16, 0
	v_cmp_eq_u32_e32 vcc_lo, 1, v0
	ds_load_2addr_b32 v[16:17], v16 offset0:2 offset1:5
	v_cndmask_b32_e32 v18, v2, v3, vcc_lo
	v_cmp_eq_u32_e32 vcc_lo, 2, v0
	s_delay_alu instid0(VALU_DEP_2) | instskip(SKIP_1) | instid1(VALU_DEP_2)
	v_cndmask_b32_e32 v4, v18, v4, vcc_lo
	v_cmp_eq_u32_e32 vcc_lo, 3, v0
	v_cndmask_b32_e32 v4, v4, v5, vcc_lo
	s_waitcnt lgkmcnt(1)
	s_delay_alu instid0(VALU_DEP_1) | instskip(SKIP_1) | instid1(VALU_DEP_1)
	v_fma_f32 v4, v4, v14, 0
	s_waitcnt lgkmcnt(0)
	v_fma_f32 v14, v3, v17, v4
	s_delay_alu instid0(VALU_DEP_1) | instskip(NEXT) | instid1(VALU_DEP_1)
	v_cndmask_b32_e64 v4, v4, v14, s0
	v_mul_f32_e32 v4, v4, v16
.LBB67_21:
	s_or_b32 exec_lo, exec_lo, s1
	s_delay_alu instid0(SALU_CYCLE_1)
	s_mov_b32 s1, exec_lo
	s_barrier
	buffer_gl0_inv
	ds_store_b32 v15, v5
	s_waitcnt lgkmcnt(0)
	s_barrier
	buffer_gl0_inv
	v_cmpx_ne_u32_e32 3, v0
	s_cbranch_execz .LBB67_25
; %bb.22:
	v_dual_mov_b32 v16, 0 :: v_dual_mov_b32 v15, v1
	v_lshl_add_u32 v17, v0, 2, 16
	v_mov_b32_e32 v14, v0
	s_mov_b32 s4, 0
	.p2align	6
.LBB67_23:                              ; =>This Inner Loop Header: Depth=1
	s_delay_alu instid0(VALU_DEP_1) | instskip(SKIP_3) | instid1(VALU_DEP_2)
	v_cmp_eq_u32_e32 vcc_lo, 1, v14
	ds_load_b32 v1, v17
	v_dual_cndmask_b32 v18, v2, v3 :: v_dual_add_nc_u32 v17, 4, v17
	v_cmp_eq_u32_e32 vcc_lo, 2, v14
	v_cndmask_b32_e32 v18, v18, v4, vcc_lo
	v_cmp_eq_u32_e32 vcc_lo, 3, v14
	v_add_co_u32 v14, s0, v14, 1
	s_delay_alu instid0(VALU_DEP_1) | instskip(NEXT) | instid1(VALU_DEP_2)
	v_add_co_ci_u32_e64 v15, s0, 0, v15, s0
	v_dual_cndmask_b32 v18, v18, v5 :: v_dual_add_nc_u32 v19, -1, v14
	s_waitcnt lgkmcnt(0)
	s_delay_alu instid0(VALU_DEP_1) | instskip(NEXT) | instid1(VALU_DEP_2)
	v_fmac_f32_e32 v16, v18, v1
	v_cmp_lt_u32_e32 vcc_lo, 1, v19
	s_or_b32 s4, vcc_lo, s4
	s_delay_alu instid0(SALU_CYCLE_1)
	s_and_not1_b32 exec_lo, exec_lo, s4
	s_cbranch_execnz .LBB67_23
; %bb.24:
	s_or_b32 exec_lo, exec_lo, s4
	v_mov_b32_e32 v1, 0
	ds_load_b32 v1, v1 offset:12
	s_waitcnt lgkmcnt(0)
	v_mul_f32_e32 v5, v16, v1
.LBB67_25:
	s_or_b32 exec_lo, exec_lo, s1
	s_barrier
	buffer_gl0_inv
	s_cbranch_execnz .LBB67_15
	s_branch .LBB67_16
.LBB67_26:
	v_lshl_add_u32 v1, v0, 2, 16
	s_mov_b32 s0, exec_lo
	v_cmpx_eq_u32_e32 3, v0
	s_cbranch_execz .LBB67_28
; %bb.27:
	s_mov_b32 s1, 0
	ds_store_b32 v1, v4
	v_mov_b32_e32 v4, s1
.LBB67_28:
	s_or_b32 exec_lo, exec_lo, s0
	v_mov_b32_e32 v14, 0
	s_waitcnt lgkmcnt(0)
	s_waitcnt_vscnt null, 0x0
	s_barrier
	buffer_gl0_inv
	s_mov_b32 s0, exec_lo
	ds_load_b32 v15, v14 offset:28
	s_waitcnt lgkmcnt(0)
	v_fma_f32 v15, v5, v15, 0
	s_delay_alu instid0(VALU_DEP_1)
	v_sub_f32_e32 v4, v4, v15
	v_cmpx_lt_u32_e32 1, v0
	s_cbranch_execz .LBB67_30
; %bb.29:
	s_mov_b32 s1, 0
	s_delay_alu instid0(VALU_DEP_2)
	v_dual_mov_b32 v18, v5 :: v_dual_mov_b32 v17, v4
	v_dual_mov_b32 v16, v3 :: v_dual_mov_b32 v15, v2
	v_mov_b32_e32 v16, s1
	ds_store_b32 v1, v3
	v_dual_mov_b32 v2, v15 :: v_dual_mov_b32 v3, v16
	v_dual_mov_b32 v4, v17 :: v_dual_mov_b32 v5, v18
.LBB67_30:
	s_or_b32 exec_lo, exec_lo, s0
	s_waitcnt lgkmcnt(0)
	s_barrier
	buffer_gl0_inv
	ds_load_b64 v[14:15], v14 offset:24
	s_mov_b32 s1, 0
	s_mov_b32 s0, exec_lo
	s_waitcnt lgkmcnt(0)
	v_fma_f32 v14, v4, v14, 0
	s_delay_alu instid0(VALU_DEP_1) | instskip(NEXT) | instid1(VALU_DEP_1)
	v_fmac_f32_e32 v14, v5, v15
	v_sub_f32_e32 v3, v3, v14
	v_cmpx_ne_u32_e32 0, v0
	s_cbranch_execz .LBB67_32
; %bb.31:
	v_dual_mov_b32 v17, v5 :: v_dual_mov_b32 v16, v4
	s_delay_alu instid0(VALU_DEP_3)
	v_dual_mov_b32 v15, v3 :: v_dual_mov_b32 v14, v2
	v_mov_b32_e32 v14, s1
	ds_store_b32 v1, v2
	v_dual_mov_b32 v2, v14 :: v_dual_mov_b32 v3, v15
	v_dual_mov_b32 v4, v16 :: v_dual_mov_b32 v5, v17
.LBB67_32:
	s_or_b32 exec_lo, exec_lo, s0
	v_mov_b32_e32 v14, 0
	s_waitcnt lgkmcnt(0)
	s_barrier
	buffer_gl0_inv
	s_and_b32 vcc_lo, exec_lo, s12
	ds_load_2addr_b32 v[0:1], v14 offset0:5 offset1:6
	ds_load_b32 v14, v14 offset:28
	s_waitcnt lgkmcnt(1)
	v_fma_f32 v0, v3, v0, 0
	s_delay_alu instid0(VALU_DEP_1) | instskip(SKIP_1) | instid1(VALU_DEP_1)
	v_fmac_f32_e32 v0, v4, v1
	s_waitcnt lgkmcnt(0)
	v_fmac_f32_e32 v0, v5, v14
	s_delay_alu instid0(VALU_DEP_1)
	v_sub_f32_e32 v2, v2, v0
	s_cbranch_vccz .LBB67_40
; %bb.33:
	v_dual_mov_b32 v0, s2 :: v_dual_mov_b32 v1, s3
	s_mov_b32 s4, exec_lo
	flat_load_b32 v0, v[0:1] offset:8
	s_waitcnt vmcnt(0) lgkmcnt(0)
	v_add_nc_u32_e32 v0, -1, v0
	s_delay_alu instid0(VALU_DEP_1)
	v_cmpx_ne_u32_e32 2, v0
	s_cbranch_execz .LBB67_35
; %bb.34:
	v_cmp_eq_u32_e32 vcc_lo, 1, v0
	v_cmp_eq_u32_e64 s1, 3, v0
	v_cmp_eq_u32_e64 s0, 2, v0
	v_cndmask_b32_e32 v15, v3, v4, vcc_lo
	s_delay_alu instid0(VALU_DEP_3) | instskip(SKIP_2) | instid1(VALU_DEP_2)
	v_cndmask_b32_e64 v17, v5, v4, s1
	v_cndmask_b32_e32 v1, v2, v3, vcc_lo
	v_cmp_eq_u32_e32 vcc_lo, 0, v0
	v_cndmask_b32_e64 v1, v1, v4, s0
	v_cndmask_b32_e32 v14, v2, v4, vcc_lo
	s_delay_alu instid0(VALU_DEP_2) | instskip(NEXT) | instid1(VALU_DEP_1)
	v_cndmask_b32_e64 v1, v1, v5, s1
	v_cndmask_b32_e64 v16, v1, v4, s0
	s_delay_alu instid0(VALU_DEP_3) | instskip(NEXT) | instid1(VALU_DEP_2)
	v_dual_mov_b32 v2, v14 :: v_dual_mov_b32 v3, v15
	v_dual_mov_b32 v5, v17 :: v_dual_mov_b32 v4, v16
.LBB67_35:
	s_or_b32 exec_lo, exec_lo, s4
	v_dual_mov_b32 v0, s2 :: v_dual_mov_b32 v1, s3
	s_mov_b32 s4, exec_lo
	flat_load_b32 v0, v[0:1] offset:4
	s_waitcnt vmcnt(0) lgkmcnt(0)
	v_add_nc_u32_e32 v0, -1, v0
	s_delay_alu instid0(VALU_DEP_1)
	v_cmpx_ne_u32_e32 1, v0
	s_cbranch_execz .LBB67_37
; %bb.36:
	v_cmp_eq_u32_e32 vcc_lo, 1, v0
	v_cmp_eq_u32_e64 s0, 2, v0
	v_cmp_eq_u32_e64 s1, 3, v0
	s_delay_alu instid0(VALU_DEP_2) | instskip(NEXT) | instid1(VALU_DEP_2)
	v_cndmask_b32_e64 v16, v4, v3, s0
	v_cndmask_b32_e64 v17, v5, v3, s1
	v_cndmask_b32_e32 v1, v2, v3, vcc_lo
	s_delay_alu instid0(VALU_DEP_1) | instskip(NEXT) | instid1(VALU_DEP_1)
	v_cndmask_b32_e64 v1, v1, v4, s0
	v_cndmask_b32_e64 v1, v1, v5, s1
	s_delay_alu instid0(VALU_DEP_1) | instskip(SKIP_2) | instid1(VALU_DEP_1)
	v_cndmask_b32_e32 v15, v1, v3, vcc_lo
	v_cmp_eq_u32_e32 vcc_lo, 0, v0
	v_cndmask_b32_e32 v14, v2, v3, vcc_lo
	v_dual_mov_b32 v2, v14 :: v_dual_mov_b32 v3, v15
	v_dual_mov_b32 v4, v16 :: v_dual_mov_b32 v5, v17
.LBB67_37:
	s_or_b32 exec_lo, exec_lo, s4
	v_dual_mov_b32 v0, s2 :: v_dual_mov_b32 v1, s3
	s_mov_b32 s2, exec_lo
	flat_load_b32 v0, v[0:1]
	s_waitcnt vmcnt(0) lgkmcnt(0)
	v_add_nc_u32_e32 v0, -1, v0
	s_delay_alu instid0(VALU_DEP_1)
	v_cmpx_ne_u32_e32 0, v0
	s_cbranch_execz .LBB67_39
; %bb.38:
	v_cmp_eq_u32_e32 vcc_lo, 1, v0
	v_cmp_eq_u32_e64 s0, 2, v0
	v_cmp_eq_u32_e64 s1, 3, v0
	v_cndmask_b32_e32 v15, v3, v2, vcc_lo
	s_delay_alu instid0(VALU_DEP_3) | instskip(NEXT) | instid1(VALU_DEP_3)
	v_cndmask_b32_e64 v16, v4, v2, s0
	v_cndmask_b32_e64 v17, v5, v2, s1
	v_cndmask_b32_e32 v1, v2, v3, vcc_lo
	s_delay_alu instid0(VALU_DEP_1) | instskip(SKIP_1) | instid1(VALU_DEP_2)
	v_cndmask_b32_e64 v1, v1, v4, s0
	v_cmp_eq_u32_e64 s0, 0, v0
	v_cndmask_b32_e64 v1, v1, v5, s1
	s_delay_alu instid0(VALU_DEP_1) | instskip(NEXT) | instid1(VALU_DEP_1)
	v_cndmask_b32_e64 v14, v1, v2, s0
	v_dual_mov_b32 v2, v14 :: v_dual_mov_b32 v3, v15
	v_dual_mov_b32 v4, v16 :: v_dual_mov_b32 v5, v17
.LBB67_39:
	s_or_b32 exec_lo, exec_lo, s2
.LBB67_40:
	s_clause 0x3
	global_store_b32 v[6:7], v2, off
	global_store_b32 v[8:9], v3, off
	;; [unrolled: 1-line block ×4, first 2 shown]
	s_nop 0
	s_sendmsg sendmsg(MSG_DEALLOC_VGPRS)
	s_endpgm
	.section	.rodata,"a",@progbits
	.p2align	6, 0x0
	.amdhsa_kernel _ZN9rocsolver6v33100L18getri_kernel_smallILi4EfPKPfEEvT1_iilPiilS6_bb
		.amdhsa_group_segment_fixed_size 36
		.amdhsa_private_segment_fixed_size 0
		.amdhsa_kernarg_size 60
		.amdhsa_user_sgpr_count 15
		.amdhsa_user_sgpr_dispatch_ptr 0
		.amdhsa_user_sgpr_queue_ptr 0
		.amdhsa_user_sgpr_kernarg_segment_ptr 1
		.amdhsa_user_sgpr_dispatch_id 0
		.amdhsa_user_sgpr_private_segment_size 0
		.amdhsa_wavefront_size32 1
		.amdhsa_uses_dynamic_stack 0
		.amdhsa_enable_private_segment 0
		.amdhsa_system_sgpr_workgroup_id_x 1
		.amdhsa_system_sgpr_workgroup_id_y 0
		.amdhsa_system_sgpr_workgroup_id_z 0
		.amdhsa_system_sgpr_workgroup_info 0
		.amdhsa_system_vgpr_workitem_id 0
		.amdhsa_next_free_vgpr 21
		.amdhsa_next_free_sgpr 17
		.amdhsa_reserve_vcc 1
		.amdhsa_float_round_mode_32 0
		.amdhsa_float_round_mode_16_64 0
		.amdhsa_float_denorm_mode_32 3
		.amdhsa_float_denorm_mode_16_64 3
		.amdhsa_dx10_clamp 1
		.amdhsa_ieee_mode 1
		.amdhsa_fp16_overflow 0
		.amdhsa_workgroup_processor_mode 1
		.amdhsa_memory_ordered 1
		.amdhsa_forward_progress 0
		.amdhsa_shared_vgpr_count 0
		.amdhsa_exception_fp_ieee_invalid_op 0
		.amdhsa_exception_fp_denorm_src 0
		.amdhsa_exception_fp_ieee_div_zero 0
		.amdhsa_exception_fp_ieee_overflow 0
		.amdhsa_exception_fp_ieee_underflow 0
		.amdhsa_exception_fp_ieee_inexact 0
		.amdhsa_exception_int_div_zero 0
	.end_amdhsa_kernel
	.section	.text._ZN9rocsolver6v33100L18getri_kernel_smallILi4EfPKPfEEvT1_iilPiilS6_bb,"axG",@progbits,_ZN9rocsolver6v33100L18getri_kernel_smallILi4EfPKPfEEvT1_iilPiilS6_bb,comdat
.Lfunc_end67:
	.size	_ZN9rocsolver6v33100L18getri_kernel_smallILi4EfPKPfEEvT1_iilPiilS6_bb, .Lfunc_end67-_ZN9rocsolver6v33100L18getri_kernel_smallILi4EfPKPfEEvT1_iilPiilS6_bb
                                        ; -- End function
	.section	.AMDGPU.csdata,"",@progbits
; Kernel info:
; codeLenInByte = 2160
; NumSgprs: 19
; NumVgprs: 21
; ScratchSize: 0
; MemoryBound: 0
; FloatMode: 240
; IeeeMode: 1
; LDSByteSize: 36 bytes/workgroup (compile time only)
; SGPRBlocks: 2
; VGPRBlocks: 2
; NumSGPRsForWavesPerEU: 19
; NumVGPRsForWavesPerEU: 21
; Occupancy: 16
; WaveLimiterHint : 1
; COMPUTE_PGM_RSRC2:SCRATCH_EN: 0
; COMPUTE_PGM_RSRC2:USER_SGPR: 15
; COMPUTE_PGM_RSRC2:TRAP_HANDLER: 0
; COMPUTE_PGM_RSRC2:TGID_X_EN: 1
; COMPUTE_PGM_RSRC2:TGID_Y_EN: 0
; COMPUTE_PGM_RSRC2:TGID_Z_EN: 0
; COMPUTE_PGM_RSRC2:TIDIG_COMP_CNT: 0
	.section	.text._ZN9rocsolver6v33100L18getri_kernel_smallILi5EfPKPfEEvT1_iilPiilS6_bb,"axG",@progbits,_ZN9rocsolver6v33100L18getri_kernel_smallILi5EfPKPfEEvT1_iilPiilS6_bb,comdat
	.globl	_ZN9rocsolver6v33100L18getri_kernel_smallILi5EfPKPfEEvT1_iilPiilS6_bb ; -- Begin function _ZN9rocsolver6v33100L18getri_kernel_smallILi5EfPKPfEEvT1_iilPiilS6_bb
	.p2align	8
	.type	_ZN9rocsolver6v33100L18getri_kernel_smallILi5EfPKPfEEvT1_iilPiilS6_bb,@function
_ZN9rocsolver6v33100L18getri_kernel_smallILi5EfPKPfEEvT1_iilPiilS6_bb: ; @_ZN9rocsolver6v33100L18getri_kernel_smallILi5EfPKPfEEvT1_iilPiilS6_bb
; %bb.0:
	s_mov_b32 s3, exec_lo
	v_cmpx_gt_u32_e32 5, v0
	s_cbranch_execz .LBB68_16
; %bb.1:
	s_clause 0x1
	s_load_b32 s13, s[0:1], 0x38
	s_load_b64 s[8:9], s[0:1], 0x0
	s_mov_b32 s2, s15
	s_load_b128 s[4:7], s[0:1], 0x28
	s_waitcnt lgkmcnt(0)
	s_bitcmp1_b32 s13, 8
	s_cselect_b32 s12, -1, 0
	s_ashr_i32 s3, s15, 31
	s_delay_alu instid0(SALU_CYCLE_1) | instskip(NEXT) | instid1(SALU_CYCLE_1)
	s_lshl_b64 s[10:11], s[2:3], 3
	s_add_u32 s8, s8, s10
	s_addc_u32 s9, s9, s11
	s_load_b64 s[10:11], s[8:9], 0x0
	s_bfe_u32 s8, s13, 0x10008
	s_delay_alu instid0(SALU_CYCLE_1)
	s_cmp_eq_u32 s8, 0
                                        ; implicit-def: $sgpr8_sgpr9
	s_cbranch_scc1 .LBB68_3
; %bb.2:
	s_clause 0x1
	s_load_b32 s8, s[0:1], 0x20
	s_load_b64 s[14:15], s[0:1], 0x18
	s_mul_i32 s5, s2, s5
	s_mul_hi_u32 s9, s2, s4
	s_mul_i32 s16, s3, s4
	s_add_i32 s5, s9, s5
	s_mul_i32 s4, s2, s4
	s_add_i32 s5, s5, s16
	s_delay_alu instid0(SALU_CYCLE_1)
	s_lshl_b64 s[4:5], s[4:5], 2
	s_waitcnt lgkmcnt(0)
	s_ashr_i32 s9, s8, 31
	s_add_u32 s14, s14, s4
	s_addc_u32 s15, s15, s5
	s_lshl_b64 s[4:5], s[8:9], 2
	s_delay_alu instid0(SALU_CYCLE_1)
	s_add_u32 s8, s14, s4
	s_addc_u32 s9, s15, s5
.LBB68_3:
	s_load_b64 s[0:1], s[0:1], 0x8
	v_lshlrev_b32_e32 v17, 2, v0
	s_waitcnt lgkmcnt(0)
	v_add3_u32 v1, s1, s1, v0
	s_ashr_i32 s5, s0, 31
	s_mov_b32 s4, s0
	s_mov_b32 s14, s1
	s_lshl_b64 s[4:5], s[4:5], 2
	v_add_nc_u32_e32 v3, s1, v1
	v_ashrrev_i32_e32 v2, 31, v1
	s_add_u32 s4, s10, s4
	s_addc_u32 s5, s11, s5
	v_add_co_u32 v7, s0, s4, v17
	v_add_nc_u32_e32 v5, s1, v3
	s_ashr_i32 s15, s1, 31
	v_add_co_ci_u32_e64 v8, null, s5, 0, s0
	v_lshlrev_b64 v[1:2], 2, v[1:2]
	v_ashrrev_i32_e32 v4, 31, v3
	s_lshl_b64 s[10:11], s[14:15], 2
	v_ashrrev_i32_e32 v6, 31, v5
	v_add_co_u32 v9, vcc_lo, v7, s10
	v_add_co_ci_u32_e32 v10, vcc_lo, s11, v8, vcc_lo
	v_lshlrev_b64 v[3:4], 2, v[3:4]
	v_add_co_u32 v11, vcc_lo, s4, v1
	v_add_co_ci_u32_e32 v12, vcc_lo, s5, v2, vcc_lo
	v_lshlrev_b64 v[1:2], 2, v[5:6]
	s_delay_alu instid0(VALU_DEP_4) | instskip(SKIP_2) | instid1(VALU_DEP_3)
	v_add_co_u32 v13, vcc_lo, s4, v3
	v_add_co_ci_u32_e32 v14, vcc_lo, s5, v4, vcc_lo
	s_bitcmp0_b32 s13, 0
	v_add_co_u32 v15, vcc_lo, s4, v1
	s_delay_alu instid0(VALU_DEP_4)
	v_add_co_ci_u32_e32 v16, vcc_lo, s5, v2, vcc_lo
	s_clause 0x4
	global_load_b32 v3, v[9:10], off
	global_load_b32 v4, v[11:12], off
	global_load_b32 v5, v[13:14], off
	global_load_b32 v2, v17, s[4:5]
	global_load_b32 v6, v[15:16], off
	v_mov_b32_e32 v1, 0
	s_mov_b32 s0, -1
	s_cbranch_scc1 .LBB68_14
; %bb.4:
	v_cmp_eq_u32_e64 s0, 0, v0
	s_delay_alu instid0(VALU_DEP_1)
	s_and_saveexec_b32 s1, s0
	s_cbranch_execz .LBB68_6
; %bb.5:
	v_mov_b32_e32 v18, 0
	ds_store_b32 v18, v18 offset:20
.LBB68_6:
	s_or_b32 exec_lo, exec_lo, s1
	v_cmp_eq_u32_e32 vcc_lo, 1, v0
	s_mov_b32 s4, exec_lo
	s_waitcnt vmcnt(0) lgkmcnt(0)
	s_barrier
	buffer_gl0_inv
	v_cndmask_b32_e32 v18, v2, v3, vcc_lo
	v_cmp_eq_u32_e32 vcc_lo, 2, v0
	s_delay_alu instid0(VALU_DEP_2) | instskip(SKIP_1) | instid1(VALU_DEP_2)
	v_cndmask_b32_e32 v18, v18, v4, vcc_lo
	v_cmp_eq_u32_e32 vcc_lo, 3, v0
	v_cndmask_b32_e32 v18, v18, v5, vcc_lo
	v_cmp_eq_u32_e32 vcc_lo, 4, v0
	s_delay_alu instid0(VALU_DEP_2) | instskip(NEXT) | instid1(VALU_DEP_1)
	v_cndmask_b32_e32 v18, v18, v6, vcc_lo
	v_cmpx_eq_f32_e32 0, v18
	s_cbranch_execz .LBB68_10
; %bb.7:
	v_mov_b32_e32 v19, 0
	ds_load_b32 v20, v19 offset:20
	s_waitcnt lgkmcnt(0)
	v_readfirstlane_b32 s1, v20
	v_add_nc_u32_e32 v20, 1, v0
	s_delay_alu instid0(VALU_DEP_2) | instskip(NEXT) | instid1(VALU_DEP_1)
	s_cmp_eq_u32 s1, 0
	v_cmp_gt_i32_e32 vcc_lo, s1, v20
	s_cselect_b32 s5, -1, 0
	s_delay_alu instid0(SALU_CYCLE_1) | instskip(NEXT) | instid1(SALU_CYCLE_1)
	s_or_b32 s5, s5, vcc_lo
	s_and_b32 exec_lo, exec_lo, s5
	s_cbranch_execz .LBB68_10
; %bb.8:
	v_mov_b32_e32 v21, s1
	s_mov_b32 s5, 0
.LBB68_9:                               ; =>This Inner Loop Header: Depth=1
	ds_cmpstore_rtn_b32 v21, v19, v20, v21 offset:20
	s_waitcnt lgkmcnt(0)
	v_cmp_ne_u32_e32 vcc_lo, 0, v21
	v_cmp_le_i32_e64 s1, v21, v20
	s_delay_alu instid0(VALU_DEP_1) | instskip(NEXT) | instid1(SALU_CYCLE_1)
	s_and_b32 s1, vcc_lo, s1
	s_and_b32 s1, exec_lo, s1
	s_delay_alu instid0(SALU_CYCLE_1) | instskip(NEXT) | instid1(SALU_CYCLE_1)
	s_or_b32 s5, s1, s5
	s_and_not1_b32 exec_lo, exec_lo, s5
	s_cbranch_execnz .LBB68_9
.LBB68_10:
	s_or_b32 exec_lo, exec_lo, s4
	v_mov_b32_e32 v19, 0
	s_barrier
	buffer_gl0_inv
	ds_load_b32 v20, v19 offset:20
	s_and_saveexec_b32 s1, s0
	s_cbranch_execz .LBB68_12
; %bb.11:
	s_lshl_b64 s[4:5], s[2:3], 2
	s_delay_alu instid0(SALU_CYCLE_1)
	s_add_u32 s4, s6, s4
	s_addc_u32 s5, s7, s5
	s_waitcnt lgkmcnt(0)
	global_store_b32 v19, v20, s[4:5]
.LBB68_12:
	s_or_b32 exec_lo, exec_lo, s1
	s_waitcnt lgkmcnt(0)
	v_cmp_ne_u32_e32 vcc_lo, 0, v20
	s_cbranch_vccz .LBB68_17
; %bb.13:
	s_mov_b32 s0, 0
                                        ; implicit-def: $vgpr2_vgpr3_vgpr4_vgpr5_vgpr6
.LBB68_14:
	s_delay_alu instid0(SALU_CYCLE_1)
	s_and_b32 vcc_lo, exec_lo, s0
	s_cbranch_vccz .LBB68_16
.LBB68_15:
	s_lshl_b64 s[0:1], s[2:3], 2
	v_mov_b32_e32 v1, 0
	s_add_u32 s0, s6, s0
	s_addc_u32 s1, s7, s1
	global_load_b32 v1, v1, s[0:1]
	s_waitcnt vmcnt(0)
	v_cmp_ne_u32_e32 vcc_lo, 0, v1
	s_cbranch_vccz .LBB68_30
.LBB68_16:
	s_nop 0
	s_sendmsg sendmsg(MSG_DEALLOC_VGPRS)
	s_endpgm
.LBB68_17:
	v_div_scale_f32 v19, null, v18, v18, 1.0
	v_div_scale_f32 v22, vcc_lo, 1.0, v18, 1.0
	s_delay_alu instid0(VALU_DEP_2) | instskip(SKIP_2) | instid1(VALU_DEP_1)
	v_rcp_f32_e32 v20, v19
	s_waitcnt_depctr 0xfff
	v_fma_f32 v21, -v19, v20, 1.0
	v_fmac_f32_e32 v20, v21, v20
	s_delay_alu instid0(VALU_DEP_1) | instskip(NEXT) | instid1(VALU_DEP_1)
	v_mul_f32_e32 v21, v22, v20
	v_fma_f32 v23, -v19, v21, v22
	s_delay_alu instid0(VALU_DEP_1) | instskip(NEXT) | instid1(VALU_DEP_1)
	v_fmac_f32_e32 v21, v23, v20
	v_fma_f32 v19, -v19, v21, v22
	s_delay_alu instid0(VALU_DEP_1) | instskip(SKIP_1) | instid1(VALU_DEP_2)
	v_div_fmas_f32 v19, v19, v20, v21
	v_cmp_eq_u32_e32 vcc_lo, 4, v0
	v_div_fixup_f32 v18, v19, v18, 1.0
	s_delay_alu instid0(VALU_DEP_1)
	v_dual_cndmask_b32 v6, v6, v18 :: v_dual_add_nc_u32 v19, 32, v17
	v_cmp_eq_u32_e32 vcc_lo, 3, v0
	v_xor_b32_e32 v20, 0x80000000, v18
	v_cndmask_b32_e32 v5, v5, v18, vcc_lo
	v_cmp_eq_u32_e32 vcc_lo, 1, v0
	v_cndmask_b32_e32 v3, v3, v18, vcc_lo
	v_cmp_eq_u32_e32 vcc_lo, 2, v0
	ds_store_2addr_b32 v17, v20, v3 offset1:8
	v_cndmask_b32_e32 v4, v4, v18, vcc_lo
	v_cmp_eq_u32_e32 vcc_lo, 0, v0
	s_waitcnt lgkmcnt(0)
	s_waitcnt_vscnt null, 0x0
	s_barrier
	buffer_gl0_inv
	v_cndmask_b32_e32 v2, v2, v18, vcc_lo
	s_and_saveexec_b32 s1, s0
	s_cbranch_execz .LBB68_19
; %bb.18:
	v_mov_b32_e32 v3, 0
	ds_load_b32 v17, v19
	ds_load_b32 v3, v3 offset:4
	s_waitcnt lgkmcnt(1)
	v_fma_f32 v17, v18, v17, 0
	s_waitcnt lgkmcnt(0)
	s_delay_alu instid0(VALU_DEP_1)
	v_mul_f32_e32 v3, v17, v3
.LBB68_19:
	s_or_b32 exec_lo, exec_lo, s1
	s_delay_alu instid0(SALU_CYCLE_1)
	s_mov_b32 s1, exec_lo
	s_barrier
	buffer_gl0_inv
	ds_store_b32 v19, v4
	s_waitcnt lgkmcnt(0)
	s_barrier
	buffer_gl0_inv
	v_cmpx_gt_u32_e32 2, v0
	s_cbranch_execz .LBB68_21
; %bb.20:
	v_cmp_eq_u32_e32 vcc_lo, 1, v0
	ds_load_b32 v20, v19
	v_dual_mov_b32 v18, 0 :: v_dual_cndmask_b32 v17, v2, v3
	v_cmp_eq_u32_e32 vcc_lo, 2, v0
	s_delay_alu instid0(VALU_DEP_2) | instskip(SKIP_4) | instid1(VALU_DEP_2)
	v_cndmask_b32_e32 v4, v17, v4, vcc_lo
	ds_load_2addr_b32 v[17:18], v18 offset0:2 offset1:9
	v_cmp_eq_u32_e32 vcc_lo, 3, v0
	v_cndmask_b32_e32 v4, v4, v5, vcc_lo
	v_cmp_eq_u32_e32 vcc_lo, 4, v0
	v_cndmask_b32_e32 v4, v4, v6, vcc_lo
	s_waitcnt lgkmcnt(1)
	s_delay_alu instid0(VALU_DEP_1) | instskip(SKIP_1) | instid1(VALU_DEP_1)
	v_fma_f32 v4, v4, v20, 0
	s_waitcnt lgkmcnt(0)
	v_fma_f32 v18, v3, v18, v4
	s_delay_alu instid0(VALU_DEP_1) | instskip(NEXT) | instid1(VALU_DEP_1)
	v_cndmask_b32_e64 v4, v4, v18, s0
	v_mul_f32_e32 v4, v4, v17
.LBB68_21:
	s_or_b32 exec_lo, exec_lo, s1
	s_delay_alu instid0(SALU_CYCLE_1)
	s_mov_b32 s1, exec_lo
	s_barrier
	buffer_gl0_inv
	ds_store_b32 v19, v5
	s_waitcnt lgkmcnt(0)
	s_barrier
	buffer_gl0_inv
	v_cmpx_gt_u32_e32 3, v0
	s_cbranch_execz .LBB68_25
; %bb.22:
	v_mov_b32_e32 v18, v1
	v_lshl_add_u32 v21, v0, 2, 32
	v_dual_mov_b32 v20, 0 :: v_dual_mov_b32 v17, v0
	s_mov_b32 s4, 0
	.p2align	6
.LBB68_23:                              ; =>This Inner Loop Header: Depth=1
	s_delay_alu instid0(VALU_DEP_1) | instskip(SKIP_3) | instid1(VALU_DEP_2)
	v_cmp_eq_u32_e32 vcc_lo, 1, v17
	ds_load_b32 v23, v21
	v_dual_cndmask_b32 v22, v2, v3 :: v_dual_add_nc_u32 v21, 4, v21
	v_cmp_eq_u32_e32 vcc_lo, 2, v17
	v_cndmask_b32_e32 v22, v22, v4, vcc_lo
	v_cmp_eq_u32_e32 vcc_lo, 3, v17
	s_delay_alu instid0(VALU_DEP_2) | instskip(SKIP_2) | instid1(VALU_DEP_1)
	v_cndmask_b32_e32 v22, v22, v5, vcc_lo
	v_cmp_eq_u32_e32 vcc_lo, 4, v17
	v_add_co_u32 v17, s0, v17, 1
	v_add_co_ci_u32_e64 v18, s0, 0, v18, s0
	s_delay_alu instid0(VALU_DEP_4) | instskip(NEXT) | instid1(VALU_DEP_3)
	v_cndmask_b32_e32 v22, v22, v6, vcc_lo
	v_add_nc_u32_e32 v24, -1, v17
	s_waitcnt lgkmcnt(0)
	s_delay_alu instid0(VALU_DEP_2) | instskip(NEXT) | instid1(VALU_DEP_2)
	v_fmac_f32_e32 v20, v22, v23
	v_cmp_lt_u32_e32 vcc_lo, 1, v24
	s_or_b32 s4, vcc_lo, s4
	s_delay_alu instid0(SALU_CYCLE_1)
	s_and_not1_b32 exec_lo, exec_lo, s4
	s_cbranch_execnz .LBB68_23
; %bb.24:
	s_or_b32 exec_lo, exec_lo, s4
	v_mov_b32_e32 v5, 0
	ds_load_b32 v5, v5 offset:12
	s_waitcnt lgkmcnt(0)
	v_mul_f32_e32 v5, v20, v5
.LBB68_25:
	s_or_b32 exec_lo, exec_lo, s1
	s_delay_alu instid0(SALU_CYCLE_1)
	s_mov_b32 s1, exec_lo
	s_barrier
	buffer_gl0_inv
	ds_store_b32 v19, v6
	s_waitcnt lgkmcnt(0)
	s_barrier
	buffer_gl0_inv
	v_cmpx_ne_u32_e32 4, v0
	s_cbranch_execz .LBB68_29
; %bb.26:
	v_dual_mov_b32 v19, 0 :: v_dual_mov_b32 v18, v1
	v_lshl_add_u32 v20, v0, 2, 32
	v_mov_b32_e32 v17, v0
	s_mov_b32 s4, 0
	.p2align	6
.LBB68_27:                              ; =>This Inner Loop Header: Depth=1
	s_delay_alu instid0(VALU_DEP_1) | instskip(SKIP_3) | instid1(VALU_DEP_2)
	v_cmp_eq_u32_e32 vcc_lo, 1, v17
	ds_load_b32 v21, v20
	v_dual_cndmask_b32 v1, v2, v3 :: v_dual_add_nc_u32 v20, 4, v20
	v_cmp_eq_u32_e32 vcc_lo, 2, v17
	v_cndmask_b32_e32 v1, v1, v4, vcc_lo
	v_cmp_eq_u32_e32 vcc_lo, 3, v17
	s_delay_alu instid0(VALU_DEP_2) | instskip(SKIP_2) | instid1(VALU_DEP_1)
	v_cndmask_b32_e32 v1, v1, v5, vcc_lo
	v_cmp_eq_u32_e32 vcc_lo, 4, v17
	v_add_co_u32 v17, s0, v17, 1
	v_add_co_ci_u32_e64 v18, s0, 0, v18, s0
	s_delay_alu instid0(VALU_DEP_2) | instskip(SKIP_1) | instid1(VALU_DEP_1)
	v_dual_cndmask_b32 v1, v1, v6 :: v_dual_add_nc_u32 v22, -1, v17
	s_waitcnt lgkmcnt(0)
	v_fmac_f32_e32 v19, v1, v21
	s_delay_alu instid0(VALU_DEP_2) | instskip(SKIP_1) | instid1(SALU_CYCLE_1)
	v_cmp_lt_u32_e32 vcc_lo, 2, v22
	s_or_b32 s4, vcc_lo, s4
	s_and_not1_b32 exec_lo, exec_lo, s4
	s_cbranch_execnz .LBB68_27
; %bb.28:
	s_or_b32 exec_lo, exec_lo, s4
	v_mov_b32_e32 v1, 0
	ds_load_b32 v1, v1 offset:16
	s_waitcnt lgkmcnt(0)
	v_mul_f32_e32 v6, v19, v1
.LBB68_29:
	s_or_b32 exec_lo, exec_lo, s1
	s_barrier
	buffer_gl0_inv
	s_cbranch_execnz .LBB68_15
	s_branch .LBB68_16
.LBB68_30:
	v_lshl_add_u32 v1, v0, 2, 32
	s_mov_b32 s0, exec_lo
	v_cmpx_eq_u32_e32 4, v0
	s_cbranch_execz .LBB68_32
; %bb.31:
	s_mov_b32 s1, 0
	ds_store_b32 v1, v5
	v_mov_b32_e32 v5, s1
.LBB68_32:
	s_or_b32 exec_lo, exec_lo, s0
	v_mov_b32_e32 v17, 0
	s_waitcnt lgkmcnt(0)
	s_waitcnt_vscnt null, 0x0
	s_barrier
	buffer_gl0_inv
	s_mov_b32 s0, exec_lo
	ds_load_b32 v18, v17 offset:48
	s_waitcnt lgkmcnt(0)
	v_fma_f32 v18, v6, v18, 0
	s_delay_alu instid0(VALU_DEP_1)
	v_sub_f32_e32 v5, v5, v18
	v_cmpx_lt_u32_e32 2, v0
	s_cbranch_execz .LBB68_34
; %bb.33:
	s_mov_b32 s1, 0
	s_delay_alu instid0(VALU_DEP_2)
	v_dual_mov_b32 v22, v6 :: v_dual_mov_b32 v21, v5
	v_dual_mov_b32 v20, v4 :: v_dual_mov_b32 v19, v3
	v_mov_b32_e32 v18, v2
	v_mov_b32_e32 v20, s1
	ds_store_b32 v1, v4
	v_dual_mov_b32 v2, v18 :: v_dual_mov_b32 v3, v19
	v_dual_mov_b32 v4, v20 :: v_dual_mov_b32 v5, v21
	v_mov_b32_e32 v6, v22
.LBB68_34:
	s_or_b32 exec_lo, exec_lo, s0
	s_waitcnt lgkmcnt(0)
	s_barrier
	buffer_gl0_inv
	ds_load_2addr_b32 v[17:18], v17 offset0:11 offset1:12
	s_mov_b32 s0, exec_lo
	s_waitcnt lgkmcnt(0)
	v_fma_f32 v17, v5, v17, 0
	s_delay_alu instid0(VALU_DEP_1) | instskip(NEXT) | instid1(VALU_DEP_1)
	v_fmac_f32_e32 v17, v6, v18
	v_sub_f32_e32 v4, v4, v17
	v_cmpx_lt_u32_e32 1, v0
	s_cbranch_execz .LBB68_36
; %bb.35:
	s_mov_b32 s1, 0
	v_dual_mov_b32 v21, v6 :: v_dual_mov_b32 v20, v5
	v_dual_mov_b32 v19, v4 :: v_dual_mov_b32 v18, v3
	;; [unrolled: 1-line block ×3, first 2 shown]
	ds_store_b32 v1, v3
	v_dual_mov_b32 v2, v17 :: v_dual_mov_b32 v3, v18
	v_dual_mov_b32 v4, v19 :: v_dual_mov_b32 v5, v20
	v_mov_b32_e32 v6, v21
.LBB68_36:
	s_or_b32 exec_lo, exec_lo, s0
	v_mov_b32_e32 v17, 0
	s_waitcnt lgkmcnt(0)
	s_barrier
	buffer_gl0_inv
	s_mov_b32 s1, 0
	ds_load_b64 v[18:19], v17 offset:40
	ds_load_b32 v20, v17 offset:48
	s_mov_b32 s0, exec_lo
	s_waitcnt lgkmcnt(1)
	v_fma_f32 v18, v4, v18, 0
	s_delay_alu instid0(VALU_DEP_1) | instskip(SKIP_1) | instid1(VALU_DEP_1)
	v_fmac_f32_e32 v18, v5, v19
	s_waitcnt lgkmcnt(0)
	v_fmac_f32_e32 v18, v6, v20
	s_delay_alu instid0(VALU_DEP_1)
	v_sub_f32_e32 v3, v3, v18
	v_cmpx_ne_u32_e32 0, v0
	s_cbranch_execz .LBB68_38
; %bb.37:
	v_dual_mov_b32 v22, v6 :: v_dual_mov_b32 v21, v5
	v_mov_b32_e32 v18, v2
	v_mov_b32_e32 v18, s1
	v_dual_mov_b32 v20, v4 :: v_dual_mov_b32 v19, v3
	ds_store_b32 v1, v2
	v_mov_b32_e32 v2, v18
	v_dual_mov_b32 v4, v20 :: v_dual_mov_b32 v5, v21
	v_dual_mov_b32 v3, v19 :: v_dual_mov_b32 v6, v22
.LBB68_38:
	s_or_b32 exec_lo, exec_lo, s0
	s_waitcnt lgkmcnt(0)
	s_barrier
	buffer_gl0_inv
	ds_load_2addr_b32 v[0:1], v17 offset0:9 offset1:10
	ds_load_2addr_b32 v[17:18], v17 offset0:11 offset1:12
	s_and_b32 vcc_lo, exec_lo, s12
	s_waitcnt lgkmcnt(1)
	v_fma_f32 v0, v3, v0, 0
	s_delay_alu instid0(VALU_DEP_1) | instskip(SKIP_1) | instid1(VALU_DEP_1)
	v_fmac_f32_e32 v0, v4, v1
	s_waitcnt lgkmcnt(0)
	v_fmac_f32_e32 v0, v5, v17
	s_delay_alu instid0(VALU_DEP_1) | instskip(NEXT) | instid1(VALU_DEP_1)
	v_fmac_f32_e32 v0, v6, v18
	v_sub_f32_e32 v2, v2, v0
	s_cbranch_vccz .LBB68_48
; %bb.39:
	v_dual_mov_b32 v0, s8 :: v_dual_mov_b32 v1, s9
	s_mov_b32 s3, exec_lo
	flat_load_b32 v0, v[0:1] offset:12
	s_waitcnt vmcnt(0) lgkmcnt(0)
	v_add_nc_u32_e32 v0, -1, v0
	s_delay_alu instid0(VALU_DEP_1)
	v_cmpx_ne_u32_e32 3, v0
	s_cbranch_execz .LBB68_41
; %bb.40:
	v_cmp_eq_u32_e32 vcc_lo, 1, v0
	v_cmp_eq_u32_e64 s0, 2, v0
	v_cmp_eq_u32_e64 s1, 3, v0
	;; [unrolled: 1-line block ×3, first 2 shown]
	v_dual_cndmask_b32 v1, v2, v3 :: v_dual_cndmask_b32 v18, v3, v5
	v_cmp_eq_u32_e32 vcc_lo, 0, v0
	v_cndmask_b32_e64 v19, v4, v5, s0
	s_delay_alu instid0(VALU_DEP_4) | instskip(NEXT) | instid1(VALU_DEP_4)
	v_cndmask_b32_e64 v21, v6, v5, s2
	v_cndmask_b32_e64 v1, v1, v4, s0
	v_cndmask_b32_e32 v17, v2, v5, vcc_lo
	s_delay_alu instid0(VALU_DEP_2) | instskip(NEXT) | instid1(VALU_DEP_1)
	v_cndmask_b32_e64 v1, v1, v5, s1
	v_cndmask_b32_e64 v1, v1, v6, s2
	s_delay_alu instid0(VALU_DEP_1) | instskip(NEXT) | instid1(VALU_DEP_4)
	v_cndmask_b32_e64 v20, v1, v5, s1
	v_dual_mov_b32 v2, v17 :: v_dual_mov_b32 v3, v18
	v_mov_b32_e32 v4, v19
	s_delay_alu instid0(VALU_DEP_3)
	v_dual_mov_b32 v6, v21 :: v_dual_mov_b32 v5, v20
.LBB68_41:
	s_or_b32 exec_lo, exec_lo, s3
	v_dual_mov_b32 v0, s8 :: v_dual_mov_b32 v1, s9
	s_mov_b32 s3, exec_lo
	flat_load_b32 v0, v[0:1] offset:8
	s_waitcnt vmcnt(0) lgkmcnt(0)
	v_add_nc_u32_e32 v0, -1, v0
	s_delay_alu instid0(VALU_DEP_1)
	v_cmpx_ne_u32_e32 2, v0
	s_cbranch_execz .LBB68_43
; %bb.42:
	v_cmp_eq_u32_e32 vcc_lo, 1, v0
	v_cmp_eq_u32_e64 s0, 2, v0
	v_cmp_eq_u32_e64 s1, 3, v0
	;; [unrolled: 1-line block ×3, first 2 shown]
	v_dual_cndmask_b32 v1, v2, v3 :: v_dual_cndmask_b32 v18, v3, v4
	v_cmp_eq_u32_e32 vcc_lo, 0, v0
	s_delay_alu instid0(VALU_DEP_4) | instskip(NEXT) | instid1(VALU_DEP_4)
	v_cndmask_b32_e64 v20, v5, v4, s1
	v_cndmask_b32_e64 v21, v6, v4, s2
	s_delay_alu instid0(VALU_DEP_4) | instskip(SKIP_1) | instid1(VALU_DEP_2)
	v_cndmask_b32_e64 v1, v1, v4, s0
	v_cndmask_b32_e32 v17, v2, v4, vcc_lo
	v_cndmask_b32_e64 v1, v1, v5, s1
	s_delay_alu instid0(VALU_DEP_1) | instskip(NEXT) | instid1(VALU_DEP_1)
	v_cndmask_b32_e64 v1, v1, v6, s2
	v_cndmask_b32_e64 v19, v1, v4, s0
	s_delay_alu instid0(VALU_DEP_4) | instskip(SKIP_1) | instid1(VALU_DEP_3)
	v_dual_mov_b32 v2, v17 :: v_dual_mov_b32 v3, v18
	v_dual_mov_b32 v6, v21 :: v_dual_mov_b32 v5, v20
	v_mov_b32_e32 v4, v19
.LBB68_43:
	s_or_b32 exec_lo, exec_lo, s3
	v_dual_mov_b32 v0, s8 :: v_dual_mov_b32 v1, s9
	s_mov_b32 s3, exec_lo
	flat_load_b32 v0, v[0:1] offset:4
	s_waitcnt vmcnt(0) lgkmcnt(0)
	v_add_nc_u32_e32 v0, -1, v0
	s_delay_alu instid0(VALU_DEP_1)
	v_cmpx_ne_u32_e32 1, v0
	s_cbranch_execz .LBB68_45
; %bb.44:
	v_cmp_eq_u32_e32 vcc_lo, 1, v0
	v_cmp_eq_u32_e64 s0, 2, v0
	v_cmp_eq_u32_e64 s1, 3, v0
	;; [unrolled: 1-line block ×3, first 2 shown]
	s_delay_alu instid0(VALU_DEP_3) | instskip(NEXT) | instid1(VALU_DEP_3)
	v_cndmask_b32_e64 v19, v4, v3, s0
	v_cndmask_b32_e64 v20, v5, v3, s1
	s_delay_alu instid0(VALU_DEP_3) | instskip(SKIP_1) | instid1(VALU_DEP_1)
	v_cndmask_b32_e64 v21, v6, v3, s2
	v_cndmask_b32_e32 v1, v2, v3, vcc_lo
	v_cndmask_b32_e64 v1, v1, v4, s0
	s_delay_alu instid0(VALU_DEP_1) | instskip(NEXT) | instid1(VALU_DEP_1)
	v_cndmask_b32_e64 v1, v1, v5, s1
	v_cndmask_b32_e64 v1, v1, v6, s2
	s_delay_alu instid0(VALU_DEP_1) | instskip(SKIP_2) | instid1(VALU_DEP_1)
	v_cndmask_b32_e32 v18, v1, v3, vcc_lo
	v_cmp_eq_u32_e32 vcc_lo, 0, v0
	v_cndmask_b32_e32 v17, v2, v3, vcc_lo
	v_dual_mov_b32 v2, v17 :: v_dual_mov_b32 v3, v18
	v_dual_mov_b32 v4, v19 :: v_dual_mov_b32 v5, v20
	v_mov_b32_e32 v6, v21
.LBB68_45:
	s_or_b32 exec_lo, exec_lo, s3
	v_dual_mov_b32 v0, s8 :: v_dual_mov_b32 v1, s9
	s_mov_b32 s3, exec_lo
	flat_load_b32 v0, v[0:1]
	s_waitcnt vmcnt(0) lgkmcnt(0)
	v_add_nc_u32_e32 v0, -1, v0
	s_delay_alu instid0(VALU_DEP_1)
	v_cmpx_ne_u32_e32 0, v0
	s_cbranch_execz .LBB68_47
; %bb.46:
	v_cmp_eq_u32_e32 vcc_lo, 1, v0
	v_cmp_eq_u32_e64 s0, 2, v0
	v_cmp_eq_u32_e64 s1, 3, v0
	;; [unrolled: 1-line block ×3, first 2 shown]
	v_dual_cndmask_b32 v1, v2, v3 :: v_dual_cndmask_b32 v18, v3, v2
	s_delay_alu instid0(VALU_DEP_4) | instskip(NEXT) | instid1(VALU_DEP_4)
	v_cndmask_b32_e64 v19, v4, v2, s0
	v_cndmask_b32_e64 v20, v5, v2, s1
	s_delay_alu instid0(VALU_DEP_4) | instskip(NEXT) | instid1(VALU_DEP_4)
	v_cndmask_b32_e64 v21, v6, v2, s2
	v_cndmask_b32_e64 v1, v1, v4, s0
	v_cmp_eq_u32_e64 s0, 0, v0
	s_delay_alu instid0(VALU_DEP_2) | instskip(NEXT) | instid1(VALU_DEP_1)
	v_cndmask_b32_e64 v1, v1, v5, s1
	v_cndmask_b32_e64 v1, v1, v6, s2
	s_delay_alu instid0(VALU_DEP_1) | instskip(NEXT) | instid1(VALU_DEP_1)
	v_cndmask_b32_e64 v17, v1, v2, s0
	v_dual_mov_b32 v2, v17 :: v_dual_mov_b32 v3, v18
	v_dual_mov_b32 v4, v19 :: v_dual_mov_b32 v5, v20
	v_mov_b32_e32 v6, v21
.LBB68_47:
	s_or_b32 exec_lo, exec_lo, s3
.LBB68_48:
	s_clause 0x4
	global_store_b32 v[7:8], v2, off
	global_store_b32 v[9:10], v3, off
	;; [unrolled: 1-line block ×5, first 2 shown]
	s_nop 0
	s_sendmsg sendmsg(MSG_DEALLOC_VGPRS)
	s_endpgm
	.section	.rodata,"a",@progbits
	.p2align	6, 0x0
	.amdhsa_kernel _ZN9rocsolver6v33100L18getri_kernel_smallILi5EfPKPfEEvT1_iilPiilS6_bb
		.amdhsa_group_segment_fixed_size 52
		.amdhsa_private_segment_fixed_size 0
		.amdhsa_kernarg_size 60
		.amdhsa_user_sgpr_count 15
		.amdhsa_user_sgpr_dispatch_ptr 0
		.amdhsa_user_sgpr_queue_ptr 0
		.amdhsa_user_sgpr_kernarg_segment_ptr 1
		.amdhsa_user_sgpr_dispatch_id 0
		.amdhsa_user_sgpr_private_segment_size 0
		.amdhsa_wavefront_size32 1
		.amdhsa_uses_dynamic_stack 0
		.amdhsa_enable_private_segment 0
		.amdhsa_system_sgpr_workgroup_id_x 1
		.amdhsa_system_sgpr_workgroup_id_y 0
		.amdhsa_system_sgpr_workgroup_id_z 0
		.amdhsa_system_sgpr_workgroup_info 0
		.amdhsa_system_vgpr_workitem_id 0
		.amdhsa_next_free_vgpr 25
		.amdhsa_next_free_sgpr 17
		.amdhsa_reserve_vcc 1
		.amdhsa_float_round_mode_32 0
		.amdhsa_float_round_mode_16_64 0
		.amdhsa_float_denorm_mode_32 3
		.amdhsa_float_denorm_mode_16_64 3
		.amdhsa_dx10_clamp 1
		.amdhsa_ieee_mode 1
		.amdhsa_fp16_overflow 0
		.amdhsa_workgroup_processor_mode 1
		.amdhsa_memory_ordered 1
		.amdhsa_forward_progress 0
		.amdhsa_shared_vgpr_count 0
		.amdhsa_exception_fp_ieee_invalid_op 0
		.amdhsa_exception_fp_denorm_src 0
		.amdhsa_exception_fp_ieee_div_zero 0
		.amdhsa_exception_fp_ieee_overflow 0
		.amdhsa_exception_fp_ieee_underflow 0
		.amdhsa_exception_fp_ieee_inexact 0
		.amdhsa_exception_int_div_zero 0
	.end_amdhsa_kernel
	.section	.text._ZN9rocsolver6v33100L18getri_kernel_smallILi5EfPKPfEEvT1_iilPiilS6_bb,"axG",@progbits,_ZN9rocsolver6v33100L18getri_kernel_smallILi5EfPKPfEEvT1_iilPiilS6_bb,comdat
.Lfunc_end68:
	.size	_ZN9rocsolver6v33100L18getri_kernel_smallILi5EfPKPfEEvT1_iilPiilS6_bb, .Lfunc_end68-_ZN9rocsolver6v33100L18getri_kernel_smallILi5EfPKPfEEvT1_iilPiilS6_bb
                                        ; -- End function
	.section	.AMDGPU.csdata,"",@progbits
; Kernel info:
; codeLenInByte = 2876
; NumSgprs: 19
; NumVgprs: 25
; ScratchSize: 0
; MemoryBound: 0
; FloatMode: 240
; IeeeMode: 1
; LDSByteSize: 52 bytes/workgroup (compile time only)
; SGPRBlocks: 2
; VGPRBlocks: 3
; NumSGPRsForWavesPerEU: 19
; NumVGPRsForWavesPerEU: 25
; Occupancy: 16
; WaveLimiterHint : 1
; COMPUTE_PGM_RSRC2:SCRATCH_EN: 0
; COMPUTE_PGM_RSRC2:USER_SGPR: 15
; COMPUTE_PGM_RSRC2:TRAP_HANDLER: 0
; COMPUTE_PGM_RSRC2:TGID_X_EN: 1
; COMPUTE_PGM_RSRC2:TGID_Y_EN: 0
; COMPUTE_PGM_RSRC2:TGID_Z_EN: 0
; COMPUTE_PGM_RSRC2:TIDIG_COMP_CNT: 0
	.section	.text._ZN9rocsolver6v33100L18getri_kernel_smallILi6EfPKPfEEvT1_iilPiilS6_bb,"axG",@progbits,_ZN9rocsolver6v33100L18getri_kernel_smallILi6EfPKPfEEvT1_iilPiilS6_bb,comdat
	.globl	_ZN9rocsolver6v33100L18getri_kernel_smallILi6EfPKPfEEvT1_iilPiilS6_bb ; -- Begin function _ZN9rocsolver6v33100L18getri_kernel_smallILi6EfPKPfEEvT1_iilPiilS6_bb
	.p2align	8
	.type	_ZN9rocsolver6v33100L18getri_kernel_smallILi6EfPKPfEEvT1_iilPiilS6_bb,@function
_ZN9rocsolver6v33100L18getri_kernel_smallILi6EfPKPfEEvT1_iilPiilS6_bb: ; @_ZN9rocsolver6v33100L18getri_kernel_smallILi6EfPKPfEEvT1_iilPiilS6_bb
; %bb.0:
	s_mov_b32 s3, exec_lo
	v_cmpx_gt_u32_e32 6, v0
	s_cbranch_execz .LBB69_16
; %bb.1:
	s_clause 0x1
	s_load_b32 s13, s[0:1], 0x38
	s_load_b64 s[8:9], s[0:1], 0x0
	s_mov_b32 s2, s15
	s_load_b128 s[4:7], s[0:1], 0x28
	s_waitcnt lgkmcnt(0)
	s_bitcmp1_b32 s13, 8
	s_cselect_b32 s12, -1, 0
	s_ashr_i32 s3, s15, 31
	s_delay_alu instid0(SALU_CYCLE_1) | instskip(NEXT) | instid1(SALU_CYCLE_1)
	s_lshl_b64 s[10:11], s[2:3], 3
	s_add_u32 s8, s8, s10
	s_addc_u32 s9, s9, s11
	s_load_b64 s[10:11], s[8:9], 0x0
	s_bfe_u32 s8, s13, 0x10008
	s_delay_alu instid0(SALU_CYCLE_1)
	s_cmp_eq_u32 s8, 0
                                        ; implicit-def: $sgpr8_sgpr9
	s_cbranch_scc1 .LBB69_3
; %bb.2:
	s_clause 0x1
	s_load_b32 s8, s[0:1], 0x20
	s_load_b64 s[14:15], s[0:1], 0x18
	s_mul_i32 s5, s2, s5
	s_mul_hi_u32 s9, s2, s4
	s_mul_i32 s16, s3, s4
	s_add_i32 s5, s9, s5
	s_mul_i32 s4, s2, s4
	s_add_i32 s5, s5, s16
	s_delay_alu instid0(SALU_CYCLE_1)
	s_lshl_b64 s[4:5], s[4:5], 2
	s_waitcnt lgkmcnt(0)
	s_ashr_i32 s9, s8, 31
	s_add_u32 s14, s14, s4
	s_addc_u32 s15, s15, s5
	s_lshl_b64 s[4:5], s[8:9], 2
	s_delay_alu instid0(SALU_CYCLE_1)
	s_add_u32 s8, s14, s4
	s_addc_u32 s9, s15, s5
.LBB69_3:
	s_load_b64 s[0:1], s[0:1], 0x8
	v_lshlrev_b32_e32 v20, 2, v0
	s_waitcnt lgkmcnt(0)
	v_add3_u32 v1, s1, s1, v0
	s_ashr_i32 s5, s0, 31
	s_mov_b32 s4, s0
	s_mov_b32 s14, s1
	s_lshl_b64 s[4:5], s[4:5], 2
	v_add_nc_u32_e32 v3, s1, v1
	v_ashrrev_i32_e32 v2, 31, v1
	s_add_u32 s4, s10, s4
	s_addc_u32 s5, s11, s5
	v_add_co_u32 v8, s0, s4, v20
	v_add_nc_u32_e32 v5, s1, v3
	v_ashrrev_i32_e32 v4, 31, v3
	s_ashr_i32 s15, s1, 31
	v_add_co_ci_u32_e64 v9, null, s5, 0, s0
	v_lshlrev_b64 v[1:2], 2, v[1:2]
	s_lshl_b64 s[10:11], s[14:15], 2
	v_add_nc_u32_e32 v16, s1, v5
	v_add_co_u32 v10, vcc_lo, v8, s10
	v_lshlrev_b64 v[3:4], 2, v[3:4]
	v_ashrrev_i32_e32 v6, 31, v5
	v_add_co_ci_u32_e32 v11, vcc_lo, s11, v9, vcc_lo
	v_add_co_u32 v12, vcc_lo, s4, v1
	v_ashrrev_i32_e32 v17, 31, v16
	v_add_co_ci_u32_e32 v13, vcc_lo, s5, v2, vcc_lo
	v_lshlrev_b64 v[1:2], 2, v[5:6]
	v_add_co_u32 v14, vcc_lo, s4, v3
	v_add_co_ci_u32_e32 v15, vcc_lo, s5, v4, vcc_lo
	v_lshlrev_b64 v[3:4], 2, v[16:17]
	s_delay_alu instid0(VALU_DEP_4) | instskip(SKIP_2) | instid1(VALU_DEP_4)
	v_add_co_u32 v16, vcc_lo, s4, v1
	v_mov_b32_e32 v1, 0
	v_add_co_ci_u32_e32 v17, vcc_lo, s5, v2, vcc_lo
	v_add_co_u32 v18, vcc_lo, s4, v3
	v_add_co_ci_u32_e32 v19, vcc_lo, s5, v4, vcc_lo
	s_clause 0x5
	global_load_b32 v3, v[10:11], off
	global_load_b32 v4, v[12:13], off
	;; [unrolled: 1-line block ×4, first 2 shown]
	global_load_b32 v2, v20, s[4:5]
	global_load_b32 v7, v[18:19], off
	s_bitcmp0_b32 s13, 0
	s_mov_b32 s0, -1
	s_cbranch_scc1 .LBB69_14
; %bb.4:
	v_cmp_eq_u32_e64 s0, 0, v0
	s_delay_alu instid0(VALU_DEP_1)
	s_and_saveexec_b32 s1, s0
	s_cbranch_execz .LBB69_6
; %bb.5:
	v_mov_b32_e32 v21, 0
	ds_store_b32 v21, v21 offset:24
.LBB69_6:
	s_or_b32 exec_lo, exec_lo, s1
	v_cmp_eq_u32_e32 vcc_lo, 1, v0
	s_mov_b32 s4, exec_lo
	s_waitcnt vmcnt(0) lgkmcnt(0)
	s_barrier
	buffer_gl0_inv
	v_cndmask_b32_e32 v21, v2, v3, vcc_lo
	v_cmp_eq_u32_e32 vcc_lo, 2, v0
	s_delay_alu instid0(VALU_DEP_2) | instskip(SKIP_1) | instid1(VALU_DEP_2)
	v_cndmask_b32_e32 v21, v21, v4, vcc_lo
	v_cmp_eq_u32_e32 vcc_lo, 3, v0
	v_cndmask_b32_e32 v21, v21, v5, vcc_lo
	v_cmp_eq_u32_e32 vcc_lo, 4, v0
	s_delay_alu instid0(VALU_DEP_2) | instskip(SKIP_1) | instid1(VALU_DEP_2)
	v_cndmask_b32_e32 v21, v21, v6, vcc_lo
	v_cmp_eq_u32_e32 vcc_lo, 5, v0
	v_cndmask_b32_e32 v21, v21, v7, vcc_lo
	s_delay_alu instid0(VALU_DEP_1)
	v_cmpx_eq_f32_e32 0, v21
	s_cbranch_execz .LBB69_10
; %bb.7:
	v_mov_b32_e32 v22, 0
	ds_load_b32 v23, v22 offset:24
	s_waitcnt lgkmcnt(0)
	v_readfirstlane_b32 s1, v23
	v_add_nc_u32_e32 v23, 1, v0
	s_delay_alu instid0(VALU_DEP_2) | instskip(NEXT) | instid1(VALU_DEP_1)
	s_cmp_eq_u32 s1, 0
	v_cmp_gt_i32_e32 vcc_lo, s1, v23
	s_cselect_b32 s5, -1, 0
	s_delay_alu instid0(SALU_CYCLE_1) | instskip(NEXT) | instid1(SALU_CYCLE_1)
	s_or_b32 s5, s5, vcc_lo
	s_and_b32 exec_lo, exec_lo, s5
	s_cbranch_execz .LBB69_10
; %bb.8:
	v_mov_b32_e32 v24, s1
	s_mov_b32 s5, 0
.LBB69_9:                               ; =>This Inner Loop Header: Depth=1
	ds_cmpstore_rtn_b32 v24, v22, v23, v24 offset:24
	s_waitcnt lgkmcnt(0)
	v_cmp_ne_u32_e32 vcc_lo, 0, v24
	v_cmp_le_i32_e64 s1, v24, v23
	s_delay_alu instid0(VALU_DEP_1) | instskip(NEXT) | instid1(SALU_CYCLE_1)
	s_and_b32 s1, vcc_lo, s1
	s_and_b32 s1, exec_lo, s1
	s_delay_alu instid0(SALU_CYCLE_1) | instskip(NEXT) | instid1(SALU_CYCLE_1)
	s_or_b32 s5, s1, s5
	s_and_not1_b32 exec_lo, exec_lo, s5
	s_cbranch_execnz .LBB69_9
.LBB69_10:
	s_or_b32 exec_lo, exec_lo, s4
	v_mov_b32_e32 v22, 0
	s_barrier
	buffer_gl0_inv
	ds_load_b32 v23, v22 offset:24
	s_and_saveexec_b32 s1, s0
	s_cbranch_execz .LBB69_12
; %bb.11:
	s_lshl_b64 s[4:5], s[2:3], 2
	s_delay_alu instid0(SALU_CYCLE_1)
	s_add_u32 s4, s6, s4
	s_addc_u32 s5, s7, s5
	s_waitcnt lgkmcnt(0)
	global_store_b32 v22, v23, s[4:5]
.LBB69_12:
	s_or_b32 exec_lo, exec_lo, s1
	s_waitcnt lgkmcnt(0)
	v_cmp_ne_u32_e32 vcc_lo, 0, v23
	s_cbranch_vccz .LBB69_17
; %bb.13:
	s_mov_b32 s0, 0
                                        ; implicit-def: $vgpr2_vgpr3_vgpr4_vgpr5_vgpr6_vgpr7
.LBB69_14:
	s_delay_alu instid0(SALU_CYCLE_1)
	s_and_b32 vcc_lo, exec_lo, s0
	s_cbranch_vccz .LBB69_16
.LBB69_15:
	s_lshl_b64 s[0:1], s[2:3], 2
	v_mov_b32_e32 v1, 0
	s_add_u32 s0, s6, s0
	s_addc_u32 s1, s7, s1
	global_load_b32 v1, v1, s[0:1]
	s_waitcnt vmcnt(0)
	v_cmp_ne_u32_e32 vcc_lo, 0, v1
	s_cbranch_vccz .LBB69_34
.LBB69_16:
	s_nop 0
	s_sendmsg sendmsg(MSG_DEALLOC_VGPRS)
	s_endpgm
.LBB69_17:
	v_div_scale_f32 v22, null, v21, v21, 1.0
	v_div_scale_f32 v25, vcc_lo, 1.0, v21, 1.0
	s_delay_alu instid0(VALU_DEP_2) | instskip(SKIP_2) | instid1(VALU_DEP_1)
	v_rcp_f32_e32 v23, v22
	s_waitcnt_depctr 0xfff
	v_fma_f32 v24, -v22, v23, 1.0
	v_fmac_f32_e32 v23, v24, v23
	s_delay_alu instid0(VALU_DEP_1) | instskip(NEXT) | instid1(VALU_DEP_1)
	v_mul_f32_e32 v24, v25, v23
	v_fma_f32 v26, -v22, v24, v25
	s_delay_alu instid0(VALU_DEP_1) | instskip(NEXT) | instid1(VALU_DEP_1)
	v_fmac_f32_e32 v24, v26, v23
	v_fma_f32 v22, -v22, v24, v25
	s_delay_alu instid0(VALU_DEP_1) | instskip(SKIP_1) | instid1(VALU_DEP_2)
	v_div_fmas_f32 v22, v22, v23, v24
	v_cmp_eq_u32_e32 vcc_lo, 5, v0
	v_div_fixup_f32 v21, v22, v21, 1.0
	s_delay_alu instid0(VALU_DEP_1)
	v_dual_cndmask_b32 v7, v7, v21 :: v_dual_add_nc_u32 v22, 32, v20
	v_cmp_eq_u32_e32 vcc_lo, 4, v0
	v_xor_b32_e32 v23, 0x80000000, v21
	v_cndmask_b32_e32 v6, v6, v21, vcc_lo
	v_cmp_eq_u32_e32 vcc_lo, 3, v0
	v_cndmask_b32_e32 v5, v5, v21, vcc_lo
	v_cmp_eq_u32_e32 vcc_lo, 1, v0
	;; [unrolled: 2-line block ×3, first 2 shown]
	ds_store_2addr_b32 v20, v23, v3 offset1:8
	v_cndmask_b32_e32 v4, v4, v21, vcc_lo
	v_cmp_eq_u32_e32 vcc_lo, 0, v0
	s_waitcnt lgkmcnt(0)
	s_waitcnt_vscnt null, 0x0
	s_barrier
	buffer_gl0_inv
	v_cndmask_b32_e32 v2, v2, v21, vcc_lo
	s_and_saveexec_b32 s1, s0
	s_cbranch_execz .LBB69_19
; %bb.18:
	v_mov_b32_e32 v3, 0
	ds_load_b32 v20, v22
	ds_load_b32 v3, v3 offset:4
	s_waitcnt lgkmcnt(1)
	v_fma_f32 v20, v21, v20, 0
	s_waitcnt lgkmcnt(0)
	s_delay_alu instid0(VALU_DEP_1)
	v_mul_f32_e32 v3, v20, v3
.LBB69_19:
	s_or_b32 exec_lo, exec_lo, s1
	s_delay_alu instid0(SALU_CYCLE_1)
	s_mov_b32 s1, exec_lo
	s_barrier
	buffer_gl0_inv
	ds_store_b32 v22, v4
	s_waitcnt lgkmcnt(0)
	s_barrier
	buffer_gl0_inv
	v_cmpx_gt_u32_e32 2, v0
	s_cbranch_execz .LBB69_21
; %bb.20:
	v_cmp_eq_u32_e32 vcc_lo, 1, v0
	ds_load_b32 v23, v22
	v_cndmask_b32_e32 v20, v2, v3, vcc_lo
	v_cmp_eq_u32_e32 vcc_lo, 2, v0
	s_delay_alu instid0(VALU_DEP_2)
	v_cndmask_b32_e32 v4, v20, v4, vcc_lo
	v_mov_b32_e32 v20, 0
	v_cmp_eq_u32_e32 vcc_lo, 3, v0
	ds_load_2addr_b32 v[20:21], v20 offset0:2 offset1:9
	v_cndmask_b32_e32 v4, v4, v5, vcc_lo
	v_cmp_eq_u32_e32 vcc_lo, 4, v0
	s_delay_alu instid0(VALU_DEP_2) | instskip(SKIP_1) | instid1(VALU_DEP_2)
	v_cndmask_b32_e32 v4, v4, v6, vcc_lo
	v_cmp_eq_u32_e32 vcc_lo, 5, v0
	v_cndmask_b32_e32 v4, v4, v7, vcc_lo
	s_waitcnt lgkmcnt(1)
	s_delay_alu instid0(VALU_DEP_1) | instskip(SKIP_1) | instid1(VALU_DEP_1)
	v_fma_f32 v4, v4, v23, 0
	s_waitcnt lgkmcnt(0)
	v_fma_f32 v21, v3, v21, v4
	s_delay_alu instid0(VALU_DEP_1) | instskip(NEXT) | instid1(VALU_DEP_1)
	v_cndmask_b32_e64 v4, v4, v21, s0
	v_mul_f32_e32 v4, v4, v20
.LBB69_21:
	s_or_b32 exec_lo, exec_lo, s1
	s_delay_alu instid0(SALU_CYCLE_1)
	s_mov_b32 s1, exec_lo
	s_barrier
	buffer_gl0_inv
	ds_store_b32 v22, v5
	s_waitcnt lgkmcnt(0)
	s_barrier
	buffer_gl0_inv
	v_cmpx_gt_u32_e32 3, v0
	s_cbranch_execz .LBB69_25
; %bb.22:
	v_mov_b32_e32 v21, v1
	v_lshl_add_u32 v24, v0, 2, 32
	v_dual_mov_b32 v23, 0 :: v_dual_mov_b32 v20, v0
	s_mov_b32 s4, 0
	.p2align	6
.LBB69_23:                              ; =>This Inner Loop Header: Depth=1
	s_delay_alu instid0(VALU_DEP_1) | instskip(SKIP_3) | instid1(VALU_DEP_2)
	v_cmp_eq_u32_e32 vcc_lo, 1, v20
	ds_load_b32 v26, v24
	v_dual_cndmask_b32 v25, v2, v3 :: v_dual_add_nc_u32 v24, 4, v24
	v_cmp_eq_u32_e32 vcc_lo, 2, v20
	v_cndmask_b32_e32 v25, v25, v4, vcc_lo
	v_cmp_eq_u32_e32 vcc_lo, 3, v20
	s_delay_alu instid0(VALU_DEP_2) | instskip(SKIP_1) | instid1(VALU_DEP_2)
	v_cndmask_b32_e32 v25, v25, v5, vcc_lo
	v_cmp_eq_u32_e32 vcc_lo, 4, v20
	v_cndmask_b32_e32 v25, v25, v6, vcc_lo
	v_cmp_eq_u32_e32 vcc_lo, 5, v20
	v_add_co_u32 v20, s0, v20, 1
	s_delay_alu instid0(VALU_DEP_1) | instskip(NEXT) | instid1(VALU_DEP_4)
	v_add_co_ci_u32_e64 v21, s0, 0, v21, s0
	v_cndmask_b32_e32 v25, v25, v7, vcc_lo
	s_delay_alu instid0(VALU_DEP_3) | instskip(SKIP_1) | instid1(VALU_DEP_2)
	v_add_nc_u32_e32 v27, -1, v20
	s_waitcnt lgkmcnt(0)
	v_fmac_f32_e32 v23, v25, v26
	s_delay_alu instid0(VALU_DEP_2) | instskip(SKIP_1) | instid1(SALU_CYCLE_1)
	v_cmp_lt_u32_e32 vcc_lo, 1, v27
	s_or_b32 s4, vcc_lo, s4
	s_and_not1_b32 exec_lo, exec_lo, s4
	s_cbranch_execnz .LBB69_23
; %bb.24:
	s_or_b32 exec_lo, exec_lo, s4
	v_mov_b32_e32 v5, 0
	ds_load_b32 v5, v5 offset:12
	s_waitcnt lgkmcnt(0)
	v_mul_f32_e32 v5, v23, v5
.LBB69_25:
	s_or_b32 exec_lo, exec_lo, s1
	s_delay_alu instid0(SALU_CYCLE_1)
	s_mov_b32 s1, exec_lo
	s_barrier
	buffer_gl0_inv
	ds_store_b32 v22, v6
	s_waitcnt lgkmcnt(0)
	s_barrier
	buffer_gl0_inv
	v_cmpx_gt_u32_e32 4, v0
	s_cbranch_execz .LBB69_29
; %bb.26:
	v_mov_b32_e32 v21, v1
	v_lshl_add_u32 v24, v0, 2, 32
	v_dual_mov_b32 v23, 0 :: v_dual_mov_b32 v20, v0
	s_mov_b32 s4, 0
	.p2align	6
.LBB69_27:                              ; =>This Inner Loop Header: Depth=1
	s_delay_alu instid0(VALU_DEP_1) | instskip(SKIP_3) | instid1(VALU_DEP_2)
	v_cmp_eq_u32_e32 vcc_lo, 1, v20
	ds_load_b32 v26, v24
	v_dual_cndmask_b32 v25, v2, v3 :: v_dual_add_nc_u32 v24, 4, v24
	v_cmp_eq_u32_e32 vcc_lo, 2, v20
	v_cndmask_b32_e32 v25, v25, v4, vcc_lo
	v_cmp_eq_u32_e32 vcc_lo, 3, v20
	s_delay_alu instid0(VALU_DEP_2) | instskip(SKIP_1) | instid1(VALU_DEP_2)
	v_cndmask_b32_e32 v25, v25, v5, vcc_lo
	v_cmp_eq_u32_e32 vcc_lo, 4, v20
	v_cndmask_b32_e32 v25, v25, v6, vcc_lo
	v_cmp_eq_u32_e32 vcc_lo, 5, v20
	v_add_co_u32 v20, s0, v20, 1
	s_delay_alu instid0(VALU_DEP_1) | instskip(NEXT) | instid1(VALU_DEP_4)
	v_add_co_ci_u32_e64 v21, s0, 0, v21, s0
	v_cndmask_b32_e32 v25, v25, v7, vcc_lo
	s_delay_alu instid0(VALU_DEP_3) | instskip(SKIP_1) | instid1(VALU_DEP_2)
	v_add_nc_u32_e32 v27, -1, v20
	s_waitcnt lgkmcnt(0)
	v_fmac_f32_e32 v23, v25, v26
	s_delay_alu instid0(VALU_DEP_2) | instskip(SKIP_1) | instid1(SALU_CYCLE_1)
	v_cmp_lt_u32_e32 vcc_lo, 2, v27
	s_or_b32 s4, vcc_lo, s4
	s_and_not1_b32 exec_lo, exec_lo, s4
	s_cbranch_execnz .LBB69_27
; %bb.28:
	s_or_b32 exec_lo, exec_lo, s4
	v_mov_b32_e32 v6, 0
	ds_load_b32 v6, v6 offset:16
	s_waitcnt lgkmcnt(0)
	v_mul_f32_e32 v6, v23, v6
.LBB69_29:
	s_or_b32 exec_lo, exec_lo, s1
	s_delay_alu instid0(SALU_CYCLE_1)
	s_mov_b32 s1, exec_lo
	s_barrier
	buffer_gl0_inv
	ds_store_b32 v22, v7
	s_waitcnt lgkmcnt(0)
	s_barrier
	buffer_gl0_inv
	v_cmpx_ne_u32_e32 5, v0
	s_cbranch_execz .LBB69_33
; %bb.30:
	v_dual_mov_b32 v22, 0 :: v_dual_mov_b32 v21, v1
	v_lshl_add_u32 v23, v0, 2, 32
	v_mov_b32_e32 v20, v0
	s_mov_b32 s4, 0
	.p2align	6
.LBB69_31:                              ; =>This Inner Loop Header: Depth=1
	s_delay_alu instid0(VALU_DEP_1) | instskip(SKIP_3) | instid1(VALU_DEP_2)
	v_cmp_eq_u32_e32 vcc_lo, 1, v20
	ds_load_b32 v24, v23
	v_cndmask_b32_e32 v1, v2, v3, vcc_lo
	v_cmp_eq_u32_e32 vcc_lo, 2, v20
	v_cndmask_b32_e32 v1, v1, v4, vcc_lo
	v_cmp_eq_u32_e32 vcc_lo, 3, v20
	s_delay_alu instid0(VALU_DEP_2) | instskip(SKIP_1) | instid1(VALU_DEP_2)
	v_cndmask_b32_e32 v1, v1, v5, vcc_lo
	v_cmp_eq_u32_e32 vcc_lo, 4, v20
	v_cndmask_b32_e32 v1, v1, v6, vcc_lo
	v_cmp_eq_u32_e32 vcc_lo, 5, v20
	v_add_co_u32 v20, s0, v20, 1
	s_delay_alu instid0(VALU_DEP_1) | instskip(NEXT) | instid1(VALU_DEP_4)
	v_add_co_ci_u32_e64 v21, s0, 0, v21, s0
	v_cndmask_b32_e32 v1, v1, v7, vcc_lo
	s_delay_alu instid0(VALU_DEP_3) | instskip(SKIP_1) | instid1(VALU_DEP_2)
	v_add_nc_u32_e32 v25, -1, v20
	s_waitcnt lgkmcnt(0)
	v_dual_fmac_f32 v22, v1, v24 :: v_dual_add_nc_u32 v23, 4, v23
	s_delay_alu instid0(VALU_DEP_2) | instskip(SKIP_1) | instid1(SALU_CYCLE_1)
	v_cmp_lt_u32_e32 vcc_lo, 3, v25
	s_or_b32 s4, vcc_lo, s4
	s_and_not1_b32 exec_lo, exec_lo, s4
	s_cbranch_execnz .LBB69_31
; %bb.32:
	s_or_b32 exec_lo, exec_lo, s4
	v_mov_b32_e32 v1, 0
	ds_load_b32 v1, v1 offset:20
	s_waitcnt lgkmcnt(0)
	v_mul_f32_e32 v7, v22, v1
.LBB69_33:
	s_or_b32 exec_lo, exec_lo, s1
	s_barrier
	buffer_gl0_inv
	s_cbranch_execnz .LBB69_15
	s_branch .LBB69_16
.LBB69_34:
	v_lshl_add_u32 v1, v0, 2, 32
	s_mov_b32 s0, exec_lo
	v_cmpx_eq_u32_e32 5, v0
	s_cbranch_execz .LBB69_36
; %bb.35:
	s_mov_b32 s1, 0
	ds_store_b32 v1, v6
	v_mov_b32_e32 v6, s1
.LBB69_36:
	s_or_b32 exec_lo, exec_lo, s0
	v_mov_b32_e32 v20, 0
	s_waitcnt lgkmcnt(0)
	s_waitcnt_vscnt null, 0x0
	s_barrier
	buffer_gl0_inv
	s_mov_b32 s0, exec_lo
	ds_load_b32 v21, v20 offset:52
	s_waitcnt lgkmcnt(0)
	v_fma_f32 v21, v7, v21, 0
	s_delay_alu instid0(VALU_DEP_1)
	v_sub_f32_e32 v6, v6, v21
	v_cmpx_lt_u32_e32 3, v0
	s_cbranch_execz .LBB69_38
; %bb.37:
	s_mov_b32 s1, 0
	s_delay_alu instid0(VALU_DEP_2)
	v_dual_mov_b32 v26, v7 :: v_dual_mov_b32 v25, v6
	v_dual_mov_b32 v24, v5 :: v_dual_mov_b32 v23, v4
	;; [unrolled: 1-line block ×3, first 2 shown]
	v_mov_b32_e32 v24, s1
	ds_store_b32 v1, v5
	v_dual_mov_b32 v2, v21 :: v_dual_mov_b32 v3, v22
	v_dual_mov_b32 v4, v23 :: v_dual_mov_b32 v5, v24
	;; [unrolled: 1-line block ×3, first 2 shown]
.LBB69_38:
	s_or_b32 exec_lo, exec_lo, s0
	s_waitcnt lgkmcnt(0)
	s_barrier
	buffer_gl0_inv
	ds_load_b64 v[20:21], v20 offset:48
	s_mov_b32 s0, exec_lo
	s_waitcnt lgkmcnt(0)
	v_fma_f32 v20, v6, v20, 0
	s_delay_alu instid0(VALU_DEP_1) | instskip(NEXT) | instid1(VALU_DEP_1)
	v_fmac_f32_e32 v20, v7, v21
	v_sub_f32_e32 v5, v5, v20
	v_cmpx_lt_u32_e32 2, v0
	s_cbranch_execz .LBB69_40
; %bb.39:
	s_mov_b32 s1, 0
	v_dual_mov_b32 v25, v7 :: v_dual_mov_b32 v24, v6
	v_dual_mov_b32 v23, v5 :: v_dual_mov_b32 v22, v4
	;; [unrolled: 1-line block ×3, first 2 shown]
	v_mov_b32_e32 v22, s1
	ds_store_b32 v1, v4
	v_dual_mov_b32 v2, v20 :: v_dual_mov_b32 v3, v21
	v_dual_mov_b32 v4, v22 :: v_dual_mov_b32 v5, v23
	;; [unrolled: 1-line block ×3, first 2 shown]
.LBB69_40:
	s_or_b32 exec_lo, exec_lo, s0
	v_mov_b32_e32 v20, 0
	s_waitcnt lgkmcnt(0)
	s_barrier
	buffer_gl0_inv
	s_mov_b32 s0, exec_lo
	ds_load_2addr_b32 v[21:22], v20 offset0:11 offset1:12
	ds_load_b32 v23, v20 offset:52
	s_waitcnt lgkmcnt(1)
	v_fma_f32 v21, v5, v21, 0
	s_delay_alu instid0(VALU_DEP_1) | instskip(SKIP_1) | instid1(VALU_DEP_1)
	v_fmac_f32_e32 v21, v6, v22
	s_waitcnt lgkmcnt(0)
	v_fmac_f32_e32 v21, v7, v23
	s_delay_alu instid0(VALU_DEP_1)
	v_sub_f32_e32 v4, v4, v21
	v_cmpx_lt_u32_e32 1, v0
	s_cbranch_execz .LBB69_42
; %bb.41:
	s_mov_b32 s1, 0
	v_dual_mov_b32 v26, v7 :: v_dual_mov_b32 v25, v6
	v_dual_mov_b32 v22, v3 :: v_dual_mov_b32 v21, v2
	;; [unrolled: 1-line block ×3, first 2 shown]
	v_mov_b32_e32 v22, s1
	ds_store_b32 v1, v3
	v_dual_mov_b32 v2, v21 :: v_dual_mov_b32 v5, v24
	v_dual_mov_b32 v4, v23 :: v_dual_mov_b32 v3, v22
	;; [unrolled: 1-line block ×3, first 2 shown]
.LBB69_42:
	s_or_b32 exec_lo, exec_lo, s0
	s_waitcnt lgkmcnt(0)
	s_barrier
	buffer_gl0_inv
	ds_load_2addr_b64 v[20:23], v20 offset0:5 offset1:6
	s_mov_b32 s1, 0
	s_mov_b32 s0, exec_lo
	s_waitcnt lgkmcnt(0)
	v_fma_f32 v20, v4, v20, 0
	s_delay_alu instid0(VALU_DEP_1) | instskip(NEXT) | instid1(VALU_DEP_1)
	v_fmac_f32_e32 v20, v5, v21
	v_fmac_f32_e32 v20, v6, v22
	s_delay_alu instid0(VALU_DEP_1) | instskip(NEXT) | instid1(VALU_DEP_1)
	v_fmac_f32_e32 v20, v7, v23
	v_sub_f32_e32 v3, v3, v20
	v_cmpx_ne_u32_e32 0, v0
	s_cbranch_execz .LBB69_44
; %bb.43:
	v_dual_mov_b32 v25, v7 :: v_dual_mov_b32 v24, v6
	s_delay_alu instid0(VALU_DEP_3)
	v_dual_mov_b32 v21, v3 :: v_dual_mov_b32 v20, v2
	v_dual_mov_b32 v20, s1 :: v_dual_mov_b32 v23, v5
	v_mov_b32_e32 v22, v4
	ds_store_b32 v1, v2
	v_dual_mov_b32 v2, v20 :: v_dual_mov_b32 v3, v21
	v_dual_mov_b32 v4, v22 :: v_dual_mov_b32 v5, v23
	v_dual_mov_b32 v6, v24 :: v_dual_mov_b32 v7, v25
.LBB69_44:
	s_or_b32 exec_lo, exec_lo, s0
	v_mov_b32_e32 v22, 0
	s_waitcnt lgkmcnt(0)
	s_barrier
	buffer_gl0_inv
	s_and_b32 vcc_lo, exec_lo, s12
	ds_load_2addr_b32 v[0:1], v22 offset0:9 offset1:10
	ds_load_2addr_b32 v[20:21], v22 offset0:11 offset1:12
	ds_load_b32 v22, v22 offset:52
	s_waitcnt lgkmcnt(2)
	v_fma_f32 v0, v3, v0, 0
	s_delay_alu instid0(VALU_DEP_1) | instskip(SKIP_1) | instid1(VALU_DEP_1)
	v_fmac_f32_e32 v0, v4, v1
	s_waitcnt lgkmcnt(1)
	v_fmac_f32_e32 v0, v5, v20
	s_delay_alu instid0(VALU_DEP_1) | instskip(SKIP_1) | instid1(VALU_DEP_1)
	v_fmac_f32_e32 v0, v6, v21
	s_waitcnt lgkmcnt(0)
	v_fmac_f32_e32 v0, v7, v22
	s_delay_alu instid0(VALU_DEP_1)
	v_sub_f32_e32 v2, v2, v0
	s_cbranch_vccz .LBB69_56
; %bb.45:
	v_dual_mov_b32 v0, s8 :: v_dual_mov_b32 v1, s9
	s_mov_b32 s4, exec_lo
	flat_load_b32 v0, v[0:1] offset:16
	s_waitcnt vmcnt(0) lgkmcnt(0)
	v_add_nc_u32_e32 v0, -1, v0
	s_delay_alu instid0(VALU_DEP_1)
	v_cmpx_ne_u32_e32 4, v0
	s_cbranch_execz .LBB69_47
; %bb.46:
	v_cmp_eq_u32_e32 vcc_lo, 1, v0
	v_cmp_eq_u32_e64 s0, 2, v0
	v_cmp_eq_u32_e64 s1, 3, v0
	;; [unrolled: 1-line block ×4, first 2 shown]
	v_cndmask_b32_e32 v21, v3, v6, vcc_lo
	v_cndmask_b32_e64 v22, v4, v6, s0
	v_cndmask_b32_e64 v23, v5, v6, s1
	;; [unrolled: 1-line block ×3, first 2 shown]
	v_cndmask_b32_e32 v1, v2, v3, vcc_lo
	v_cmp_eq_u32_e32 vcc_lo, 0, v0
	s_delay_alu instid0(VALU_DEP_2) | instskip(SKIP_1) | instid1(VALU_DEP_2)
	v_cndmask_b32_e64 v1, v1, v4, s0
	v_cndmask_b32_e32 v20, v2, v6, vcc_lo
	v_cndmask_b32_e64 v1, v1, v5, s1
	s_delay_alu instid0(VALU_DEP_1) | instskip(NEXT) | instid1(VALU_DEP_1)
	v_cndmask_b32_e64 v1, v1, v6, s2
	v_cndmask_b32_e64 v1, v1, v7, s3
	s_delay_alu instid0(VALU_DEP_1) | instskip(SKIP_2) | instid1(VALU_DEP_3)
	v_cndmask_b32_e64 v24, v1, v6, s2
	v_dual_mov_b32 v2, v20 :: v_dual_mov_b32 v3, v21
	v_dual_mov_b32 v4, v22 :: v_dual_mov_b32 v5, v23
	;; [unrolled: 1-line block ×3, first 2 shown]
.LBB69_47:
	s_or_b32 exec_lo, exec_lo, s4
	v_dual_mov_b32 v0, s8 :: v_dual_mov_b32 v1, s9
	s_mov_b32 s4, exec_lo
	flat_load_b32 v0, v[0:1] offset:12
	s_waitcnt vmcnt(0) lgkmcnt(0)
	v_add_nc_u32_e32 v0, -1, v0
	s_delay_alu instid0(VALU_DEP_1)
	v_cmpx_ne_u32_e32 3, v0
	s_cbranch_execz .LBB69_49
; %bb.48:
	v_cmp_eq_u32_e32 vcc_lo, 1, v0
	v_cmp_eq_u32_e64 s0, 2, v0
	v_cmp_eq_u32_e64 s2, 4, v0
	;; [unrolled: 1-line block ×4, first 2 shown]
	v_cndmask_b32_e32 v21, v3, v5, vcc_lo
	v_cndmask_b32_e64 v22, v4, v5, s0
	v_cndmask_b32_e64 v24, v6, v5, s2
	;; [unrolled: 1-line block ×3, first 2 shown]
	v_cndmask_b32_e32 v1, v2, v3, vcc_lo
	v_cmp_eq_u32_e32 vcc_lo, 0, v0
	s_delay_alu instid0(VALU_DEP_2) | instskip(SKIP_1) | instid1(VALU_DEP_2)
	v_cndmask_b32_e64 v1, v1, v4, s0
	v_cndmask_b32_e32 v20, v2, v5, vcc_lo
	v_cndmask_b32_e64 v1, v1, v5, s1
	s_delay_alu instid0(VALU_DEP_1) | instskip(NEXT) | instid1(VALU_DEP_1)
	v_cndmask_b32_e64 v1, v1, v6, s2
	v_cndmask_b32_e64 v1, v1, v7, s3
	s_delay_alu instid0(VALU_DEP_1) | instskip(SKIP_2) | instid1(VALU_DEP_3)
	v_cndmask_b32_e64 v23, v1, v5, s1
	v_dual_mov_b32 v2, v20 :: v_dual_mov_b32 v3, v21
	v_mov_b32_e32 v4, v22
	v_dual_mov_b32 v6, v24 :: v_dual_mov_b32 v5, v23
	v_mov_b32_e32 v7, v25
.LBB69_49:
	s_or_b32 exec_lo, exec_lo, s4
	v_dual_mov_b32 v0, s8 :: v_dual_mov_b32 v1, s9
	s_mov_b32 s4, exec_lo
	flat_load_b32 v0, v[0:1] offset:8
	s_waitcnt vmcnt(0) lgkmcnt(0)
	v_add_nc_u32_e32 v0, -1, v0
	s_delay_alu instid0(VALU_DEP_1)
	v_cmpx_ne_u32_e32 2, v0
	s_cbranch_execz .LBB69_51
; %bb.50:
	v_cmp_eq_u32_e32 vcc_lo, 1, v0
	v_cmp_eq_u32_e64 s1, 3, v0
	v_cmp_eq_u32_e64 s2, 4, v0
	;; [unrolled: 1-line block ×4, first 2 shown]
	v_cndmask_b32_e32 v21, v3, v4, vcc_lo
	v_cndmask_b32_e64 v23, v5, v4, s1
	v_cndmask_b32_e64 v24, v6, v4, s2
	v_cndmask_b32_e64 v25, v7, v4, s3
	v_cndmask_b32_e32 v1, v2, v3, vcc_lo
	v_cmp_eq_u32_e32 vcc_lo, 0, v0
	s_delay_alu instid0(VALU_DEP_2) | instskip(SKIP_1) | instid1(VALU_DEP_2)
	v_cndmask_b32_e64 v1, v1, v4, s0
	v_cndmask_b32_e32 v20, v2, v4, vcc_lo
	v_cndmask_b32_e64 v1, v1, v5, s1
	s_delay_alu instid0(VALU_DEP_1) | instskip(NEXT) | instid1(VALU_DEP_1)
	v_cndmask_b32_e64 v1, v1, v6, s2
	v_cndmask_b32_e64 v1, v1, v7, s3
	s_delay_alu instid0(VALU_DEP_1) | instskip(SKIP_2) | instid1(VALU_DEP_3)
	v_cndmask_b32_e64 v22, v1, v4, s0
	v_dual_mov_b32 v2, v20 :: v_dual_mov_b32 v3, v21
	v_dual_mov_b32 v5, v23 :: v_dual_mov_b32 v6, v24
	;; [unrolled: 1-line block ×3, first 2 shown]
.LBB69_51:
	s_or_b32 exec_lo, exec_lo, s4
	v_dual_mov_b32 v0, s8 :: v_dual_mov_b32 v1, s9
	s_mov_b32 s4, exec_lo
	flat_load_b32 v0, v[0:1] offset:4
	s_waitcnt vmcnt(0) lgkmcnt(0)
	v_add_nc_u32_e32 v0, -1, v0
	s_delay_alu instid0(VALU_DEP_1)
	v_cmpx_ne_u32_e32 1, v0
	s_cbranch_execz .LBB69_53
; %bb.52:
	v_cmp_eq_u32_e32 vcc_lo, 1, v0
	v_cmp_eq_u32_e64 s0, 2, v0
	v_cmp_eq_u32_e64 s1, 3, v0
	;; [unrolled: 1-line block ×4, first 2 shown]
	s_delay_alu instid0(VALU_DEP_4) | instskip(NEXT) | instid1(VALU_DEP_4)
	v_cndmask_b32_e64 v22, v4, v3, s0
	v_cndmask_b32_e64 v23, v5, v3, s1
	s_delay_alu instid0(VALU_DEP_4) | instskip(NEXT) | instid1(VALU_DEP_4)
	v_cndmask_b32_e64 v24, v6, v3, s2
	v_cndmask_b32_e64 v25, v7, v3, s3
	v_cndmask_b32_e32 v1, v2, v3, vcc_lo
	s_delay_alu instid0(VALU_DEP_1) | instskip(NEXT) | instid1(VALU_DEP_1)
	v_cndmask_b32_e64 v1, v1, v4, s0
	v_cndmask_b32_e64 v1, v1, v5, s1
	s_delay_alu instid0(VALU_DEP_1) | instskip(NEXT) | instid1(VALU_DEP_1)
	v_cndmask_b32_e64 v1, v1, v6, s2
	v_cndmask_b32_e64 v1, v1, v7, s3
	s_delay_alu instid0(VALU_DEP_1) | instskip(SKIP_2) | instid1(VALU_DEP_1)
	v_cndmask_b32_e32 v21, v1, v3, vcc_lo
	v_cmp_eq_u32_e32 vcc_lo, 0, v0
	v_cndmask_b32_e32 v20, v2, v3, vcc_lo
	v_dual_mov_b32 v2, v20 :: v_dual_mov_b32 v3, v21
	v_dual_mov_b32 v4, v22 :: v_dual_mov_b32 v5, v23
	;; [unrolled: 1-line block ×3, first 2 shown]
.LBB69_53:
	s_or_b32 exec_lo, exec_lo, s4
	v_dual_mov_b32 v0, s8 :: v_dual_mov_b32 v1, s9
	s_mov_b32 s4, exec_lo
	flat_load_b32 v0, v[0:1]
	s_waitcnt vmcnt(0) lgkmcnt(0)
	v_add_nc_u32_e32 v0, -1, v0
	s_delay_alu instid0(VALU_DEP_1)
	v_cmpx_ne_u32_e32 0, v0
	s_cbranch_execz .LBB69_55
; %bb.54:
	v_cmp_eq_u32_e32 vcc_lo, 1, v0
	v_cmp_eq_u32_e64 s0, 2, v0
	v_cmp_eq_u32_e64 s1, 3, v0
	;; [unrolled: 1-line block ×4, first 2 shown]
	v_cndmask_b32_e32 v21, v3, v2, vcc_lo
	v_cndmask_b32_e64 v22, v4, v2, s0
	v_cndmask_b32_e64 v23, v5, v2, s1
	;; [unrolled: 1-line block ×4, first 2 shown]
	v_cndmask_b32_e32 v1, v2, v3, vcc_lo
	s_delay_alu instid0(VALU_DEP_1) | instskip(SKIP_1) | instid1(VALU_DEP_2)
	v_cndmask_b32_e64 v1, v1, v4, s0
	v_cmp_eq_u32_e64 s0, 0, v0
	v_cndmask_b32_e64 v1, v1, v5, s1
	s_delay_alu instid0(VALU_DEP_1) | instskip(NEXT) | instid1(VALU_DEP_1)
	v_cndmask_b32_e64 v1, v1, v6, s2
	v_cndmask_b32_e64 v1, v1, v7, s3
	s_delay_alu instid0(VALU_DEP_1) | instskip(NEXT) | instid1(VALU_DEP_1)
	v_cndmask_b32_e64 v20, v1, v2, s0
	v_dual_mov_b32 v2, v20 :: v_dual_mov_b32 v3, v21
	v_dual_mov_b32 v4, v22 :: v_dual_mov_b32 v5, v23
	v_dual_mov_b32 v6, v24 :: v_dual_mov_b32 v7, v25
.LBB69_55:
	s_or_b32 exec_lo, exec_lo, s4
.LBB69_56:
	s_clause 0x5
	global_store_b32 v[8:9], v2, off
	global_store_b32 v[10:11], v3, off
	;; [unrolled: 1-line block ×6, first 2 shown]
	s_nop 0
	s_sendmsg sendmsg(MSG_DEALLOC_VGPRS)
	s_endpgm
	.section	.rodata,"a",@progbits
	.p2align	6, 0x0
	.amdhsa_kernel _ZN9rocsolver6v33100L18getri_kernel_smallILi6EfPKPfEEvT1_iilPiilS6_bb
		.amdhsa_group_segment_fixed_size 56
		.amdhsa_private_segment_fixed_size 0
		.amdhsa_kernarg_size 60
		.amdhsa_user_sgpr_count 15
		.amdhsa_user_sgpr_dispatch_ptr 0
		.amdhsa_user_sgpr_queue_ptr 0
		.amdhsa_user_sgpr_kernarg_segment_ptr 1
		.amdhsa_user_sgpr_dispatch_id 0
		.amdhsa_user_sgpr_private_segment_size 0
		.amdhsa_wavefront_size32 1
		.amdhsa_uses_dynamic_stack 0
		.amdhsa_enable_private_segment 0
		.amdhsa_system_sgpr_workgroup_id_x 1
		.amdhsa_system_sgpr_workgroup_id_y 0
		.amdhsa_system_sgpr_workgroup_id_z 0
		.amdhsa_system_sgpr_workgroup_info 0
		.amdhsa_system_vgpr_workitem_id 0
		.amdhsa_next_free_vgpr 28
		.amdhsa_next_free_sgpr 17
		.amdhsa_reserve_vcc 1
		.amdhsa_float_round_mode_32 0
		.amdhsa_float_round_mode_16_64 0
		.amdhsa_float_denorm_mode_32 3
		.amdhsa_float_denorm_mode_16_64 3
		.amdhsa_dx10_clamp 1
		.amdhsa_ieee_mode 1
		.amdhsa_fp16_overflow 0
		.amdhsa_workgroup_processor_mode 1
		.amdhsa_memory_ordered 1
		.amdhsa_forward_progress 0
		.amdhsa_shared_vgpr_count 0
		.amdhsa_exception_fp_ieee_invalid_op 0
		.amdhsa_exception_fp_denorm_src 0
		.amdhsa_exception_fp_ieee_div_zero 0
		.amdhsa_exception_fp_ieee_overflow 0
		.amdhsa_exception_fp_ieee_underflow 0
		.amdhsa_exception_fp_ieee_inexact 0
		.amdhsa_exception_int_div_zero 0
	.end_amdhsa_kernel
	.section	.text._ZN9rocsolver6v33100L18getri_kernel_smallILi6EfPKPfEEvT1_iilPiilS6_bb,"axG",@progbits,_ZN9rocsolver6v33100L18getri_kernel_smallILi6EfPKPfEEvT1_iilPiilS6_bb,comdat
.Lfunc_end69:
	.size	_ZN9rocsolver6v33100L18getri_kernel_smallILi6EfPKPfEEvT1_iilPiilS6_bb, .Lfunc_end69-_ZN9rocsolver6v33100L18getri_kernel_smallILi6EfPKPfEEvT1_iilPiilS6_bb
                                        ; -- End function
	.section	.AMDGPU.csdata,"",@progbits
; Kernel info:
; codeLenInByte = 3680
; NumSgprs: 19
; NumVgprs: 28
; ScratchSize: 0
; MemoryBound: 0
; FloatMode: 240
; IeeeMode: 1
; LDSByteSize: 56 bytes/workgroup (compile time only)
; SGPRBlocks: 2
; VGPRBlocks: 3
; NumSGPRsForWavesPerEU: 19
; NumVGPRsForWavesPerEU: 28
; Occupancy: 16
; WaveLimiterHint : 1
; COMPUTE_PGM_RSRC2:SCRATCH_EN: 0
; COMPUTE_PGM_RSRC2:USER_SGPR: 15
; COMPUTE_PGM_RSRC2:TRAP_HANDLER: 0
; COMPUTE_PGM_RSRC2:TGID_X_EN: 1
; COMPUTE_PGM_RSRC2:TGID_Y_EN: 0
; COMPUTE_PGM_RSRC2:TGID_Z_EN: 0
; COMPUTE_PGM_RSRC2:TIDIG_COMP_CNT: 0
	.section	.text._ZN9rocsolver6v33100L18getri_kernel_smallILi7EfPKPfEEvT1_iilPiilS6_bb,"axG",@progbits,_ZN9rocsolver6v33100L18getri_kernel_smallILi7EfPKPfEEvT1_iilPiilS6_bb,comdat
	.globl	_ZN9rocsolver6v33100L18getri_kernel_smallILi7EfPKPfEEvT1_iilPiilS6_bb ; -- Begin function _ZN9rocsolver6v33100L18getri_kernel_smallILi7EfPKPfEEvT1_iilPiilS6_bb
	.p2align	8
	.type	_ZN9rocsolver6v33100L18getri_kernel_smallILi7EfPKPfEEvT1_iilPiilS6_bb,@function
_ZN9rocsolver6v33100L18getri_kernel_smallILi7EfPKPfEEvT1_iilPiilS6_bb: ; @_ZN9rocsolver6v33100L18getri_kernel_smallILi7EfPKPfEEvT1_iilPiilS6_bb
; %bb.0:
	s_mov_b32 s3, exec_lo
	v_cmpx_gt_u32_e32 7, v0
	s_cbranch_execz .LBB70_16
; %bb.1:
	s_clause 0x1
	s_load_b32 s13, s[0:1], 0x38
	s_load_b64 s[8:9], s[0:1], 0x0
	s_mov_b32 s2, s15
	s_load_b128 s[4:7], s[0:1], 0x28
	s_waitcnt lgkmcnt(0)
	s_bitcmp1_b32 s13, 8
	s_cselect_b32 s12, -1, 0
	s_ashr_i32 s3, s15, 31
	s_delay_alu instid0(SALU_CYCLE_1) | instskip(NEXT) | instid1(SALU_CYCLE_1)
	s_lshl_b64 s[10:11], s[2:3], 3
	s_add_u32 s8, s8, s10
	s_addc_u32 s9, s9, s11
	s_load_b64 s[10:11], s[8:9], 0x0
	s_bfe_u32 s8, s13, 0x10008
	s_delay_alu instid0(SALU_CYCLE_1)
	s_cmp_eq_u32 s8, 0
                                        ; implicit-def: $sgpr8_sgpr9
	s_cbranch_scc1 .LBB70_3
; %bb.2:
	s_clause 0x1
	s_load_b32 s8, s[0:1], 0x20
	s_load_b64 s[14:15], s[0:1], 0x18
	s_mul_i32 s5, s2, s5
	s_mul_hi_u32 s9, s2, s4
	s_mul_i32 s16, s3, s4
	s_add_i32 s5, s9, s5
	s_mul_i32 s4, s2, s4
	s_add_i32 s5, s5, s16
	s_delay_alu instid0(SALU_CYCLE_1)
	s_lshl_b64 s[4:5], s[4:5], 2
	s_waitcnt lgkmcnt(0)
	s_ashr_i32 s9, s8, 31
	s_add_u32 s14, s14, s4
	s_addc_u32 s15, s15, s5
	s_lshl_b64 s[4:5], s[8:9], 2
	s_delay_alu instid0(SALU_CYCLE_1)
	s_add_u32 s8, s14, s4
	s_addc_u32 s9, s15, s5
.LBB70_3:
	s_load_b64 s[0:1], s[0:1], 0x8
	v_lshlrev_b32_e32 v23, 2, v0
	s_waitcnt lgkmcnt(0)
	v_add3_u32 v1, s1, s1, v0
	s_ashr_i32 s5, s0, 31
	s_mov_b32 s4, s0
	s_mov_b32 s14, s1
	s_lshl_b64 s[4:5], s[4:5], 2
	v_add_nc_u32_e32 v3, s1, v1
	v_ashrrev_i32_e32 v2, 31, v1
	s_add_u32 s4, s10, s4
	s_addc_u32 s5, s11, s5
	v_add_co_u32 v9, s0, s4, v23
	v_add_nc_u32_e32 v5, s1, v3
	s_ashr_i32 s15, s1, 31
	v_add_co_ci_u32_e64 v10, null, s5, 0, s0
	v_lshlrev_b64 v[1:2], 2, v[1:2]
	s_lshl_b64 s[10:11], s[14:15], 2
	v_ashrrev_i32_e32 v4, 31, v3
	v_add_co_u32 v11, vcc_lo, v9, s10
	v_ashrrev_i32_e32 v6, 31, v5
	v_add_nc_u32_e32 v7, s1, v5
	v_add_co_ci_u32_e32 v12, vcc_lo, s11, v10, vcc_lo
	v_add_co_u32 v13, vcc_lo, s4, v1
	v_lshlrev_b64 v[3:4], 2, v[3:4]
	v_add_co_ci_u32_e32 v14, vcc_lo, s5, v2, vcc_lo
	v_lshlrev_b64 v[1:2], 2, v[5:6]
	v_add_nc_u32_e32 v5, s1, v7
	v_ashrrev_i32_e32 v8, 31, v7
	v_add_co_u32 v15, vcc_lo, s4, v3
	v_add_co_ci_u32_e32 v16, vcc_lo, s5, v4, vcc_lo
	s_delay_alu instid0(VALU_DEP_4) | instskip(NEXT) | instid1(VALU_DEP_4)
	v_ashrrev_i32_e32 v6, 31, v5
	v_lshlrev_b64 v[3:4], 2, v[7:8]
	v_add_co_u32 v17, vcc_lo, s4, v1
	v_add_co_ci_u32_e32 v18, vcc_lo, s5, v2, vcc_lo
	s_delay_alu instid0(VALU_DEP_4) | instskip(NEXT) | instid1(VALU_DEP_4)
	v_lshlrev_b64 v[1:2], 2, v[5:6]
	v_add_co_u32 v19, vcc_lo, s4, v3
	v_add_co_ci_u32_e32 v20, vcc_lo, s5, v4, vcc_lo
	s_bitcmp0_b32 s13, 0
	s_delay_alu instid0(VALU_DEP_3) | instskip(NEXT) | instid1(VALU_DEP_4)
	v_add_co_u32 v21, vcc_lo, s4, v1
	v_add_co_ci_u32_e32 v22, vcc_lo, s5, v2, vcc_lo
	s_clause 0x6
	global_load_b32 v3, v[11:12], off
	global_load_b32 v4, v[13:14], off
	;; [unrolled: 1-line block ×5, first 2 shown]
	global_load_b32 v2, v23, s[4:5]
	global_load_b32 v8, v[21:22], off
	v_mov_b32_e32 v1, 0
	s_mov_b32 s0, -1
	s_cbranch_scc1 .LBB70_14
; %bb.4:
	v_cmp_eq_u32_e64 s0, 0, v0
	s_delay_alu instid0(VALU_DEP_1)
	s_and_saveexec_b32 s1, s0
	s_cbranch_execz .LBB70_6
; %bb.5:
	v_mov_b32_e32 v24, 0
	ds_store_b32 v24, v24 offset:28
.LBB70_6:
	s_or_b32 exec_lo, exec_lo, s1
	v_cmp_eq_u32_e32 vcc_lo, 1, v0
	s_mov_b32 s4, exec_lo
	s_waitcnt vmcnt(0) lgkmcnt(0)
	s_barrier
	buffer_gl0_inv
	v_cndmask_b32_e32 v24, v2, v3, vcc_lo
	v_cmp_eq_u32_e32 vcc_lo, 2, v0
	s_delay_alu instid0(VALU_DEP_2) | instskip(SKIP_1) | instid1(VALU_DEP_2)
	v_cndmask_b32_e32 v24, v24, v4, vcc_lo
	v_cmp_eq_u32_e32 vcc_lo, 3, v0
	v_cndmask_b32_e32 v24, v24, v5, vcc_lo
	v_cmp_eq_u32_e32 vcc_lo, 4, v0
	s_delay_alu instid0(VALU_DEP_2) | instskip(SKIP_1) | instid1(VALU_DEP_2)
	v_cndmask_b32_e32 v24, v24, v6, vcc_lo
	v_cmp_eq_u32_e32 vcc_lo, 5, v0
	v_cndmask_b32_e32 v24, v24, v7, vcc_lo
	v_cmp_eq_u32_e32 vcc_lo, 6, v0
	s_delay_alu instid0(VALU_DEP_2) | instskip(NEXT) | instid1(VALU_DEP_1)
	v_cndmask_b32_e32 v24, v24, v8, vcc_lo
	v_cmpx_eq_f32_e32 0, v24
	s_cbranch_execz .LBB70_10
; %bb.7:
	v_mov_b32_e32 v25, 0
	ds_load_b32 v26, v25 offset:28
	s_waitcnt lgkmcnt(0)
	v_readfirstlane_b32 s1, v26
	v_add_nc_u32_e32 v26, 1, v0
	s_delay_alu instid0(VALU_DEP_2) | instskip(NEXT) | instid1(VALU_DEP_1)
	s_cmp_eq_u32 s1, 0
	v_cmp_gt_i32_e32 vcc_lo, s1, v26
	s_cselect_b32 s5, -1, 0
	s_delay_alu instid0(SALU_CYCLE_1) | instskip(NEXT) | instid1(SALU_CYCLE_1)
	s_or_b32 s5, s5, vcc_lo
	s_and_b32 exec_lo, exec_lo, s5
	s_cbranch_execz .LBB70_10
; %bb.8:
	v_mov_b32_e32 v27, s1
	s_mov_b32 s5, 0
.LBB70_9:                               ; =>This Inner Loop Header: Depth=1
	ds_cmpstore_rtn_b32 v27, v25, v26, v27 offset:28
	s_waitcnt lgkmcnt(0)
	v_cmp_ne_u32_e32 vcc_lo, 0, v27
	v_cmp_le_i32_e64 s1, v27, v26
	s_delay_alu instid0(VALU_DEP_1) | instskip(NEXT) | instid1(SALU_CYCLE_1)
	s_and_b32 s1, vcc_lo, s1
	s_and_b32 s1, exec_lo, s1
	s_delay_alu instid0(SALU_CYCLE_1) | instskip(NEXT) | instid1(SALU_CYCLE_1)
	s_or_b32 s5, s1, s5
	s_and_not1_b32 exec_lo, exec_lo, s5
	s_cbranch_execnz .LBB70_9
.LBB70_10:
	s_or_b32 exec_lo, exec_lo, s4
	v_mov_b32_e32 v25, 0
	s_barrier
	buffer_gl0_inv
	ds_load_b32 v26, v25 offset:28
	s_and_saveexec_b32 s1, s0
	s_cbranch_execz .LBB70_12
; %bb.11:
	s_lshl_b64 s[4:5], s[2:3], 2
	s_delay_alu instid0(SALU_CYCLE_1)
	s_add_u32 s4, s6, s4
	s_addc_u32 s5, s7, s5
	s_waitcnt lgkmcnt(0)
	global_store_b32 v25, v26, s[4:5]
.LBB70_12:
	s_or_b32 exec_lo, exec_lo, s1
	s_waitcnt lgkmcnt(0)
	v_cmp_ne_u32_e32 vcc_lo, 0, v26
	s_cbranch_vccz .LBB70_17
; %bb.13:
	s_mov_b32 s0, 0
                                        ; implicit-def: $vgpr2_vgpr3_vgpr4_vgpr5_vgpr6_vgpr7_vgpr8
.LBB70_14:
	s_delay_alu instid0(SALU_CYCLE_1)
	s_and_b32 vcc_lo, exec_lo, s0
	s_cbranch_vccz .LBB70_16
.LBB70_15:
	s_lshl_b64 s[0:1], s[2:3], 2
	v_mov_b32_e32 v1, 0
	s_add_u32 s0, s6, s0
	s_addc_u32 s1, s7, s1
	global_load_b32 v1, v1, s[0:1]
	s_waitcnt vmcnt(0)
	v_cmp_ne_u32_e32 vcc_lo, 0, v1
	s_cbranch_vccz .LBB70_38
.LBB70_16:
	s_nop 0
	s_sendmsg sendmsg(MSG_DEALLOC_VGPRS)
	s_endpgm
.LBB70_17:
	v_div_scale_f32 v25, null, v24, v24, 1.0
	v_div_scale_f32 v28, vcc_lo, 1.0, v24, 1.0
	s_delay_alu instid0(VALU_DEP_2) | instskip(SKIP_2) | instid1(VALU_DEP_1)
	v_rcp_f32_e32 v26, v25
	s_waitcnt_depctr 0xfff
	v_fma_f32 v27, -v25, v26, 1.0
	v_fmac_f32_e32 v26, v27, v26
	s_delay_alu instid0(VALU_DEP_1) | instskip(NEXT) | instid1(VALU_DEP_1)
	v_mul_f32_e32 v27, v28, v26
	v_fma_f32 v29, -v25, v27, v28
	s_delay_alu instid0(VALU_DEP_1) | instskip(NEXT) | instid1(VALU_DEP_1)
	v_fmac_f32_e32 v27, v29, v26
	v_fma_f32 v25, -v25, v27, v28
	s_delay_alu instid0(VALU_DEP_1) | instskip(SKIP_1) | instid1(VALU_DEP_2)
	v_div_fmas_f32 v25, v25, v26, v27
	v_cmp_eq_u32_e32 vcc_lo, 6, v0
	v_div_fixup_f32 v24, v25, v24, 1.0
	s_delay_alu instid0(VALU_DEP_1)
	v_dual_cndmask_b32 v8, v8, v24 :: v_dual_add_nc_u32 v25, 32, v23
	v_cmp_eq_u32_e32 vcc_lo, 5, v0
	v_xor_b32_e32 v26, 0x80000000, v24
	v_cndmask_b32_e32 v7, v7, v24, vcc_lo
	v_cmp_eq_u32_e32 vcc_lo, 4, v0
	v_cndmask_b32_e32 v6, v6, v24, vcc_lo
	v_cmp_eq_u32_e32 vcc_lo, 3, v0
	;; [unrolled: 2-line block ×4, first 2 shown]
	ds_store_2addr_b32 v23, v26, v3 offset1:8
	v_cndmask_b32_e32 v4, v4, v24, vcc_lo
	v_cmp_eq_u32_e32 vcc_lo, 0, v0
	s_waitcnt lgkmcnt(0)
	s_waitcnt_vscnt null, 0x0
	s_barrier
	buffer_gl0_inv
	v_cndmask_b32_e32 v2, v2, v24, vcc_lo
	s_and_saveexec_b32 s1, s0
	s_cbranch_execz .LBB70_19
; %bb.18:
	v_mov_b32_e32 v3, 0
	ds_load_b32 v23, v25
	ds_load_b32 v3, v3 offset:4
	s_waitcnt lgkmcnt(1)
	v_fma_f32 v23, v24, v23, 0
	s_waitcnt lgkmcnt(0)
	s_delay_alu instid0(VALU_DEP_1)
	v_mul_f32_e32 v3, v23, v3
.LBB70_19:
	s_or_b32 exec_lo, exec_lo, s1
	s_delay_alu instid0(SALU_CYCLE_1)
	s_mov_b32 s1, exec_lo
	s_barrier
	buffer_gl0_inv
	ds_store_b32 v25, v4
	s_waitcnt lgkmcnt(0)
	s_barrier
	buffer_gl0_inv
	v_cmpx_gt_u32_e32 2, v0
	s_cbranch_execz .LBB70_21
; %bb.20:
	v_cmp_eq_u32_e32 vcc_lo, 1, v0
	ds_load_b32 v26, v25
	v_cndmask_b32_e32 v23, v2, v3, vcc_lo
	v_cmp_eq_u32_e32 vcc_lo, 2, v0
	s_delay_alu instid0(VALU_DEP_2) | instskip(SKIP_4) | instid1(VALU_DEP_2)
	v_dual_cndmask_b32 v4, v23, v4 :: v_dual_mov_b32 v23, 0
	v_cmp_eq_u32_e32 vcc_lo, 3, v0
	ds_load_2addr_b32 v[23:24], v23 offset0:2 offset1:9
	v_cndmask_b32_e32 v4, v4, v5, vcc_lo
	v_cmp_eq_u32_e32 vcc_lo, 4, v0
	v_cndmask_b32_e32 v4, v4, v6, vcc_lo
	v_cmp_eq_u32_e32 vcc_lo, 5, v0
	s_delay_alu instid0(VALU_DEP_2) | instskip(SKIP_1) | instid1(VALU_DEP_2)
	v_cndmask_b32_e32 v4, v4, v7, vcc_lo
	v_cmp_eq_u32_e32 vcc_lo, 6, v0
	v_cndmask_b32_e32 v4, v4, v8, vcc_lo
	s_waitcnt lgkmcnt(1)
	s_delay_alu instid0(VALU_DEP_1) | instskip(SKIP_1) | instid1(VALU_DEP_1)
	v_fma_f32 v4, v4, v26, 0
	s_waitcnt lgkmcnt(0)
	v_fma_f32 v24, v3, v24, v4
	s_delay_alu instid0(VALU_DEP_1) | instskip(NEXT) | instid1(VALU_DEP_1)
	v_cndmask_b32_e64 v4, v4, v24, s0
	v_mul_f32_e32 v4, v4, v23
.LBB70_21:
	s_or_b32 exec_lo, exec_lo, s1
	s_delay_alu instid0(SALU_CYCLE_1)
	s_mov_b32 s1, exec_lo
	s_barrier
	buffer_gl0_inv
	ds_store_b32 v25, v5
	s_waitcnt lgkmcnt(0)
	s_barrier
	buffer_gl0_inv
	v_cmpx_gt_u32_e32 3, v0
	s_cbranch_execz .LBB70_25
; %bb.22:
	v_mov_b32_e32 v24, v1
	v_lshl_add_u32 v27, v0, 2, 32
	v_dual_mov_b32 v26, 0 :: v_dual_mov_b32 v23, v0
	s_mov_b32 s4, 0
	.p2align	6
.LBB70_23:                              ; =>This Inner Loop Header: Depth=1
	s_delay_alu instid0(VALU_DEP_1) | instskip(SKIP_4) | instid1(VALU_DEP_2)
	v_cmp_eq_u32_e32 vcc_lo, 1, v23
	ds_load_b32 v29, v27
	v_add_nc_u32_e32 v27, 4, v27
	v_cndmask_b32_e32 v28, v2, v3, vcc_lo
	v_cmp_eq_u32_e32 vcc_lo, 2, v23
	v_cndmask_b32_e32 v28, v28, v4, vcc_lo
	v_cmp_eq_u32_e32 vcc_lo, 3, v23
	s_delay_alu instid0(VALU_DEP_2) | instskip(SKIP_1) | instid1(VALU_DEP_2)
	v_cndmask_b32_e32 v28, v28, v5, vcc_lo
	v_cmp_eq_u32_e32 vcc_lo, 4, v23
	v_cndmask_b32_e32 v28, v28, v6, vcc_lo
	v_cmp_eq_u32_e32 vcc_lo, 5, v23
	s_delay_alu instid0(VALU_DEP_2) | instskip(SKIP_2) | instid1(VALU_DEP_1)
	v_cndmask_b32_e32 v28, v28, v7, vcc_lo
	v_cmp_eq_u32_e32 vcc_lo, 6, v23
	v_add_co_u32 v23, s0, v23, 1
	v_add_co_ci_u32_e64 v24, s0, 0, v24, s0
	s_delay_alu instid0(VALU_DEP_4) | instskip(NEXT) | instid1(VALU_DEP_3)
	v_cndmask_b32_e32 v28, v28, v8, vcc_lo
	v_add_nc_u32_e32 v30, -1, v23
	s_waitcnt lgkmcnt(0)
	s_delay_alu instid0(VALU_DEP_2) | instskip(NEXT) | instid1(VALU_DEP_2)
	v_fmac_f32_e32 v26, v28, v29
	v_cmp_lt_u32_e32 vcc_lo, 1, v30
	s_or_b32 s4, vcc_lo, s4
	s_delay_alu instid0(SALU_CYCLE_1)
	s_and_not1_b32 exec_lo, exec_lo, s4
	s_cbranch_execnz .LBB70_23
; %bb.24:
	s_or_b32 exec_lo, exec_lo, s4
	v_mov_b32_e32 v5, 0
	ds_load_b32 v5, v5 offset:12
	s_waitcnt lgkmcnt(0)
	v_mul_f32_e32 v5, v26, v5
.LBB70_25:
	s_or_b32 exec_lo, exec_lo, s1
	s_delay_alu instid0(SALU_CYCLE_1)
	s_mov_b32 s1, exec_lo
	s_barrier
	buffer_gl0_inv
	ds_store_b32 v25, v6
	s_waitcnt lgkmcnt(0)
	s_barrier
	buffer_gl0_inv
	v_cmpx_gt_u32_e32 4, v0
	s_cbranch_execz .LBB70_29
; %bb.26:
	v_mov_b32_e32 v24, v1
	v_lshl_add_u32 v27, v0, 2, 32
	v_dual_mov_b32 v26, 0 :: v_dual_mov_b32 v23, v0
	s_mov_b32 s4, 0
	.p2align	6
.LBB70_27:                              ; =>This Inner Loop Header: Depth=1
	s_delay_alu instid0(VALU_DEP_1) | instskip(SKIP_4) | instid1(VALU_DEP_2)
	v_cmp_eq_u32_e32 vcc_lo, 1, v23
	ds_load_b32 v29, v27
	v_add_nc_u32_e32 v27, 4, v27
	v_cndmask_b32_e32 v28, v2, v3, vcc_lo
	v_cmp_eq_u32_e32 vcc_lo, 2, v23
	v_cndmask_b32_e32 v28, v28, v4, vcc_lo
	v_cmp_eq_u32_e32 vcc_lo, 3, v23
	s_delay_alu instid0(VALU_DEP_2) | instskip(SKIP_1) | instid1(VALU_DEP_2)
	v_cndmask_b32_e32 v28, v28, v5, vcc_lo
	v_cmp_eq_u32_e32 vcc_lo, 4, v23
	v_cndmask_b32_e32 v28, v28, v6, vcc_lo
	v_cmp_eq_u32_e32 vcc_lo, 5, v23
	s_delay_alu instid0(VALU_DEP_2) | instskip(SKIP_2) | instid1(VALU_DEP_1)
	v_cndmask_b32_e32 v28, v28, v7, vcc_lo
	v_cmp_eq_u32_e32 vcc_lo, 6, v23
	v_add_co_u32 v23, s0, v23, 1
	v_add_co_ci_u32_e64 v24, s0, 0, v24, s0
	s_delay_alu instid0(VALU_DEP_4) | instskip(NEXT) | instid1(VALU_DEP_3)
	v_cndmask_b32_e32 v28, v28, v8, vcc_lo
	v_add_nc_u32_e32 v30, -1, v23
	s_waitcnt lgkmcnt(0)
	s_delay_alu instid0(VALU_DEP_2) | instskip(NEXT) | instid1(VALU_DEP_2)
	v_fmac_f32_e32 v26, v28, v29
	v_cmp_lt_u32_e32 vcc_lo, 2, v30
	s_or_b32 s4, vcc_lo, s4
	s_delay_alu instid0(SALU_CYCLE_1)
	s_and_not1_b32 exec_lo, exec_lo, s4
	s_cbranch_execnz .LBB70_27
; %bb.28:
	s_or_b32 exec_lo, exec_lo, s4
	v_mov_b32_e32 v6, 0
	ds_load_b32 v6, v6 offset:16
	s_waitcnt lgkmcnt(0)
	v_mul_f32_e32 v6, v26, v6
.LBB70_29:
	s_or_b32 exec_lo, exec_lo, s1
	s_delay_alu instid0(SALU_CYCLE_1)
	s_mov_b32 s1, exec_lo
	s_barrier
	buffer_gl0_inv
	ds_store_b32 v25, v7
	s_waitcnt lgkmcnt(0)
	s_barrier
	buffer_gl0_inv
	v_cmpx_gt_u32_e32 5, v0
	s_cbranch_execz .LBB70_33
; %bb.30:
	v_mov_b32_e32 v24, v1
	v_lshl_add_u32 v27, v0, 2, 32
	v_dual_mov_b32 v26, 0 :: v_dual_mov_b32 v23, v0
	s_mov_b32 s4, 0
	.p2align	6
.LBB70_31:                              ; =>This Inner Loop Header: Depth=1
	s_delay_alu instid0(VALU_DEP_1) | instskip(SKIP_4) | instid1(VALU_DEP_2)
	v_cmp_eq_u32_e32 vcc_lo, 1, v23
	ds_load_b32 v29, v27
	v_add_nc_u32_e32 v27, 4, v27
	v_cndmask_b32_e32 v28, v2, v3, vcc_lo
	v_cmp_eq_u32_e32 vcc_lo, 2, v23
	v_cndmask_b32_e32 v28, v28, v4, vcc_lo
	v_cmp_eq_u32_e32 vcc_lo, 3, v23
	s_delay_alu instid0(VALU_DEP_2) | instskip(SKIP_1) | instid1(VALU_DEP_2)
	v_cndmask_b32_e32 v28, v28, v5, vcc_lo
	v_cmp_eq_u32_e32 vcc_lo, 4, v23
	v_cndmask_b32_e32 v28, v28, v6, vcc_lo
	v_cmp_eq_u32_e32 vcc_lo, 5, v23
	s_delay_alu instid0(VALU_DEP_2) | instskip(SKIP_2) | instid1(VALU_DEP_1)
	v_cndmask_b32_e32 v28, v28, v7, vcc_lo
	v_cmp_eq_u32_e32 vcc_lo, 6, v23
	v_add_co_u32 v23, s0, v23, 1
	v_add_co_ci_u32_e64 v24, s0, 0, v24, s0
	s_delay_alu instid0(VALU_DEP_4) | instskip(NEXT) | instid1(VALU_DEP_3)
	v_cndmask_b32_e32 v28, v28, v8, vcc_lo
	v_add_nc_u32_e32 v30, -1, v23
	s_waitcnt lgkmcnt(0)
	s_delay_alu instid0(VALU_DEP_2) | instskip(NEXT) | instid1(VALU_DEP_2)
	v_fmac_f32_e32 v26, v28, v29
	v_cmp_lt_u32_e32 vcc_lo, 3, v30
	s_or_b32 s4, vcc_lo, s4
	s_delay_alu instid0(SALU_CYCLE_1)
	s_and_not1_b32 exec_lo, exec_lo, s4
	s_cbranch_execnz .LBB70_31
; %bb.32:
	s_or_b32 exec_lo, exec_lo, s4
	v_mov_b32_e32 v7, 0
	ds_load_b32 v7, v7 offset:20
	s_waitcnt lgkmcnt(0)
	v_mul_f32_e32 v7, v26, v7
.LBB70_33:
	s_or_b32 exec_lo, exec_lo, s1
	s_delay_alu instid0(SALU_CYCLE_1)
	s_mov_b32 s1, exec_lo
	s_barrier
	buffer_gl0_inv
	ds_store_b32 v25, v8
	s_waitcnt lgkmcnt(0)
	s_barrier
	buffer_gl0_inv
	v_cmpx_ne_u32_e32 6, v0
	s_cbranch_execz .LBB70_37
; %bb.34:
	v_dual_mov_b32 v25, 0 :: v_dual_mov_b32 v24, v1
	v_lshl_add_u32 v26, v0, 2, 32
	v_mov_b32_e32 v23, v0
	s_mov_b32 s4, 0
	.p2align	6
.LBB70_35:                              ; =>This Inner Loop Header: Depth=1
	s_delay_alu instid0(VALU_DEP_1) | instskip(SKIP_3) | instid1(VALU_DEP_2)
	v_cmp_eq_u32_e32 vcc_lo, 1, v23
	ds_load_b32 v27, v26
	v_dual_cndmask_b32 v1, v2, v3 :: v_dual_add_nc_u32 v26, 4, v26
	v_cmp_eq_u32_e32 vcc_lo, 2, v23
	v_cndmask_b32_e32 v1, v1, v4, vcc_lo
	v_cmp_eq_u32_e32 vcc_lo, 3, v23
	s_delay_alu instid0(VALU_DEP_2) | instskip(SKIP_1) | instid1(VALU_DEP_2)
	v_cndmask_b32_e32 v1, v1, v5, vcc_lo
	v_cmp_eq_u32_e32 vcc_lo, 4, v23
	v_cndmask_b32_e32 v1, v1, v6, vcc_lo
	v_cmp_eq_u32_e32 vcc_lo, 5, v23
	s_delay_alu instid0(VALU_DEP_2) | instskip(SKIP_2) | instid1(VALU_DEP_1)
	v_cndmask_b32_e32 v1, v1, v7, vcc_lo
	v_cmp_eq_u32_e32 vcc_lo, 6, v23
	v_add_co_u32 v23, s0, v23, 1
	v_add_co_ci_u32_e64 v24, s0, 0, v24, s0
	s_delay_alu instid0(VALU_DEP_2) | instskip(SKIP_1) | instid1(VALU_DEP_1)
	v_dual_cndmask_b32 v1, v1, v8 :: v_dual_add_nc_u32 v28, -1, v23
	s_waitcnt lgkmcnt(0)
	v_fmac_f32_e32 v25, v1, v27
	s_delay_alu instid0(VALU_DEP_2) | instskip(SKIP_1) | instid1(SALU_CYCLE_1)
	v_cmp_lt_u32_e32 vcc_lo, 4, v28
	s_or_b32 s4, vcc_lo, s4
	s_and_not1_b32 exec_lo, exec_lo, s4
	s_cbranch_execnz .LBB70_35
; %bb.36:
	s_or_b32 exec_lo, exec_lo, s4
	v_mov_b32_e32 v1, 0
	ds_load_b32 v1, v1 offset:24
	s_waitcnt lgkmcnt(0)
	v_mul_f32_e32 v8, v25, v1
.LBB70_37:
	s_or_b32 exec_lo, exec_lo, s1
	s_barrier
	buffer_gl0_inv
	s_cbranch_execnz .LBB70_15
	s_branch .LBB70_16
.LBB70_38:
	v_lshl_add_u32 v1, v0, 2, 32
	s_mov_b32 s0, exec_lo
	v_cmpx_eq_u32_e32 6, v0
	s_cbranch_execz .LBB70_40
; %bb.39:
	s_mov_b32 s1, 0
	ds_store_b32 v1, v7
	v_mov_b32_e32 v7, s1
.LBB70_40:
	s_or_b32 exec_lo, exec_lo, s0
	v_mov_b32_e32 v23, 0
	s_waitcnt lgkmcnt(0)
	s_waitcnt_vscnt null, 0x0
	s_barrier
	buffer_gl0_inv
	s_mov_b32 s0, exec_lo
	ds_load_b32 v24, v23 offset:56
	s_waitcnt lgkmcnt(0)
	v_fma_f32 v24, v8, v24, 0
	s_delay_alu instid0(VALU_DEP_1)
	v_sub_f32_e32 v7, v7, v24
	v_cmpx_lt_u32_e32 4, v0
	s_cbranch_execz .LBB70_42
; %bb.41:
	s_mov_b32 s1, 0
	s_delay_alu instid0(VALU_DEP_2)
	v_dual_mov_b32 v30, v8 :: v_dual_mov_b32 v29, v7
	v_dual_mov_b32 v28, v6 :: v_dual_mov_b32 v27, v5
	v_mov_b32_e32 v24, v2
	v_dual_mov_b32 v26, v4 :: v_dual_mov_b32 v25, v3
	v_mov_b32_e32 v28, s1
	ds_store_b32 v1, v6
	v_mov_b32_e32 v2, v24
	v_dual_mov_b32 v4, v26 :: v_dual_mov_b32 v5, v27
	v_dual_mov_b32 v3, v25 :: v_dual_mov_b32 v6, v28
	;; [unrolled: 1-line block ×3, first 2 shown]
.LBB70_42:
	s_or_b32 exec_lo, exec_lo, s0
	s_waitcnt lgkmcnt(0)
	s_barrier
	buffer_gl0_inv
	ds_load_2addr_b32 v[23:24], v23 offset0:13 offset1:14
	s_mov_b32 s0, exec_lo
	s_waitcnt lgkmcnt(0)
	v_fma_f32 v23, v7, v23, 0
	s_delay_alu instid0(VALU_DEP_1) | instskip(NEXT) | instid1(VALU_DEP_1)
	v_fmac_f32_e32 v23, v8, v24
	v_sub_f32_e32 v6, v6, v23
	v_cmpx_lt_u32_e32 3, v0
	s_cbranch_execz .LBB70_44
; %bb.43:
	s_mov_b32 s1, 0
	v_dual_mov_b32 v29, v8 :: v_dual_mov_b32 v28, v7
	v_dual_mov_b32 v27, v6 :: v_dual_mov_b32 v26, v5
	;; [unrolled: 1-line block ×4, first 2 shown]
	ds_store_b32 v1, v5
	v_dual_mov_b32 v2, v23 :: v_dual_mov_b32 v5, v26
	v_dual_mov_b32 v4, v25 :: v_dual_mov_b32 v3, v24
	;; [unrolled: 1-line block ×3, first 2 shown]
	v_mov_b32_e32 v8, v29
.LBB70_44:
	s_or_b32 exec_lo, exec_lo, s0
	v_mov_b32_e32 v23, 0
	s_waitcnt lgkmcnt(0)
	s_barrier
	buffer_gl0_inv
	s_mov_b32 s0, exec_lo
	ds_load_b96 v[24:26], v23 offset:48
	s_waitcnt lgkmcnt(0)
	v_fma_f32 v24, v6, v24, 0
	s_delay_alu instid0(VALU_DEP_1) | instskip(NEXT) | instid1(VALU_DEP_1)
	v_fmac_f32_e32 v24, v7, v25
	v_fmac_f32_e32 v24, v8, v26
	s_delay_alu instid0(VALU_DEP_1)
	v_sub_f32_e32 v5, v5, v24
	v_cmpx_lt_u32_e32 2, v0
	s_cbranch_execz .LBB70_46
; %bb.45:
	s_mov_b32 s1, 0
	v_dual_mov_b32 v30, v8 :: v_dual_mov_b32 v29, v7
	v_dual_mov_b32 v26, v4 :: v_dual_mov_b32 v25, v3
	v_mov_b32_e32 v24, v2
	v_dual_mov_b32 v28, v6 :: v_dual_mov_b32 v27, v5
	v_mov_b32_e32 v26, s1
	ds_store_b32 v1, v4
	v_dual_mov_b32 v2, v24 :: v_dual_mov_b32 v3, v25
	v_dual_mov_b32 v5, v27 :: v_dual_mov_b32 v4, v26
	;; [unrolled: 1-line block ×3, first 2 shown]
	v_mov_b32_e32 v8, v30
.LBB70_46:
	s_or_b32 exec_lo, exec_lo, s0
	s_waitcnt lgkmcnt(0)
	s_barrier
	buffer_gl0_inv
	ds_load_2addr_b32 v[24:25], v23 offset0:11 offset1:12
	ds_load_2addr_b32 v[26:27], v23 offset0:13 offset1:14
	s_mov_b32 s0, exec_lo
	s_waitcnt lgkmcnt(1)
	v_fma_f32 v23, v5, v24, 0
	s_delay_alu instid0(VALU_DEP_1) | instskip(SKIP_1) | instid1(VALU_DEP_1)
	v_fmac_f32_e32 v23, v6, v25
	s_waitcnt lgkmcnt(0)
	v_fmac_f32_e32 v23, v7, v26
	s_delay_alu instid0(VALU_DEP_1) | instskip(NEXT) | instid1(VALU_DEP_1)
	v_fmac_f32_e32 v23, v8, v27
	v_sub_f32_e32 v4, v4, v23
	v_cmpx_lt_u32_e32 1, v0
	s_cbranch_execz .LBB70_48
; %bb.47:
	s_mov_b32 s1, 0
	v_dual_mov_b32 v29, v8 :: v_dual_mov_b32 v28, v7
	v_dual_mov_b32 v25, v4 :: v_dual_mov_b32 v24, v3
	;; [unrolled: 1-line block ×4, first 2 shown]
	ds_store_b32 v1, v3
	v_dual_mov_b32 v2, v23 :: v_dual_mov_b32 v3, v24
	v_dual_mov_b32 v4, v25 :: v_dual_mov_b32 v5, v26
	;; [unrolled: 1-line block ×3, first 2 shown]
	v_mov_b32_e32 v8, v29
.LBB70_48:
	s_or_b32 exec_lo, exec_lo, s0
	v_mov_b32_e32 v23, 0
	s_waitcnt lgkmcnt(0)
	s_barrier
	buffer_gl0_inv
	s_mov_b32 s1, 0
	ds_load_2addr_b64 v[24:27], v23 offset0:5 offset1:6
	ds_load_b32 v28, v23 offset:56
	s_mov_b32 s0, exec_lo
	s_waitcnt lgkmcnt(1)
	v_fma_f32 v24, v4, v24, 0
	s_delay_alu instid0(VALU_DEP_1) | instskip(NEXT) | instid1(VALU_DEP_1)
	v_fmac_f32_e32 v24, v5, v25
	v_fmac_f32_e32 v24, v6, v26
	s_delay_alu instid0(VALU_DEP_1) | instskip(SKIP_1) | instid1(VALU_DEP_1)
	v_fmac_f32_e32 v24, v7, v27
	s_waitcnt lgkmcnt(0)
	v_fmac_f32_e32 v24, v8, v28
	s_delay_alu instid0(VALU_DEP_1)
	v_sub_f32_e32 v3, v3, v24
	v_cmpx_ne_u32_e32 0, v0
	s_cbranch_execz .LBB70_50
; %bb.49:
	v_dual_mov_b32 v30, v8 :: v_dual_mov_b32 v29, v7
	v_mov_b32_e32 v24, v2
	v_mov_b32_e32 v24, s1
	v_dual_mov_b32 v28, v6 :: v_dual_mov_b32 v27, v5
	v_dual_mov_b32 v26, v4 :: v_dual_mov_b32 v25, v3
	ds_store_b32 v1, v2
	v_dual_mov_b32 v2, v24 :: v_dual_mov_b32 v5, v27
	v_dual_mov_b32 v4, v26 :: v_dual_mov_b32 v3, v25
	;; [unrolled: 1-line block ×3, first 2 shown]
	v_mov_b32_e32 v8, v30
.LBB70_50:
	s_or_b32 exec_lo, exec_lo, s0
	s_waitcnt lgkmcnt(0)
	s_barrier
	buffer_gl0_inv
	ds_load_2addr_b32 v[0:1], v23 offset0:9 offset1:10
	ds_load_2addr_b32 v[24:25], v23 offset0:11 offset1:12
	;; [unrolled: 1-line block ×3, first 2 shown]
	s_and_b32 vcc_lo, exec_lo, s12
	s_waitcnt lgkmcnt(2)
	v_fma_f32 v0, v3, v0, 0
	s_delay_alu instid0(VALU_DEP_1) | instskip(SKIP_1) | instid1(VALU_DEP_1)
	v_fmac_f32_e32 v0, v4, v1
	s_waitcnt lgkmcnt(1)
	v_fmac_f32_e32 v0, v5, v24
	s_delay_alu instid0(VALU_DEP_1) | instskip(SKIP_1) | instid1(VALU_DEP_1)
	v_fmac_f32_e32 v0, v6, v25
	s_waitcnt lgkmcnt(0)
	v_fmac_f32_e32 v0, v7, v26
	s_delay_alu instid0(VALU_DEP_1) | instskip(NEXT) | instid1(VALU_DEP_1)
	v_fmac_f32_e32 v0, v8, v27
	v_sub_f32_e32 v2, v2, v0
	s_cbranch_vccz .LBB70_64
; %bb.51:
	v_dual_mov_b32 v0, s8 :: v_dual_mov_b32 v1, s9
	s_mov_b32 s4, exec_lo
	flat_load_b32 v0, v[0:1] offset:20
	s_waitcnt vmcnt(0) lgkmcnt(0)
	v_add_nc_u32_e32 v0, -1, v0
	s_delay_alu instid0(VALU_DEP_1)
	v_cmpx_ne_u32_e32 5, v0
	s_cbranch_execz .LBB70_53
; %bb.52:
	v_cmp_eq_u32_e32 vcc_lo, 1, v0
	v_cmp_eq_u32_e64 s0, 2, v0
	v_cmp_eq_u32_e64 s1, 3, v0
	;; [unrolled: 1-line block ×4, first 2 shown]
	v_cndmask_b32_e32 v24, v3, v7, vcc_lo
	v_cndmask_b32_e64 v25, v4, v7, s0
	v_cndmask_b32_e64 v26, v5, v7, s1
	;; [unrolled: 1-line block ×3, first 2 shown]
	v_cndmask_b32_e32 v1, v2, v3, vcc_lo
	v_cmp_eq_u32_e32 vcc_lo, 0, v0
	s_delay_alu instid0(VALU_DEP_2) | instskip(SKIP_2) | instid1(VALU_DEP_3)
	v_cndmask_b32_e64 v1, v1, v4, s0
	v_cmp_eq_u32_e64 s0, 6, v0
	v_cndmask_b32_e32 v23, v2, v7, vcc_lo
	v_cndmask_b32_e64 v1, v1, v5, s1
	s_delay_alu instid0(VALU_DEP_3) | instskip(NEXT) | instid1(VALU_DEP_2)
	v_cndmask_b32_e64 v29, v8, v7, s0
	v_cndmask_b32_e64 v1, v1, v6, s2
	s_delay_alu instid0(VALU_DEP_1) | instskip(NEXT) | instid1(VALU_DEP_1)
	v_cndmask_b32_e64 v1, v1, v7, s3
	v_cndmask_b32_e64 v1, v1, v8, s0
	s_delay_alu instid0(VALU_DEP_1) | instskip(SKIP_2) | instid1(VALU_DEP_3)
	v_cndmask_b32_e64 v28, v1, v7, s3
	v_dual_mov_b32 v2, v23 :: v_dual_mov_b32 v3, v24
	v_dual_mov_b32 v4, v25 :: v_dual_mov_b32 v5, v26
	;; [unrolled: 1-line block ×3, first 2 shown]
	v_mov_b32_e32 v8, v29
.LBB70_53:
	s_or_b32 exec_lo, exec_lo, s4
	v_dual_mov_b32 v0, s8 :: v_dual_mov_b32 v1, s9
	s_mov_b32 s4, exec_lo
	flat_load_b32 v0, v[0:1] offset:16
	s_waitcnt vmcnt(0) lgkmcnt(0)
	v_add_nc_u32_e32 v0, -1, v0
	s_delay_alu instid0(VALU_DEP_1)
	v_cmpx_ne_u32_e32 4, v0
	s_cbranch_execz .LBB70_55
; %bb.54:
	v_cmp_eq_u32_e32 vcc_lo, 1, v0
	v_cmp_eq_u32_e64 s0, 2, v0
	v_cmp_eq_u32_e64 s1, 3, v0
	;; [unrolled: 1-line block ×4, first 2 shown]
	v_dual_cndmask_b32 v1, v2, v3 :: v_dual_cndmask_b32 v24, v3, v6
	v_cndmask_b32_e64 v25, v4, v6, s0
	v_cmp_eq_u32_e32 vcc_lo, 0, v0
	v_cndmask_b32_e64 v26, v5, v6, s1
	s_delay_alu instid0(VALU_DEP_4) | instskip(SKIP_3) | instid1(VALU_DEP_4)
	v_cndmask_b32_e64 v1, v1, v4, s0
	v_cmp_eq_u32_e64 s0, 6, v0
	v_cndmask_b32_e64 v28, v7, v6, s3
	v_cndmask_b32_e32 v23, v2, v6, vcc_lo
	v_cndmask_b32_e64 v1, v1, v5, s1
	s_delay_alu instid0(VALU_DEP_4) | instskip(NEXT) | instid1(VALU_DEP_2)
	v_cndmask_b32_e64 v29, v8, v6, s0
	v_cndmask_b32_e64 v1, v1, v6, s2
	s_delay_alu instid0(VALU_DEP_1) | instskip(NEXT) | instid1(VALU_DEP_1)
	v_cndmask_b32_e64 v1, v1, v7, s3
	v_cndmask_b32_e64 v1, v1, v8, s0
	s_delay_alu instid0(VALU_DEP_1) | instskip(SKIP_2) | instid1(VALU_DEP_3)
	v_cndmask_b32_e64 v27, v1, v6, s2
	v_dual_mov_b32 v2, v23 :: v_dual_mov_b32 v3, v24
	v_dual_mov_b32 v4, v25 :: v_dual_mov_b32 v5, v26
	;; [unrolled: 1-line block ×3, first 2 shown]
	v_mov_b32_e32 v8, v29
.LBB70_55:
	s_or_b32 exec_lo, exec_lo, s4
	v_dual_mov_b32 v0, s8 :: v_dual_mov_b32 v1, s9
	s_mov_b32 s4, exec_lo
	flat_load_b32 v0, v[0:1] offset:12
	s_waitcnt vmcnt(0) lgkmcnt(0)
	v_add_nc_u32_e32 v0, -1, v0
	s_delay_alu instid0(VALU_DEP_1)
	v_cmpx_ne_u32_e32 3, v0
	s_cbranch_execz .LBB70_57
; %bb.56:
	v_cmp_eq_u32_e32 vcc_lo, 1, v0
	v_cmp_eq_u32_e64 s0, 2, v0
	v_cmp_eq_u32_e64 s1, 3, v0
	;; [unrolled: 1-line block ×4, first 2 shown]
	v_dual_cndmask_b32 v1, v2, v3 :: v_dual_cndmask_b32 v24, v3, v5
	v_cndmask_b32_e64 v25, v4, v5, s0
	v_cmp_eq_u32_e32 vcc_lo, 0, v0
	v_cndmask_b32_e64 v27, v6, v5, s2
	s_delay_alu instid0(VALU_DEP_4) | instskip(SKIP_3) | instid1(VALU_DEP_4)
	v_cndmask_b32_e64 v1, v1, v4, s0
	v_cmp_eq_u32_e64 s0, 6, v0
	v_cndmask_b32_e64 v28, v7, v5, s3
	v_cndmask_b32_e32 v23, v2, v5, vcc_lo
	v_cndmask_b32_e64 v1, v1, v5, s1
	s_delay_alu instid0(VALU_DEP_4) | instskip(NEXT) | instid1(VALU_DEP_2)
	v_cndmask_b32_e64 v29, v8, v5, s0
	v_cndmask_b32_e64 v1, v1, v6, s2
	s_delay_alu instid0(VALU_DEP_1) | instskip(NEXT) | instid1(VALU_DEP_1)
	v_cndmask_b32_e64 v1, v1, v7, s3
	v_cndmask_b32_e64 v1, v1, v8, s0
	s_delay_alu instid0(VALU_DEP_1) | instskip(SKIP_3) | instid1(VALU_DEP_4)
	v_cndmask_b32_e64 v26, v1, v5, s1
	v_dual_mov_b32 v2, v23 :: v_dual_mov_b32 v3, v24
	v_mov_b32_e32 v4, v25
	v_dual_mov_b32 v6, v27 :: v_dual_mov_b32 v7, v28
	v_dual_mov_b32 v5, v26 :: v_dual_mov_b32 v8, v29
.LBB70_57:
	s_or_b32 exec_lo, exec_lo, s4
	v_dual_mov_b32 v0, s8 :: v_dual_mov_b32 v1, s9
	s_mov_b32 s4, exec_lo
	flat_load_b32 v0, v[0:1] offset:8
	s_waitcnt vmcnt(0) lgkmcnt(0)
	v_add_nc_u32_e32 v0, -1, v0
	s_delay_alu instid0(VALU_DEP_1)
	v_cmpx_ne_u32_e32 2, v0
	s_cbranch_execz .LBB70_59
; %bb.58:
	v_cmp_eq_u32_e32 vcc_lo, 1, v0
	v_cmp_eq_u32_e64 s0, 2, v0
	v_cmp_eq_u32_e64 s1, 3, v0
	;; [unrolled: 1-line block ×4, first 2 shown]
	v_dual_cndmask_b32 v1, v2, v3 :: v_dual_cndmask_b32 v24, v3, v4
	v_cmp_eq_u32_e32 vcc_lo, 6, v0
	v_cndmask_b32_e64 v26, v5, v4, s1
	v_cndmask_b32_e64 v27, v6, v4, s2
	s_delay_alu instid0(VALU_DEP_4) | instskip(SKIP_2) | instid1(VALU_DEP_3)
	v_cndmask_b32_e64 v1, v1, v4, s0
	v_cndmask_b32_e64 v28, v7, v4, s3
	v_cndmask_b32_e32 v29, v8, v4, vcc_lo
	v_cndmask_b32_e64 v1, v1, v5, s1
	s_delay_alu instid0(VALU_DEP_1) | instskip(NEXT) | instid1(VALU_DEP_1)
	v_cndmask_b32_e64 v1, v1, v6, s2
	v_cndmask_b32_e64 v1, v1, v7, s3
	s_delay_alu instid0(VALU_DEP_1) | instskip(SKIP_1) | instid1(VALU_DEP_2)
	v_cndmask_b32_e32 v1, v1, v8, vcc_lo
	v_cmp_eq_u32_e32 vcc_lo, 0, v0
	v_cndmask_b32_e64 v25, v1, v4, s0
	v_cndmask_b32_e32 v23, v2, v4, vcc_lo
	s_delay_alu instid0(VALU_DEP_1) | instskip(NEXT) | instid1(VALU_DEP_3)
	v_dual_mov_b32 v2, v23 :: v_dual_mov_b32 v3, v24
	v_dual_mov_b32 v4, v25 :: v_dual_mov_b32 v5, v26
	;; [unrolled: 1-line block ×3, first 2 shown]
	v_mov_b32_e32 v8, v29
.LBB70_59:
	s_or_b32 exec_lo, exec_lo, s4
	v_dual_mov_b32 v0, s8 :: v_dual_mov_b32 v1, s9
	s_mov_b32 s4, exec_lo
	flat_load_b32 v0, v[0:1] offset:4
	s_waitcnt vmcnt(0) lgkmcnt(0)
	v_add_nc_u32_e32 v0, -1, v0
	s_delay_alu instid0(VALU_DEP_1)
	v_cmpx_ne_u32_e32 1, v0
	s_cbranch_execz .LBB70_61
; %bb.60:
	v_cmp_eq_u32_e32 vcc_lo, 1, v0
	v_cmp_eq_u32_e64 s0, 2, v0
	v_cmp_eq_u32_e64 s1, 3, v0
	;; [unrolled: 1-line block ×4, first 2 shown]
	s_delay_alu instid0(VALU_DEP_4) | instskip(NEXT) | instid1(VALU_DEP_4)
	v_cndmask_b32_e64 v25, v4, v3, s0
	v_cndmask_b32_e64 v26, v5, v3, s1
	s_delay_alu instid0(VALU_DEP_4) | instskip(NEXT) | instid1(VALU_DEP_4)
	v_cndmask_b32_e64 v27, v6, v3, s2
	v_cndmask_b32_e64 v28, v7, v3, s3
	v_cndmask_b32_e32 v1, v2, v3, vcc_lo
	s_delay_alu instid0(VALU_DEP_1) | instskip(SKIP_1) | instid1(VALU_DEP_2)
	v_cndmask_b32_e64 v1, v1, v4, s0
	v_cmp_eq_u32_e64 s0, 6, v0
	v_cndmask_b32_e64 v1, v1, v5, s1
	s_delay_alu instid0(VALU_DEP_2) | instskip(NEXT) | instid1(VALU_DEP_2)
	v_cndmask_b32_e64 v29, v8, v3, s0
	v_cndmask_b32_e64 v1, v1, v6, s2
	s_delay_alu instid0(VALU_DEP_1) | instskip(NEXT) | instid1(VALU_DEP_1)
	v_cndmask_b32_e64 v1, v1, v7, s3
	v_cndmask_b32_e64 v1, v1, v8, s0
	s_delay_alu instid0(VALU_DEP_1) | instskip(SKIP_2) | instid1(VALU_DEP_1)
	v_cndmask_b32_e32 v24, v1, v3, vcc_lo
	v_cmp_eq_u32_e32 vcc_lo, 0, v0
	v_cndmask_b32_e32 v23, v2, v3, vcc_lo
	v_dual_mov_b32 v2, v23 :: v_dual_mov_b32 v3, v24
	v_dual_mov_b32 v4, v25 :: v_dual_mov_b32 v5, v26
	v_dual_mov_b32 v6, v27 :: v_dual_mov_b32 v7, v28
	v_mov_b32_e32 v8, v29
.LBB70_61:
	s_or_b32 exec_lo, exec_lo, s4
	v_dual_mov_b32 v0, s8 :: v_dual_mov_b32 v1, s9
	s_mov_b32 s4, exec_lo
	flat_load_b32 v0, v[0:1]
	s_waitcnt vmcnt(0) lgkmcnt(0)
	v_add_nc_u32_e32 v0, -1, v0
	s_delay_alu instid0(VALU_DEP_1)
	v_cmpx_ne_u32_e32 0, v0
	s_cbranch_execz .LBB70_63
; %bb.62:
	v_cmp_eq_u32_e32 vcc_lo, 1, v0
	v_cmp_eq_u32_e64 s0, 2, v0
	v_cmp_eq_u32_e64 s1, 3, v0
	;; [unrolled: 1-line block ×4, first 2 shown]
	v_dual_cndmask_b32 v1, v2, v3 :: v_dual_cndmask_b32 v24, v3, v2
	v_cndmask_b32_e64 v25, v4, v2, s0
	v_cndmask_b32_e64 v26, v5, v2, s1
	;; [unrolled: 1-line block ×3, first 2 shown]
	s_delay_alu instid0(VALU_DEP_4) | instskip(SKIP_2) | instid1(VALU_DEP_3)
	v_cndmask_b32_e64 v1, v1, v4, s0
	v_cmp_eq_u32_e64 s0, 6, v0
	v_cndmask_b32_e64 v28, v7, v2, s3
	v_cndmask_b32_e64 v1, v1, v5, s1
	s_delay_alu instid0(VALU_DEP_3) | instskip(NEXT) | instid1(VALU_DEP_2)
	v_cndmask_b32_e64 v29, v8, v2, s0
	v_cndmask_b32_e64 v1, v1, v6, s2
	s_delay_alu instid0(VALU_DEP_1) | instskip(NEXT) | instid1(VALU_DEP_1)
	v_cndmask_b32_e64 v1, v1, v7, s3
	v_cndmask_b32_e64 v1, v1, v8, s0
	v_cmp_eq_u32_e64 s0, 0, v0
	s_delay_alu instid0(VALU_DEP_1) | instskip(NEXT) | instid1(VALU_DEP_1)
	v_cndmask_b32_e64 v23, v1, v2, s0
	v_dual_mov_b32 v2, v23 :: v_dual_mov_b32 v3, v24
	v_dual_mov_b32 v4, v25 :: v_dual_mov_b32 v5, v26
	;; [unrolled: 1-line block ×3, first 2 shown]
	v_mov_b32_e32 v8, v29
.LBB70_63:
	s_or_b32 exec_lo, exec_lo, s4
.LBB70_64:
	s_clause 0x6
	global_store_b32 v[9:10], v2, off
	global_store_b32 v[11:12], v3, off
	;; [unrolled: 1-line block ×7, first 2 shown]
	s_nop 0
	s_sendmsg sendmsg(MSG_DEALLOC_VGPRS)
	s_endpgm
	.section	.rodata,"a",@progbits
	.p2align	6, 0x0
	.amdhsa_kernel _ZN9rocsolver6v33100L18getri_kernel_smallILi7EfPKPfEEvT1_iilPiilS6_bb
		.amdhsa_group_segment_fixed_size 60
		.amdhsa_private_segment_fixed_size 0
		.amdhsa_kernarg_size 60
		.amdhsa_user_sgpr_count 15
		.amdhsa_user_sgpr_dispatch_ptr 0
		.amdhsa_user_sgpr_queue_ptr 0
		.amdhsa_user_sgpr_kernarg_segment_ptr 1
		.amdhsa_user_sgpr_dispatch_id 0
		.amdhsa_user_sgpr_private_segment_size 0
		.amdhsa_wavefront_size32 1
		.amdhsa_uses_dynamic_stack 0
		.amdhsa_enable_private_segment 0
		.amdhsa_system_sgpr_workgroup_id_x 1
		.amdhsa_system_sgpr_workgroup_id_y 0
		.amdhsa_system_sgpr_workgroup_id_z 0
		.amdhsa_system_sgpr_workgroup_info 0
		.amdhsa_system_vgpr_workitem_id 0
		.amdhsa_next_free_vgpr 31
		.amdhsa_next_free_sgpr 17
		.amdhsa_reserve_vcc 1
		.amdhsa_float_round_mode_32 0
		.amdhsa_float_round_mode_16_64 0
		.amdhsa_float_denorm_mode_32 3
		.amdhsa_float_denorm_mode_16_64 3
		.amdhsa_dx10_clamp 1
		.amdhsa_ieee_mode 1
		.amdhsa_fp16_overflow 0
		.amdhsa_workgroup_processor_mode 1
		.amdhsa_memory_ordered 1
		.amdhsa_forward_progress 0
		.amdhsa_shared_vgpr_count 0
		.amdhsa_exception_fp_ieee_invalid_op 0
		.amdhsa_exception_fp_denorm_src 0
		.amdhsa_exception_fp_ieee_div_zero 0
		.amdhsa_exception_fp_ieee_overflow 0
		.amdhsa_exception_fp_ieee_underflow 0
		.amdhsa_exception_fp_ieee_inexact 0
		.amdhsa_exception_int_div_zero 0
	.end_amdhsa_kernel
	.section	.text._ZN9rocsolver6v33100L18getri_kernel_smallILi7EfPKPfEEvT1_iilPiilS6_bb,"axG",@progbits,_ZN9rocsolver6v33100L18getri_kernel_smallILi7EfPKPfEEvT1_iilPiilS6_bb,comdat
.Lfunc_end70:
	.size	_ZN9rocsolver6v33100L18getri_kernel_smallILi7EfPKPfEEvT1_iilPiilS6_bb, .Lfunc_end70-_ZN9rocsolver6v33100L18getri_kernel_smallILi7EfPKPfEEvT1_iilPiilS6_bb
                                        ; -- End function
	.section	.AMDGPU.csdata,"",@progbits
; Kernel info:
; codeLenInByte = 4596
; NumSgprs: 19
; NumVgprs: 31
; ScratchSize: 0
; MemoryBound: 0
; FloatMode: 240
; IeeeMode: 1
; LDSByteSize: 60 bytes/workgroup (compile time only)
; SGPRBlocks: 2
; VGPRBlocks: 3
; NumSGPRsForWavesPerEU: 19
; NumVGPRsForWavesPerEU: 31
; Occupancy: 16
; WaveLimiterHint : 1
; COMPUTE_PGM_RSRC2:SCRATCH_EN: 0
; COMPUTE_PGM_RSRC2:USER_SGPR: 15
; COMPUTE_PGM_RSRC2:TRAP_HANDLER: 0
; COMPUTE_PGM_RSRC2:TGID_X_EN: 1
; COMPUTE_PGM_RSRC2:TGID_Y_EN: 0
; COMPUTE_PGM_RSRC2:TGID_Z_EN: 0
; COMPUTE_PGM_RSRC2:TIDIG_COMP_CNT: 0
	.section	.text._ZN9rocsolver6v33100L18getri_kernel_smallILi8EfPKPfEEvT1_iilPiilS6_bb,"axG",@progbits,_ZN9rocsolver6v33100L18getri_kernel_smallILi8EfPKPfEEvT1_iilPiilS6_bb,comdat
	.globl	_ZN9rocsolver6v33100L18getri_kernel_smallILi8EfPKPfEEvT1_iilPiilS6_bb ; -- Begin function _ZN9rocsolver6v33100L18getri_kernel_smallILi8EfPKPfEEvT1_iilPiilS6_bb
	.p2align	8
	.type	_ZN9rocsolver6v33100L18getri_kernel_smallILi8EfPKPfEEvT1_iilPiilS6_bb,@function
_ZN9rocsolver6v33100L18getri_kernel_smallILi8EfPKPfEEvT1_iilPiilS6_bb: ; @_ZN9rocsolver6v33100L18getri_kernel_smallILi8EfPKPfEEvT1_iilPiilS6_bb
; %bb.0:
	s_mov_b32 s3, exec_lo
	v_cmpx_gt_u32_e32 8, v0
	s_cbranch_execz .LBB71_16
; %bb.1:
	s_clause 0x1
	s_load_b32 s13, s[0:1], 0x38
	s_load_b64 s[8:9], s[0:1], 0x0
	s_mov_b32 s2, s15
	s_load_b128 s[4:7], s[0:1], 0x28
	s_waitcnt lgkmcnt(0)
	s_bitcmp1_b32 s13, 8
	s_cselect_b32 s12, -1, 0
	s_ashr_i32 s3, s15, 31
	s_delay_alu instid0(SALU_CYCLE_1) | instskip(NEXT) | instid1(SALU_CYCLE_1)
	s_lshl_b64 s[10:11], s[2:3], 3
	s_add_u32 s8, s8, s10
	s_addc_u32 s9, s9, s11
	s_load_b64 s[10:11], s[8:9], 0x0
	s_bfe_u32 s8, s13, 0x10008
	s_delay_alu instid0(SALU_CYCLE_1)
	s_cmp_eq_u32 s8, 0
                                        ; implicit-def: $sgpr8_sgpr9
	s_cbranch_scc1 .LBB71_3
; %bb.2:
	s_clause 0x1
	s_load_b32 s8, s[0:1], 0x20
	s_load_b64 s[14:15], s[0:1], 0x18
	s_mul_i32 s5, s2, s5
	s_mul_hi_u32 s9, s2, s4
	s_mul_i32 s16, s3, s4
	s_add_i32 s5, s9, s5
	s_mul_i32 s4, s2, s4
	s_add_i32 s5, s5, s16
	s_delay_alu instid0(SALU_CYCLE_1)
	s_lshl_b64 s[4:5], s[4:5], 2
	s_waitcnt lgkmcnt(0)
	s_ashr_i32 s9, s8, 31
	s_add_u32 s14, s14, s4
	s_addc_u32 s15, s15, s5
	s_lshl_b64 s[4:5], s[8:9], 2
	s_delay_alu instid0(SALU_CYCLE_1)
	s_add_u32 s8, s14, s4
	s_addc_u32 s9, s15, s5
.LBB71_3:
	s_load_b64 s[0:1], s[0:1], 0x8
	v_lshlrev_b32_e32 v26, 2, v0
	s_waitcnt lgkmcnt(0)
	v_add3_u32 v1, s1, s1, v0
	s_ashr_i32 s5, s0, 31
	s_mov_b32 s4, s0
	s_mov_b32 s14, s1
	s_lshl_b64 s[4:5], s[4:5], 2
	v_add_nc_u32_e32 v3, s1, v1
	v_ashrrev_i32_e32 v2, 31, v1
	s_add_u32 s4, s10, s4
	s_addc_u32 s5, s11, s5
	v_add_co_u32 v10, s0, s4, v26
	v_add_nc_u32_e32 v5, s1, v3
	s_ashr_i32 s15, s1, 31
	v_add_co_ci_u32_e64 v11, null, s5, 0, s0
	v_lshlrev_b64 v[1:2], 2, v[1:2]
	v_ashrrev_i32_e32 v4, 31, v3
	s_lshl_b64 s[10:11], s[14:15], 2
	v_ashrrev_i32_e32 v6, 31, v5
	v_add_co_u32 v12, vcc_lo, v10, s10
	v_add_nc_u32_e32 v7, s1, v5
	v_add_co_ci_u32_e32 v13, vcc_lo, s11, v11, vcc_lo
	v_lshlrev_b64 v[3:4], 2, v[3:4]
	v_add_co_u32 v14, vcc_lo, s4, v1
	v_add_co_ci_u32_e32 v15, vcc_lo, s5, v2, vcc_lo
	v_lshlrev_b64 v[1:2], 2, v[5:6]
	v_ashrrev_i32_e32 v8, 31, v7
	v_add_nc_u32_e32 v5, s1, v7
	v_add_co_u32 v16, vcc_lo, s4, v3
	v_add_co_ci_u32_e32 v17, vcc_lo, s5, v4, vcc_lo
	s_delay_alu instid0(VALU_DEP_4) | instskip(NEXT) | instid1(VALU_DEP_4)
	v_lshlrev_b64 v[3:4], 2, v[7:8]
	v_add_nc_u32_e32 v7, s1, v5
	v_ashrrev_i32_e32 v6, 31, v5
	v_add_co_u32 v18, vcc_lo, s4, v1
	v_add_co_ci_u32_e32 v19, vcc_lo, s5, v2, vcc_lo
	s_delay_alu instid0(VALU_DEP_4) | instskip(NEXT) | instid1(VALU_DEP_4)
	v_ashrrev_i32_e32 v8, 31, v7
	v_lshlrev_b64 v[1:2], 2, v[5:6]
	v_add_co_u32 v20, vcc_lo, s4, v3
	v_add_co_ci_u32_e32 v21, vcc_lo, s5, v4, vcc_lo
	s_delay_alu instid0(VALU_DEP_4) | instskip(NEXT) | instid1(VALU_DEP_4)
	v_lshlrev_b64 v[3:4], 2, v[7:8]
	v_add_co_u32 v22, vcc_lo, s4, v1
	v_mov_b32_e32 v1, 0
	v_add_co_ci_u32_e32 v23, vcc_lo, s5, v2, vcc_lo
	s_delay_alu instid0(VALU_DEP_4)
	v_add_co_u32 v24, vcc_lo, s4, v3
	v_add_co_ci_u32_e32 v25, vcc_lo, s5, v4, vcc_lo
	s_clause 0x7
	global_load_b32 v3, v[12:13], off
	global_load_b32 v4, v[14:15], off
	;; [unrolled: 1-line block ×6, first 2 shown]
	global_load_b32 v2, v26, s[4:5]
	global_load_b32 v9, v[24:25], off
	s_bitcmp0_b32 s13, 0
	s_mov_b32 s0, -1
	s_cbranch_scc1 .LBB71_14
; %bb.4:
	v_cmp_eq_u32_e64 s0, 0, v0
	s_delay_alu instid0(VALU_DEP_1)
	s_and_saveexec_b32 s1, s0
	s_cbranch_execz .LBB71_6
; %bb.5:
	v_mov_b32_e32 v27, 0
	ds_store_b32 v27, v27 offset:64
.LBB71_6:
	s_or_b32 exec_lo, exec_lo, s1
	v_cmp_eq_u32_e32 vcc_lo, 1, v0
	s_mov_b32 s4, exec_lo
	s_waitcnt vmcnt(0) lgkmcnt(0)
	s_barrier
	buffer_gl0_inv
	v_cndmask_b32_e32 v27, v2, v3, vcc_lo
	v_cmp_eq_u32_e32 vcc_lo, 2, v0
	s_delay_alu instid0(VALU_DEP_2) | instskip(SKIP_1) | instid1(VALU_DEP_2)
	v_cndmask_b32_e32 v27, v27, v4, vcc_lo
	v_cmp_eq_u32_e32 vcc_lo, 3, v0
	v_cndmask_b32_e32 v27, v27, v5, vcc_lo
	v_cmp_eq_u32_e32 vcc_lo, 4, v0
	s_delay_alu instid0(VALU_DEP_2) | instskip(SKIP_1) | instid1(VALU_DEP_2)
	v_cndmask_b32_e32 v27, v27, v6, vcc_lo
	v_cmp_eq_u32_e32 vcc_lo, 5, v0
	;; [unrolled: 5-line block ×3, first 2 shown]
	v_cndmask_b32_e32 v27, v27, v9, vcc_lo
	s_delay_alu instid0(VALU_DEP_1)
	v_cmpx_eq_f32_e32 0, v27
	s_cbranch_execz .LBB71_10
; %bb.7:
	v_mov_b32_e32 v28, 0
	ds_load_b32 v29, v28 offset:64
	s_waitcnt lgkmcnt(0)
	v_readfirstlane_b32 s1, v29
	v_add_nc_u32_e32 v29, 1, v0
	s_delay_alu instid0(VALU_DEP_2) | instskip(NEXT) | instid1(VALU_DEP_1)
	s_cmp_eq_u32 s1, 0
	v_cmp_gt_i32_e32 vcc_lo, s1, v29
	s_cselect_b32 s5, -1, 0
	s_delay_alu instid0(SALU_CYCLE_1) | instskip(NEXT) | instid1(SALU_CYCLE_1)
	s_or_b32 s5, s5, vcc_lo
	s_and_b32 exec_lo, exec_lo, s5
	s_cbranch_execz .LBB71_10
; %bb.8:
	v_mov_b32_e32 v30, s1
	s_mov_b32 s5, 0
.LBB71_9:                               ; =>This Inner Loop Header: Depth=1
	ds_cmpstore_rtn_b32 v30, v28, v29, v30 offset:64
	s_waitcnt lgkmcnt(0)
	v_cmp_ne_u32_e32 vcc_lo, 0, v30
	v_cmp_le_i32_e64 s1, v30, v29
	s_delay_alu instid0(VALU_DEP_1) | instskip(NEXT) | instid1(SALU_CYCLE_1)
	s_and_b32 s1, vcc_lo, s1
	s_and_b32 s1, exec_lo, s1
	s_delay_alu instid0(SALU_CYCLE_1) | instskip(NEXT) | instid1(SALU_CYCLE_1)
	s_or_b32 s5, s1, s5
	s_and_not1_b32 exec_lo, exec_lo, s5
	s_cbranch_execnz .LBB71_9
.LBB71_10:
	s_or_b32 exec_lo, exec_lo, s4
	v_mov_b32_e32 v28, 0
	s_barrier
	buffer_gl0_inv
	ds_load_b32 v29, v28 offset:64
	s_and_saveexec_b32 s1, s0
	s_cbranch_execz .LBB71_12
; %bb.11:
	s_lshl_b64 s[4:5], s[2:3], 2
	s_delay_alu instid0(SALU_CYCLE_1)
	s_add_u32 s4, s6, s4
	s_addc_u32 s5, s7, s5
	s_waitcnt lgkmcnt(0)
	global_store_b32 v28, v29, s[4:5]
.LBB71_12:
	s_or_b32 exec_lo, exec_lo, s1
	s_waitcnt lgkmcnt(0)
	v_cmp_ne_u32_e32 vcc_lo, 0, v29
	s_cbranch_vccz .LBB71_17
; %bb.13:
	s_mov_b32 s0, 0
                                        ; implicit-def: $vgpr2_vgpr3_vgpr4_vgpr5_vgpr6_vgpr7_vgpr8_vgpr9
.LBB71_14:
	s_delay_alu instid0(SALU_CYCLE_1)
	s_and_b32 vcc_lo, exec_lo, s0
	s_cbranch_vccz .LBB71_16
.LBB71_15:
	s_lshl_b64 s[0:1], s[2:3], 2
	v_mov_b32_e32 v1, 0
	s_add_u32 s0, s6, s0
	s_addc_u32 s1, s7, s1
	global_load_b32 v1, v1, s[0:1]
	s_waitcnt vmcnt(0)
	v_cmp_ne_u32_e32 vcc_lo, 0, v1
	s_cbranch_vccz .LBB71_42
.LBB71_16:
	s_nop 0
	s_sendmsg sendmsg(MSG_DEALLOC_VGPRS)
	s_endpgm
.LBB71_17:
	v_div_scale_f32 v28, null, v27, v27, 1.0
	v_div_scale_f32 v31, vcc_lo, 1.0, v27, 1.0
	s_delay_alu instid0(VALU_DEP_2) | instskip(SKIP_2) | instid1(VALU_DEP_1)
	v_rcp_f32_e32 v29, v28
	s_waitcnt_depctr 0xfff
	v_fma_f32 v30, -v28, v29, 1.0
	v_fmac_f32_e32 v29, v30, v29
	s_delay_alu instid0(VALU_DEP_1) | instskip(NEXT) | instid1(VALU_DEP_1)
	v_mul_f32_e32 v30, v31, v29
	v_fma_f32 v32, -v28, v30, v31
	s_delay_alu instid0(VALU_DEP_1) | instskip(NEXT) | instid1(VALU_DEP_1)
	v_fmac_f32_e32 v30, v32, v29
	v_fma_f32 v28, -v28, v30, v31
	s_delay_alu instid0(VALU_DEP_1) | instskip(SKIP_1) | instid1(VALU_DEP_2)
	v_div_fmas_f32 v28, v28, v29, v30
	v_cmp_eq_u32_e32 vcc_lo, 7, v0
	v_div_fixup_f32 v27, v28, v27, 1.0
	s_delay_alu instid0(VALU_DEP_1)
	v_dual_cndmask_b32 v9, v9, v27 :: v_dual_add_nc_u32 v28, 32, v26
	v_cmp_eq_u32_e32 vcc_lo, 6, v0
	v_xor_b32_e32 v29, 0x80000000, v27
	v_cndmask_b32_e32 v8, v8, v27, vcc_lo
	v_cmp_eq_u32_e32 vcc_lo, 5, v0
	v_cndmask_b32_e32 v7, v7, v27, vcc_lo
	v_cmp_eq_u32_e32 vcc_lo, 4, v0
	;; [unrolled: 2-line block ×5, first 2 shown]
	ds_store_2addr_b32 v26, v29, v3 offset1:8
	v_cndmask_b32_e32 v4, v4, v27, vcc_lo
	v_cmp_eq_u32_e32 vcc_lo, 0, v0
	s_waitcnt lgkmcnt(0)
	s_waitcnt_vscnt null, 0x0
	s_barrier
	buffer_gl0_inv
	v_cndmask_b32_e32 v2, v2, v27, vcc_lo
	s_and_saveexec_b32 s1, s0
	s_cbranch_execz .LBB71_19
; %bb.18:
	v_mov_b32_e32 v3, 0
	ds_load_b32 v26, v28
	ds_load_b32 v3, v3 offset:4
	s_waitcnt lgkmcnt(1)
	v_fma_f32 v26, v27, v26, 0
	s_waitcnt lgkmcnt(0)
	s_delay_alu instid0(VALU_DEP_1)
	v_mul_f32_e32 v3, v26, v3
.LBB71_19:
	s_or_b32 exec_lo, exec_lo, s1
	s_delay_alu instid0(SALU_CYCLE_1)
	s_mov_b32 s1, exec_lo
	s_barrier
	buffer_gl0_inv
	ds_store_b32 v28, v4
	s_waitcnt lgkmcnt(0)
	s_barrier
	buffer_gl0_inv
	v_cmpx_gt_u32_e32 2, v0
	s_cbranch_execz .LBB71_21
; %bb.20:
	v_cmp_eq_u32_e32 vcc_lo, 1, v0
	ds_load_b32 v29, v28
	v_cndmask_b32_e32 v26, v2, v3, vcc_lo
	v_cmp_eq_u32_e32 vcc_lo, 2, v0
	s_delay_alu instid0(VALU_DEP_2) | instskip(SKIP_2) | instid1(VALU_DEP_3)
	v_cndmask_b32_e32 v4, v26, v4, vcc_lo
	v_cmp_eq_u32_e32 vcc_lo, 3, v0
	v_mov_b32_e32 v26, 0
	v_cndmask_b32_e32 v4, v4, v5, vcc_lo
	v_cmp_eq_u32_e32 vcc_lo, 4, v0
	ds_load_2addr_b32 v[26:27], v26 offset0:2 offset1:9
	v_cndmask_b32_e32 v4, v4, v6, vcc_lo
	v_cmp_eq_u32_e32 vcc_lo, 5, v0
	s_delay_alu instid0(VALU_DEP_2) | instskip(SKIP_1) | instid1(VALU_DEP_2)
	v_cndmask_b32_e32 v4, v4, v7, vcc_lo
	v_cmp_eq_u32_e32 vcc_lo, 6, v0
	v_cndmask_b32_e32 v4, v4, v8, vcc_lo
	v_cmp_eq_u32_e32 vcc_lo, 7, v0
	s_delay_alu instid0(VALU_DEP_2) | instskip(SKIP_1) | instid1(VALU_DEP_1)
	v_cndmask_b32_e32 v4, v4, v9, vcc_lo
	s_waitcnt lgkmcnt(1)
	v_fma_f32 v4, v4, v29, 0
	s_waitcnt lgkmcnt(0)
	s_delay_alu instid0(VALU_DEP_1) | instskip(NEXT) | instid1(VALU_DEP_1)
	v_fma_f32 v27, v3, v27, v4
	v_cndmask_b32_e64 v4, v4, v27, s0
	s_delay_alu instid0(VALU_DEP_1)
	v_mul_f32_e32 v4, v4, v26
.LBB71_21:
	s_or_b32 exec_lo, exec_lo, s1
	s_delay_alu instid0(SALU_CYCLE_1)
	s_mov_b32 s1, exec_lo
	s_barrier
	buffer_gl0_inv
	ds_store_b32 v28, v5
	s_waitcnt lgkmcnt(0)
	s_barrier
	buffer_gl0_inv
	v_cmpx_gt_u32_e32 3, v0
	s_cbranch_execz .LBB71_25
; %bb.22:
	v_mov_b32_e32 v27, v1
	v_lshl_add_u32 v30, v0, 2, 32
	v_dual_mov_b32 v29, 0 :: v_dual_mov_b32 v26, v0
	s_mov_b32 s4, 0
	.p2align	6
.LBB71_23:                              ; =>This Inner Loop Header: Depth=1
	s_delay_alu instid0(VALU_DEP_1) | instskip(SKIP_3) | instid1(VALU_DEP_2)
	v_cmp_eq_u32_e32 vcc_lo, 1, v26
	ds_load_b32 v32, v30
	v_dual_cndmask_b32 v31, v2, v3 :: v_dual_add_nc_u32 v30, 4, v30
	v_cmp_eq_u32_e32 vcc_lo, 2, v26
	v_cndmask_b32_e32 v31, v31, v4, vcc_lo
	v_cmp_eq_u32_e32 vcc_lo, 3, v26
	s_delay_alu instid0(VALU_DEP_2) | instskip(SKIP_1) | instid1(VALU_DEP_2)
	v_cndmask_b32_e32 v31, v31, v5, vcc_lo
	v_cmp_eq_u32_e32 vcc_lo, 4, v26
	v_cndmask_b32_e32 v31, v31, v6, vcc_lo
	v_cmp_eq_u32_e32 vcc_lo, 5, v26
	s_delay_alu instid0(VALU_DEP_2) | instskip(SKIP_1) | instid1(VALU_DEP_2)
	v_cndmask_b32_e32 v31, v31, v7, vcc_lo
	v_cmp_eq_u32_e32 vcc_lo, 6, v26
	v_cndmask_b32_e32 v31, v31, v8, vcc_lo
	v_cmp_eq_u32_e32 vcc_lo, 7, v26
	v_add_co_u32 v26, s0, v26, 1
	s_delay_alu instid0(VALU_DEP_1) | instskip(NEXT) | instid1(VALU_DEP_4)
	v_add_co_ci_u32_e64 v27, s0, 0, v27, s0
	v_cndmask_b32_e32 v31, v31, v9, vcc_lo
	s_delay_alu instid0(VALU_DEP_3) | instskip(SKIP_1) | instid1(VALU_DEP_2)
	v_add_nc_u32_e32 v33, -1, v26
	s_waitcnt lgkmcnt(0)
	v_fmac_f32_e32 v29, v31, v32
	s_delay_alu instid0(VALU_DEP_2) | instskip(SKIP_1) | instid1(SALU_CYCLE_1)
	v_cmp_lt_u32_e32 vcc_lo, 1, v33
	s_or_b32 s4, vcc_lo, s4
	s_and_not1_b32 exec_lo, exec_lo, s4
	s_cbranch_execnz .LBB71_23
; %bb.24:
	s_or_b32 exec_lo, exec_lo, s4
	v_mov_b32_e32 v5, 0
	ds_load_b32 v5, v5 offset:12
	s_waitcnt lgkmcnt(0)
	v_mul_f32_e32 v5, v29, v5
.LBB71_25:
	s_or_b32 exec_lo, exec_lo, s1
	s_delay_alu instid0(SALU_CYCLE_1)
	s_mov_b32 s1, exec_lo
	s_barrier
	buffer_gl0_inv
	ds_store_b32 v28, v6
	s_waitcnt lgkmcnt(0)
	s_barrier
	buffer_gl0_inv
	v_cmpx_gt_u32_e32 4, v0
	s_cbranch_execz .LBB71_29
; %bb.26:
	v_mov_b32_e32 v27, v1
	v_lshl_add_u32 v30, v0, 2, 32
	v_dual_mov_b32 v29, 0 :: v_dual_mov_b32 v26, v0
	s_mov_b32 s4, 0
	.p2align	6
.LBB71_27:                              ; =>This Inner Loop Header: Depth=1
	s_delay_alu instid0(VALU_DEP_1) | instskip(SKIP_3) | instid1(VALU_DEP_2)
	v_cmp_eq_u32_e32 vcc_lo, 1, v26
	ds_load_b32 v32, v30
	v_dual_cndmask_b32 v31, v2, v3 :: v_dual_add_nc_u32 v30, 4, v30
	v_cmp_eq_u32_e32 vcc_lo, 2, v26
	v_cndmask_b32_e32 v31, v31, v4, vcc_lo
	v_cmp_eq_u32_e32 vcc_lo, 3, v26
	s_delay_alu instid0(VALU_DEP_2) | instskip(SKIP_1) | instid1(VALU_DEP_2)
	v_cndmask_b32_e32 v31, v31, v5, vcc_lo
	v_cmp_eq_u32_e32 vcc_lo, 4, v26
	v_cndmask_b32_e32 v31, v31, v6, vcc_lo
	v_cmp_eq_u32_e32 vcc_lo, 5, v26
	s_delay_alu instid0(VALU_DEP_2) | instskip(SKIP_1) | instid1(VALU_DEP_2)
	v_cndmask_b32_e32 v31, v31, v7, vcc_lo
	v_cmp_eq_u32_e32 vcc_lo, 6, v26
	v_cndmask_b32_e32 v31, v31, v8, vcc_lo
	v_cmp_eq_u32_e32 vcc_lo, 7, v26
	v_add_co_u32 v26, s0, v26, 1
	s_delay_alu instid0(VALU_DEP_1) | instskip(NEXT) | instid1(VALU_DEP_4)
	v_add_co_ci_u32_e64 v27, s0, 0, v27, s0
	v_cndmask_b32_e32 v31, v31, v9, vcc_lo
	s_delay_alu instid0(VALU_DEP_3) | instskip(SKIP_1) | instid1(VALU_DEP_2)
	v_add_nc_u32_e32 v33, -1, v26
	s_waitcnt lgkmcnt(0)
	v_fmac_f32_e32 v29, v31, v32
	s_delay_alu instid0(VALU_DEP_2) | instskip(SKIP_1) | instid1(SALU_CYCLE_1)
	v_cmp_lt_u32_e32 vcc_lo, 2, v33
	s_or_b32 s4, vcc_lo, s4
	s_and_not1_b32 exec_lo, exec_lo, s4
	s_cbranch_execnz .LBB71_27
; %bb.28:
	s_or_b32 exec_lo, exec_lo, s4
	v_mov_b32_e32 v6, 0
	ds_load_b32 v6, v6 offset:16
	s_waitcnt lgkmcnt(0)
	v_mul_f32_e32 v6, v29, v6
.LBB71_29:
	s_or_b32 exec_lo, exec_lo, s1
	s_delay_alu instid0(SALU_CYCLE_1)
	s_mov_b32 s1, exec_lo
	s_barrier
	buffer_gl0_inv
	ds_store_b32 v28, v7
	s_waitcnt lgkmcnt(0)
	s_barrier
	buffer_gl0_inv
	v_cmpx_gt_u32_e32 5, v0
	s_cbranch_execz .LBB71_33
; %bb.30:
	v_mov_b32_e32 v27, v1
	v_lshl_add_u32 v30, v0, 2, 32
	v_dual_mov_b32 v29, 0 :: v_dual_mov_b32 v26, v0
	s_mov_b32 s4, 0
	.p2align	6
.LBB71_31:                              ; =>This Inner Loop Header: Depth=1
	s_delay_alu instid0(VALU_DEP_1) | instskip(SKIP_3) | instid1(VALU_DEP_2)
	v_cmp_eq_u32_e32 vcc_lo, 1, v26
	ds_load_b32 v32, v30
	v_dual_cndmask_b32 v31, v2, v3 :: v_dual_add_nc_u32 v30, 4, v30
	v_cmp_eq_u32_e32 vcc_lo, 2, v26
	v_cndmask_b32_e32 v31, v31, v4, vcc_lo
	v_cmp_eq_u32_e32 vcc_lo, 3, v26
	s_delay_alu instid0(VALU_DEP_2) | instskip(SKIP_1) | instid1(VALU_DEP_2)
	v_cndmask_b32_e32 v31, v31, v5, vcc_lo
	v_cmp_eq_u32_e32 vcc_lo, 4, v26
	v_cndmask_b32_e32 v31, v31, v6, vcc_lo
	v_cmp_eq_u32_e32 vcc_lo, 5, v26
	s_delay_alu instid0(VALU_DEP_2) | instskip(SKIP_1) | instid1(VALU_DEP_2)
	v_cndmask_b32_e32 v31, v31, v7, vcc_lo
	v_cmp_eq_u32_e32 vcc_lo, 6, v26
	v_cndmask_b32_e32 v31, v31, v8, vcc_lo
	v_cmp_eq_u32_e32 vcc_lo, 7, v26
	v_add_co_u32 v26, s0, v26, 1
	s_delay_alu instid0(VALU_DEP_1) | instskip(NEXT) | instid1(VALU_DEP_4)
	v_add_co_ci_u32_e64 v27, s0, 0, v27, s0
	v_cndmask_b32_e32 v31, v31, v9, vcc_lo
	s_delay_alu instid0(VALU_DEP_3) | instskip(SKIP_1) | instid1(VALU_DEP_2)
	v_add_nc_u32_e32 v33, -1, v26
	s_waitcnt lgkmcnt(0)
	v_fmac_f32_e32 v29, v31, v32
	s_delay_alu instid0(VALU_DEP_2) | instskip(SKIP_1) | instid1(SALU_CYCLE_1)
	v_cmp_lt_u32_e32 vcc_lo, 3, v33
	s_or_b32 s4, vcc_lo, s4
	s_and_not1_b32 exec_lo, exec_lo, s4
	s_cbranch_execnz .LBB71_31
; %bb.32:
	s_or_b32 exec_lo, exec_lo, s4
	v_mov_b32_e32 v7, 0
	ds_load_b32 v7, v7 offset:20
	s_waitcnt lgkmcnt(0)
	v_mul_f32_e32 v7, v29, v7
.LBB71_33:
	s_or_b32 exec_lo, exec_lo, s1
	s_delay_alu instid0(SALU_CYCLE_1)
	s_mov_b32 s1, exec_lo
	s_barrier
	buffer_gl0_inv
	ds_store_b32 v28, v8
	s_waitcnt lgkmcnt(0)
	s_barrier
	buffer_gl0_inv
	v_cmpx_gt_u32_e32 6, v0
	s_cbranch_execz .LBB71_37
; %bb.34:
	v_mov_b32_e32 v27, v1
	v_lshl_add_u32 v30, v0, 2, 32
	v_dual_mov_b32 v29, 0 :: v_dual_mov_b32 v26, v0
	s_mov_b32 s4, 0
	.p2align	6
.LBB71_35:                              ; =>This Inner Loop Header: Depth=1
	s_delay_alu instid0(VALU_DEP_1) | instskip(SKIP_3) | instid1(VALU_DEP_2)
	v_cmp_eq_u32_e32 vcc_lo, 1, v26
	ds_load_b32 v32, v30
	v_dual_cndmask_b32 v31, v2, v3 :: v_dual_add_nc_u32 v30, 4, v30
	v_cmp_eq_u32_e32 vcc_lo, 2, v26
	v_cndmask_b32_e32 v31, v31, v4, vcc_lo
	v_cmp_eq_u32_e32 vcc_lo, 3, v26
	s_delay_alu instid0(VALU_DEP_2) | instskip(SKIP_1) | instid1(VALU_DEP_2)
	v_cndmask_b32_e32 v31, v31, v5, vcc_lo
	v_cmp_eq_u32_e32 vcc_lo, 4, v26
	v_cndmask_b32_e32 v31, v31, v6, vcc_lo
	v_cmp_eq_u32_e32 vcc_lo, 5, v26
	s_delay_alu instid0(VALU_DEP_2) | instskip(SKIP_1) | instid1(VALU_DEP_2)
	v_cndmask_b32_e32 v31, v31, v7, vcc_lo
	v_cmp_eq_u32_e32 vcc_lo, 6, v26
	v_cndmask_b32_e32 v31, v31, v8, vcc_lo
	v_cmp_eq_u32_e32 vcc_lo, 7, v26
	v_add_co_u32 v26, s0, v26, 1
	s_delay_alu instid0(VALU_DEP_1) | instskip(NEXT) | instid1(VALU_DEP_4)
	v_add_co_ci_u32_e64 v27, s0, 0, v27, s0
	v_cndmask_b32_e32 v31, v31, v9, vcc_lo
	s_delay_alu instid0(VALU_DEP_3) | instskip(SKIP_1) | instid1(VALU_DEP_2)
	v_add_nc_u32_e32 v33, -1, v26
	s_waitcnt lgkmcnt(0)
	v_fmac_f32_e32 v29, v31, v32
	s_delay_alu instid0(VALU_DEP_2) | instskip(SKIP_1) | instid1(SALU_CYCLE_1)
	v_cmp_lt_u32_e32 vcc_lo, 4, v33
	s_or_b32 s4, vcc_lo, s4
	s_and_not1_b32 exec_lo, exec_lo, s4
	s_cbranch_execnz .LBB71_35
; %bb.36:
	s_or_b32 exec_lo, exec_lo, s4
	v_mov_b32_e32 v8, 0
	ds_load_b32 v8, v8 offset:24
	s_waitcnt lgkmcnt(0)
	v_mul_f32_e32 v8, v29, v8
.LBB71_37:
	s_or_b32 exec_lo, exec_lo, s1
	s_delay_alu instid0(SALU_CYCLE_1)
	s_mov_b32 s1, exec_lo
	s_barrier
	buffer_gl0_inv
	ds_store_b32 v28, v9
	s_waitcnt lgkmcnt(0)
	s_barrier
	buffer_gl0_inv
	v_cmpx_ne_u32_e32 7, v0
	s_cbranch_execz .LBB71_41
; %bb.38:
	v_dual_mov_b32 v28, 0 :: v_dual_mov_b32 v27, v1
	v_lshl_add_u32 v29, v0, 2, 32
	v_mov_b32_e32 v26, v0
	s_mov_b32 s4, 0
	.p2align	6
.LBB71_39:                              ; =>This Inner Loop Header: Depth=1
	s_delay_alu instid0(VALU_DEP_1) | instskip(SKIP_3) | instid1(VALU_DEP_2)
	v_cmp_eq_u32_e32 vcc_lo, 1, v26
	ds_load_b32 v30, v29
	v_cndmask_b32_e32 v1, v2, v3, vcc_lo
	v_cmp_eq_u32_e32 vcc_lo, 2, v26
	v_cndmask_b32_e32 v1, v1, v4, vcc_lo
	v_cmp_eq_u32_e32 vcc_lo, 3, v26
	s_delay_alu instid0(VALU_DEP_2) | instskip(SKIP_1) | instid1(VALU_DEP_2)
	v_cndmask_b32_e32 v1, v1, v5, vcc_lo
	v_cmp_eq_u32_e32 vcc_lo, 4, v26
	v_cndmask_b32_e32 v1, v1, v6, vcc_lo
	v_cmp_eq_u32_e32 vcc_lo, 5, v26
	s_delay_alu instid0(VALU_DEP_2) | instskip(SKIP_1) | instid1(VALU_DEP_2)
	v_cndmask_b32_e32 v1, v1, v7, vcc_lo
	v_cmp_eq_u32_e32 vcc_lo, 6, v26
	v_cndmask_b32_e32 v1, v1, v8, vcc_lo
	v_cmp_eq_u32_e32 vcc_lo, 7, v26
	v_add_co_u32 v26, s0, v26, 1
	s_delay_alu instid0(VALU_DEP_1) | instskip(NEXT) | instid1(VALU_DEP_4)
	v_add_co_ci_u32_e64 v27, s0, 0, v27, s0
	v_cndmask_b32_e32 v1, v1, v9, vcc_lo
	s_delay_alu instid0(VALU_DEP_3) | instskip(SKIP_1) | instid1(VALU_DEP_2)
	v_add_nc_u32_e32 v31, -1, v26
	s_waitcnt lgkmcnt(0)
	v_dual_fmac_f32 v28, v1, v30 :: v_dual_add_nc_u32 v29, 4, v29
	s_delay_alu instid0(VALU_DEP_2) | instskip(SKIP_1) | instid1(SALU_CYCLE_1)
	v_cmp_lt_u32_e32 vcc_lo, 5, v31
	s_or_b32 s4, vcc_lo, s4
	s_and_not1_b32 exec_lo, exec_lo, s4
	s_cbranch_execnz .LBB71_39
; %bb.40:
	s_or_b32 exec_lo, exec_lo, s4
	v_mov_b32_e32 v1, 0
	ds_load_b32 v1, v1 offset:28
	s_waitcnt lgkmcnt(0)
	v_mul_f32_e32 v9, v28, v1
.LBB71_41:
	s_or_b32 exec_lo, exec_lo, s1
	s_barrier
	buffer_gl0_inv
	s_cbranch_execnz .LBB71_15
	s_branch .LBB71_16
.LBB71_42:
	v_lshl_add_u32 v1, v0, 2, 32
	s_mov_b32 s0, exec_lo
	v_cmpx_eq_u32_e32 7, v0
	s_cbranch_execz .LBB71_44
; %bb.43:
	s_mov_b32 s1, 0
	ds_store_b32 v1, v8
	v_mov_b32_e32 v8, s1
.LBB71_44:
	s_or_b32 exec_lo, exec_lo, s0
	v_mov_b32_e32 v26, 0
	s_waitcnt lgkmcnt(0)
	s_waitcnt_vscnt null, 0x0
	s_barrier
	buffer_gl0_inv
	s_mov_b32 s0, exec_lo
	ds_load_b32 v27, v26 offset:60
	s_waitcnt lgkmcnt(0)
	v_fma_f32 v27, v9, v27, 0
	s_delay_alu instid0(VALU_DEP_1)
	v_sub_f32_e32 v8, v8, v27
	v_cmpx_lt_u32_e32 5, v0
	s_cbranch_execz .LBB71_46
; %bb.45:
	s_mov_b32 s1, 0
	s_delay_alu instid0(VALU_DEP_2)
	v_dual_mov_b32 v34, v9 :: v_dual_mov_b32 v33, v8
	v_dual_mov_b32 v32, v7 :: v_dual_mov_b32 v31, v6
	;; [unrolled: 1-line block ×4, first 2 shown]
	v_mov_b32_e32 v32, s1
	ds_store_b32 v1, v7
	v_dual_mov_b32 v2, v27 :: v_dual_mov_b32 v3, v28
	v_dual_mov_b32 v4, v29 :: v_dual_mov_b32 v5, v30
	;; [unrolled: 1-line block ×4, first 2 shown]
.LBB71_46:
	s_or_b32 exec_lo, exec_lo, s0
	s_waitcnt lgkmcnt(0)
	s_barrier
	buffer_gl0_inv
	ds_load_b64 v[26:27], v26 offset:56
	s_mov_b32 s0, exec_lo
	s_waitcnt lgkmcnt(0)
	v_fma_f32 v26, v8, v26, 0
	s_delay_alu instid0(VALU_DEP_1) | instskip(NEXT) | instid1(VALU_DEP_1)
	v_fmac_f32_e32 v26, v9, v27
	v_sub_f32_e32 v7, v7, v26
	v_cmpx_lt_u32_e32 4, v0
	s_cbranch_execz .LBB71_48
; %bb.47:
	s_mov_b32 s1, 0
	v_dual_mov_b32 v33, v9 :: v_dual_mov_b32 v32, v8
	v_dual_mov_b32 v31, v7 :: v_dual_mov_b32 v30, v6
	;; [unrolled: 1-line block ×4, first 2 shown]
	v_mov_b32_e32 v30, s1
	ds_store_b32 v1, v6
	v_dual_mov_b32 v2, v26 :: v_dual_mov_b32 v3, v27
	v_dual_mov_b32 v4, v28 :: v_dual_mov_b32 v5, v29
	v_dual_mov_b32 v6, v30 :: v_dual_mov_b32 v7, v31
	v_dual_mov_b32 v8, v32 :: v_dual_mov_b32 v9, v33
.LBB71_48:
	s_or_b32 exec_lo, exec_lo, s0
	v_mov_b32_e32 v26, 0
	s_waitcnt lgkmcnt(0)
	s_barrier
	buffer_gl0_inv
	s_mov_b32 s0, exec_lo
	ds_load_2addr_b32 v[27:28], v26 offset0:13 offset1:14
	ds_load_b32 v29, v26 offset:60
	s_waitcnt lgkmcnt(1)
	v_fma_f32 v27, v7, v27, 0
	s_delay_alu instid0(VALU_DEP_1) | instskip(SKIP_1) | instid1(VALU_DEP_1)
	v_fmac_f32_e32 v27, v8, v28
	s_waitcnt lgkmcnt(0)
	v_fmac_f32_e32 v27, v9, v29
	s_delay_alu instid0(VALU_DEP_1)
	v_sub_f32_e32 v6, v6, v27
	v_cmpx_lt_u32_e32 3, v0
	s_cbranch_execz .LBB71_50
; %bb.49:
	s_mov_b32 s1, 0
	v_dual_mov_b32 v34, v9 :: v_dual_mov_b32 v33, v8
	v_dual_mov_b32 v30, v5 :: v_dual_mov_b32 v29, v4
	;; [unrolled: 1-line block ×4, first 2 shown]
	v_mov_b32_e32 v30, s1
	ds_store_b32 v1, v5
	v_dual_mov_b32 v2, v27 :: v_dual_mov_b32 v3, v28
	v_dual_mov_b32 v4, v29 :: v_dual_mov_b32 v5, v30
	;; [unrolled: 1-line block ×4, first 2 shown]
.LBB71_50:
	s_or_b32 exec_lo, exec_lo, s0
	s_waitcnt lgkmcnt(0)
	s_barrier
	buffer_gl0_inv
	ds_load_b128 v[26:29], v26 offset:48
	s_mov_b32 s0, exec_lo
	s_waitcnt lgkmcnt(0)
	v_fma_f32 v26, v6, v26, 0
	s_delay_alu instid0(VALU_DEP_1) | instskip(NEXT) | instid1(VALU_DEP_1)
	v_fmac_f32_e32 v26, v7, v27
	v_fmac_f32_e32 v26, v8, v28
	s_delay_alu instid0(VALU_DEP_1) | instskip(NEXT) | instid1(VALU_DEP_1)
	v_fmac_f32_e32 v26, v9, v29
	v_sub_f32_e32 v5, v5, v26
	v_cmpx_lt_u32_e32 2, v0
	s_cbranch_execz .LBB71_52
; %bb.51:
	s_mov_b32 s1, 0
	v_dual_mov_b32 v33, v9 :: v_dual_mov_b32 v32, v8
	v_dual_mov_b32 v29, v5 :: v_dual_mov_b32 v28, v4
	;; [unrolled: 1-line block ×4, first 2 shown]
	v_mov_b32_e32 v28, s1
	ds_store_b32 v1, v4
	v_dual_mov_b32 v2, v26 :: v_dual_mov_b32 v3, v27
	v_dual_mov_b32 v5, v29 :: v_dual_mov_b32 v4, v28
	;; [unrolled: 1-line block ×4, first 2 shown]
.LBB71_52:
	s_or_b32 exec_lo, exec_lo, s0
	v_mov_b32_e32 v26, 0
	s_waitcnt lgkmcnt(0)
	s_barrier
	buffer_gl0_inv
	s_mov_b32 s0, exec_lo
	ds_load_2addr_b32 v[27:28], v26 offset0:11 offset1:12
	ds_load_2addr_b32 v[29:30], v26 offset0:13 offset1:14
	ds_load_b32 v31, v26 offset:60
	s_waitcnt lgkmcnt(2)
	v_fma_f32 v27, v5, v27, 0
	s_delay_alu instid0(VALU_DEP_1) | instskip(SKIP_1) | instid1(VALU_DEP_1)
	v_fmac_f32_e32 v27, v6, v28
	s_waitcnt lgkmcnt(1)
	v_fmac_f32_e32 v27, v7, v29
	s_delay_alu instid0(VALU_DEP_1) | instskip(SKIP_1) | instid1(VALU_DEP_1)
	v_fmac_f32_e32 v27, v8, v30
	s_waitcnt lgkmcnt(0)
	v_fmac_f32_e32 v27, v9, v31
	s_delay_alu instid0(VALU_DEP_1)
	v_sub_f32_e32 v4, v4, v27
	v_cmpx_lt_u32_e32 1, v0
	s_cbranch_execz .LBB71_54
; %bb.53:
	s_mov_b32 s1, 0
	v_dual_mov_b32 v34, v9 :: v_dual_mov_b32 v33, v8
	v_dual_mov_b32 v28, v3 :: v_dual_mov_b32 v27, v2
	;; [unrolled: 1-line block ×4, first 2 shown]
	v_mov_b32_e32 v28, s1
	ds_store_b32 v1, v3
	v_dual_mov_b32 v2, v27 :: v_dual_mov_b32 v5, v30
	v_dual_mov_b32 v4, v29 :: v_dual_mov_b32 v3, v28
	;; [unrolled: 1-line block ×4, first 2 shown]
.LBB71_54:
	s_or_b32 exec_lo, exec_lo, s0
	s_waitcnt lgkmcnt(0)
	s_barrier
	buffer_gl0_inv
	ds_load_2addr_b64 v[27:30], v26 offset0:5 offset1:6
	ds_load_b64 v[31:32], v26 offset:56
	s_mov_b32 s1, 0
	s_mov_b32 s0, exec_lo
	s_waitcnt lgkmcnt(1)
	v_fma_f32 v26, v4, v27, 0
	s_delay_alu instid0(VALU_DEP_1) | instskip(NEXT) | instid1(VALU_DEP_1)
	v_fmac_f32_e32 v26, v5, v28
	v_fmac_f32_e32 v26, v6, v29
	s_delay_alu instid0(VALU_DEP_1) | instskip(SKIP_1) | instid1(VALU_DEP_1)
	v_fmac_f32_e32 v26, v7, v30
	s_waitcnt lgkmcnt(0)
	v_fmac_f32_e32 v26, v8, v31
	s_delay_alu instid0(VALU_DEP_1) | instskip(NEXT) | instid1(VALU_DEP_1)
	v_fmac_f32_e32 v26, v9, v32
	v_sub_f32_e32 v3, v3, v26
	v_cmpx_ne_u32_e32 0, v0
	s_cbranch_execz .LBB71_56
; %bb.55:
	v_dual_mov_b32 v33, v9 :: v_dual_mov_b32 v32, v8
	s_delay_alu instid0(VALU_DEP_3)
	v_dual_mov_b32 v27, v3 :: v_dual_mov_b32 v26, v2
	v_dual_mov_b32 v26, s1 :: v_dual_mov_b32 v31, v7
	;; [unrolled: 1-line block ×3, first 2 shown]
	v_mov_b32_e32 v28, v4
	ds_store_b32 v1, v2
	v_dual_mov_b32 v2, v26 :: v_dual_mov_b32 v3, v27
	v_dual_mov_b32 v5, v29 :: v_dual_mov_b32 v4, v28
	;; [unrolled: 1-line block ×4, first 2 shown]
.LBB71_56:
	s_or_b32 exec_lo, exec_lo, s0
	v_mov_b32_e32 v30, 0
	s_waitcnt lgkmcnt(0)
	s_barrier
	buffer_gl0_inv
	s_and_b32 vcc_lo, exec_lo, s12
	ds_load_2addr_b32 v[0:1], v30 offset0:9 offset1:10
	ds_load_2addr_b32 v[26:27], v30 offset0:11 offset1:12
	;; [unrolled: 1-line block ×3, first 2 shown]
	ds_load_b32 v30, v30 offset:60
	s_waitcnt lgkmcnt(3)
	v_fma_f32 v0, v3, v0, 0
	s_delay_alu instid0(VALU_DEP_1) | instskip(SKIP_1) | instid1(VALU_DEP_1)
	v_fmac_f32_e32 v0, v4, v1
	s_waitcnt lgkmcnt(2)
	v_fmac_f32_e32 v0, v5, v26
	s_delay_alu instid0(VALU_DEP_1) | instskip(SKIP_1) | instid1(VALU_DEP_1)
	v_fmac_f32_e32 v0, v6, v27
	s_waitcnt lgkmcnt(1)
	v_fmac_f32_e32 v0, v7, v28
	;; [unrolled: 4-line block ×3, first 2 shown]
	s_delay_alu instid0(VALU_DEP_1)
	v_sub_f32_e32 v2, v2, v0
	s_cbranch_vccz .LBB71_72
; %bb.57:
	v_dual_mov_b32 v0, s8 :: v_dual_mov_b32 v1, s9
	s_mov_b32 s5, exec_lo
	flat_load_b32 v0, v[0:1] offset:24
	s_waitcnt vmcnt(0) lgkmcnt(0)
	v_add_nc_u32_e32 v0, -1, v0
	s_delay_alu instid0(VALU_DEP_1)
	v_cmpx_ne_u32_e32 6, v0
	s_cbranch_execz .LBB71_59
; %bb.58:
	v_cmp_eq_u32_e32 vcc_lo, 1, v0
	v_cmp_eq_u32_e64 s0, 2, v0
	v_cmp_eq_u32_e64 s1, 3, v0
	;; [unrolled: 1-line block ×4, first 2 shown]
	v_cndmask_b32_e32 v27, v3, v8, vcc_lo
	v_cndmask_b32_e64 v28, v4, v8, s0
	v_cndmask_b32_e64 v29, v5, v8, s1
	;; [unrolled: 1-line block ×4, first 2 shown]
	v_cndmask_b32_e32 v1, v2, v3, vcc_lo
	v_cmp_eq_u32_e64 s4, 6, v0
	v_cmp_eq_u32_e32 vcc_lo, 7, v0
	s_delay_alu instid0(VALU_DEP_3) | instskip(SKIP_1) | instid1(VALU_DEP_2)
	v_cndmask_b32_e64 v1, v1, v4, s0
	v_cndmask_b32_e32 v33, v9, v8, vcc_lo
	v_cndmask_b32_e64 v1, v1, v5, s1
	s_delay_alu instid0(VALU_DEP_1) | instskip(NEXT) | instid1(VALU_DEP_1)
	v_cndmask_b32_e64 v1, v1, v6, s2
	v_cndmask_b32_e64 v1, v1, v7, s3
	s_delay_alu instid0(VALU_DEP_1) | instskip(NEXT) | instid1(VALU_DEP_1)
	v_cndmask_b32_e64 v1, v1, v8, s4
	v_cndmask_b32_e32 v1, v1, v9, vcc_lo
	v_cmp_eq_u32_e32 vcc_lo, 0, v0
	v_cndmask_b32_e32 v26, v2, v8, vcc_lo
	s_delay_alu instid0(VALU_DEP_3) | instskip(NEXT) | instid1(VALU_DEP_2)
	v_cndmask_b32_e64 v32, v1, v8, s4
	v_dual_mov_b32 v2, v26 :: v_dual_mov_b32 v3, v27
	v_dual_mov_b32 v4, v28 :: v_dual_mov_b32 v5, v29
	;; [unrolled: 1-line block ×3, first 2 shown]
	s_delay_alu instid0(VALU_DEP_4)
	v_dual_mov_b32 v8, v32 :: v_dual_mov_b32 v9, v33
.LBB71_59:
	s_or_b32 exec_lo, exec_lo, s5
	v_dual_mov_b32 v0, s8 :: v_dual_mov_b32 v1, s9
	s_mov_b32 s5, exec_lo
	flat_load_b32 v0, v[0:1] offset:20
	s_waitcnt vmcnt(0) lgkmcnt(0)
	v_add_nc_u32_e32 v0, -1, v0
	s_delay_alu instid0(VALU_DEP_1)
	v_cmpx_ne_u32_e32 5, v0
	s_cbranch_execz .LBB71_61
; %bb.60:
	v_cmp_eq_u32_e32 vcc_lo, 1, v0
	v_cmp_eq_u32_e64 s0, 2, v0
	v_cmp_eq_u32_e64 s1, 3, v0
	v_cmp_eq_u32_e64 s2, 4, v0
	v_cmp_eq_u32_e64 s4, 6, v0
	v_cndmask_b32_e32 v27, v3, v7, vcc_lo
	v_cndmask_b32_e64 v28, v4, v7, s0
	v_cndmask_b32_e64 v29, v5, v7, s1
	;; [unrolled: 1-line block ×4, first 2 shown]
	v_cndmask_b32_e32 v1, v2, v3, vcc_lo
	v_cmp_eq_u32_e64 s3, 5, v0
	v_cmp_eq_u32_e32 vcc_lo, 7, v0
	s_delay_alu instid0(VALU_DEP_3) | instskip(SKIP_1) | instid1(VALU_DEP_2)
	v_cndmask_b32_e64 v1, v1, v4, s0
	v_cndmask_b32_e32 v33, v9, v7, vcc_lo
	v_cndmask_b32_e64 v1, v1, v5, s1
	s_delay_alu instid0(VALU_DEP_1) | instskip(NEXT) | instid1(VALU_DEP_1)
	v_cndmask_b32_e64 v1, v1, v6, s2
	v_cndmask_b32_e64 v1, v1, v7, s3
	s_delay_alu instid0(VALU_DEP_1) | instskip(NEXT) | instid1(VALU_DEP_1)
	v_cndmask_b32_e64 v1, v1, v8, s4
	v_cndmask_b32_e32 v1, v1, v9, vcc_lo
	v_cmp_eq_u32_e32 vcc_lo, 0, v0
	v_cndmask_b32_e32 v26, v2, v7, vcc_lo
	s_delay_alu instid0(VALU_DEP_3) | instskip(NEXT) | instid1(VALU_DEP_2)
	v_cndmask_b32_e64 v31, v1, v7, s3
	v_dual_mov_b32 v2, v26 :: v_dual_mov_b32 v3, v27
	v_dual_mov_b32 v4, v28 :: v_dual_mov_b32 v5, v29
	s_delay_alu instid0(VALU_DEP_3)
	v_dual_mov_b32 v6, v30 :: v_dual_mov_b32 v7, v31
	v_dual_mov_b32 v8, v32 :: v_dual_mov_b32 v9, v33
.LBB71_61:
	s_or_b32 exec_lo, exec_lo, s5
	v_dual_mov_b32 v0, s8 :: v_dual_mov_b32 v1, s9
	s_mov_b32 s5, exec_lo
	flat_load_b32 v0, v[0:1] offset:16
	s_waitcnt vmcnt(0) lgkmcnt(0)
	v_add_nc_u32_e32 v0, -1, v0
	s_delay_alu instid0(VALU_DEP_1)
	v_cmpx_ne_u32_e32 4, v0
	s_cbranch_execz .LBB71_63
; %bb.62:
	v_cmp_eq_u32_e32 vcc_lo, 1, v0
	v_cmp_eq_u32_e64 s0, 2, v0
	v_cmp_eq_u32_e64 s1, 3, v0
	;; [unrolled: 1-line block ×4, first 2 shown]
	v_cndmask_b32_e32 v27, v3, v6, vcc_lo
	v_cndmask_b32_e64 v28, v4, v6, s0
	v_cndmask_b32_e64 v29, v5, v6, s1
	;; [unrolled: 1-line block ×4, first 2 shown]
	v_cndmask_b32_e32 v1, v2, v3, vcc_lo
	v_cmp_eq_u32_e64 s2, 4, v0
	v_cmp_eq_u32_e32 vcc_lo, 7, v0
	s_delay_alu instid0(VALU_DEP_3) | instskip(SKIP_1) | instid1(VALU_DEP_2)
	v_cndmask_b32_e64 v1, v1, v4, s0
	v_cndmask_b32_e32 v33, v9, v6, vcc_lo
	v_cndmask_b32_e64 v1, v1, v5, s1
	s_delay_alu instid0(VALU_DEP_1) | instskip(NEXT) | instid1(VALU_DEP_1)
	v_cndmask_b32_e64 v1, v1, v6, s2
	v_cndmask_b32_e64 v1, v1, v7, s3
	s_delay_alu instid0(VALU_DEP_1) | instskip(NEXT) | instid1(VALU_DEP_1)
	v_cndmask_b32_e64 v1, v1, v8, s4
	v_cndmask_b32_e32 v1, v1, v9, vcc_lo
	v_cmp_eq_u32_e32 vcc_lo, 0, v0
	v_cndmask_b32_e32 v26, v2, v6, vcc_lo
	s_delay_alu instid0(VALU_DEP_3) | instskip(NEXT) | instid1(VALU_DEP_2)
	v_cndmask_b32_e64 v30, v1, v6, s2
	v_dual_mov_b32 v2, v26 :: v_dual_mov_b32 v3, v27
	v_dual_mov_b32 v4, v28 :: v_dual_mov_b32 v5, v29
	s_delay_alu instid0(VALU_DEP_3)
	v_dual_mov_b32 v6, v30 :: v_dual_mov_b32 v7, v31
	v_dual_mov_b32 v8, v32 :: v_dual_mov_b32 v9, v33
.LBB71_63:
	s_or_b32 exec_lo, exec_lo, s5
	v_dual_mov_b32 v0, s8 :: v_dual_mov_b32 v1, s9
	s_mov_b32 s5, exec_lo
	flat_load_b32 v0, v[0:1] offset:12
	s_waitcnt vmcnt(0) lgkmcnt(0)
	v_add_nc_u32_e32 v0, -1, v0
	s_delay_alu instid0(VALU_DEP_1)
	v_cmpx_ne_u32_e32 3, v0
	s_cbranch_execz .LBB71_65
; %bb.64:
	v_cmp_eq_u32_e32 vcc_lo, 1, v0
	v_cmp_eq_u32_e64 s0, 2, v0
	v_cmp_eq_u32_e64 s2, 4, v0
	;; [unrolled: 1-line block ×4, first 2 shown]
	v_cndmask_b32_e32 v27, v3, v5, vcc_lo
	v_cndmask_b32_e64 v28, v4, v5, s0
	v_cndmask_b32_e64 v30, v6, v5, s2
	;; [unrolled: 1-line block ×4, first 2 shown]
	v_cndmask_b32_e32 v1, v2, v3, vcc_lo
	v_cmp_eq_u32_e64 s1, 3, v0
	v_cmp_eq_u32_e32 vcc_lo, 7, v0
	s_delay_alu instid0(VALU_DEP_3) | instskip(SKIP_1) | instid1(VALU_DEP_2)
	v_cndmask_b32_e64 v1, v1, v4, s0
	v_cndmask_b32_e32 v33, v9, v5, vcc_lo
	v_cndmask_b32_e64 v1, v1, v5, s1
	s_delay_alu instid0(VALU_DEP_1) | instskip(NEXT) | instid1(VALU_DEP_1)
	v_cndmask_b32_e64 v1, v1, v6, s2
	v_cndmask_b32_e64 v1, v1, v7, s3
	s_delay_alu instid0(VALU_DEP_1) | instskip(NEXT) | instid1(VALU_DEP_1)
	v_cndmask_b32_e64 v1, v1, v8, s4
	v_cndmask_b32_e32 v1, v1, v9, vcc_lo
	v_cmp_eq_u32_e32 vcc_lo, 0, v0
	s_delay_alu instid0(VALU_DEP_2) | instskip(SKIP_1) | instid1(VALU_DEP_1)
	v_cndmask_b32_e64 v29, v1, v5, s1
	v_cndmask_b32_e32 v26, v2, v5, vcc_lo
	v_dual_mov_b32 v2, v26 :: v_dual_mov_b32 v3, v27
	v_mov_b32_e32 v6, v30
	s_delay_alu instid0(VALU_DEP_4)
	v_dual_mov_b32 v4, v28 :: v_dual_mov_b32 v5, v29
	v_dual_mov_b32 v8, v32 :: v_dual_mov_b32 v7, v31
	v_mov_b32_e32 v9, v33
.LBB71_65:
	s_or_b32 exec_lo, exec_lo, s5
	v_dual_mov_b32 v0, s8 :: v_dual_mov_b32 v1, s9
	s_mov_b32 s5, exec_lo
	flat_load_b32 v0, v[0:1] offset:8
	s_waitcnt vmcnt(0) lgkmcnt(0)
	v_add_nc_u32_e32 v0, -1, v0
	s_delay_alu instid0(VALU_DEP_1)
	v_cmpx_ne_u32_e32 2, v0
	s_cbranch_execz .LBB71_67
; %bb.66:
	v_cmp_eq_u32_e32 vcc_lo, 1, v0
	v_cmp_eq_u32_e64 s1, 3, v0
	v_cmp_eq_u32_e64 s2, 4, v0
	;; [unrolled: 1-line block ×5, first 2 shown]
	v_cndmask_b32_e32 v27, v3, v4, vcc_lo
	v_cndmask_b32_e64 v29, v5, v4, s1
	v_cndmask_b32_e64 v30, v6, v4, s2
	;; [unrolled: 1-line block ×4, first 2 shown]
	v_cndmask_b32_e32 v1, v2, v3, vcc_lo
	v_cmp_eq_u32_e32 vcc_lo, 7, v0
	s_delay_alu instid0(VALU_DEP_2) | instskip(SKIP_1) | instid1(VALU_DEP_2)
	v_cndmask_b32_e64 v1, v1, v4, s0
	v_cndmask_b32_e32 v33, v9, v4, vcc_lo
	v_cndmask_b32_e64 v1, v1, v5, s1
	s_delay_alu instid0(VALU_DEP_1) | instskip(NEXT) | instid1(VALU_DEP_1)
	v_cndmask_b32_e64 v1, v1, v6, s2
	v_cndmask_b32_e64 v1, v1, v7, s3
	s_delay_alu instid0(VALU_DEP_1) | instskip(NEXT) | instid1(VALU_DEP_1)
	v_cndmask_b32_e64 v1, v1, v8, s4
	v_cndmask_b32_e32 v1, v1, v9, vcc_lo
	v_cmp_eq_u32_e32 vcc_lo, 0, v0
	v_cndmask_b32_e32 v26, v2, v4, vcc_lo
	s_delay_alu instid0(VALU_DEP_3) | instskip(NEXT) | instid1(VALU_DEP_2)
	v_cndmask_b32_e64 v28, v1, v4, s0
	v_dual_mov_b32 v2, v26 :: v_dual_mov_b32 v3, v27
	s_delay_alu instid0(VALU_DEP_2)
	v_dual_mov_b32 v4, v28 :: v_dual_mov_b32 v5, v29
	v_dual_mov_b32 v6, v30 :: v_dual_mov_b32 v7, v31
	;; [unrolled: 1-line block ×3, first 2 shown]
.LBB71_67:
	s_or_b32 exec_lo, exec_lo, s5
	v_dual_mov_b32 v0, s8 :: v_dual_mov_b32 v1, s9
	s_mov_b32 s5, exec_lo
	flat_load_b32 v0, v[0:1] offset:4
	s_waitcnt vmcnt(0) lgkmcnt(0)
	v_add_nc_u32_e32 v0, -1, v0
	s_delay_alu instid0(VALU_DEP_1)
	v_cmpx_ne_u32_e32 1, v0
	s_cbranch_execz .LBB71_69
; %bb.68:
	v_cmp_eq_u32_e32 vcc_lo, 1, v0
	v_cmp_eq_u32_e64 s0, 2, v0
	v_cmp_eq_u32_e64 s1, 3, v0
	v_cmp_eq_u32_e64 s2, 4, v0
	v_cmp_eq_u32_e64 s3, 5, v0
	v_cmp_eq_u32_e64 s4, 6, v0
	v_cndmask_b32_e64 v28, v4, v3, s0
	v_cndmask_b32_e64 v29, v5, v3, s1
	;; [unrolled: 1-line block ×5, first 2 shown]
	v_cndmask_b32_e32 v1, v2, v3, vcc_lo
	s_delay_alu instid0(VALU_DEP_1) | instskip(SKIP_1) | instid1(VALU_DEP_2)
	v_cndmask_b32_e64 v1, v1, v4, s0
	v_cmp_eq_u32_e64 s0, 7, v0
	v_cndmask_b32_e64 v1, v1, v5, s1
	s_delay_alu instid0(VALU_DEP_2) | instskip(NEXT) | instid1(VALU_DEP_2)
	v_cndmask_b32_e64 v33, v9, v3, s0
	v_cndmask_b32_e64 v1, v1, v6, s2
	s_delay_alu instid0(VALU_DEP_1) | instskip(NEXT) | instid1(VALU_DEP_1)
	v_cndmask_b32_e64 v1, v1, v7, s3
	v_cndmask_b32_e64 v1, v1, v8, s4
	s_delay_alu instid0(VALU_DEP_1) | instskip(NEXT) | instid1(VALU_DEP_1)
	v_cndmask_b32_e64 v1, v1, v9, s0
	v_cndmask_b32_e32 v27, v1, v3, vcc_lo
	v_cmp_eq_u32_e32 vcc_lo, 0, v0
	v_cndmask_b32_e32 v26, v2, v3, vcc_lo
	s_delay_alu instid0(VALU_DEP_1)
	v_dual_mov_b32 v2, v26 :: v_dual_mov_b32 v3, v27
	v_dual_mov_b32 v4, v28 :: v_dual_mov_b32 v5, v29
	;; [unrolled: 1-line block ×4, first 2 shown]
.LBB71_69:
	s_or_b32 exec_lo, exec_lo, s5
	v_dual_mov_b32 v0, s8 :: v_dual_mov_b32 v1, s9
	s_mov_b32 s5, exec_lo
	flat_load_b32 v0, v[0:1]
	s_waitcnt vmcnt(0) lgkmcnt(0)
	v_add_nc_u32_e32 v0, -1, v0
	s_delay_alu instid0(VALU_DEP_1)
	v_cmpx_ne_u32_e32 0, v0
	s_cbranch_execz .LBB71_71
; %bb.70:
	v_cmp_eq_u32_e32 vcc_lo, 1, v0
	v_cmp_eq_u32_e64 s0, 2, v0
	v_cmp_eq_u32_e64 s1, 3, v0
	;; [unrolled: 1-line block ×5, first 2 shown]
	v_cndmask_b32_e64 v28, v4, v2, s0
	v_cndmask_b32_e64 v29, v5, v2, s1
	;; [unrolled: 1-line block ×5, first 2 shown]
	v_cndmask_b32_e32 v27, v3, v2, vcc_lo
	v_cndmask_b32_e32 v1, v2, v3, vcc_lo
	s_delay_alu instid0(VALU_DEP_1) | instskip(SKIP_1) | instid1(VALU_DEP_2)
	v_cndmask_b32_e64 v1, v1, v4, s0
	v_cmp_eq_u32_e64 s0, 7, v0
	v_cndmask_b32_e64 v1, v1, v5, s1
	s_delay_alu instid0(VALU_DEP_2) | instskip(NEXT) | instid1(VALU_DEP_2)
	v_cndmask_b32_e64 v33, v9, v2, s0
	v_cndmask_b32_e64 v1, v1, v6, s2
	s_delay_alu instid0(VALU_DEP_1) | instskip(NEXT) | instid1(VALU_DEP_1)
	v_cndmask_b32_e64 v1, v1, v7, s3
	v_cndmask_b32_e64 v1, v1, v8, s4
	s_delay_alu instid0(VALU_DEP_1) | instskip(SKIP_1) | instid1(VALU_DEP_1)
	v_cndmask_b32_e64 v1, v1, v9, s0
	v_cmp_eq_u32_e64 s0, 0, v0
	v_cndmask_b32_e64 v26, v1, v2, s0
	s_delay_alu instid0(VALU_DEP_1)
	v_dual_mov_b32 v2, v26 :: v_dual_mov_b32 v3, v27
	v_dual_mov_b32 v4, v28 :: v_dual_mov_b32 v5, v29
	;; [unrolled: 1-line block ×4, first 2 shown]
.LBB71_71:
	s_or_b32 exec_lo, exec_lo, s5
.LBB71_72:
	s_clause 0x7
	global_store_b32 v[10:11], v2, off
	global_store_b32 v[12:13], v3, off
	;; [unrolled: 1-line block ×8, first 2 shown]
	s_nop 0
	s_sendmsg sendmsg(MSG_DEALLOC_VGPRS)
	s_endpgm
	.section	.rodata,"a",@progbits
	.p2align	6, 0x0
	.amdhsa_kernel _ZN9rocsolver6v33100L18getri_kernel_smallILi8EfPKPfEEvT1_iilPiilS6_bb
		.amdhsa_group_segment_fixed_size 68
		.amdhsa_private_segment_fixed_size 0
		.amdhsa_kernarg_size 60
		.amdhsa_user_sgpr_count 15
		.amdhsa_user_sgpr_dispatch_ptr 0
		.amdhsa_user_sgpr_queue_ptr 0
		.amdhsa_user_sgpr_kernarg_segment_ptr 1
		.amdhsa_user_sgpr_dispatch_id 0
		.amdhsa_user_sgpr_private_segment_size 0
		.amdhsa_wavefront_size32 1
		.amdhsa_uses_dynamic_stack 0
		.amdhsa_enable_private_segment 0
		.amdhsa_system_sgpr_workgroup_id_x 1
		.amdhsa_system_sgpr_workgroup_id_y 0
		.amdhsa_system_sgpr_workgroup_id_z 0
		.amdhsa_system_sgpr_workgroup_info 0
		.amdhsa_system_vgpr_workitem_id 0
		.amdhsa_next_free_vgpr 35
		.amdhsa_next_free_sgpr 17
		.amdhsa_reserve_vcc 1
		.amdhsa_float_round_mode_32 0
		.amdhsa_float_round_mode_16_64 0
		.amdhsa_float_denorm_mode_32 3
		.amdhsa_float_denorm_mode_16_64 3
		.amdhsa_dx10_clamp 1
		.amdhsa_ieee_mode 1
		.amdhsa_fp16_overflow 0
		.amdhsa_workgroup_processor_mode 1
		.amdhsa_memory_ordered 1
		.amdhsa_forward_progress 0
		.amdhsa_shared_vgpr_count 0
		.amdhsa_exception_fp_ieee_invalid_op 0
		.amdhsa_exception_fp_denorm_src 0
		.amdhsa_exception_fp_ieee_div_zero 0
		.amdhsa_exception_fp_ieee_overflow 0
		.amdhsa_exception_fp_ieee_underflow 0
		.amdhsa_exception_fp_ieee_inexact 0
		.amdhsa_exception_int_div_zero 0
	.end_amdhsa_kernel
	.section	.text._ZN9rocsolver6v33100L18getri_kernel_smallILi8EfPKPfEEvT1_iilPiilS6_bb,"axG",@progbits,_ZN9rocsolver6v33100L18getri_kernel_smallILi8EfPKPfEEvT1_iilPiilS6_bb,comdat
.Lfunc_end71:
	.size	_ZN9rocsolver6v33100L18getri_kernel_smallILi8EfPKPfEEvT1_iilPiilS6_bb, .Lfunc_end71-_ZN9rocsolver6v33100L18getri_kernel_smallILi8EfPKPfEEvT1_iilPiilS6_bb
                                        ; -- End function
	.section	.AMDGPU.csdata,"",@progbits
; Kernel info:
; codeLenInByte = 5608
; NumSgprs: 19
; NumVgprs: 35
; ScratchSize: 0
; MemoryBound: 0
; FloatMode: 240
; IeeeMode: 1
; LDSByteSize: 68 bytes/workgroup (compile time only)
; SGPRBlocks: 2
; VGPRBlocks: 4
; NumSGPRsForWavesPerEU: 19
; NumVGPRsForWavesPerEU: 35
; Occupancy: 16
; WaveLimiterHint : 1
; COMPUTE_PGM_RSRC2:SCRATCH_EN: 0
; COMPUTE_PGM_RSRC2:USER_SGPR: 15
; COMPUTE_PGM_RSRC2:TRAP_HANDLER: 0
; COMPUTE_PGM_RSRC2:TGID_X_EN: 1
; COMPUTE_PGM_RSRC2:TGID_Y_EN: 0
; COMPUTE_PGM_RSRC2:TGID_Z_EN: 0
; COMPUTE_PGM_RSRC2:TIDIG_COMP_CNT: 0
	.section	.text._ZN9rocsolver6v33100L18getri_kernel_smallILi9EfPKPfEEvT1_iilPiilS6_bb,"axG",@progbits,_ZN9rocsolver6v33100L18getri_kernel_smallILi9EfPKPfEEvT1_iilPiilS6_bb,comdat
	.globl	_ZN9rocsolver6v33100L18getri_kernel_smallILi9EfPKPfEEvT1_iilPiilS6_bb ; -- Begin function _ZN9rocsolver6v33100L18getri_kernel_smallILi9EfPKPfEEvT1_iilPiilS6_bb
	.p2align	8
	.type	_ZN9rocsolver6v33100L18getri_kernel_smallILi9EfPKPfEEvT1_iilPiilS6_bb,@function
_ZN9rocsolver6v33100L18getri_kernel_smallILi9EfPKPfEEvT1_iilPiilS6_bb: ; @_ZN9rocsolver6v33100L18getri_kernel_smallILi9EfPKPfEEvT1_iilPiilS6_bb
; %bb.0:
	s_mov_b32 s2, exec_lo
	v_cmpx_gt_u32_e32 9, v0
	s_cbranch_execz .LBB72_16
; %bb.1:
	s_clause 0x1
	s_load_b32 s13, s[0:1], 0x38
	s_load_b64 s[2:3], s[0:1], 0x0
	s_mov_b32 s10, s15
	s_load_b128 s[4:7], s[0:1], 0x28
	s_waitcnt lgkmcnt(0)
	s_bitcmp1_b32 s13, 8
	s_cselect_b32 s12, -1, 0
	s_ashr_i32 s11, s15, 31
	s_delay_alu instid0(SALU_CYCLE_1) | instskip(NEXT) | instid1(SALU_CYCLE_1)
	s_lshl_b64 s[8:9], s[10:11], 3
	s_add_u32 s2, s2, s8
	s_addc_u32 s3, s3, s9
	s_bfe_u32 s8, s13, 0x10008
	s_load_b64 s[2:3], s[2:3], 0x0
	s_cmp_eq_u32 s8, 0
                                        ; implicit-def: $sgpr8_sgpr9
	s_cbranch_scc1 .LBB72_3
; %bb.2:
	s_clause 0x1
	s_load_b32 s8, s[0:1], 0x20
	s_load_b64 s[14:15], s[0:1], 0x18
	s_mul_i32 s5, s10, s5
	s_mul_hi_u32 s9, s10, s4
	s_mul_i32 s16, s11, s4
	s_add_i32 s5, s9, s5
	s_mul_i32 s4, s10, s4
	s_add_i32 s5, s5, s16
	s_delay_alu instid0(SALU_CYCLE_1)
	s_lshl_b64 s[4:5], s[4:5], 2
	s_waitcnt lgkmcnt(0)
	s_ashr_i32 s9, s8, 31
	s_add_u32 s14, s14, s4
	s_addc_u32 s15, s15, s5
	s_lshl_b64 s[4:5], s[8:9], 2
	s_delay_alu instid0(SALU_CYCLE_1)
	s_add_u32 s8, s14, s4
	s_addc_u32 s9, s15, s5
.LBB72_3:
	s_load_b64 s[0:1], s[0:1], 0x8
	v_lshlrev_b32_e32 v29, 2, v0
	v_mov_b32_e32 v1, 0
	s_waitcnt lgkmcnt(0)
	v_add3_u32 v3, s1, s1, v0
	s_ashr_i32 s5, s0, 31
	s_mov_b32 s4, s0
	s_mov_b32 s14, s1
	s_lshl_b64 s[4:5], s[4:5], 2
	v_add_nc_u32_e32 v5, s1, v3
	v_ashrrev_i32_e32 v4, 31, v3
	s_add_u32 s2, s2, s4
	s_addc_u32 s3, s3, s5
	v_add_co_u32 v11, s0, s2, v29
	v_add_nc_u32_e32 v7, s1, v5
	s_ashr_i32 s15, s1, 31
	v_add_co_ci_u32_e64 v12, null, s3, 0, s0
	v_lshlrev_b64 v[3:4], 2, v[3:4]
	v_ashrrev_i32_e32 v6, 31, v5
	s_lshl_b64 s[4:5], s[14:15], 2
	v_ashrrev_i32_e32 v8, 31, v7
	v_add_co_u32 v13, vcc_lo, v11, s4
	v_add_nc_u32_e32 v9, s1, v7
	v_add_co_ci_u32_e32 v14, vcc_lo, s5, v12, vcc_lo
	v_lshlrev_b64 v[5:6], 2, v[5:6]
	v_add_co_u32 v15, vcc_lo, s2, v3
	v_add_co_ci_u32_e32 v16, vcc_lo, s3, v4, vcc_lo
	v_lshlrev_b64 v[3:4], 2, v[7:8]
	v_ashrrev_i32_e32 v10, 31, v9
	v_add_nc_u32_e32 v7, s1, v9
	v_add_co_u32 v17, vcc_lo, s2, v5
	v_add_co_ci_u32_e32 v18, vcc_lo, s3, v6, vcc_lo
	s_delay_alu instid0(VALU_DEP_4) | instskip(NEXT) | instid1(VALU_DEP_4)
	v_lshlrev_b64 v[5:6], 2, v[9:10]
	v_ashrrev_i32_e32 v8, 31, v7
	v_add_nc_u32_e32 v9, s1, v7
	v_add_co_u32 v19, vcc_lo, s2, v3
	v_add_co_ci_u32_e32 v20, vcc_lo, s3, v4, vcc_lo
	s_delay_alu instid0(VALU_DEP_4) | instskip(NEXT) | instid1(VALU_DEP_4)
	v_lshlrev_b64 v[3:4], 2, v[7:8]
	v_add_nc_u32_e32 v7, s1, v9
	v_ashrrev_i32_e32 v10, 31, v9
	v_add_co_u32 v21, vcc_lo, s2, v5
	v_add_co_ci_u32_e32 v22, vcc_lo, s3, v6, vcc_lo
	s_delay_alu instid0(VALU_DEP_4) | instskip(NEXT) | instid1(VALU_DEP_4)
	v_ashrrev_i32_e32 v8, 31, v7
	v_lshlrev_b64 v[5:6], 2, v[9:10]
	v_add_co_u32 v23, vcc_lo, s2, v3
	v_add_co_ci_u32_e32 v24, vcc_lo, s3, v4, vcc_lo
	s_delay_alu instid0(VALU_DEP_4) | instskip(NEXT) | instid1(VALU_DEP_4)
	v_lshlrev_b64 v[3:4], 2, v[7:8]
	v_add_co_u32 v25, vcc_lo, s2, v5
	v_add_co_ci_u32_e32 v26, vcc_lo, s3, v6, vcc_lo
	global_load_b32 v2, v29, s[2:3]
	v_add_co_u32 v27, vcc_lo, s2, v3
	v_add_co_ci_u32_e32 v28, vcc_lo, s3, v4, vcc_lo
	s_clause 0x7
	global_load_b32 v3, v[13:14], off
	global_load_b32 v4, v[15:16], off
	;; [unrolled: 1-line block ×8, first 2 shown]
	s_bitcmp0_b32 s13, 0
	s_mov_b32 s0, -1
	s_cbranch_scc1 .LBB72_14
; %bb.4:
	v_cmp_eq_u32_e64 s0, 0, v0
	s_delay_alu instid0(VALU_DEP_1)
	s_and_saveexec_b32 s1, s0
	s_cbranch_execz .LBB72_6
; %bb.5:
	v_mov_b32_e32 v30, 0
	ds_store_b32 v30, v30 offset:36
.LBB72_6:
	s_or_b32 exec_lo, exec_lo, s1
	v_cmp_eq_u32_e32 vcc_lo, 1, v0
	s_mov_b32 s2, exec_lo
	s_waitcnt vmcnt(0) lgkmcnt(0)
	s_barrier
	buffer_gl0_inv
	v_cndmask_b32_e32 v30, v2, v3, vcc_lo
	v_cmp_eq_u32_e32 vcc_lo, 2, v0
	s_delay_alu instid0(VALU_DEP_2) | instskip(SKIP_1) | instid1(VALU_DEP_2)
	v_cndmask_b32_e32 v30, v30, v4, vcc_lo
	v_cmp_eq_u32_e32 vcc_lo, 3, v0
	v_cndmask_b32_e32 v30, v30, v5, vcc_lo
	v_cmp_eq_u32_e32 vcc_lo, 4, v0
	s_delay_alu instid0(VALU_DEP_2) | instskip(SKIP_1) | instid1(VALU_DEP_2)
	v_cndmask_b32_e32 v30, v30, v6, vcc_lo
	v_cmp_eq_u32_e32 vcc_lo, 5, v0
	;; [unrolled: 5-line block ×3, first 2 shown]
	v_cndmask_b32_e32 v30, v30, v9, vcc_lo
	v_cmp_eq_u32_e32 vcc_lo, 8, v0
	s_delay_alu instid0(VALU_DEP_2) | instskip(NEXT) | instid1(VALU_DEP_1)
	v_cndmask_b32_e32 v30, v30, v10, vcc_lo
	v_cmpx_eq_f32_e32 0, v30
	s_cbranch_execz .LBB72_10
; %bb.7:
	v_mov_b32_e32 v31, 0
	ds_load_b32 v32, v31 offset:36
	s_waitcnt lgkmcnt(0)
	v_readfirstlane_b32 s1, v32
	v_add_nc_u32_e32 v32, 1, v0
	s_delay_alu instid0(VALU_DEP_2) | instskip(NEXT) | instid1(VALU_DEP_1)
	s_cmp_eq_u32 s1, 0
	v_cmp_gt_i32_e32 vcc_lo, s1, v32
	s_cselect_b32 s3, -1, 0
	s_delay_alu instid0(SALU_CYCLE_1) | instskip(NEXT) | instid1(SALU_CYCLE_1)
	s_or_b32 s3, s3, vcc_lo
	s_and_b32 exec_lo, exec_lo, s3
	s_cbranch_execz .LBB72_10
; %bb.8:
	v_mov_b32_e32 v33, s1
	s_mov_b32 s3, 0
.LBB72_9:                               ; =>This Inner Loop Header: Depth=1
	ds_cmpstore_rtn_b32 v33, v31, v32, v33 offset:36
	s_waitcnt lgkmcnt(0)
	v_cmp_ne_u32_e32 vcc_lo, 0, v33
	v_cmp_le_i32_e64 s1, v33, v32
	s_delay_alu instid0(VALU_DEP_1) | instskip(NEXT) | instid1(SALU_CYCLE_1)
	s_and_b32 s1, vcc_lo, s1
	s_and_b32 s1, exec_lo, s1
	s_delay_alu instid0(SALU_CYCLE_1) | instskip(NEXT) | instid1(SALU_CYCLE_1)
	s_or_b32 s3, s1, s3
	s_and_not1_b32 exec_lo, exec_lo, s3
	s_cbranch_execnz .LBB72_9
.LBB72_10:
	s_or_b32 exec_lo, exec_lo, s2
	v_mov_b32_e32 v31, 0
	s_barrier
	buffer_gl0_inv
	ds_load_b32 v32, v31 offset:36
	s_and_saveexec_b32 s1, s0
	s_cbranch_execz .LBB72_12
; %bb.11:
	s_lshl_b64 s[2:3], s[10:11], 2
	s_delay_alu instid0(SALU_CYCLE_1)
	s_add_u32 s2, s6, s2
	s_addc_u32 s3, s7, s3
	s_waitcnt lgkmcnt(0)
	global_store_b32 v31, v32, s[2:3]
.LBB72_12:
	s_or_b32 exec_lo, exec_lo, s1
	s_waitcnt lgkmcnt(0)
	v_cmp_ne_u32_e32 vcc_lo, 0, v32
	s_cbranch_vccz .LBB72_17
; %bb.13:
	s_mov_b32 s0, 0
                                        ; implicit-def: $vgpr2_vgpr3_vgpr4_vgpr5_vgpr6_vgpr7_vgpr8_vgpr9_vgpr10
.LBB72_14:
	s_delay_alu instid0(SALU_CYCLE_1)
	s_and_b32 vcc_lo, exec_lo, s0
	s_cbranch_vccz .LBB72_16
.LBB72_15:
	s_lshl_b64 s[0:1], s[10:11], 2
	v_mov_b32_e32 v1, 0
	s_add_u32 s0, s6, s0
	s_addc_u32 s1, s7, s1
	global_load_b32 v1, v1, s[0:1]
	s_waitcnt vmcnt(0)
	v_cmp_ne_u32_e32 vcc_lo, 0, v1
	s_cbranch_vccz .LBB72_58
.LBB72_16:
	s_nop 0
	s_sendmsg sendmsg(MSG_DEALLOC_VGPRS)
	s_endpgm
.LBB72_17:
	v_div_scale_f32 v31, null, v30, v30, 1.0
	v_div_scale_f32 v34, vcc_lo, 1.0, v30, 1.0
	s_delay_alu instid0(VALU_DEP_2) | instskip(SKIP_2) | instid1(VALU_DEP_1)
	v_rcp_f32_e32 v32, v31
	s_waitcnt_depctr 0xfff
	v_fma_f32 v33, -v31, v32, 1.0
	v_fmac_f32_e32 v32, v33, v32
	s_delay_alu instid0(VALU_DEP_1) | instskip(NEXT) | instid1(VALU_DEP_1)
	v_mul_f32_e32 v33, v34, v32
	v_fma_f32 v35, -v31, v33, v34
	s_delay_alu instid0(VALU_DEP_1) | instskip(NEXT) | instid1(VALU_DEP_1)
	v_fmac_f32_e32 v33, v35, v32
	v_fma_f32 v31, -v31, v33, v34
	s_delay_alu instid0(VALU_DEP_1) | instskip(SKIP_1) | instid1(VALU_DEP_2)
	v_div_fmas_f32 v31, v31, v32, v33
	v_cmp_eq_u32_e32 vcc_lo, 8, v0
	v_div_fixup_f32 v30, v31, v30, 1.0
	s_delay_alu instid0(VALU_DEP_1)
	v_dual_cndmask_b32 v10, v10, v30 :: v_dual_add_nc_u32 v31, 48, v29
	v_cmp_eq_u32_e32 vcc_lo, 7, v0
	v_xor_b32_e32 v32, 0x80000000, v30
	v_cndmask_b32_e32 v9, v9, v30, vcc_lo
	v_cmp_eq_u32_e32 vcc_lo, 6, v0
	v_cndmask_b32_e32 v8, v8, v30, vcc_lo
	v_cmp_eq_u32_e32 vcc_lo, 5, v0
	;; [unrolled: 2-line block ×6, first 2 shown]
	ds_store_2addr_b32 v29, v32, v3 offset1:12
	v_cndmask_b32_e32 v4, v4, v30, vcc_lo
	v_cmp_eq_u32_e32 vcc_lo, 0, v0
	s_waitcnt lgkmcnt(0)
	s_waitcnt_vscnt null, 0x0
	s_barrier
	buffer_gl0_inv
	v_cndmask_b32_e32 v2, v2, v30, vcc_lo
	s_and_saveexec_b32 s1, s0
	s_cbranch_execz .LBB72_19
; %bb.18:
	v_mov_b32_e32 v3, 0
	ds_load_b32 v29, v31
	ds_load_b32 v3, v3 offset:4
	s_waitcnt lgkmcnt(1)
	v_fma_f32 v29, v30, v29, 0
	s_waitcnt lgkmcnt(0)
	s_delay_alu instid0(VALU_DEP_1)
	v_mul_f32_e32 v3, v29, v3
.LBB72_19:
	s_or_b32 exec_lo, exec_lo, s1
	s_delay_alu instid0(SALU_CYCLE_1)
	s_mov_b32 s1, exec_lo
	s_barrier
	buffer_gl0_inv
	ds_store_b32 v31, v4
	s_waitcnt lgkmcnt(0)
	s_barrier
	buffer_gl0_inv
	v_cmpx_gt_u32_e32 2, v0
	s_cbranch_execz .LBB72_21
; %bb.20:
	v_cmp_eq_u32_e32 vcc_lo, 1, v0
	ds_load_b32 v32, v31
	v_cndmask_b32_e32 v29, v2, v3, vcc_lo
	v_cmp_eq_u32_e32 vcc_lo, 2, v0
	s_delay_alu instid0(VALU_DEP_2) | instskip(SKIP_4) | instid1(VALU_DEP_2)
	v_dual_cndmask_b32 v4, v29, v4 :: v_dual_mov_b32 v29, 0
	v_cmp_eq_u32_e32 vcc_lo, 3, v0
	ds_load_2addr_b32 v[29:30], v29 offset0:2 offset1:13
	v_cndmask_b32_e32 v4, v4, v5, vcc_lo
	v_cmp_eq_u32_e32 vcc_lo, 4, v0
	v_cndmask_b32_e32 v4, v4, v6, vcc_lo
	v_cmp_eq_u32_e32 vcc_lo, 5, v0
	s_delay_alu instid0(VALU_DEP_2) | instskip(SKIP_1) | instid1(VALU_DEP_2)
	v_cndmask_b32_e32 v4, v4, v7, vcc_lo
	v_cmp_eq_u32_e32 vcc_lo, 6, v0
	v_cndmask_b32_e32 v4, v4, v8, vcc_lo
	v_cmp_eq_u32_e32 vcc_lo, 7, v0
	s_delay_alu instid0(VALU_DEP_2) | instskip(SKIP_1) | instid1(VALU_DEP_2)
	v_cndmask_b32_e32 v4, v4, v9, vcc_lo
	v_cmp_eq_u32_e32 vcc_lo, 8, v0
	v_cndmask_b32_e32 v4, v4, v10, vcc_lo
	s_waitcnt lgkmcnt(1)
	s_delay_alu instid0(VALU_DEP_1) | instskip(SKIP_1) | instid1(VALU_DEP_1)
	v_fma_f32 v4, v4, v32, 0
	s_waitcnt lgkmcnt(0)
	v_fma_f32 v30, v3, v30, v4
	s_delay_alu instid0(VALU_DEP_1) | instskip(NEXT) | instid1(VALU_DEP_1)
	v_cndmask_b32_e64 v4, v4, v30, s0
	v_mul_f32_e32 v4, v4, v29
.LBB72_21:
	s_or_b32 exec_lo, exec_lo, s1
	v_cmp_gt_u32_e32 vcc_lo, 3, v0
	s_barrier
	buffer_gl0_inv
	ds_store_b32 v31, v5
	s_waitcnt lgkmcnt(0)
	s_barrier
	buffer_gl0_inv
	s_and_saveexec_b32 s3, vcc_lo
	s_cbranch_execz .LBB72_25
; %bb.22:
	v_mov_b32_e32 v30, v1
	v_lshl_add_u32 v33, v0, 2, 48
	v_dual_mov_b32 v32, 0 :: v_dual_mov_b32 v29, v0
	s_mov_b32 s4, 0
	s_set_inst_prefetch_distance 0x1
	.p2align	6
.LBB72_23:                              ; =>This Inner Loop Header: Depth=1
	s_delay_alu instid0(VALU_DEP_1) | instskip(SKIP_3) | instid1(VALU_DEP_1)
	v_cmp_eq_u32_e64 s1, 1, v29
	ds_load_b32 v35, v33
	v_cndmask_b32_e64 v34, v2, v3, s1
	v_cmp_eq_u32_e64 s1, 2, v29
	v_cndmask_b32_e64 v34, v34, v4, s1
	v_cmp_eq_u32_e64 s1, 3, v29
	s_delay_alu instid0(VALU_DEP_1) | instskip(SKIP_1) | instid1(VALU_DEP_1)
	v_cndmask_b32_e64 v34, v34, v5, s1
	v_cmp_eq_u32_e64 s1, 4, v29
	v_cndmask_b32_e64 v34, v34, v6, s1
	v_cmp_eq_u32_e64 s1, 5, v29
	s_delay_alu instid0(VALU_DEP_1) | instskip(SKIP_1) | instid1(VALU_DEP_1)
	v_cndmask_b32_e64 v34, v34, v7, s1
	v_cmp_eq_u32_e64 s1, 6, v29
	v_cndmask_b32_e64 v34, v34, v8, s1
	v_cmp_eq_u32_e64 s1, 7, v29
	s_delay_alu instid0(VALU_DEP_1) | instskip(SKIP_2) | instid1(VALU_DEP_1)
	v_cndmask_b32_e64 v34, v34, v9, s1
	v_cmp_eq_u32_e64 s1, 8, v29
	v_add_co_u32 v29, s2, v29, 1
	v_add_co_ci_u32_e64 v30, s2, 0, v30, s2
	s_delay_alu instid0(VALU_DEP_3) | instskip(NEXT) | instid1(VALU_DEP_3)
	v_cndmask_b32_e64 v34, v34, v10, s1
	v_add_nc_u32_e32 v36, -1, v29
	s_waitcnt lgkmcnt(0)
	s_delay_alu instid0(VALU_DEP_2) | instskip(NEXT) | instid1(VALU_DEP_2)
	v_dual_fmac_f32 v32, v34, v35 :: v_dual_add_nc_u32 v33, 4, v33
	v_cmp_lt_u32_e64 s1, 1, v36
	s_delay_alu instid0(VALU_DEP_1) | instskip(NEXT) | instid1(SALU_CYCLE_1)
	s_or_b32 s4, s1, s4
	s_and_not1_b32 exec_lo, exec_lo, s4
	s_cbranch_execnz .LBB72_23
; %bb.24:
	s_set_inst_prefetch_distance 0x2
	s_or_b32 exec_lo, exec_lo, s4
	v_mov_b32_e32 v5, 0
	ds_load_b32 v5, v5 offset:12
	s_waitcnt lgkmcnt(0)
	v_mul_f32_e32 v5, v32, v5
.LBB72_25:
	s_or_b32 exec_lo, exec_lo, s3
	s_delay_alu instid0(SALU_CYCLE_1)
	s_mov_b32 s3, exec_lo
	s_barrier
	buffer_gl0_inv
	ds_store_b32 v31, v6
	s_waitcnt lgkmcnt(0)
	s_barrier
	buffer_gl0_inv
	v_cmpx_gt_u32_e32 4, v0
	s_cbranch_execz .LBB72_29
; %bb.26:
	v_mov_b32_e32 v30, v1
	v_lshl_add_u32 v33, v0, 2, 48
	v_dual_mov_b32 v32, 0 :: v_dual_mov_b32 v29, v0
	s_mov_b32 s4, 0
	s_set_inst_prefetch_distance 0x1
	.p2align	6
.LBB72_27:                              ; =>This Inner Loop Header: Depth=1
	s_delay_alu instid0(VALU_DEP_1) | instskip(SKIP_3) | instid1(VALU_DEP_1)
	v_cmp_eq_u32_e64 s1, 1, v29
	ds_load_b32 v35, v33
	v_cndmask_b32_e64 v34, v2, v3, s1
	v_cmp_eq_u32_e64 s1, 2, v29
	v_cndmask_b32_e64 v34, v34, v4, s1
	v_cmp_eq_u32_e64 s1, 3, v29
	s_delay_alu instid0(VALU_DEP_1) | instskip(SKIP_1) | instid1(VALU_DEP_1)
	v_cndmask_b32_e64 v34, v34, v5, s1
	v_cmp_eq_u32_e64 s1, 4, v29
	v_cndmask_b32_e64 v34, v34, v6, s1
	v_cmp_eq_u32_e64 s1, 5, v29
	s_delay_alu instid0(VALU_DEP_1) | instskip(SKIP_1) | instid1(VALU_DEP_1)
	v_cndmask_b32_e64 v34, v34, v7, s1
	v_cmp_eq_u32_e64 s1, 6, v29
	v_cndmask_b32_e64 v34, v34, v8, s1
	v_cmp_eq_u32_e64 s1, 7, v29
	s_delay_alu instid0(VALU_DEP_1) | instskip(SKIP_2) | instid1(VALU_DEP_1)
	v_cndmask_b32_e64 v34, v34, v9, s1
	v_cmp_eq_u32_e64 s1, 8, v29
	v_add_co_u32 v29, s2, v29, 1
	v_add_co_ci_u32_e64 v30, s2, 0, v30, s2
	s_delay_alu instid0(VALU_DEP_3) | instskip(NEXT) | instid1(VALU_DEP_3)
	v_cndmask_b32_e64 v34, v34, v10, s1
	v_add_nc_u32_e32 v36, -1, v29
	s_waitcnt lgkmcnt(0)
	s_delay_alu instid0(VALU_DEP_2) | instskip(NEXT) | instid1(VALU_DEP_2)
	v_dual_fmac_f32 v32, v34, v35 :: v_dual_add_nc_u32 v33, 4, v33
	v_cmp_lt_u32_e64 s1, 2, v36
	s_delay_alu instid0(VALU_DEP_1) | instskip(NEXT) | instid1(SALU_CYCLE_1)
	s_or_b32 s4, s1, s4
	s_and_not1_b32 exec_lo, exec_lo, s4
	s_cbranch_execnz .LBB72_27
; %bb.28:
	s_set_inst_prefetch_distance 0x2
	s_or_b32 exec_lo, exec_lo, s4
	v_mov_b32_e32 v6, 0
	ds_load_b32 v6, v6 offset:16
	s_waitcnt lgkmcnt(0)
	v_mul_f32_e32 v6, v32, v6
.LBB72_29:
	s_or_b32 exec_lo, exec_lo, s3
	v_cmp_gt_u32_e64 s1, 5, v0
	s_barrier
	buffer_gl0_inv
	ds_store_b32 v31, v7
	s_waitcnt lgkmcnt(0)
	s_barrier
	buffer_gl0_inv
	s_and_saveexec_b32 s4, s1
	s_cbranch_execz .LBB72_33
; %bb.30:
	v_mov_b32_e32 v30, v1
	v_lshl_add_u32 v33, v0, 2, 48
	v_dual_mov_b32 v32, 0 :: v_dual_mov_b32 v29, v0
	s_mov_b32 s5, 0
	s_set_inst_prefetch_distance 0x1
	.p2align	6
.LBB72_31:                              ; =>This Inner Loop Header: Depth=1
	s_delay_alu instid0(VALU_DEP_1) | instskip(SKIP_3) | instid1(VALU_DEP_1)
	v_cmp_eq_u32_e64 s2, 1, v29
	ds_load_b32 v35, v33
	v_cndmask_b32_e64 v34, v2, v3, s2
	v_cmp_eq_u32_e64 s2, 2, v29
	v_cndmask_b32_e64 v34, v34, v4, s2
	v_cmp_eq_u32_e64 s2, 3, v29
	s_delay_alu instid0(VALU_DEP_1) | instskip(SKIP_1) | instid1(VALU_DEP_1)
	v_cndmask_b32_e64 v34, v34, v5, s2
	v_cmp_eq_u32_e64 s2, 4, v29
	v_cndmask_b32_e64 v34, v34, v6, s2
	v_cmp_eq_u32_e64 s2, 5, v29
	s_delay_alu instid0(VALU_DEP_1) | instskip(SKIP_1) | instid1(VALU_DEP_1)
	v_cndmask_b32_e64 v34, v34, v7, s2
	v_cmp_eq_u32_e64 s2, 6, v29
	v_cndmask_b32_e64 v34, v34, v8, s2
	v_cmp_eq_u32_e64 s2, 7, v29
	s_delay_alu instid0(VALU_DEP_1) | instskip(SKIP_2) | instid1(VALU_DEP_1)
	v_cndmask_b32_e64 v34, v34, v9, s2
	v_cmp_eq_u32_e64 s2, 8, v29
	v_add_co_u32 v29, s3, v29, 1
	v_add_co_ci_u32_e64 v30, s3, 0, v30, s3
	s_delay_alu instid0(VALU_DEP_3) | instskip(NEXT) | instid1(VALU_DEP_3)
	v_cndmask_b32_e64 v34, v34, v10, s2
	v_add_nc_u32_e32 v36, -1, v29
	s_waitcnt lgkmcnt(0)
	s_delay_alu instid0(VALU_DEP_2) | instskip(NEXT) | instid1(VALU_DEP_2)
	v_dual_fmac_f32 v32, v34, v35 :: v_dual_add_nc_u32 v33, 4, v33
	v_cmp_lt_u32_e64 s2, 3, v36
	s_delay_alu instid0(VALU_DEP_1) | instskip(NEXT) | instid1(SALU_CYCLE_1)
	s_or_b32 s5, s2, s5
	s_and_not1_b32 exec_lo, exec_lo, s5
	s_cbranch_execnz .LBB72_31
; %bb.32:
	s_set_inst_prefetch_distance 0x2
	s_or_b32 exec_lo, exec_lo, s5
	v_mov_b32_e32 v7, 0
	ds_load_b32 v7, v7 offset:20
	s_waitcnt lgkmcnt(0)
	v_mul_f32_e32 v7, v32, v7
.LBB72_33:
	s_or_b32 exec_lo, exec_lo, s4
	s_delay_alu instid0(SALU_CYCLE_1)
	s_mov_b32 s4, exec_lo
	s_barrier
	buffer_gl0_inv
	ds_store_b32 v31, v8
	s_waitcnt lgkmcnt(0)
	s_barrier
	buffer_gl0_inv
	v_cmpx_gt_u32_e32 6, v0
	s_cbranch_execz .LBB72_37
; %bb.34:
	v_mov_b32_e32 v30, v1
	v_lshl_add_u32 v33, v0, 2, 48
	v_dual_mov_b32 v32, 0 :: v_dual_mov_b32 v29, v0
	s_mov_b32 s5, 0
	s_set_inst_prefetch_distance 0x1
	.p2align	6
.LBB72_35:                              ; =>This Inner Loop Header: Depth=1
	s_delay_alu instid0(VALU_DEP_1) | instskip(SKIP_3) | instid1(VALU_DEP_1)
	v_cmp_eq_u32_e64 s2, 1, v29
	ds_load_b32 v35, v33
	v_cndmask_b32_e64 v34, v2, v3, s2
	v_cmp_eq_u32_e64 s2, 2, v29
	v_cndmask_b32_e64 v34, v34, v4, s2
	v_cmp_eq_u32_e64 s2, 3, v29
	s_delay_alu instid0(VALU_DEP_1) | instskip(SKIP_1) | instid1(VALU_DEP_1)
	v_cndmask_b32_e64 v34, v34, v5, s2
	v_cmp_eq_u32_e64 s2, 4, v29
	v_cndmask_b32_e64 v34, v34, v6, s2
	v_cmp_eq_u32_e64 s2, 5, v29
	s_delay_alu instid0(VALU_DEP_1) | instskip(SKIP_1) | instid1(VALU_DEP_1)
	v_cndmask_b32_e64 v34, v34, v7, s2
	v_cmp_eq_u32_e64 s2, 6, v29
	v_cndmask_b32_e64 v34, v34, v8, s2
	v_cmp_eq_u32_e64 s2, 7, v29
	s_delay_alu instid0(VALU_DEP_1) | instskip(SKIP_2) | instid1(VALU_DEP_1)
	v_cndmask_b32_e64 v34, v34, v9, s2
	v_cmp_eq_u32_e64 s2, 8, v29
	v_add_co_u32 v29, s3, v29, 1
	v_add_co_ci_u32_e64 v30, s3, 0, v30, s3
	s_delay_alu instid0(VALU_DEP_3) | instskip(NEXT) | instid1(VALU_DEP_3)
	v_cndmask_b32_e64 v34, v34, v10, s2
	v_add_nc_u32_e32 v36, -1, v29
	s_waitcnt lgkmcnt(0)
	s_delay_alu instid0(VALU_DEP_2) | instskip(NEXT) | instid1(VALU_DEP_2)
	v_dual_fmac_f32 v32, v34, v35 :: v_dual_add_nc_u32 v33, 4, v33
	v_cmp_lt_u32_e64 s2, 4, v36
	s_delay_alu instid0(VALU_DEP_1) | instskip(NEXT) | instid1(SALU_CYCLE_1)
	s_or_b32 s5, s2, s5
	s_and_not1_b32 exec_lo, exec_lo, s5
	s_cbranch_execnz .LBB72_35
; %bb.36:
	s_set_inst_prefetch_distance 0x2
	s_or_b32 exec_lo, exec_lo, s5
	v_mov_b32_e32 v8, 0
	ds_load_b32 v8, v8 offset:24
	s_waitcnt lgkmcnt(0)
	v_mul_f32_e32 v8, v32, v8
.LBB72_37:
	s_or_b32 exec_lo, exec_lo, s4
	v_cmp_gt_u32_e64 s2, 7, v0
	s_barrier
	buffer_gl0_inv
	ds_store_b32 v31, v9
	s_waitcnt lgkmcnt(0)
	s_barrier
	buffer_gl0_inv
	s_and_saveexec_b32 s5, s2
	s_cbranch_execz .LBB72_41
; %bb.38:
	v_mov_b32_e32 v30, v1
	v_lshl_add_u32 v33, v0, 2, 48
	v_dual_mov_b32 v32, 0 :: v_dual_mov_b32 v29, v0
	s_mov_b32 s13, 0
	s_set_inst_prefetch_distance 0x1
	.p2align	6
.LBB72_39:                              ; =>This Inner Loop Header: Depth=1
	s_delay_alu instid0(VALU_DEP_1) | instskip(SKIP_4) | instid1(VALU_DEP_1)
	v_cmp_eq_u32_e64 s3, 1, v29
	ds_load_b32 v34, v33
	v_add_nc_u32_e32 v33, 4, v33
	v_cndmask_b32_e64 v1, v2, v3, s3
	v_cmp_eq_u32_e64 s3, 2, v29
	v_cndmask_b32_e64 v1, v1, v4, s3
	v_cmp_eq_u32_e64 s3, 3, v29
	s_delay_alu instid0(VALU_DEP_1) | instskip(SKIP_1) | instid1(VALU_DEP_1)
	v_cndmask_b32_e64 v1, v1, v5, s3
	v_cmp_eq_u32_e64 s3, 4, v29
	v_cndmask_b32_e64 v1, v1, v6, s3
	v_cmp_eq_u32_e64 s3, 5, v29
	s_delay_alu instid0(VALU_DEP_1) | instskip(SKIP_1) | instid1(VALU_DEP_1)
	v_cndmask_b32_e64 v1, v1, v7, s3
	v_cmp_eq_u32_e64 s3, 6, v29
	v_cndmask_b32_e64 v1, v1, v8, s3
	v_cmp_eq_u32_e64 s3, 7, v29
	s_delay_alu instid0(VALU_DEP_1) | instskip(SKIP_2) | instid1(VALU_DEP_1)
	v_cndmask_b32_e64 v1, v1, v9, s3
	v_cmp_eq_u32_e64 s3, 8, v29
	v_add_co_u32 v29, s4, v29, 1
	v_add_co_ci_u32_e64 v30, s4, 0, v30, s4
	s_delay_alu instid0(VALU_DEP_3) | instskip(SKIP_1) | instid1(VALU_DEP_1)
	v_cndmask_b32_e64 v1, v1, v10, s3
	s_waitcnt lgkmcnt(0)
	v_dual_fmac_f32 v32, v1, v34 :: v_dual_add_nc_u32 v35, -1, v29
	s_delay_alu instid0(VALU_DEP_1) | instskip(NEXT) | instid1(VALU_DEP_1)
	v_cmp_lt_u32_e64 s3, 5, v35
	s_or_b32 s13, s3, s13
	s_delay_alu instid0(SALU_CYCLE_1)
	s_and_not1_b32 exec_lo, exec_lo, s13
	s_cbranch_execnz .LBB72_39
; %bb.40:
	s_set_inst_prefetch_distance 0x2
	s_or_b32 exec_lo, exec_lo, s13
	v_mov_b32_e32 v1, 0
	ds_load_b32 v1, v1 offset:28
	s_waitcnt lgkmcnt(0)
	v_mul_f32_e32 v9, v32, v1
.LBB72_41:
	s_or_b32 exec_lo, exec_lo, s5
	s_delay_alu instid0(SALU_CYCLE_1)
	s_mov_b32 s4, exec_lo
	s_barrier
	buffer_gl0_inv
	ds_store_b32 v31, v10
	s_waitcnt lgkmcnt(0)
	s_barrier
	buffer_gl0_inv
	v_cmpx_ne_u32_e32 8, v0
	s_cbranch_execz .LBB72_57
; %bb.42:
	v_cmp_eq_u32_e64 s3, 1, v0
	ds_load_b32 v29, v31
	v_cndmask_b32_e64 v1, v2, v3, s3
	v_cmp_eq_u32_e64 s3, 2, v0
	s_delay_alu instid0(VALU_DEP_1) | instskip(SKIP_1) | instid1(VALU_DEP_1)
	v_cndmask_b32_e64 v1, v1, v4, s3
	v_cmp_eq_u32_e64 s3, 3, v0
	v_cndmask_b32_e64 v1, v1, v5, s3
	v_cmp_eq_u32_e64 s3, 4, v0
	s_delay_alu instid0(VALU_DEP_1) | instskip(SKIP_1) | instid1(VALU_DEP_1)
	v_cndmask_b32_e64 v1, v1, v6, s3
	v_cmp_eq_u32_e64 s3, 5, v0
	;; [unrolled: 5-line block ×3, first 2 shown]
	v_cndmask_b32_e64 v1, v1, v9, s3
	v_cmp_eq_u32_e64 s3, 8, v0
	s_delay_alu instid0(VALU_DEP_1) | instskip(SKIP_2) | instid1(VALU_DEP_2)
	v_cndmask_b32_e64 v30, v1, v10, s3
	v_mov_b32_e32 v1, 0
	s_waitcnt lgkmcnt(0)
	v_fma_f32 v29, v30, v29, 0
	s_and_saveexec_b32 s3, s2
	s_cbranch_execz .LBB72_56
; %bb.43:
	v_add_nc_u32_e32 v30, 1, v0
	ds_load_b32 v33, v31 offset:4
	s_mov_b32 s5, exec_lo
	v_cmp_eq_u32_e64 s2, 1, v30
	s_delay_alu instid0(VALU_DEP_1) | instskip(SKIP_1) | instid1(VALU_DEP_1)
	v_cndmask_b32_e64 v32, v2, v3, s2
	v_cmp_eq_u32_e64 s2, 2, v30
	v_cndmask_b32_e64 v32, v32, v4, s2
	v_cmp_eq_u32_e64 s2, 3, v30
	s_delay_alu instid0(VALU_DEP_1) | instskip(SKIP_1) | instid1(VALU_DEP_1)
	v_cndmask_b32_e64 v32, v32, v5, s2
	v_cmp_eq_u32_e64 s2, 4, v30
	v_cndmask_b32_e64 v32, v32, v6, s2
	;; [unrolled: 5-line block ×4, first 2 shown]
	s_waitcnt lgkmcnt(0)
	s_delay_alu instid0(VALU_DEP_1)
	v_fmac_f32_e32 v29, v30, v33
	v_cmpx_ne_u32_e32 6, v0
	s_cbranch_execz .LBB72_55
; %bb.44:
	v_add_nc_u32_e32 v30, 2, v0
	ds_load_b32 v33, v31 offset:8
	v_cmp_eq_u32_e64 s2, 1, v30
	s_delay_alu instid0(VALU_DEP_1) | instskip(SKIP_1) | instid1(VALU_DEP_1)
	v_cndmask_b32_e64 v32, v2, v3, s2
	v_cmp_eq_u32_e64 s2, 2, v30
	v_cndmask_b32_e64 v32, v32, v4, s2
	v_cmp_eq_u32_e64 s2, 3, v30
	s_delay_alu instid0(VALU_DEP_1) | instskip(SKIP_1) | instid1(VALU_DEP_1)
	v_cndmask_b32_e64 v32, v32, v5, s2
	v_cmp_eq_u32_e64 s2, 4, v30
	v_cndmask_b32_e64 v32, v32, v6, s2
	;; [unrolled: 5-line block ×4, first 2 shown]
	s_waitcnt lgkmcnt(0)
	s_delay_alu instid0(VALU_DEP_1)
	v_fmac_f32_e32 v29, v30, v33
	s_and_saveexec_b32 s2, s1
	s_cbranch_execz .LBB72_54
; %bb.45:
	v_add_nc_u32_e32 v30, 3, v0
	ds_load_b32 v33, v31 offset:12
	s_mov_b32 s13, exec_lo
	v_cmp_eq_u32_e64 s1, 1, v30
	s_delay_alu instid0(VALU_DEP_1) | instskip(SKIP_1) | instid1(VALU_DEP_1)
	v_cndmask_b32_e64 v32, v2, v3, s1
	v_cmp_eq_u32_e64 s1, 2, v30
	v_cndmask_b32_e64 v32, v32, v4, s1
	v_cmp_eq_u32_e64 s1, 3, v30
	s_delay_alu instid0(VALU_DEP_1) | instskip(SKIP_1) | instid1(VALU_DEP_1)
	v_cndmask_b32_e64 v32, v32, v5, s1
	v_cmp_eq_u32_e64 s1, 4, v30
	v_cndmask_b32_e64 v32, v32, v6, s1
	;; [unrolled: 5-line block ×4, first 2 shown]
	s_waitcnt lgkmcnt(0)
	s_delay_alu instid0(VALU_DEP_1)
	v_fmac_f32_e32 v29, v30, v33
	v_cmpx_ne_u32_e32 4, v0
	s_cbranch_execz .LBB72_53
; %bb.46:
	v_add_nc_u32_e32 v30, 4, v0
	ds_load_b32 v33, v31 offset:16
	v_cmp_eq_u32_e64 s1, 1, v30
	s_delay_alu instid0(VALU_DEP_1) | instskip(SKIP_1) | instid1(VALU_DEP_1)
	v_cndmask_b32_e64 v32, v2, v3, s1
	v_cmp_eq_u32_e64 s1, 2, v30
	v_cndmask_b32_e64 v32, v32, v4, s1
	v_cmp_eq_u32_e64 s1, 3, v30
	s_delay_alu instid0(VALU_DEP_1) | instskip(SKIP_1) | instid1(VALU_DEP_1)
	v_cndmask_b32_e64 v32, v32, v5, s1
	v_cmp_eq_u32_e64 s1, 4, v30
	v_cndmask_b32_e64 v32, v32, v6, s1
	;; [unrolled: 5-line block ×4, first 2 shown]
	s_waitcnt lgkmcnt(0)
	s_delay_alu instid0(VALU_DEP_1)
	v_fmac_f32_e32 v29, v30, v33
	s_and_saveexec_b32 s1, vcc_lo
	s_cbranch_execz .LBB72_52
; %bb.47:
	v_add_nc_u32_e32 v30, 5, v0
	ds_load_b32 v33, v31 offset:20
	s_mov_b32 s14, exec_lo
	v_cmp_eq_u32_e32 vcc_lo, 1, v30
	v_cndmask_b32_e32 v32, v2, v3, vcc_lo
	v_cmp_eq_u32_e32 vcc_lo, 2, v30
	s_delay_alu instid0(VALU_DEP_2) | instskip(SKIP_1) | instid1(VALU_DEP_2)
	v_cndmask_b32_e32 v32, v32, v4, vcc_lo
	v_cmp_eq_u32_e32 vcc_lo, 3, v30
	v_cndmask_b32_e32 v32, v32, v5, vcc_lo
	v_cmp_eq_u32_e32 vcc_lo, 4, v30
	s_delay_alu instid0(VALU_DEP_2) | instskip(SKIP_1) | instid1(VALU_DEP_2)
	v_cndmask_b32_e32 v32, v32, v6, vcc_lo
	;; [unrolled: 5-line block ×3, first 2 shown]
	v_cmp_eq_u32_e32 vcc_lo, 7, v30
	v_cndmask_b32_e32 v32, v32, v9, vcc_lo
	v_cmp_eq_u32_e32 vcc_lo, 8, v30
	s_delay_alu instid0(VALU_DEP_2) | instskip(SKIP_1) | instid1(VALU_DEP_1)
	v_cndmask_b32_e32 v30, v32, v10, vcc_lo
	s_waitcnt lgkmcnt(0)
	v_fmac_f32_e32 v29, v30, v33
	v_cmpx_ne_u32_e32 2, v0
	s_cbranch_execz .LBB72_51
; %bb.48:
	ds_load_b32 v33, v31 offset:24
	v_add_nc_u32_e32 v30, 6, v0
	s_delay_alu instid0(VALU_DEP_1) | instskip(SKIP_2) | instid1(VALU_DEP_2)
	v_cmp_eq_u32_e32 vcc_lo, 1, v30
	v_cndmask_b32_e32 v32, v2, v3, vcc_lo
	v_cmp_eq_u32_e32 vcc_lo, 2, v30
	v_cndmask_b32_e32 v32, v32, v4, vcc_lo
	v_cmp_eq_u32_e32 vcc_lo, 3, v30
	s_delay_alu instid0(VALU_DEP_2) | instskip(SKIP_1) | instid1(VALU_DEP_2)
	v_cndmask_b32_e32 v32, v32, v5, vcc_lo
	v_cmp_eq_u32_e32 vcc_lo, 4, v30
	v_cndmask_b32_e32 v32, v32, v6, vcc_lo
	v_cmp_eq_u32_e32 vcc_lo, 5, v30
	s_delay_alu instid0(VALU_DEP_2) | instskip(SKIP_1) | instid1(VALU_DEP_2)
	;; [unrolled: 5-line block ×3, first 2 shown]
	v_cndmask_b32_e32 v32, v32, v9, vcc_lo
	v_cmp_eq_u32_e32 vcc_lo, 8, v30
	v_cndmask_b32_e32 v10, v32, v10, vcc_lo
	s_waitcnt lgkmcnt(0)
	s_delay_alu instid0(VALU_DEP_1)
	v_fmac_f32_e32 v29, v10, v33
	s_and_saveexec_b32 s15, s0
	s_cbranch_execz .LBB72_50
; %bb.49:
	ds_load_b32 v10, v31 offset:28
	s_waitcnt lgkmcnt(0)
	v_fmac_f32_e32 v29, v9, v10
.LBB72_50:
	s_or_b32 exec_lo, exec_lo, s15
.LBB72_51:
	s_delay_alu instid0(SALU_CYCLE_1)
	s_or_b32 exec_lo, exec_lo, s14
.LBB72_52:
	s_delay_alu instid0(SALU_CYCLE_1)
	s_or_b32 exec_lo, exec_lo, s1
.LBB72_53:
	s_delay_alu instid0(SALU_CYCLE_1)
	s_or_b32 exec_lo, exec_lo, s13
.LBB72_54:
	s_delay_alu instid0(SALU_CYCLE_1)
	s_or_b32 exec_lo, exec_lo, s2
.LBB72_55:
	s_delay_alu instid0(SALU_CYCLE_1)
	s_or_b32 exec_lo, exec_lo, s5
.LBB72_56:
	s_delay_alu instid0(SALU_CYCLE_1)
	s_or_b32 exec_lo, exec_lo, s3
	ds_load_b32 v1, v1 offset:32
	s_waitcnt lgkmcnt(0)
	v_mul_f32_e32 v10, v29, v1
.LBB72_57:
	s_or_b32 exec_lo, exec_lo, s4
	s_barrier
	buffer_gl0_inv
	s_cbranch_execnz .LBB72_15
	s_branch .LBB72_16
.LBB72_58:
	v_lshl_add_u32 v1, v0, 2, 48
	s_mov_b32 s0, exec_lo
	v_cmpx_eq_u32_e32 8, v0
	s_cbranch_execz .LBB72_60
; %bb.59:
	s_mov_b32 s1, 0
	ds_store_b32 v1, v9
	v_mov_b32_e32 v9, s1
.LBB72_60:
	s_or_b32 exec_lo, exec_lo, s0
	v_mov_b32_e32 v29, 0
	s_waitcnt lgkmcnt(0)
	s_waitcnt_vscnt null, 0x0
	s_barrier
	buffer_gl0_inv
	s_mov_b32 s0, exec_lo
	ds_load_b32 v30, v29 offset:80
	s_waitcnt lgkmcnt(0)
	v_fma_f32 v30, v10, v30, 0
	s_delay_alu instid0(VALU_DEP_1)
	v_sub_f32_e32 v9, v9, v30
	v_cmpx_lt_u32_e32 6, v0
	s_cbranch_execz .LBB72_62
; %bb.61:
	s_mov_b32 s1, 0
	s_delay_alu instid0(VALU_DEP_2)
	v_dual_mov_b32 v38, v10 :: v_dual_mov_b32 v37, v9
	v_dual_mov_b32 v36, v8 :: v_dual_mov_b32 v35, v7
	v_mov_b32_e32 v30, v2
	v_dual_mov_b32 v34, v6 :: v_dual_mov_b32 v33, v5
	v_dual_mov_b32 v32, v4 :: v_dual_mov_b32 v31, v3
	v_mov_b32_e32 v36, s1
	ds_store_b32 v1, v8
	v_mov_b32_e32 v2, v30
	v_dual_mov_b32 v4, v32 :: v_dual_mov_b32 v5, v33
	v_dual_mov_b32 v3, v31 :: v_dual_mov_b32 v6, v34
	;; [unrolled: 1-line block ×4, first 2 shown]
.LBB72_62:
	s_or_b32 exec_lo, exec_lo, s0
	s_waitcnt lgkmcnt(0)
	s_barrier
	buffer_gl0_inv
	ds_load_2addr_b32 v[29:30], v29 offset0:19 offset1:20
	s_mov_b32 s0, exec_lo
	s_waitcnt lgkmcnt(0)
	v_fma_f32 v29, v9, v29, 0
	s_delay_alu instid0(VALU_DEP_1) | instskip(NEXT) | instid1(VALU_DEP_1)
	v_fmac_f32_e32 v29, v10, v30
	v_sub_f32_e32 v8, v8, v29
	v_cmpx_lt_u32_e32 5, v0
	s_cbranch_execz .LBB72_64
; %bb.63:
	s_mov_b32 s1, 0
	v_dual_mov_b32 v37, v10 :: v_dual_mov_b32 v36, v9
	v_dual_mov_b32 v35, v8 :: v_dual_mov_b32 v34, v7
	;; [unrolled: 1-line block ×5, first 2 shown]
	ds_store_b32 v1, v7
	v_dual_mov_b32 v2, v29 :: v_dual_mov_b32 v5, v32
	v_dual_mov_b32 v4, v31 :: v_dual_mov_b32 v3, v30
	;; [unrolled: 1-line block ×4, first 2 shown]
	v_mov_b32_e32 v10, v37
.LBB72_64:
	s_or_b32 exec_lo, exec_lo, s0
	v_mov_b32_e32 v29, 0
	s_waitcnt lgkmcnt(0)
	s_barrier
	buffer_gl0_inv
	s_mov_b32 s0, exec_lo
	ds_load_b64 v[30:31], v29 offset:72
	ds_load_b32 v32, v29 offset:80
	s_waitcnt lgkmcnt(1)
	v_fma_f32 v30, v8, v30, 0
	s_delay_alu instid0(VALU_DEP_1) | instskip(SKIP_1) | instid1(VALU_DEP_1)
	v_fmac_f32_e32 v30, v9, v31
	s_waitcnt lgkmcnt(0)
	v_fmac_f32_e32 v30, v10, v32
	s_delay_alu instid0(VALU_DEP_1)
	v_sub_f32_e32 v7, v7, v30
	v_cmpx_lt_u32_e32 4, v0
	s_cbranch_execz .LBB72_66
; %bb.65:
	s_mov_b32 s1, 0
	v_dual_mov_b32 v38, v10 :: v_dual_mov_b32 v37, v9
	v_dual_mov_b32 v34, v6 :: v_dual_mov_b32 v33, v5
	v_mov_b32_e32 v30, v2
	v_dual_mov_b32 v36, v8 :: v_dual_mov_b32 v35, v7
	v_dual_mov_b32 v32, v4 :: v_dual_mov_b32 v31, v3
	v_mov_b32_e32 v34, s1
	ds_store_b32 v1, v6
	v_mov_b32_e32 v2, v30
	v_dual_mov_b32 v4, v32 :: v_dual_mov_b32 v5, v33
	v_dual_mov_b32 v3, v31 :: v_dual_mov_b32 v6, v34
	;; [unrolled: 1-line block ×4, first 2 shown]
.LBB72_66:
	s_or_b32 exec_lo, exec_lo, s0
	s_waitcnt lgkmcnt(0)
	s_barrier
	buffer_gl0_inv
	ds_load_2addr_b32 v[30:31], v29 offset0:17 offset1:18
	ds_load_2addr_b32 v[32:33], v29 offset0:19 offset1:20
	s_mov_b32 s0, exec_lo
	s_waitcnt lgkmcnt(1)
	v_fma_f32 v29, v7, v30, 0
	s_delay_alu instid0(VALU_DEP_1) | instskip(SKIP_1) | instid1(VALU_DEP_1)
	v_fmac_f32_e32 v29, v8, v31
	s_waitcnt lgkmcnt(0)
	v_fmac_f32_e32 v29, v9, v32
	s_delay_alu instid0(VALU_DEP_1) | instskip(NEXT) | instid1(VALU_DEP_1)
	v_fmac_f32_e32 v29, v10, v33
	v_sub_f32_e32 v6, v6, v29
	v_cmpx_lt_u32_e32 3, v0
	s_cbranch_execz .LBB72_68
; %bb.67:
	s_mov_b32 s1, 0
	v_dual_mov_b32 v37, v10 :: v_dual_mov_b32 v36, v9
	v_dual_mov_b32 v33, v6 :: v_dual_mov_b32 v32, v5
	v_dual_mov_b32 v29, v2 :: v_dual_mov_b32 v32, s1
	v_dual_mov_b32 v35, v8 :: v_dual_mov_b32 v34, v7
	v_dual_mov_b32 v31, v4 :: v_dual_mov_b32 v30, v3
	ds_store_b32 v1, v5
	v_dual_mov_b32 v2, v29 :: v_dual_mov_b32 v5, v32
	v_dual_mov_b32 v4, v31 :: v_dual_mov_b32 v3, v30
	;; [unrolled: 1-line block ×4, first 2 shown]
	v_mov_b32_e32 v10, v37
.LBB72_68:
	s_or_b32 exec_lo, exec_lo, s0
	v_mov_b32_e32 v29, 0
	s_waitcnt lgkmcnt(0)
	s_barrier
	buffer_gl0_inv
	s_mov_b32 s0, exec_lo
	ds_load_b128 v[30:33], v29 offset:64
	ds_load_b32 v34, v29 offset:80
	s_waitcnt lgkmcnt(1)
	v_fma_f32 v30, v6, v30, 0
	s_delay_alu instid0(VALU_DEP_1) | instskip(NEXT) | instid1(VALU_DEP_1)
	v_fmac_f32_e32 v30, v7, v31
	v_fmac_f32_e32 v30, v8, v32
	s_delay_alu instid0(VALU_DEP_1) | instskip(SKIP_1) | instid1(VALU_DEP_1)
	v_fmac_f32_e32 v30, v9, v33
	s_waitcnt lgkmcnt(0)
	v_fmac_f32_e32 v30, v10, v34
	s_delay_alu instid0(VALU_DEP_1)
	v_sub_f32_e32 v5, v5, v30
	v_cmpx_lt_u32_e32 2, v0
	s_cbranch_execz .LBB72_70
; %bb.69:
	s_mov_b32 s1, 0
	v_dual_mov_b32 v38, v10 :: v_dual_mov_b32 v37, v9
	v_dual_mov_b32 v32, v4 :: v_dual_mov_b32 v31, v3
	v_mov_b32_e32 v30, v2
	v_dual_mov_b32 v36, v8 :: v_dual_mov_b32 v35, v7
	v_dual_mov_b32 v34, v6 :: v_dual_mov_b32 v33, v5
	v_mov_b32_e32 v32, s1
	ds_store_b32 v1, v4
	v_dual_mov_b32 v2, v30 :: v_dual_mov_b32 v3, v31
	v_dual_mov_b32 v5, v33 :: v_dual_mov_b32 v4, v32
	;; [unrolled: 1-line block ×4, first 2 shown]
	v_mov_b32_e32 v10, v38
.LBB72_70:
	s_or_b32 exec_lo, exec_lo, s0
	s_waitcnt lgkmcnt(0)
	s_barrier
	buffer_gl0_inv
	ds_load_2addr_b32 v[30:31], v29 offset0:15 offset1:16
	ds_load_2addr_b32 v[32:33], v29 offset0:17 offset1:18
	;; [unrolled: 1-line block ×3, first 2 shown]
	s_mov_b32 s0, exec_lo
	s_waitcnt lgkmcnt(2)
	v_fma_f32 v29, v5, v30, 0
	s_delay_alu instid0(VALU_DEP_1) | instskip(SKIP_1) | instid1(VALU_DEP_1)
	v_fmac_f32_e32 v29, v6, v31
	s_waitcnt lgkmcnt(1)
	v_fmac_f32_e32 v29, v7, v32
	s_delay_alu instid0(VALU_DEP_1) | instskip(SKIP_1) | instid1(VALU_DEP_1)
	v_fmac_f32_e32 v29, v8, v33
	s_waitcnt lgkmcnt(0)
	v_fmac_f32_e32 v29, v9, v34
	s_delay_alu instid0(VALU_DEP_1) | instskip(NEXT) | instid1(VALU_DEP_1)
	v_fmac_f32_e32 v29, v10, v35
	v_sub_f32_e32 v4, v4, v29
	v_cmpx_lt_u32_e32 1, v0
	s_cbranch_execz .LBB72_72
; %bb.71:
	s_mov_b32 s1, 0
	v_dual_mov_b32 v37, v10 :: v_dual_mov_b32 v36, v9
	v_dual_mov_b32 v31, v4 :: v_dual_mov_b32 v30, v3
	;; [unrolled: 1-line block ×5, first 2 shown]
	ds_store_b32 v1, v3
	v_dual_mov_b32 v2, v29 :: v_dual_mov_b32 v3, v30
	v_dual_mov_b32 v4, v31 :: v_dual_mov_b32 v5, v32
	;; [unrolled: 1-line block ×4, first 2 shown]
	v_mov_b32_e32 v10, v37
.LBB72_72:
	s_or_b32 exec_lo, exec_lo, s0
	v_mov_b32_e32 v29, 0
	s_waitcnt lgkmcnt(0)
	s_barrier
	buffer_gl0_inv
	s_mov_b32 s1, 0
	ds_load_2addr_b64 v[30:33], v29 offset0:7 offset1:8
	ds_load_b64 v[34:35], v29 offset:72
	s_mov_b32 s0, exec_lo
	s_waitcnt lgkmcnt(1)
	v_fma_f32 v30, v4, v30, 0
	s_delay_alu instid0(VALU_DEP_1) | instskip(SKIP_2) | instid1(VALU_DEP_1)
	v_fmac_f32_e32 v30, v5, v31
	ds_load_b32 v31, v29 offset:80
	v_fmac_f32_e32 v30, v6, v32
	v_fmac_f32_e32 v30, v7, v33
	s_waitcnt lgkmcnt(1)
	s_delay_alu instid0(VALU_DEP_1) | instskip(NEXT) | instid1(VALU_DEP_1)
	v_fmac_f32_e32 v30, v8, v34
	v_fmac_f32_e32 v30, v9, v35
	s_waitcnt lgkmcnt(0)
	s_delay_alu instid0(VALU_DEP_1) | instskip(NEXT) | instid1(VALU_DEP_1)
	v_fmac_f32_e32 v30, v10, v31
	v_sub_f32_e32 v3, v3, v30
	v_cmpx_ne_u32_e32 0, v0
	s_cbranch_execz .LBB72_74
; %bb.73:
	v_dual_mov_b32 v38, v10 :: v_dual_mov_b32 v37, v9
	v_mov_b32_e32 v30, v2
	v_mov_b32_e32 v30, s1
	v_dual_mov_b32 v36, v8 :: v_dual_mov_b32 v35, v7
	v_dual_mov_b32 v34, v6 :: v_dual_mov_b32 v33, v5
	;; [unrolled: 1-line block ×3, first 2 shown]
	ds_store_b32 v1, v2
	v_dual_mov_b32 v2, v30 :: v_dual_mov_b32 v5, v33
	v_dual_mov_b32 v4, v32 :: v_dual_mov_b32 v3, v31
	;; [unrolled: 1-line block ×4, first 2 shown]
	v_mov_b32_e32 v10, v38
.LBB72_74:
	s_or_b32 exec_lo, exec_lo, s0
	s_waitcnt lgkmcnt(0)
	s_barrier
	buffer_gl0_inv
	ds_load_2addr_b32 v[0:1], v29 offset0:13 offset1:14
	ds_load_2addr_b32 v[30:31], v29 offset0:15 offset1:16
	;; [unrolled: 1-line block ×4, first 2 shown]
	s_and_b32 vcc_lo, exec_lo, s12
	s_waitcnt lgkmcnt(3)
	v_fma_f32 v0, v3, v0, 0
	s_delay_alu instid0(VALU_DEP_1) | instskip(SKIP_1) | instid1(VALU_DEP_1)
	v_fmac_f32_e32 v0, v4, v1
	s_waitcnt lgkmcnt(2)
	v_fmac_f32_e32 v0, v5, v30
	s_delay_alu instid0(VALU_DEP_1) | instskip(SKIP_1) | instid1(VALU_DEP_1)
	v_fmac_f32_e32 v0, v6, v31
	s_waitcnt lgkmcnt(1)
	v_fmac_f32_e32 v0, v7, v32
	;; [unrolled: 4-line block ×3, first 2 shown]
	s_delay_alu instid0(VALU_DEP_1) | instskip(NEXT) | instid1(VALU_DEP_1)
	v_fmac_f32_e32 v0, v10, v35
	v_sub_f32_e32 v2, v2, v0
	s_cbranch_vccz .LBB72_92
; %bb.75:
	v_dual_mov_b32 v0, s8 :: v_dual_mov_b32 v1, s9
	s_mov_b32 s6, exec_lo
	flat_load_b32 v0, v[0:1] offset:28
	s_waitcnt vmcnt(0) lgkmcnt(0)
	v_add_nc_u32_e32 v0, -1, v0
	s_delay_alu instid0(VALU_DEP_1)
	v_cmpx_ne_u32_e32 7, v0
	s_cbranch_execz .LBB72_77
; %bb.76:
	v_cmp_eq_u32_e32 vcc_lo, 1, v0
	v_cmp_eq_u32_e64 s0, 2, v0
	v_cmp_eq_u32_e64 s1, 3, v0
	;; [unrolled: 1-line block ×4, first 2 shown]
	v_dual_cndmask_b32 v1, v2, v3 :: v_dual_cndmask_b32 v30, v3, v9
	v_cmp_eq_u32_e64 s4, 6, v0
	v_cmp_eq_u32_e64 s5, 7, v0
	v_cmp_eq_u32_e32 vcc_lo, 8, v0
	s_delay_alu instid0(VALU_DEP_4)
	v_cndmask_b32_e64 v1, v1, v4, s0
	v_cndmask_b32_e64 v31, v4, v9, s0
	;; [unrolled: 1-line block ×7, first 2 shown]
	v_cndmask_b32_e32 v37, v10, v9, vcc_lo
	s_delay_alu instid0(VALU_DEP_3) | instskip(NEXT) | instid1(VALU_DEP_1)
	v_cndmask_b32_e64 v1, v1, v6, s2
	v_cndmask_b32_e64 v1, v1, v7, s3
	s_delay_alu instid0(VALU_DEP_1) | instskip(NEXT) | instid1(VALU_DEP_1)
	v_cndmask_b32_e64 v1, v1, v8, s4
	v_cndmask_b32_e64 v1, v1, v9, s5
	s_delay_alu instid0(VALU_DEP_1) | instskip(SKIP_1) | instid1(VALU_DEP_2)
	v_cndmask_b32_e32 v1, v1, v10, vcc_lo
	v_cmp_eq_u32_e32 vcc_lo, 0, v0
	v_cndmask_b32_e64 v36, v1, v9, s5
	v_cndmask_b32_e32 v29, v2, v9, vcc_lo
	s_delay_alu instid0(VALU_DEP_1)
	v_dual_mov_b32 v2, v29 :: v_dual_mov_b32 v3, v30
	v_dual_mov_b32 v4, v31 :: v_dual_mov_b32 v5, v32
	;; [unrolled: 1-line block ×4, first 2 shown]
	v_mov_b32_e32 v10, v37
.LBB72_77:
	s_or_b32 exec_lo, exec_lo, s6
	v_dual_mov_b32 v0, s8 :: v_dual_mov_b32 v1, s9
	s_mov_b32 s6, exec_lo
	flat_load_b32 v0, v[0:1] offset:24
	s_waitcnt vmcnt(0) lgkmcnt(0)
	v_add_nc_u32_e32 v0, -1, v0
	s_delay_alu instid0(VALU_DEP_1)
	v_cmpx_ne_u32_e32 6, v0
	s_cbranch_execz .LBB72_79
; %bb.78:
	v_cmp_eq_u32_e32 vcc_lo, 1, v0
	v_cmp_eq_u32_e64 s0, 2, v0
	v_cmp_eq_u32_e64 s1, 3, v0
	;; [unrolled: 1-line block ×4, first 2 shown]
	v_dual_cndmask_b32 v1, v2, v3 :: v_dual_cndmask_b32 v30, v3, v8
	v_cmp_eq_u32_e64 s4, 6, v0
	v_cmp_eq_u32_e64 s5, 7, v0
	v_cmp_eq_u32_e32 vcc_lo, 8, v0
	s_delay_alu instid0(VALU_DEP_4)
	v_cndmask_b32_e64 v1, v1, v4, s0
	v_cndmask_b32_e64 v31, v4, v8, s0
	;; [unrolled: 1-line block ×7, first 2 shown]
	v_cndmask_b32_e32 v37, v10, v8, vcc_lo
	s_delay_alu instid0(VALU_DEP_3) | instskip(NEXT) | instid1(VALU_DEP_1)
	v_cndmask_b32_e64 v1, v1, v6, s2
	v_cndmask_b32_e64 v1, v1, v7, s3
	s_delay_alu instid0(VALU_DEP_1) | instskip(NEXT) | instid1(VALU_DEP_1)
	v_cndmask_b32_e64 v1, v1, v8, s4
	v_cndmask_b32_e64 v1, v1, v9, s5
	s_delay_alu instid0(VALU_DEP_1) | instskip(SKIP_1) | instid1(VALU_DEP_2)
	v_cndmask_b32_e32 v1, v1, v10, vcc_lo
	v_cmp_eq_u32_e32 vcc_lo, 0, v0
	v_cndmask_b32_e64 v35, v1, v8, s4
	v_cndmask_b32_e32 v29, v2, v8, vcc_lo
	s_delay_alu instid0(VALU_DEP_1)
	v_dual_mov_b32 v2, v29 :: v_dual_mov_b32 v3, v30
	v_dual_mov_b32 v4, v31 :: v_dual_mov_b32 v5, v32
	v_dual_mov_b32 v6, v33 :: v_dual_mov_b32 v7, v34
	v_dual_mov_b32 v8, v35 :: v_dual_mov_b32 v9, v36
	v_mov_b32_e32 v10, v37
.LBB72_79:
	s_or_b32 exec_lo, exec_lo, s6
	v_dual_mov_b32 v0, s8 :: v_dual_mov_b32 v1, s9
	s_mov_b32 s6, exec_lo
	flat_load_b32 v0, v[0:1] offset:20
	s_waitcnt vmcnt(0) lgkmcnt(0)
	v_add_nc_u32_e32 v0, -1, v0
	s_delay_alu instid0(VALU_DEP_1)
	v_cmpx_ne_u32_e32 5, v0
	s_cbranch_execz .LBB72_81
; %bb.80:
	v_cmp_eq_u32_e32 vcc_lo, 1, v0
	v_cmp_eq_u32_e64 s0, 2, v0
	v_cmp_eq_u32_e64 s1, 3, v0
	;; [unrolled: 1-line block ×5, first 2 shown]
	v_cndmask_b32_e64 v31, v4, v7, s0
	v_cndmask_b32_e32 v30, v3, v7, vcc_lo
	v_cndmask_b32_e64 v32, v5, v7, s1
	v_cndmask_b32_e64 v33, v6, v7, s2
	;; [unrolled: 1-line block ×4, first 2 shown]
	v_cndmask_b32_e32 v1, v2, v3, vcc_lo
	v_cmp_eq_u32_e64 s3, 5, v0
	v_cmp_eq_u32_e32 vcc_lo, 8, v0
	s_delay_alu instid0(VALU_DEP_3) | instskip(SKIP_1) | instid1(VALU_DEP_2)
	v_cndmask_b32_e64 v1, v1, v4, s0
	v_cndmask_b32_e32 v37, v10, v7, vcc_lo
	v_cndmask_b32_e64 v1, v1, v5, s1
	s_delay_alu instid0(VALU_DEP_1) | instskip(NEXT) | instid1(VALU_DEP_1)
	v_cndmask_b32_e64 v1, v1, v6, s2
	v_cndmask_b32_e64 v1, v1, v7, s3
	s_delay_alu instid0(VALU_DEP_1) | instskip(NEXT) | instid1(VALU_DEP_1)
	v_cndmask_b32_e64 v1, v1, v8, s4
	v_cndmask_b32_e64 v1, v1, v9, s5
	s_delay_alu instid0(VALU_DEP_1) | instskip(SKIP_1) | instid1(VALU_DEP_2)
	v_cndmask_b32_e32 v1, v1, v10, vcc_lo
	v_cmp_eq_u32_e32 vcc_lo, 0, v0
	v_cndmask_b32_e64 v34, v1, v7, s3
	v_cndmask_b32_e32 v29, v2, v7, vcc_lo
	s_delay_alu instid0(VALU_DEP_1) | instskip(SKIP_1) | instid1(VALU_DEP_4)
	v_dual_mov_b32 v2, v29 :: v_dual_mov_b32 v3, v30
	v_dual_mov_b32 v4, v31 :: v_dual_mov_b32 v5, v32
	;; [unrolled: 1-line block ×4, first 2 shown]
	v_mov_b32_e32 v10, v37
.LBB72_81:
	s_or_b32 exec_lo, exec_lo, s6
	v_dual_mov_b32 v0, s8 :: v_dual_mov_b32 v1, s9
	s_mov_b32 s6, exec_lo
	flat_load_b32 v0, v[0:1] offset:16
	s_waitcnt vmcnt(0) lgkmcnt(0)
	v_add_nc_u32_e32 v0, -1, v0
	s_delay_alu instid0(VALU_DEP_1)
	v_cmpx_ne_u32_e32 4, v0
	s_cbranch_execz .LBB72_83
; %bb.82:
	v_cmp_eq_u32_e32 vcc_lo, 1, v0
	v_cmp_eq_u32_e64 s0, 2, v0
	v_cmp_eq_u32_e64 s1, 3, v0
	;; [unrolled: 1-line block ×4, first 2 shown]
	v_dual_cndmask_b32 v1, v2, v3 :: v_dual_cndmask_b32 v30, v3, v6
	v_cmp_eq_u32_e64 s4, 6, v0
	v_cmp_eq_u32_e64 s5, 7, v0
	v_cmp_eq_u32_e32 vcc_lo, 8, v0
	s_delay_alu instid0(VALU_DEP_4)
	v_cndmask_b32_e64 v1, v1, v4, s0
	v_cndmask_b32_e64 v31, v4, v6, s0
	v_cndmask_b32_e64 v32, v5, v6, s1
	v_cndmask_b32_e64 v34, v7, v6, s3
	v_cndmask_b32_e64 v35, v8, v6, s4
	v_cndmask_b32_e64 v1, v1, v5, s1
	v_cndmask_b32_e64 v36, v9, v6, s5
	v_cndmask_b32_e32 v37, v10, v6, vcc_lo
	s_delay_alu instid0(VALU_DEP_3) | instskip(NEXT) | instid1(VALU_DEP_1)
	v_cndmask_b32_e64 v1, v1, v6, s2
	v_cndmask_b32_e64 v1, v1, v7, s3
	s_delay_alu instid0(VALU_DEP_1) | instskip(NEXT) | instid1(VALU_DEP_1)
	v_cndmask_b32_e64 v1, v1, v8, s4
	v_cndmask_b32_e64 v1, v1, v9, s5
	s_delay_alu instid0(VALU_DEP_1) | instskip(SKIP_1) | instid1(VALU_DEP_2)
	v_cndmask_b32_e32 v1, v1, v10, vcc_lo
	v_cmp_eq_u32_e32 vcc_lo, 0, v0
	v_cndmask_b32_e64 v33, v1, v6, s2
	v_cndmask_b32_e32 v29, v2, v6, vcc_lo
	s_delay_alu instid0(VALU_DEP_1) | instskip(SKIP_1) | instid1(VALU_DEP_4)
	v_dual_mov_b32 v2, v29 :: v_dual_mov_b32 v3, v30
	v_dual_mov_b32 v4, v31 :: v_dual_mov_b32 v5, v32
	;; [unrolled: 1-line block ×4, first 2 shown]
	v_mov_b32_e32 v10, v37
.LBB72_83:
	s_or_b32 exec_lo, exec_lo, s6
	v_dual_mov_b32 v0, s8 :: v_dual_mov_b32 v1, s9
	s_mov_b32 s6, exec_lo
	flat_load_b32 v0, v[0:1] offset:12
	s_waitcnt vmcnt(0) lgkmcnt(0)
	v_add_nc_u32_e32 v0, -1, v0
	s_delay_alu instid0(VALU_DEP_1)
	v_cmpx_ne_u32_e32 3, v0
	s_cbranch_execz .LBB72_85
; %bb.84:
	v_cmp_eq_u32_e32 vcc_lo, 1, v0
	v_cmp_eq_u32_e64 s0, 2, v0
	v_cmp_eq_u32_e64 s1, 3, v0
	;; [unrolled: 1-line block ×4, first 2 shown]
	v_dual_cndmask_b32 v1, v2, v3 :: v_dual_cndmask_b32 v30, v3, v5
	v_cmp_eq_u32_e64 s4, 6, v0
	v_cmp_eq_u32_e64 s5, 7, v0
	v_cmp_eq_u32_e32 vcc_lo, 8, v0
	s_delay_alu instid0(VALU_DEP_4)
	v_cndmask_b32_e64 v1, v1, v4, s0
	v_cndmask_b32_e64 v31, v4, v5, s0
	;; [unrolled: 1-line block ×7, first 2 shown]
	v_cndmask_b32_e32 v37, v10, v5, vcc_lo
	s_delay_alu instid0(VALU_DEP_3) | instskip(NEXT) | instid1(VALU_DEP_1)
	v_cndmask_b32_e64 v1, v1, v6, s2
	v_cndmask_b32_e64 v1, v1, v7, s3
	s_delay_alu instid0(VALU_DEP_1) | instskip(NEXT) | instid1(VALU_DEP_1)
	v_cndmask_b32_e64 v1, v1, v8, s4
	v_cndmask_b32_e64 v1, v1, v9, s5
	s_delay_alu instid0(VALU_DEP_1) | instskip(SKIP_1) | instid1(VALU_DEP_2)
	v_cndmask_b32_e32 v1, v1, v10, vcc_lo
	v_cmp_eq_u32_e32 vcc_lo, 0, v0
	v_cndmask_b32_e64 v32, v1, v5, s1
	v_cndmask_b32_e32 v29, v2, v5, vcc_lo
	s_delay_alu instid0(VALU_DEP_1) | instskip(NEXT) | instid1(VALU_DEP_3)
	v_dual_mov_b32 v2, v29 :: v_dual_mov_b32 v3, v30
	v_dual_mov_b32 v4, v31 :: v_dual_mov_b32 v5, v32
	;; [unrolled: 1-line block ×4, first 2 shown]
	v_mov_b32_e32 v10, v37
.LBB72_85:
	s_or_b32 exec_lo, exec_lo, s6
	v_dual_mov_b32 v0, s8 :: v_dual_mov_b32 v1, s9
	s_mov_b32 s6, exec_lo
	flat_load_b32 v0, v[0:1] offset:8
	s_waitcnt vmcnt(0) lgkmcnt(0)
	v_add_nc_u32_e32 v0, -1, v0
	s_delay_alu instid0(VALU_DEP_1)
	v_cmpx_ne_u32_e32 2, v0
	s_cbranch_execz .LBB72_87
; %bb.86:
	v_cmp_eq_u32_e32 vcc_lo, 1, v0
	v_cmp_eq_u32_e64 s0, 2, v0
	v_cmp_eq_u32_e64 s1, 3, v0
	;; [unrolled: 1-line block ×4, first 2 shown]
	v_dual_cndmask_b32 v1, v2, v3 :: v_dual_cndmask_b32 v30, v3, v4
	v_cmp_eq_u32_e64 s4, 6, v0
	v_cmp_eq_u32_e64 s5, 7, v0
	v_cmp_eq_u32_e32 vcc_lo, 8, v0
	s_delay_alu instid0(VALU_DEP_4)
	v_cndmask_b32_e64 v1, v1, v4, s0
	v_cndmask_b32_e64 v32, v5, v4, s1
	;; [unrolled: 1-line block ×7, first 2 shown]
	v_cndmask_b32_e32 v37, v10, v4, vcc_lo
	s_delay_alu instid0(VALU_DEP_3) | instskip(NEXT) | instid1(VALU_DEP_1)
	v_cndmask_b32_e64 v1, v1, v6, s2
	v_cndmask_b32_e64 v1, v1, v7, s3
	s_delay_alu instid0(VALU_DEP_1) | instskip(NEXT) | instid1(VALU_DEP_1)
	v_cndmask_b32_e64 v1, v1, v8, s4
	v_cndmask_b32_e64 v1, v1, v9, s5
	s_delay_alu instid0(VALU_DEP_1) | instskip(SKIP_1) | instid1(VALU_DEP_2)
	v_cndmask_b32_e32 v1, v1, v10, vcc_lo
	v_cmp_eq_u32_e32 vcc_lo, 0, v0
	v_cndmask_b32_e64 v31, v1, v4, s0
	v_cndmask_b32_e32 v29, v2, v4, vcc_lo
	s_delay_alu instid0(VALU_DEP_1) | instskip(NEXT) | instid1(VALU_DEP_3)
	v_dual_mov_b32 v2, v29 :: v_dual_mov_b32 v3, v30
	v_dual_mov_b32 v4, v31 :: v_dual_mov_b32 v5, v32
	;; [unrolled: 1-line block ×4, first 2 shown]
	v_mov_b32_e32 v10, v37
.LBB72_87:
	s_or_b32 exec_lo, exec_lo, s6
	v_dual_mov_b32 v0, s8 :: v_dual_mov_b32 v1, s9
	s_mov_b32 s6, exec_lo
	flat_load_b32 v0, v[0:1] offset:4
	s_waitcnt vmcnt(0) lgkmcnt(0)
	v_add_nc_u32_e32 v0, -1, v0
	s_delay_alu instid0(VALU_DEP_1)
	v_cmpx_ne_u32_e32 1, v0
	s_cbranch_execz .LBB72_89
; %bb.88:
	v_cmp_eq_u32_e32 vcc_lo, 1, v0
	v_cmp_eq_u32_e64 s0, 2, v0
	v_cmp_eq_u32_e64 s1, 3, v0
	;; [unrolled: 1-line block ×6, first 2 shown]
	v_cndmask_b32_e64 v31, v4, v3, s0
	v_cndmask_b32_e64 v32, v5, v3, s1
	;; [unrolled: 1-line block ×6, first 2 shown]
	v_cndmask_b32_e32 v1, v2, v3, vcc_lo
	s_delay_alu instid0(VALU_DEP_1) | instskip(SKIP_1) | instid1(VALU_DEP_2)
	v_cndmask_b32_e64 v1, v1, v4, s0
	v_cmp_eq_u32_e64 s0, 8, v0
	v_cndmask_b32_e64 v1, v1, v5, s1
	s_delay_alu instid0(VALU_DEP_2) | instskip(NEXT) | instid1(VALU_DEP_2)
	v_cndmask_b32_e64 v37, v10, v3, s0
	v_cndmask_b32_e64 v1, v1, v6, s2
	s_delay_alu instid0(VALU_DEP_1) | instskip(NEXT) | instid1(VALU_DEP_1)
	v_cndmask_b32_e64 v1, v1, v7, s3
	v_cndmask_b32_e64 v1, v1, v8, s4
	s_delay_alu instid0(VALU_DEP_1) | instskip(NEXT) | instid1(VALU_DEP_1)
	v_cndmask_b32_e64 v1, v1, v9, s5
	v_cndmask_b32_e64 v1, v1, v10, s0
	s_delay_alu instid0(VALU_DEP_1) | instskip(SKIP_2) | instid1(VALU_DEP_1)
	v_cndmask_b32_e32 v30, v1, v3, vcc_lo
	v_cmp_eq_u32_e32 vcc_lo, 0, v0
	v_cndmask_b32_e32 v29, v2, v3, vcc_lo
	v_dual_mov_b32 v2, v29 :: v_dual_mov_b32 v3, v30
	v_dual_mov_b32 v4, v31 :: v_dual_mov_b32 v5, v32
	;; [unrolled: 1-line block ×4, first 2 shown]
	v_mov_b32_e32 v10, v37
.LBB72_89:
	s_or_b32 exec_lo, exec_lo, s6
	v_dual_mov_b32 v0, s8 :: v_dual_mov_b32 v1, s9
	s_mov_b32 s5, exec_lo
	flat_load_b32 v0, v[0:1]
	s_waitcnt vmcnt(0) lgkmcnt(0)
	v_add_nc_u32_e32 v0, -1, v0
	s_delay_alu instid0(VALU_DEP_1)
	v_cmpx_ne_u32_e32 0, v0
	s_cbranch_execz .LBB72_91
; %bb.90:
	v_cmp_eq_u32_e32 vcc_lo, 1, v0
	v_cmp_eq_u32_e64 s0, 2, v0
	v_cmp_eq_u32_e64 s1, 3, v0
	;; [unrolled: 1-line block ×4, first 2 shown]
	v_dual_cndmask_b32 v1, v2, v3 :: v_dual_cndmask_b32 v30, v3, v2
	v_cmp_eq_u32_e64 s4, 6, v0
	v_cndmask_b32_e64 v31, v4, v2, s0
	v_cndmask_b32_e64 v32, v5, v2, s1
	s_delay_alu instid0(VALU_DEP_4)
	v_cndmask_b32_e64 v1, v1, v4, s0
	v_cmp_eq_u32_e64 s0, 7, v0
	v_cndmask_b32_e64 v33, v6, v2, s2
	v_cndmask_b32_e64 v34, v7, v2, s3
	;; [unrolled: 1-line block ×4, first 2 shown]
	v_cmp_eq_u32_e64 s1, 8, v0
	v_cndmask_b32_e64 v36, v9, v2, s0
	s_delay_alu instid0(VALU_DEP_3) | instskip(NEXT) | instid1(VALU_DEP_3)
	v_cndmask_b32_e64 v1, v1, v6, s2
	v_cndmask_b32_e64 v37, v10, v2, s1
	s_delay_alu instid0(VALU_DEP_2) | instskip(NEXT) | instid1(VALU_DEP_1)
	v_cndmask_b32_e64 v1, v1, v7, s3
	v_cndmask_b32_e64 v1, v1, v8, s4
	s_delay_alu instid0(VALU_DEP_1) | instskip(SKIP_1) | instid1(VALU_DEP_2)
	v_cndmask_b32_e64 v1, v1, v9, s0
	v_cmp_eq_u32_e64 s0, 0, v0
	v_cndmask_b32_e64 v1, v1, v10, s1
	s_delay_alu instid0(VALU_DEP_1) | instskip(NEXT) | instid1(VALU_DEP_1)
	v_cndmask_b32_e64 v29, v1, v2, s0
	v_dual_mov_b32 v2, v29 :: v_dual_mov_b32 v3, v30
	v_dual_mov_b32 v4, v31 :: v_dual_mov_b32 v5, v32
	;; [unrolled: 1-line block ×4, first 2 shown]
	v_mov_b32_e32 v10, v37
.LBB72_91:
	s_or_b32 exec_lo, exec_lo, s5
.LBB72_92:
	s_clause 0x8
	global_store_b32 v[11:12], v2, off
	global_store_b32 v[13:14], v3, off
	;; [unrolled: 1-line block ×9, first 2 shown]
	s_nop 0
	s_sendmsg sendmsg(MSG_DEALLOC_VGPRS)
	s_endpgm
	.section	.rodata,"a",@progbits
	.p2align	6, 0x0
	.amdhsa_kernel _ZN9rocsolver6v33100L18getri_kernel_smallILi9EfPKPfEEvT1_iilPiilS6_bb
		.amdhsa_group_segment_fixed_size 84
		.amdhsa_private_segment_fixed_size 0
		.amdhsa_kernarg_size 60
		.amdhsa_user_sgpr_count 15
		.amdhsa_user_sgpr_dispatch_ptr 0
		.amdhsa_user_sgpr_queue_ptr 0
		.amdhsa_user_sgpr_kernarg_segment_ptr 1
		.amdhsa_user_sgpr_dispatch_id 0
		.amdhsa_user_sgpr_private_segment_size 0
		.amdhsa_wavefront_size32 1
		.amdhsa_uses_dynamic_stack 0
		.amdhsa_enable_private_segment 0
		.amdhsa_system_sgpr_workgroup_id_x 1
		.amdhsa_system_sgpr_workgroup_id_y 0
		.amdhsa_system_sgpr_workgroup_id_z 0
		.amdhsa_system_sgpr_workgroup_info 0
		.amdhsa_system_vgpr_workitem_id 0
		.amdhsa_next_free_vgpr 39
		.amdhsa_next_free_sgpr 17
		.amdhsa_reserve_vcc 1
		.amdhsa_float_round_mode_32 0
		.amdhsa_float_round_mode_16_64 0
		.amdhsa_float_denorm_mode_32 3
		.amdhsa_float_denorm_mode_16_64 3
		.amdhsa_dx10_clamp 1
		.amdhsa_ieee_mode 1
		.amdhsa_fp16_overflow 0
		.amdhsa_workgroup_processor_mode 1
		.amdhsa_memory_ordered 1
		.amdhsa_forward_progress 0
		.amdhsa_shared_vgpr_count 0
		.amdhsa_exception_fp_ieee_invalid_op 0
		.amdhsa_exception_fp_denorm_src 0
		.amdhsa_exception_fp_ieee_div_zero 0
		.amdhsa_exception_fp_ieee_overflow 0
		.amdhsa_exception_fp_ieee_underflow 0
		.amdhsa_exception_fp_ieee_inexact 0
		.amdhsa_exception_int_div_zero 0
	.end_amdhsa_kernel
	.section	.text._ZN9rocsolver6v33100L18getri_kernel_smallILi9EfPKPfEEvT1_iilPiilS6_bb,"axG",@progbits,_ZN9rocsolver6v33100L18getri_kernel_smallILi9EfPKPfEEvT1_iilPiilS6_bb,comdat
.Lfunc_end72:
	.size	_ZN9rocsolver6v33100L18getri_kernel_smallILi9EfPKPfEEvT1_iilPiilS6_bb, .Lfunc_end72-_ZN9rocsolver6v33100L18getri_kernel_smallILi9EfPKPfEEvT1_iilPiilS6_bb
                                        ; -- End function
	.section	.AMDGPU.csdata,"",@progbits
; Kernel info:
; codeLenInByte = 8096
; NumSgprs: 19
; NumVgprs: 39
; ScratchSize: 0
; MemoryBound: 0
; FloatMode: 240
; IeeeMode: 1
; LDSByteSize: 84 bytes/workgroup (compile time only)
; SGPRBlocks: 2
; VGPRBlocks: 4
; NumSGPRsForWavesPerEU: 19
; NumVGPRsForWavesPerEU: 39
; Occupancy: 16
; WaveLimiterHint : 1
; COMPUTE_PGM_RSRC2:SCRATCH_EN: 0
; COMPUTE_PGM_RSRC2:USER_SGPR: 15
; COMPUTE_PGM_RSRC2:TRAP_HANDLER: 0
; COMPUTE_PGM_RSRC2:TGID_X_EN: 1
; COMPUTE_PGM_RSRC2:TGID_Y_EN: 0
; COMPUTE_PGM_RSRC2:TGID_Z_EN: 0
; COMPUTE_PGM_RSRC2:TIDIG_COMP_CNT: 0
	.section	.text._ZN9rocsolver6v33100L18getri_kernel_smallILi10EfPKPfEEvT1_iilPiilS6_bb,"axG",@progbits,_ZN9rocsolver6v33100L18getri_kernel_smallILi10EfPKPfEEvT1_iilPiilS6_bb,comdat
	.globl	_ZN9rocsolver6v33100L18getri_kernel_smallILi10EfPKPfEEvT1_iilPiilS6_bb ; -- Begin function _ZN9rocsolver6v33100L18getri_kernel_smallILi10EfPKPfEEvT1_iilPiilS6_bb
	.p2align	8
	.type	_ZN9rocsolver6v33100L18getri_kernel_smallILi10EfPKPfEEvT1_iilPiilS6_bb,@function
_ZN9rocsolver6v33100L18getri_kernel_smallILi10EfPKPfEEvT1_iilPiilS6_bb: ; @_ZN9rocsolver6v33100L18getri_kernel_smallILi10EfPKPfEEvT1_iilPiilS6_bb
; %bb.0:
	s_mov_b32 s2, exec_lo
	v_cmpx_gt_u32_e32 10, v0
	s_cbranch_execz .LBB73_16
; %bb.1:
	s_clause 0x1
	s_load_b32 s13, s[0:1], 0x38
	s_load_b64 s[2:3], s[0:1], 0x0
	s_mov_b32 s10, s15
	s_load_b128 s[4:7], s[0:1], 0x28
	s_waitcnt lgkmcnt(0)
	s_bitcmp1_b32 s13, 8
	s_cselect_b32 s12, -1, 0
	s_ashr_i32 s11, s15, 31
	s_delay_alu instid0(SALU_CYCLE_1) | instskip(NEXT) | instid1(SALU_CYCLE_1)
	s_lshl_b64 s[8:9], s[10:11], 3
	s_add_u32 s2, s2, s8
	s_addc_u32 s3, s3, s9
	s_bfe_u32 s8, s13, 0x10008
	s_load_b64 s[2:3], s[2:3], 0x0
	s_cmp_eq_u32 s8, 0
                                        ; implicit-def: $sgpr8_sgpr9
	s_cbranch_scc1 .LBB73_3
; %bb.2:
	s_clause 0x1
	s_load_b32 s8, s[0:1], 0x20
	s_load_b64 s[14:15], s[0:1], 0x18
	s_mul_i32 s5, s10, s5
	s_mul_hi_u32 s9, s10, s4
	s_mul_i32 s16, s11, s4
	s_add_i32 s5, s9, s5
	s_mul_i32 s4, s10, s4
	s_add_i32 s5, s5, s16
	s_delay_alu instid0(SALU_CYCLE_1)
	s_lshl_b64 s[4:5], s[4:5], 2
	s_waitcnt lgkmcnt(0)
	s_ashr_i32 s9, s8, 31
	s_add_u32 s14, s14, s4
	s_addc_u32 s15, s15, s5
	s_lshl_b64 s[4:5], s[8:9], 2
	s_delay_alu instid0(SALU_CYCLE_1)
	s_add_u32 s8, s14, s4
	s_addc_u32 s9, s15, s5
.LBB73_3:
	s_load_b64 s[0:1], s[0:1], 0x8
	v_lshlrev_b32_e32 v32, 2, v0
	s_waitcnt lgkmcnt(0)
	v_add3_u32 v1, s1, s1, v0
	s_ashr_i32 s5, s0, 31
	s_mov_b32 s4, s0
	s_mov_b32 s14, s1
	s_lshl_b64 s[4:5], s[4:5], 2
	v_add_nc_u32_e32 v3, s1, v1
	v_ashrrev_i32_e32 v2, 31, v1
	s_add_u32 s2, s2, s4
	s_addc_u32 s3, s3, s5
	v_add_co_u32 v12, s0, s2, v32
	v_add_nc_u32_e32 v5, s1, v3
	s_ashr_i32 s15, s1, 31
	v_add_co_ci_u32_e64 v13, null, s3, 0, s0
	v_lshlrev_b64 v[1:2], 2, v[1:2]
	v_ashrrev_i32_e32 v4, 31, v3
	s_lshl_b64 s[4:5], s[14:15], 2
	v_ashrrev_i32_e32 v6, 31, v5
	v_add_co_u32 v14, vcc_lo, v12, s4
	v_add_nc_u32_e32 v7, s1, v5
	v_add_co_ci_u32_e32 v15, vcc_lo, s5, v13, vcc_lo
	v_lshlrev_b64 v[3:4], 2, v[3:4]
	v_add_co_u32 v16, vcc_lo, s2, v1
	v_add_co_ci_u32_e32 v17, vcc_lo, s3, v2, vcc_lo
	v_lshlrev_b64 v[1:2], 2, v[5:6]
	v_ashrrev_i32_e32 v8, 31, v7
	v_add_nc_u32_e32 v5, s1, v7
	v_add_co_u32 v18, vcc_lo, s2, v3
	v_add_co_ci_u32_e32 v19, vcc_lo, s3, v4, vcc_lo
	s_delay_alu instid0(VALU_DEP_4) | instskip(NEXT) | instid1(VALU_DEP_4)
	v_lshlrev_b64 v[3:4], 2, v[7:8]
	v_ashrrev_i32_e32 v6, 31, v5
	v_add_nc_u32_e32 v7, s1, v5
	v_add_co_u32 v20, vcc_lo, s2, v1
	v_add_co_ci_u32_e32 v21, vcc_lo, s3, v2, vcc_lo
	s_delay_alu instid0(VALU_DEP_4) | instskip(NEXT) | instid1(VALU_DEP_4)
	;; [unrolled: 6-line block ×3, first 2 shown]
	v_lshlrev_b64 v[3:4], 2, v[7:8]
	v_add_nc_u32_e32 v7, s1, v5
	v_ashrrev_i32_e32 v6, 31, v5
	v_add_co_u32 v24, vcc_lo, s2, v1
	v_add_co_ci_u32_e32 v25, vcc_lo, s3, v2, vcc_lo
	s_delay_alu instid0(VALU_DEP_4) | instskip(NEXT) | instid1(VALU_DEP_4)
	v_ashrrev_i32_e32 v8, 31, v7
	v_lshlrev_b64 v[1:2], 2, v[5:6]
	v_add_co_u32 v26, vcc_lo, s2, v3
	v_add_co_ci_u32_e32 v27, vcc_lo, s3, v4, vcc_lo
	s_delay_alu instid0(VALU_DEP_4) | instskip(NEXT) | instid1(VALU_DEP_4)
	v_lshlrev_b64 v[3:4], 2, v[7:8]
	v_add_co_u32 v28, vcc_lo, s2, v1
	v_mov_b32_e32 v1, 0
	v_add_co_ci_u32_e32 v29, vcc_lo, s3, v2, vcc_lo
	s_delay_alu instid0(VALU_DEP_4)
	v_add_co_u32 v30, vcc_lo, s2, v3
	v_add_co_ci_u32_e32 v31, vcc_lo, s3, v4, vcc_lo
	s_clause 0x9
	global_load_b32 v3, v[14:15], off
	global_load_b32 v4, v[16:17], off
	;; [unrolled: 1-line block ×8, first 2 shown]
	global_load_b32 v2, v32, s[2:3]
	global_load_b32 v11, v[30:31], off
	s_bitcmp0_b32 s13, 0
	s_mov_b32 s0, -1
	s_cbranch_scc1 .LBB73_14
; %bb.4:
	v_cmp_eq_u32_e64 s0, 0, v0
	s_delay_alu instid0(VALU_DEP_1)
	s_and_saveexec_b32 s1, s0
	s_cbranch_execz .LBB73_6
; %bb.5:
	v_mov_b32_e32 v33, 0
	ds_store_b32 v33, v33 offset:40
.LBB73_6:
	s_or_b32 exec_lo, exec_lo, s1
	v_cmp_eq_u32_e32 vcc_lo, 1, v0
	s_mov_b32 s2, exec_lo
	s_waitcnt vmcnt(0) lgkmcnt(0)
	s_barrier
	buffer_gl0_inv
	v_cndmask_b32_e32 v33, v2, v3, vcc_lo
	v_cmp_eq_u32_e32 vcc_lo, 2, v0
	s_delay_alu instid0(VALU_DEP_2) | instskip(SKIP_1) | instid1(VALU_DEP_2)
	v_cndmask_b32_e32 v33, v33, v4, vcc_lo
	v_cmp_eq_u32_e32 vcc_lo, 3, v0
	v_cndmask_b32_e32 v33, v33, v5, vcc_lo
	v_cmp_eq_u32_e32 vcc_lo, 4, v0
	s_delay_alu instid0(VALU_DEP_2) | instskip(SKIP_1) | instid1(VALU_DEP_2)
	v_cndmask_b32_e32 v33, v33, v6, vcc_lo
	v_cmp_eq_u32_e32 vcc_lo, 5, v0
	;; [unrolled: 5-line block ×4, first 2 shown]
	v_cndmask_b32_e32 v33, v33, v11, vcc_lo
	s_delay_alu instid0(VALU_DEP_1)
	v_cmpx_eq_f32_e32 0, v33
	s_cbranch_execz .LBB73_10
; %bb.7:
	v_mov_b32_e32 v34, 0
	ds_load_b32 v35, v34 offset:40
	s_waitcnt lgkmcnt(0)
	v_readfirstlane_b32 s1, v35
	v_add_nc_u32_e32 v35, 1, v0
	s_delay_alu instid0(VALU_DEP_2) | instskip(NEXT) | instid1(VALU_DEP_1)
	s_cmp_eq_u32 s1, 0
	v_cmp_gt_i32_e32 vcc_lo, s1, v35
	s_cselect_b32 s3, -1, 0
	s_delay_alu instid0(SALU_CYCLE_1) | instskip(NEXT) | instid1(SALU_CYCLE_1)
	s_or_b32 s3, s3, vcc_lo
	s_and_b32 exec_lo, exec_lo, s3
	s_cbranch_execz .LBB73_10
; %bb.8:
	v_mov_b32_e32 v36, s1
	s_mov_b32 s3, 0
.LBB73_9:                               ; =>This Inner Loop Header: Depth=1
	ds_cmpstore_rtn_b32 v36, v34, v35, v36 offset:40
	s_waitcnt lgkmcnt(0)
	v_cmp_ne_u32_e32 vcc_lo, 0, v36
	v_cmp_le_i32_e64 s1, v36, v35
	s_delay_alu instid0(VALU_DEP_1) | instskip(NEXT) | instid1(SALU_CYCLE_1)
	s_and_b32 s1, vcc_lo, s1
	s_and_b32 s1, exec_lo, s1
	s_delay_alu instid0(SALU_CYCLE_1) | instskip(NEXT) | instid1(SALU_CYCLE_1)
	s_or_b32 s3, s1, s3
	s_and_not1_b32 exec_lo, exec_lo, s3
	s_cbranch_execnz .LBB73_9
.LBB73_10:
	s_or_b32 exec_lo, exec_lo, s2
	v_mov_b32_e32 v34, 0
	s_barrier
	buffer_gl0_inv
	ds_load_b32 v35, v34 offset:40
	s_and_saveexec_b32 s1, s0
	s_cbranch_execz .LBB73_12
; %bb.11:
	s_lshl_b64 s[2:3], s[10:11], 2
	s_delay_alu instid0(SALU_CYCLE_1)
	s_add_u32 s2, s6, s2
	s_addc_u32 s3, s7, s3
	s_waitcnt lgkmcnt(0)
	global_store_b32 v34, v35, s[2:3]
.LBB73_12:
	s_or_b32 exec_lo, exec_lo, s1
	s_waitcnt lgkmcnt(0)
	v_cmp_ne_u32_e32 vcc_lo, 0, v35
	s_cbranch_vccz .LBB73_17
; %bb.13:
	s_mov_b32 s0, 0
                                        ; implicit-def: $vgpr2_vgpr3_vgpr4_vgpr5_vgpr6_vgpr7_vgpr8_vgpr9_vgpr10_vgpr11
.LBB73_14:
	s_delay_alu instid0(SALU_CYCLE_1)
	s_and_b32 vcc_lo, exec_lo, s0
	s_cbranch_vccz .LBB73_16
.LBB73_15:
	s_lshl_b64 s[0:1], s[10:11], 2
	v_mov_b32_e32 v1, 0
	s_add_u32 s0, s6, s0
	s_addc_u32 s1, s7, s1
	global_load_b32 v1, v1, s[0:1]
	s_waitcnt vmcnt(0)
	v_cmp_ne_u32_e32 vcc_lo, 0, v1
	s_cbranch_vccz .LBB73_62
.LBB73_16:
	s_nop 0
	s_sendmsg sendmsg(MSG_DEALLOC_VGPRS)
	s_endpgm
.LBB73_17:
	v_div_scale_f32 v34, null, v33, v33, 1.0
	v_div_scale_f32 v37, vcc_lo, 1.0, v33, 1.0
	s_delay_alu instid0(VALU_DEP_2) | instskip(SKIP_2) | instid1(VALU_DEP_1)
	v_rcp_f32_e32 v35, v34
	s_waitcnt_depctr 0xfff
	v_fma_f32 v36, -v34, v35, 1.0
	v_fmac_f32_e32 v35, v36, v35
	s_delay_alu instid0(VALU_DEP_1) | instskip(NEXT) | instid1(VALU_DEP_1)
	v_mul_f32_e32 v36, v37, v35
	v_fma_f32 v38, -v34, v36, v37
	s_delay_alu instid0(VALU_DEP_1) | instskip(NEXT) | instid1(VALU_DEP_1)
	v_fmac_f32_e32 v36, v38, v35
	v_fma_f32 v34, -v34, v36, v37
	s_delay_alu instid0(VALU_DEP_1) | instskip(SKIP_1) | instid1(VALU_DEP_2)
	v_div_fmas_f32 v34, v34, v35, v36
	v_cmp_eq_u32_e32 vcc_lo, 9, v0
	v_div_fixup_f32 v33, v34, v33, 1.0
	s_delay_alu instid0(VALU_DEP_1)
	v_dual_cndmask_b32 v11, v11, v33 :: v_dual_add_nc_u32 v34, 48, v32
	v_cmp_eq_u32_e32 vcc_lo, 8, v0
	v_xor_b32_e32 v35, 0x80000000, v33
	v_cndmask_b32_e32 v10, v10, v33, vcc_lo
	v_cmp_eq_u32_e32 vcc_lo, 7, v0
	v_cndmask_b32_e32 v9, v9, v33, vcc_lo
	v_cmp_eq_u32_e32 vcc_lo, 6, v0
	;; [unrolled: 2-line block ×7, first 2 shown]
	ds_store_2addr_b32 v32, v35, v3 offset1:12
	v_cndmask_b32_e32 v4, v4, v33, vcc_lo
	v_cmp_eq_u32_e32 vcc_lo, 0, v0
	s_waitcnt lgkmcnt(0)
	s_waitcnt_vscnt null, 0x0
	s_barrier
	buffer_gl0_inv
	v_cndmask_b32_e32 v2, v2, v33, vcc_lo
	s_and_saveexec_b32 s1, s0
	s_cbranch_execz .LBB73_19
; %bb.18:
	v_mov_b32_e32 v3, 0
	ds_load_b32 v32, v34
	ds_load_b32 v3, v3 offset:4
	s_waitcnt lgkmcnt(1)
	v_fma_f32 v32, v33, v32, 0
	s_waitcnt lgkmcnt(0)
	s_delay_alu instid0(VALU_DEP_1)
	v_mul_f32_e32 v3, v32, v3
.LBB73_19:
	s_or_b32 exec_lo, exec_lo, s1
	v_cmp_gt_u32_e32 vcc_lo, 2, v0
	s_barrier
	buffer_gl0_inv
	ds_store_b32 v34, v4
	s_waitcnt lgkmcnt(0)
	s_barrier
	buffer_gl0_inv
	s_and_saveexec_b32 s2, vcc_lo
	s_cbranch_execz .LBB73_21
; %bb.20:
	v_cmp_eq_u32_e64 s1, 1, v0
	ds_load_b32 v35, v34
	v_cndmask_b32_e64 v32, v2, v3, s1
	v_cmp_eq_u32_e64 s1, 2, v0
	s_delay_alu instid0(VALU_DEP_1) | instskip(SKIP_2) | instid1(VALU_DEP_2)
	v_cndmask_b32_e64 v4, v32, v4, s1
	v_cmp_eq_u32_e64 s1, 3, v0
	v_mov_b32_e32 v32, 0
	v_cndmask_b32_e64 v4, v4, v5, s1
	v_cmp_eq_u32_e64 s1, 4, v0
	ds_load_2addr_b32 v[32:33], v32 offset0:2 offset1:13
	v_cndmask_b32_e64 v4, v4, v6, s1
	v_cmp_eq_u32_e64 s1, 5, v0
	s_delay_alu instid0(VALU_DEP_1) | instskip(SKIP_1) | instid1(VALU_DEP_1)
	v_cndmask_b32_e64 v4, v4, v7, s1
	v_cmp_eq_u32_e64 s1, 6, v0
	v_cndmask_b32_e64 v4, v4, v8, s1
	v_cmp_eq_u32_e64 s1, 7, v0
	s_delay_alu instid0(VALU_DEP_1) | instskip(SKIP_1) | instid1(VALU_DEP_1)
	v_cndmask_b32_e64 v4, v4, v9, s1
	v_cmp_eq_u32_e64 s1, 8, v0
	v_cndmask_b32_e64 v4, v4, v10, s1
	v_cmp_eq_u32_e64 s1, 9, v0
	s_delay_alu instid0(VALU_DEP_1) | instskip(SKIP_1) | instid1(VALU_DEP_1)
	v_cndmask_b32_e64 v4, v4, v11, s1
	s_waitcnt lgkmcnt(1)
	v_fma_f32 v4, v4, v35, 0
	s_waitcnt lgkmcnt(0)
	s_delay_alu instid0(VALU_DEP_1) | instskip(NEXT) | instid1(VALU_DEP_1)
	v_fma_f32 v33, v3, v33, v4
	v_cndmask_b32_e64 v4, v4, v33, s0
	s_delay_alu instid0(VALU_DEP_1)
	v_mul_f32_e32 v4, v4, v32
.LBB73_21:
	s_or_b32 exec_lo, exec_lo, s2
	s_delay_alu instid0(SALU_CYCLE_1)
	s_mov_b32 s3, exec_lo
	s_barrier
	buffer_gl0_inv
	ds_store_b32 v34, v5
	s_waitcnt lgkmcnt(0)
	s_barrier
	buffer_gl0_inv
	v_cmpx_gt_u32_e32 3, v0
	s_cbranch_execz .LBB73_25
; %bb.22:
	v_mov_b32_e32 v33, v1
	v_lshl_add_u32 v36, v0, 2, 48
	v_dual_mov_b32 v35, 0 :: v_dual_mov_b32 v32, v0
	s_mov_b32 s4, 0
.LBB73_23:                              ; =>This Inner Loop Header: Depth=1
	s_delay_alu instid0(VALU_DEP_1) | instskip(SKIP_3) | instid1(VALU_DEP_1)
	v_cmp_eq_u32_e64 s1, 1, v32
	ds_load_b32 v38, v36
	v_cndmask_b32_e64 v37, v2, v3, s1
	v_cmp_eq_u32_e64 s1, 2, v32
	v_cndmask_b32_e64 v37, v37, v4, s1
	v_cmp_eq_u32_e64 s1, 3, v32
	s_delay_alu instid0(VALU_DEP_1) | instskip(SKIP_1) | instid1(VALU_DEP_1)
	v_cndmask_b32_e64 v37, v37, v5, s1
	v_cmp_eq_u32_e64 s1, 4, v32
	v_cndmask_b32_e64 v37, v37, v6, s1
	v_cmp_eq_u32_e64 s1, 5, v32
	s_delay_alu instid0(VALU_DEP_1) | instskip(SKIP_1) | instid1(VALU_DEP_1)
	;; [unrolled: 5-line block ×3, first 2 shown]
	v_cndmask_b32_e64 v37, v37, v9, s1
	v_cmp_eq_u32_e64 s1, 8, v32
	v_cndmask_b32_e64 v37, v37, v10, s1
	v_cmp_eq_u32_e64 s1, 9, v32
	v_add_co_u32 v32, s2, v32, 1
	s_delay_alu instid0(VALU_DEP_1) | instskip(NEXT) | instid1(VALU_DEP_3)
	v_add_co_ci_u32_e64 v33, s2, 0, v33, s2
	v_cndmask_b32_e64 v37, v37, v11, s1
	s_delay_alu instid0(VALU_DEP_3) | instskip(SKIP_1) | instid1(VALU_DEP_2)
	v_add_nc_u32_e32 v39, -1, v32
	s_waitcnt lgkmcnt(0)
	v_dual_fmac_f32 v35, v37, v38 :: v_dual_add_nc_u32 v36, 4, v36
	s_delay_alu instid0(VALU_DEP_2) | instskip(NEXT) | instid1(VALU_DEP_1)
	v_cmp_lt_u32_e64 s1, 1, v39
	s_or_b32 s4, s1, s4
	s_delay_alu instid0(SALU_CYCLE_1)
	s_and_not1_b32 exec_lo, exec_lo, s4
	s_cbranch_execnz .LBB73_23
; %bb.24:
	s_or_b32 exec_lo, exec_lo, s4
	v_mov_b32_e32 v5, 0
	ds_load_b32 v5, v5 offset:12
	s_waitcnt lgkmcnt(0)
	v_mul_f32_e32 v5, v35, v5
.LBB73_25:
	s_or_b32 exec_lo, exec_lo, s3
	v_cmp_gt_u32_e64 s1, 4, v0
	s_barrier
	buffer_gl0_inv
	ds_store_b32 v34, v6
	s_waitcnt lgkmcnt(0)
	s_barrier
	buffer_gl0_inv
	s_and_saveexec_b32 s4, s1
	s_cbranch_execz .LBB73_29
; %bb.26:
	v_mov_b32_e32 v33, v1
	v_lshl_add_u32 v36, v0, 2, 48
	v_dual_mov_b32 v35, 0 :: v_dual_mov_b32 v32, v0
	s_mov_b32 s5, 0
.LBB73_27:                              ; =>This Inner Loop Header: Depth=1
	s_delay_alu instid0(VALU_DEP_1) | instskip(SKIP_3) | instid1(VALU_DEP_1)
	v_cmp_eq_u32_e64 s2, 1, v32
	ds_load_b32 v38, v36
	v_cndmask_b32_e64 v37, v2, v3, s2
	v_cmp_eq_u32_e64 s2, 2, v32
	v_cndmask_b32_e64 v37, v37, v4, s2
	v_cmp_eq_u32_e64 s2, 3, v32
	s_delay_alu instid0(VALU_DEP_1) | instskip(SKIP_1) | instid1(VALU_DEP_1)
	v_cndmask_b32_e64 v37, v37, v5, s2
	v_cmp_eq_u32_e64 s2, 4, v32
	v_cndmask_b32_e64 v37, v37, v6, s2
	v_cmp_eq_u32_e64 s2, 5, v32
	s_delay_alu instid0(VALU_DEP_1) | instskip(SKIP_1) | instid1(VALU_DEP_1)
	;; [unrolled: 5-line block ×3, first 2 shown]
	v_cndmask_b32_e64 v37, v37, v9, s2
	v_cmp_eq_u32_e64 s2, 8, v32
	v_cndmask_b32_e64 v37, v37, v10, s2
	v_cmp_eq_u32_e64 s2, 9, v32
	v_add_co_u32 v32, s3, v32, 1
	s_delay_alu instid0(VALU_DEP_1) | instskip(NEXT) | instid1(VALU_DEP_3)
	v_add_co_ci_u32_e64 v33, s3, 0, v33, s3
	v_cndmask_b32_e64 v37, v37, v11, s2
	s_delay_alu instid0(VALU_DEP_3) | instskip(SKIP_1) | instid1(VALU_DEP_2)
	v_add_nc_u32_e32 v39, -1, v32
	s_waitcnt lgkmcnt(0)
	v_dual_fmac_f32 v35, v37, v38 :: v_dual_add_nc_u32 v36, 4, v36
	s_delay_alu instid0(VALU_DEP_2) | instskip(NEXT) | instid1(VALU_DEP_1)
	v_cmp_lt_u32_e64 s2, 2, v39
	s_or_b32 s5, s2, s5
	s_delay_alu instid0(SALU_CYCLE_1)
	s_and_not1_b32 exec_lo, exec_lo, s5
	s_cbranch_execnz .LBB73_27
; %bb.28:
	s_or_b32 exec_lo, exec_lo, s5
	v_mov_b32_e32 v6, 0
	ds_load_b32 v6, v6 offset:16
	s_waitcnt lgkmcnt(0)
	v_mul_f32_e32 v6, v35, v6
.LBB73_29:
	s_or_b32 exec_lo, exec_lo, s4
	s_delay_alu instid0(SALU_CYCLE_1)
	s_mov_b32 s4, exec_lo
	s_barrier
	buffer_gl0_inv
	ds_store_b32 v34, v7
	s_waitcnt lgkmcnt(0)
	s_barrier
	buffer_gl0_inv
	v_cmpx_gt_u32_e32 5, v0
	s_cbranch_execz .LBB73_33
; %bb.30:
	v_mov_b32_e32 v33, v1
	v_lshl_add_u32 v36, v0, 2, 48
	v_dual_mov_b32 v35, 0 :: v_dual_mov_b32 v32, v0
	s_mov_b32 s5, 0
.LBB73_31:                              ; =>This Inner Loop Header: Depth=1
	s_delay_alu instid0(VALU_DEP_1) | instskip(SKIP_3) | instid1(VALU_DEP_1)
	v_cmp_eq_u32_e64 s2, 1, v32
	ds_load_b32 v38, v36
	v_cndmask_b32_e64 v37, v2, v3, s2
	v_cmp_eq_u32_e64 s2, 2, v32
	v_cndmask_b32_e64 v37, v37, v4, s2
	v_cmp_eq_u32_e64 s2, 3, v32
	s_delay_alu instid0(VALU_DEP_1) | instskip(SKIP_1) | instid1(VALU_DEP_1)
	v_cndmask_b32_e64 v37, v37, v5, s2
	v_cmp_eq_u32_e64 s2, 4, v32
	v_cndmask_b32_e64 v37, v37, v6, s2
	v_cmp_eq_u32_e64 s2, 5, v32
	s_delay_alu instid0(VALU_DEP_1) | instskip(SKIP_1) | instid1(VALU_DEP_1)
	;; [unrolled: 5-line block ×3, first 2 shown]
	v_cndmask_b32_e64 v37, v37, v9, s2
	v_cmp_eq_u32_e64 s2, 8, v32
	v_cndmask_b32_e64 v37, v37, v10, s2
	v_cmp_eq_u32_e64 s2, 9, v32
	v_add_co_u32 v32, s3, v32, 1
	s_delay_alu instid0(VALU_DEP_1) | instskip(NEXT) | instid1(VALU_DEP_3)
	v_add_co_ci_u32_e64 v33, s3, 0, v33, s3
	v_cndmask_b32_e64 v37, v37, v11, s2
	s_delay_alu instid0(VALU_DEP_3) | instskip(SKIP_1) | instid1(VALU_DEP_2)
	v_add_nc_u32_e32 v39, -1, v32
	s_waitcnt lgkmcnt(0)
	v_dual_fmac_f32 v35, v37, v38 :: v_dual_add_nc_u32 v36, 4, v36
	s_delay_alu instid0(VALU_DEP_2) | instskip(NEXT) | instid1(VALU_DEP_1)
	v_cmp_lt_u32_e64 s2, 3, v39
	s_or_b32 s5, s2, s5
	s_delay_alu instid0(SALU_CYCLE_1)
	s_and_not1_b32 exec_lo, exec_lo, s5
	s_cbranch_execnz .LBB73_31
; %bb.32:
	s_or_b32 exec_lo, exec_lo, s5
	v_mov_b32_e32 v7, 0
	ds_load_b32 v7, v7 offset:20
	s_waitcnt lgkmcnt(0)
	v_mul_f32_e32 v7, v35, v7
.LBB73_33:
	s_or_b32 exec_lo, exec_lo, s4
	v_cmp_gt_u32_e64 s2, 6, v0
	s_barrier
	buffer_gl0_inv
	ds_store_b32 v34, v8
	s_waitcnt lgkmcnt(0)
	s_barrier
	buffer_gl0_inv
	s_and_saveexec_b32 s5, s2
	s_cbranch_execz .LBB73_37
; %bb.34:
	v_mov_b32_e32 v33, v1
	v_lshl_add_u32 v36, v0, 2, 48
	v_dual_mov_b32 v35, 0 :: v_dual_mov_b32 v32, v0
	s_mov_b32 s13, 0
.LBB73_35:                              ; =>This Inner Loop Header: Depth=1
	s_delay_alu instid0(VALU_DEP_1) | instskip(SKIP_3) | instid1(VALU_DEP_1)
	v_cmp_eq_u32_e64 s3, 1, v32
	ds_load_b32 v38, v36
	v_cndmask_b32_e64 v37, v2, v3, s3
	v_cmp_eq_u32_e64 s3, 2, v32
	v_cndmask_b32_e64 v37, v37, v4, s3
	v_cmp_eq_u32_e64 s3, 3, v32
	s_delay_alu instid0(VALU_DEP_1) | instskip(SKIP_1) | instid1(VALU_DEP_1)
	v_cndmask_b32_e64 v37, v37, v5, s3
	v_cmp_eq_u32_e64 s3, 4, v32
	v_cndmask_b32_e64 v37, v37, v6, s3
	v_cmp_eq_u32_e64 s3, 5, v32
	s_delay_alu instid0(VALU_DEP_1) | instskip(SKIP_1) | instid1(VALU_DEP_1)
	;; [unrolled: 5-line block ×3, first 2 shown]
	v_cndmask_b32_e64 v37, v37, v9, s3
	v_cmp_eq_u32_e64 s3, 8, v32
	v_cndmask_b32_e64 v37, v37, v10, s3
	v_cmp_eq_u32_e64 s3, 9, v32
	v_add_co_u32 v32, s4, v32, 1
	s_delay_alu instid0(VALU_DEP_1) | instskip(NEXT) | instid1(VALU_DEP_3)
	v_add_co_ci_u32_e64 v33, s4, 0, v33, s4
	v_cndmask_b32_e64 v37, v37, v11, s3
	s_delay_alu instid0(VALU_DEP_3) | instskip(SKIP_1) | instid1(VALU_DEP_2)
	v_add_nc_u32_e32 v39, -1, v32
	s_waitcnt lgkmcnt(0)
	v_dual_fmac_f32 v35, v37, v38 :: v_dual_add_nc_u32 v36, 4, v36
	s_delay_alu instid0(VALU_DEP_2) | instskip(NEXT) | instid1(VALU_DEP_1)
	v_cmp_lt_u32_e64 s3, 4, v39
	s_or_b32 s13, s3, s13
	s_delay_alu instid0(SALU_CYCLE_1)
	s_and_not1_b32 exec_lo, exec_lo, s13
	s_cbranch_execnz .LBB73_35
; %bb.36:
	s_or_b32 exec_lo, exec_lo, s13
	v_mov_b32_e32 v8, 0
	ds_load_b32 v8, v8 offset:24
	s_waitcnt lgkmcnt(0)
	v_mul_f32_e32 v8, v35, v8
.LBB73_37:
	s_or_b32 exec_lo, exec_lo, s5
	s_delay_alu instid0(SALU_CYCLE_1)
	s_mov_b32 s5, exec_lo
	s_barrier
	buffer_gl0_inv
	ds_store_b32 v34, v9
	s_waitcnt lgkmcnt(0)
	s_barrier
	buffer_gl0_inv
	v_cmpx_gt_u32_e32 7, v0
	s_cbranch_execz .LBB73_41
; %bb.38:
	v_mov_b32_e32 v33, v1
	v_lshl_add_u32 v36, v0, 2, 48
	v_dual_mov_b32 v35, 0 :: v_dual_mov_b32 v32, v0
	s_mov_b32 s13, 0
.LBB73_39:                              ; =>This Inner Loop Header: Depth=1
	s_delay_alu instid0(VALU_DEP_1) | instskip(SKIP_3) | instid1(VALU_DEP_1)
	v_cmp_eq_u32_e64 s3, 1, v32
	ds_load_b32 v38, v36
	v_cndmask_b32_e64 v37, v2, v3, s3
	v_cmp_eq_u32_e64 s3, 2, v32
	v_cndmask_b32_e64 v37, v37, v4, s3
	v_cmp_eq_u32_e64 s3, 3, v32
	s_delay_alu instid0(VALU_DEP_1) | instskip(SKIP_1) | instid1(VALU_DEP_1)
	v_cndmask_b32_e64 v37, v37, v5, s3
	v_cmp_eq_u32_e64 s3, 4, v32
	v_cndmask_b32_e64 v37, v37, v6, s3
	v_cmp_eq_u32_e64 s3, 5, v32
	s_delay_alu instid0(VALU_DEP_1) | instskip(SKIP_1) | instid1(VALU_DEP_1)
	;; [unrolled: 5-line block ×3, first 2 shown]
	v_cndmask_b32_e64 v37, v37, v9, s3
	v_cmp_eq_u32_e64 s3, 8, v32
	v_cndmask_b32_e64 v37, v37, v10, s3
	v_cmp_eq_u32_e64 s3, 9, v32
	v_add_co_u32 v32, s4, v32, 1
	s_delay_alu instid0(VALU_DEP_1) | instskip(NEXT) | instid1(VALU_DEP_3)
	v_add_co_ci_u32_e64 v33, s4, 0, v33, s4
	v_cndmask_b32_e64 v37, v37, v11, s3
	s_delay_alu instid0(VALU_DEP_3) | instskip(SKIP_1) | instid1(VALU_DEP_2)
	v_add_nc_u32_e32 v39, -1, v32
	s_waitcnt lgkmcnt(0)
	v_dual_fmac_f32 v35, v37, v38 :: v_dual_add_nc_u32 v36, 4, v36
	s_delay_alu instid0(VALU_DEP_2) | instskip(NEXT) | instid1(VALU_DEP_1)
	v_cmp_lt_u32_e64 s3, 5, v39
	s_or_b32 s13, s3, s13
	s_delay_alu instid0(SALU_CYCLE_1)
	s_and_not1_b32 exec_lo, exec_lo, s13
	s_cbranch_execnz .LBB73_39
; %bb.40:
	s_or_b32 exec_lo, exec_lo, s13
	v_mov_b32_e32 v9, 0
	ds_load_b32 v9, v9 offset:28
	s_waitcnt lgkmcnt(0)
	v_mul_f32_e32 v9, v35, v9
.LBB73_41:
	s_or_b32 exec_lo, exec_lo, s5
	s_delay_alu instid0(SALU_CYCLE_1)
	s_mov_b32 s4, exec_lo
	s_barrier
	buffer_gl0_inv
	ds_store_b32 v34, v10
	s_waitcnt lgkmcnt(0)
	s_barrier
	buffer_gl0_inv
	v_cmpx_gt_u32_e32 8, v0
	s_cbranch_execz .LBB73_57
; %bb.42:
	v_cmp_eq_u32_e64 s3, 1, v0
	ds_load_b32 v33, v34
	s_mov_b32 s5, exec_lo
	v_cndmask_b32_e64 v32, v2, v3, s3
	v_cmp_eq_u32_e64 s3, 2, v0
	s_delay_alu instid0(VALU_DEP_1) | instskip(SKIP_1) | instid1(VALU_DEP_1)
	v_cndmask_b32_e64 v32, v32, v4, s3
	v_cmp_eq_u32_e64 s3, 3, v0
	v_cndmask_b32_e64 v32, v32, v5, s3
	v_cmp_eq_u32_e64 s3, 4, v0
	s_delay_alu instid0(VALU_DEP_1) | instskip(SKIP_1) | instid1(VALU_DEP_1)
	v_cndmask_b32_e64 v32, v32, v6, s3
	v_cmp_eq_u32_e64 s3, 5, v0
	v_cndmask_b32_e64 v32, v32, v7, s3
	v_cmp_eq_u32_e64 s3, 6, v0
	s_delay_alu instid0(VALU_DEP_1) | instskip(SKIP_1) | instid1(VALU_DEP_1)
	v_cndmask_b32_e64 v32, v32, v8, s3
	v_cmp_eq_u32_e64 s3, 7, v0
	v_cndmask_b32_e64 v32, v32, v9, s3
	v_cmp_eq_u32_e64 s3, 8, v0
	s_delay_alu instid0(VALU_DEP_1) | instskip(SKIP_1) | instid1(VALU_DEP_1)
	v_cndmask_b32_e64 v32, v32, v10, s3
	v_cmp_eq_u32_e64 s3, 9, v0
	v_cndmask_b32_e64 v35, v32, v11, s3
	v_mov_b32_e32 v32, 0
	s_waitcnt lgkmcnt(0)
	s_delay_alu instid0(VALU_DEP_2)
	v_fma_f32 v33, v35, v33, 0
	v_cmpx_ne_u32_e32 7, v0
	s_cbranch_execz .LBB73_56
; %bb.43:
	v_add_nc_u32_e32 v35, 1, v0
	ds_load_b32 v37, v34 offset:4
	v_cmp_eq_u32_e64 s3, 1, v35
	s_delay_alu instid0(VALU_DEP_1) | instskip(SKIP_1) | instid1(VALU_DEP_1)
	v_cndmask_b32_e64 v36, v2, v3, s3
	v_cmp_eq_u32_e64 s3, 2, v35
	v_cndmask_b32_e64 v36, v36, v4, s3
	v_cmp_eq_u32_e64 s3, 3, v35
	s_delay_alu instid0(VALU_DEP_1) | instskip(SKIP_1) | instid1(VALU_DEP_1)
	v_cndmask_b32_e64 v36, v36, v5, s3
	v_cmp_eq_u32_e64 s3, 4, v35
	v_cndmask_b32_e64 v36, v36, v6, s3
	;; [unrolled: 5-line block ×4, first 2 shown]
	v_cmp_eq_u32_e64 s3, 9, v35
	s_delay_alu instid0(VALU_DEP_1) | instskip(SKIP_1) | instid1(VALU_DEP_1)
	v_cndmask_b32_e64 v35, v36, v11, s3
	s_waitcnt lgkmcnt(0)
	v_fmac_f32_e32 v33, v35, v37
	s_and_saveexec_b32 s3, s2
	s_cbranch_execz .LBB73_55
; %bb.44:
	v_add_nc_u32_e32 v35, 2, v0
	ds_load_b32 v37, v34 offset:8
	s_mov_b32 s13, exec_lo
	v_cmp_eq_u32_e64 s2, 1, v35
	s_delay_alu instid0(VALU_DEP_1) | instskip(SKIP_1) | instid1(VALU_DEP_1)
	v_cndmask_b32_e64 v36, v2, v3, s2
	v_cmp_eq_u32_e64 s2, 2, v35
	v_cndmask_b32_e64 v36, v36, v4, s2
	v_cmp_eq_u32_e64 s2, 3, v35
	s_delay_alu instid0(VALU_DEP_1) | instskip(SKIP_1) | instid1(VALU_DEP_1)
	v_cndmask_b32_e64 v36, v36, v5, s2
	v_cmp_eq_u32_e64 s2, 4, v35
	v_cndmask_b32_e64 v36, v36, v6, s2
	;; [unrolled: 5-line block ×4, first 2 shown]
	v_cmp_eq_u32_e64 s2, 9, v35
	s_delay_alu instid0(VALU_DEP_1) | instskip(SKIP_1) | instid1(VALU_DEP_1)
	v_cndmask_b32_e64 v35, v36, v11, s2
	s_waitcnt lgkmcnt(0)
	v_fmac_f32_e32 v33, v35, v37
	v_cmpx_ne_u32_e32 5, v0
	s_cbranch_execz .LBB73_54
; %bb.45:
	v_add_nc_u32_e32 v35, 3, v0
	ds_load_b32 v37, v34 offset:12
	v_cmp_eq_u32_e64 s2, 1, v35
	s_delay_alu instid0(VALU_DEP_1) | instskip(SKIP_1) | instid1(VALU_DEP_1)
	v_cndmask_b32_e64 v36, v2, v3, s2
	v_cmp_eq_u32_e64 s2, 2, v35
	v_cndmask_b32_e64 v36, v36, v4, s2
	v_cmp_eq_u32_e64 s2, 3, v35
	s_delay_alu instid0(VALU_DEP_1) | instskip(SKIP_1) | instid1(VALU_DEP_1)
	v_cndmask_b32_e64 v36, v36, v5, s2
	v_cmp_eq_u32_e64 s2, 4, v35
	v_cndmask_b32_e64 v36, v36, v6, s2
	;; [unrolled: 5-line block ×4, first 2 shown]
	v_cmp_eq_u32_e64 s2, 9, v35
	s_delay_alu instid0(VALU_DEP_1) | instskip(SKIP_1) | instid1(VALU_DEP_1)
	v_cndmask_b32_e64 v35, v36, v11, s2
	s_waitcnt lgkmcnt(0)
	v_fmac_f32_e32 v33, v35, v37
	s_and_saveexec_b32 s2, s1
	s_cbranch_execz .LBB73_53
; %bb.46:
	v_or_b32_e32 v35, 4, v0
	ds_load_b32 v37, v34 offset:16
	s_mov_b32 s14, exec_lo
	v_cmp_eq_u32_e64 s1, 1, v35
	s_delay_alu instid0(VALU_DEP_1) | instskip(SKIP_1) | instid1(VALU_DEP_1)
	v_cndmask_b32_e64 v36, v2, v3, s1
	v_cmp_eq_u32_e64 s1, 2, v35
	v_cndmask_b32_e64 v36, v36, v4, s1
	v_cmp_eq_u32_e64 s1, 3, v35
	s_delay_alu instid0(VALU_DEP_1) | instskip(SKIP_1) | instid1(VALU_DEP_1)
	v_cndmask_b32_e64 v36, v36, v5, s1
	v_cmp_eq_u32_e64 s1, 4, v35
	v_cndmask_b32_e64 v36, v36, v6, s1
	;; [unrolled: 5-line block ×4, first 2 shown]
	v_cmp_eq_u32_e64 s1, 9, v35
	s_delay_alu instid0(VALU_DEP_1) | instskip(SKIP_1) | instid1(VALU_DEP_1)
	v_cndmask_b32_e64 v35, v36, v11, s1
	s_waitcnt lgkmcnt(0)
	v_fmac_f32_e32 v33, v35, v37
	v_cmpx_ne_u32_e32 3, v0
	s_cbranch_execz .LBB73_52
; %bb.47:
	v_add_nc_u32_e32 v35, 5, v0
	ds_load_b32 v37, v34 offset:20
	v_cmp_eq_u32_e64 s1, 1, v35
	s_delay_alu instid0(VALU_DEP_1) | instskip(SKIP_1) | instid1(VALU_DEP_1)
	v_cndmask_b32_e64 v36, v2, v3, s1
	v_cmp_eq_u32_e64 s1, 2, v35
	v_cndmask_b32_e64 v36, v36, v4, s1
	v_cmp_eq_u32_e64 s1, 3, v35
	s_delay_alu instid0(VALU_DEP_1) | instskip(SKIP_1) | instid1(VALU_DEP_1)
	v_cndmask_b32_e64 v36, v36, v5, s1
	v_cmp_eq_u32_e64 s1, 4, v35
	v_cndmask_b32_e64 v36, v36, v6, s1
	;; [unrolled: 5-line block ×4, first 2 shown]
	v_cmp_eq_u32_e64 s1, 9, v35
	s_delay_alu instid0(VALU_DEP_1) | instskip(SKIP_1) | instid1(VALU_DEP_1)
	v_cndmask_b32_e64 v35, v36, v11, s1
	s_waitcnt lgkmcnt(0)
	v_fmac_f32_e32 v33, v35, v37
	s_and_saveexec_b32 s1, vcc_lo
	s_cbranch_execz .LBB73_51
; %bb.48:
	v_or_b32_e32 v35, 6, v0
	ds_load_b32 v37, v34 offset:24
	v_cmp_eq_u32_e32 vcc_lo, 1, v35
	v_cndmask_b32_e32 v36, v2, v3, vcc_lo
	v_cmp_eq_u32_e32 vcc_lo, 2, v35
	s_delay_alu instid0(VALU_DEP_2) | instskip(SKIP_1) | instid1(VALU_DEP_2)
	v_cndmask_b32_e32 v36, v36, v4, vcc_lo
	v_cmp_eq_u32_e32 vcc_lo, 3, v35
	v_cndmask_b32_e32 v36, v36, v5, vcc_lo
	v_cmp_eq_u32_e32 vcc_lo, 4, v35
	s_delay_alu instid0(VALU_DEP_2) | instskip(SKIP_1) | instid1(VALU_DEP_2)
	v_cndmask_b32_e32 v36, v36, v6, vcc_lo
	;; [unrolled: 5-line block ×4, first 2 shown]
	v_cmp_eq_u32_e32 vcc_lo, 9, v35
	v_cndmask_b32_e32 v10, v10, v11, vcc_lo
	s_waitcnt lgkmcnt(0)
	s_delay_alu instid0(VALU_DEP_1)
	v_fmac_f32_e32 v33, v10, v37
	s_and_saveexec_b32 s15, s0
	s_cbranch_execz .LBB73_50
; %bb.49:
	ds_load_b32 v10, v34 offset:28
	s_waitcnt lgkmcnt(0)
	v_fmac_f32_e32 v33, v9, v10
.LBB73_50:
	s_or_b32 exec_lo, exec_lo, s15
.LBB73_51:
	s_delay_alu instid0(SALU_CYCLE_1)
	s_or_b32 exec_lo, exec_lo, s1
.LBB73_52:
	s_delay_alu instid0(SALU_CYCLE_1)
	s_or_b32 exec_lo, exec_lo, s14
.LBB73_53:
	s_delay_alu instid0(SALU_CYCLE_1)
	s_or_b32 exec_lo, exec_lo, s2
.LBB73_54:
	s_delay_alu instid0(SALU_CYCLE_1)
	s_or_b32 exec_lo, exec_lo, s13
.LBB73_55:
	s_delay_alu instid0(SALU_CYCLE_1)
	s_or_b32 exec_lo, exec_lo, s3
.LBB73_56:
	s_delay_alu instid0(SALU_CYCLE_1)
	s_or_b32 exec_lo, exec_lo, s5
	ds_load_b32 v10, v32 offset:32
	s_waitcnt lgkmcnt(0)
	v_mul_f32_e32 v10, v33, v10
.LBB73_57:
	s_or_b32 exec_lo, exec_lo, s4
	s_delay_alu instid0(SALU_CYCLE_1)
	s_mov_b32 s1, exec_lo
	s_barrier
	buffer_gl0_inv
	ds_store_b32 v34, v11
	s_waitcnt lgkmcnt(0)
	s_barrier
	buffer_gl0_inv
	v_cmpx_ne_u32_e32 9, v0
	s_cbranch_execz .LBB73_61
; %bb.58:
	v_dual_mov_b32 v34, 0 :: v_dual_mov_b32 v33, v1
	v_lshl_add_u32 v35, v0, 2, 48
	v_mov_b32_e32 v32, v0
	s_mov_b32 s2, 0
	.p2align	6
.LBB73_59:                              ; =>This Inner Loop Header: Depth=1
	s_delay_alu instid0(VALU_DEP_1) | instskip(SKIP_3) | instid1(VALU_DEP_2)
	v_cmp_eq_u32_e32 vcc_lo, 1, v32
	ds_load_b32 v36, v35
	v_cndmask_b32_e32 v1, v2, v3, vcc_lo
	v_cmp_eq_u32_e32 vcc_lo, 2, v32
	v_cndmask_b32_e32 v1, v1, v4, vcc_lo
	v_cmp_eq_u32_e32 vcc_lo, 3, v32
	s_delay_alu instid0(VALU_DEP_2) | instskip(SKIP_1) | instid1(VALU_DEP_2)
	v_cndmask_b32_e32 v1, v1, v5, vcc_lo
	v_cmp_eq_u32_e32 vcc_lo, 4, v32
	v_cndmask_b32_e32 v1, v1, v6, vcc_lo
	v_cmp_eq_u32_e32 vcc_lo, 5, v32
	s_delay_alu instid0(VALU_DEP_2) | instskip(SKIP_1) | instid1(VALU_DEP_2)
	;; [unrolled: 5-line block ×3, first 2 shown]
	v_cndmask_b32_e32 v1, v1, v9, vcc_lo
	v_cmp_eq_u32_e32 vcc_lo, 8, v32
	v_cndmask_b32_e32 v1, v1, v10, vcc_lo
	v_cmp_eq_u32_e32 vcc_lo, 9, v32
	v_add_co_u32 v32, s0, v32, 1
	s_delay_alu instid0(VALU_DEP_1) | instskip(NEXT) | instid1(VALU_DEP_4)
	v_add_co_ci_u32_e64 v33, s0, 0, v33, s0
	v_cndmask_b32_e32 v1, v1, v11, vcc_lo
	s_delay_alu instid0(VALU_DEP_3) | instskip(SKIP_1) | instid1(VALU_DEP_2)
	v_add_nc_u32_e32 v37, -1, v32
	s_waitcnt lgkmcnt(0)
	v_dual_fmac_f32 v34, v1, v36 :: v_dual_add_nc_u32 v35, 4, v35
	s_delay_alu instid0(VALU_DEP_2) | instskip(SKIP_1) | instid1(SALU_CYCLE_1)
	v_cmp_lt_u32_e32 vcc_lo, 7, v37
	s_or_b32 s2, vcc_lo, s2
	s_and_not1_b32 exec_lo, exec_lo, s2
	s_cbranch_execnz .LBB73_59
; %bb.60:
	s_or_b32 exec_lo, exec_lo, s2
	v_mov_b32_e32 v1, 0
	ds_load_b32 v1, v1 offset:36
	s_waitcnt lgkmcnt(0)
	v_mul_f32_e32 v11, v34, v1
.LBB73_61:
	s_or_b32 exec_lo, exec_lo, s1
	s_barrier
	buffer_gl0_inv
	s_cbranch_execnz .LBB73_15
	s_branch .LBB73_16
.LBB73_62:
	v_lshl_add_u32 v1, v0, 2, 48
	s_mov_b32 s0, exec_lo
	v_cmpx_eq_u32_e32 9, v0
	s_cbranch_execz .LBB73_64
; %bb.63:
	s_mov_b32 s1, 0
	ds_store_b32 v1, v10
	v_mov_b32_e32 v10, s1
.LBB73_64:
	s_or_b32 exec_lo, exec_lo, s0
	v_mov_b32_e32 v32, 0
	s_waitcnt lgkmcnt(0)
	s_waitcnt_vscnt null, 0x0
	s_barrier
	buffer_gl0_inv
	s_mov_b32 s0, exec_lo
	ds_load_b32 v33, v32 offset:84
	s_waitcnt lgkmcnt(0)
	v_fma_f32 v33, v11, v33, 0
	s_delay_alu instid0(VALU_DEP_1)
	v_sub_f32_e32 v10, v10, v33
	v_cmpx_lt_u32_e32 7, v0
	s_cbranch_execz .LBB73_66
; %bb.65:
	s_mov_b32 s1, 0
	s_delay_alu instid0(VALU_DEP_2)
	v_dual_mov_b32 v42, v11 :: v_dual_mov_b32 v41, v10
	v_dual_mov_b32 v40, v9 :: v_dual_mov_b32 v39, v8
	;; [unrolled: 1-line block ×5, first 2 shown]
	v_mov_b32_e32 v40, s1
	ds_store_b32 v1, v9
	v_dual_mov_b32 v2, v33 :: v_dual_mov_b32 v3, v34
	v_dual_mov_b32 v4, v35 :: v_dual_mov_b32 v5, v36
	;; [unrolled: 1-line block ×5, first 2 shown]
.LBB73_66:
	s_or_b32 exec_lo, exec_lo, s0
	s_waitcnt lgkmcnt(0)
	s_barrier
	buffer_gl0_inv
	ds_load_b64 v[32:33], v32 offset:80
	s_mov_b32 s0, exec_lo
	s_waitcnt lgkmcnt(0)
	v_fma_f32 v32, v10, v32, 0
	s_delay_alu instid0(VALU_DEP_1) | instskip(NEXT) | instid1(VALU_DEP_1)
	v_fmac_f32_e32 v32, v11, v33
	v_sub_f32_e32 v9, v9, v32
	v_cmpx_lt_u32_e32 6, v0
	s_cbranch_execz .LBB73_68
; %bb.67:
	s_mov_b32 s1, 0
	v_dual_mov_b32 v41, v11 :: v_dual_mov_b32 v40, v10
	v_dual_mov_b32 v39, v9 :: v_dual_mov_b32 v38, v8
	;; [unrolled: 1-line block ×5, first 2 shown]
	v_mov_b32_e32 v38, s1
	ds_store_b32 v1, v8
	v_dual_mov_b32 v2, v32 :: v_dual_mov_b32 v3, v33
	v_dual_mov_b32 v4, v34 :: v_dual_mov_b32 v5, v35
	;; [unrolled: 1-line block ×5, first 2 shown]
.LBB73_68:
	s_or_b32 exec_lo, exec_lo, s0
	v_mov_b32_e32 v32, 0
	s_waitcnt lgkmcnt(0)
	s_barrier
	buffer_gl0_inv
	s_mov_b32 s0, exec_lo
	ds_load_2addr_b32 v[33:34], v32 offset0:19 offset1:20
	ds_load_b32 v35, v32 offset:84
	s_waitcnt lgkmcnt(1)
	v_fma_f32 v33, v9, v33, 0
	s_delay_alu instid0(VALU_DEP_1) | instskip(SKIP_1) | instid1(VALU_DEP_1)
	v_fmac_f32_e32 v33, v10, v34
	s_waitcnt lgkmcnt(0)
	v_fmac_f32_e32 v33, v11, v35
	s_delay_alu instid0(VALU_DEP_1)
	v_sub_f32_e32 v8, v8, v33
	v_cmpx_lt_u32_e32 5, v0
	s_cbranch_execz .LBB73_70
; %bb.69:
	s_mov_b32 s1, 0
	v_dual_mov_b32 v42, v11 :: v_dual_mov_b32 v41, v10
	v_dual_mov_b32 v38, v7 :: v_dual_mov_b32 v37, v6
	;; [unrolled: 1-line block ×5, first 2 shown]
	v_mov_b32_e32 v38, s1
	ds_store_b32 v1, v7
	v_dual_mov_b32 v2, v33 :: v_dual_mov_b32 v3, v34
	v_dual_mov_b32 v4, v35 :: v_dual_mov_b32 v5, v36
	;; [unrolled: 1-line block ×5, first 2 shown]
.LBB73_70:
	s_or_b32 exec_lo, exec_lo, s0
	s_waitcnt lgkmcnt(0)
	s_barrier
	buffer_gl0_inv
	ds_load_2addr_b64 v[32:35], v32 offset0:9 offset1:10
	s_mov_b32 s0, exec_lo
	s_waitcnt lgkmcnt(0)
	v_fma_f32 v32, v8, v32, 0
	s_delay_alu instid0(VALU_DEP_1) | instskip(NEXT) | instid1(VALU_DEP_1)
	v_fmac_f32_e32 v32, v9, v33
	v_fmac_f32_e32 v32, v10, v34
	s_delay_alu instid0(VALU_DEP_1) | instskip(NEXT) | instid1(VALU_DEP_1)
	v_fmac_f32_e32 v32, v11, v35
	v_sub_f32_e32 v7, v7, v32
	v_cmpx_lt_u32_e32 4, v0
	s_cbranch_execz .LBB73_72
; %bb.71:
	s_mov_b32 s1, 0
	v_dual_mov_b32 v41, v11 :: v_dual_mov_b32 v40, v10
	v_dual_mov_b32 v37, v7 :: v_dual_mov_b32 v36, v6
	;; [unrolled: 1-line block ×5, first 2 shown]
	v_mov_b32_e32 v36, s1
	ds_store_b32 v1, v6
	v_dual_mov_b32 v2, v32 :: v_dual_mov_b32 v3, v33
	v_dual_mov_b32 v4, v34 :: v_dual_mov_b32 v5, v35
	;; [unrolled: 1-line block ×5, first 2 shown]
.LBB73_72:
	s_or_b32 exec_lo, exec_lo, s0
	v_mov_b32_e32 v32, 0
	s_waitcnt lgkmcnt(0)
	s_barrier
	buffer_gl0_inv
	s_mov_b32 s0, exec_lo
	ds_load_2addr_b32 v[33:34], v32 offset0:17 offset1:18
	ds_load_2addr_b32 v[35:36], v32 offset0:19 offset1:20
	ds_load_b32 v37, v32 offset:84
	s_waitcnt lgkmcnt(2)
	v_fma_f32 v33, v7, v33, 0
	s_delay_alu instid0(VALU_DEP_1) | instskip(SKIP_1) | instid1(VALU_DEP_1)
	v_fmac_f32_e32 v33, v8, v34
	s_waitcnt lgkmcnt(1)
	v_fmac_f32_e32 v33, v9, v35
	s_delay_alu instid0(VALU_DEP_1) | instskip(SKIP_1) | instid1(VALU_DEP_1)
	v_fmac_f32_e32 v33, v10, v36
	s_waitcnt lgkmcnt(0)
	v_fmac_f32_e32 v33, v11, v37
	s_delay_alu instid0(VALU_DEP_1)
	v_sub_f32_e32 v6, v6, v33
	v_cmpx_lt_u32_e32 3, v0
	s_cbranch_execz .LBB73_74
; %bb.73:
	s_mov_b32 s1, 0
	v_dual_mov_b32 v42, v11 :: v_dual_mov_b32 v41, v10
	v_dual_mov_b32 v36, v5 :: v_dual_mov_b32 v35, v4
	;; [unrolled: 1-line block ×5, first 2 shown]
	v_mov_b32_e32 v36, s1
	ds_store_b32 v1, v5
	v_dual_mov_b32 v2, v33 :: v_dual_mov_b32 v3, v34
	v_dual_mov_b32 v4, v35 :: v_dual_mov_b32 v5, v36
	;; [unrolled: 1-line block ×5, first 2 shown]
.LBB73_74:
	s_or_b32 exec_lo, exec_lo, s0
	s_waitcnt lgkmcnt(0)
	s_barrier
	buffer_gl0_inv
	ds_load_b128 v[33:36], v32 offset:64
	ds_load_b64 v[37:38], v32 offset:80
	s_mov_b32 s0, exec_lo
	s_waitcnt lgkmcnt(1)
	v_fma_f32 v32, v6, v33, 0
	s_delay_alu instid0(VALU_DEP_1) | instskip(NEXT) | instid1(VALU_DEP_1)
	v_fmac_f32_e32 v32, v7, v34
	v_fmac_f32_e32 v32, v8, v35
	s_delay_alu instid0(VALU_DEP_1) | instskip(SKIP_1) | instid1(VALU_DEP_1)
	v_fmac_f32_e32 v32, v9, v36
	s_waitcnt lgkmcnt(0)
	v_fmac_f32_e32 v32, v10, v37
	s_delay_alu instid0(VALU_DEP_1) | instskip(NEXT) | instid1(VALU_DEP_1)
	v_fmac_f32_e32 v32, v11, v38
	v_sub_f32_e32 v5, v5, v32
	v_cmpx_lt_u32_e32 2, v0
	s_cbranch_execz .LBB73_76
; %bb.75:
	s_mov_b32 s1, 0
	v_dual_mov_b32 v41, v11 :: v_dual_mov_b32 v40, v10
	v_dual_mov_b32 v35, v5 :: v_dual_mov_b32 v34, v4
	;; [unrolled: 1-line block ×5, first 2 shown]
	v_mov_b32_e32 v34, s1
	ds_store_b32 v1, v4
	v_dual_mov_b32 v2, v32 :: v_dual_mov_b32 v3, v33
	v_dual_mov_b32 v5, v35 :: v_dual_mov_b32 v4, v34
	;; [unrolled: 1-line block ×5, first 2 shown]
.LBB73_76:
	s_or_b32 exec_lo, exec_lo, s0
	v_mov_b32_e32 v32, 0
	s_waitcnt lgkmcnt(0)
	s_barrier
	buffer_gl0_inv
	s_mov_b32 s0, exec_lo
	ds_load_2addr_b32 v[33:34], v32 offset0:15 offset1:16
	ds_load_2addr_b32 v[35:36], v32 offset0:17 offset1:18
	;; [unrolled: 1-line block ×3, first 2 shown]
	ds_load_b32 v39, v32 offset:84
	s_waitcnt lgkmcnt(3)
	v_fma_f32 v33, v5, v33, 0
	s_delay_alu instid0(VALU_DEP_1) | instskip(SKIP_1) | instid1(VALU_DEP_1)
	v_fmac_f32_e32 v33, v6, v34
	s_waitcnt lgkmcnt(2)
	v_fmac_f32_e32 v33, v7, v35
	s_delay_alu instid0(VALU_DEP_1) | instskip(SKIP_1) | instid1(VALU_DEP_1)
	v_fmac_f32_e32 v33, v8, v36
	s_waitcnt lgkmcnt(1)
	v_fmac_f32_e32 v33, v9, v37
	;; [unrolled: 4-line block ×3, first 2 shown]
	s_delay_alu instid0(VALU_DEP_1)
	v_sub_f32_e32 v4, v4, v33
	v_cmpx_lt_u32_e32 1, v0
	s_cbranch_execz .LBB73_78
; %bb.77:
	s_mov_b32 s1, 0
	v_dual_mov_b32 v42, v11 :: v_dual_mov_b32 v41, v10
	v_dual_mov_b32 v34, v3 :: v_dual_mov_b32 v33, v2
	;; [unrolled: 1-line block ×5, first 2 shown]
	v_mov_b32_e32 v34, s1
	ds_store_b32 v1, v3
	v_dual_mov_b32 v2, v33 :: v_dual_mov_b32 v5, v36
	v_dual_mov_b32 v4, v35 :: v_dual_mov_b32 v3, v34
	;; [unrolled: 1-line block ×5, first 2 shown]
.LBB73_78:
	s_or_b32 exec_lo, exec_lo, s0
	s_waitcnt lgkmcnt(0)
	s_barrier
	buffer_gl0_inv
	ds_load_2addr_b64 v[33:36], v32 offset0:7 offset1:8
	ds_load_2addr_b64 v[37:40], v32 offset0:9 offset1:10
	s_mov_b32 s1, 0
	s_mov_b32 s0, exec_lo
	s_waitcnt lgkmcnt(1)
	v_fma_f32 v32, v4, v33, 0
	s_delay_alu instid0(VALU_DEP_1) | instskip(NEXT) | instid1(VALU_DEP_1)
	v_fmac_f32_e32 v32, v5, v34
	v_fmac_f32_e32 v32, v6, v35
	s_delay_alu instid0(VALU_DEP_1) | instskip(SKIP_1) | instid1(VALU_DEP_1)
	v_fmac_f32_e32 v32, v7, v36
	s_waitcnt lgkmcnt(0)
	v_fmac_f32_e32 v32, v8, v37
	s_delay_alu instid0(VALU_DEP_1) | instskip(NEXT) | instid1(VALU_DEP_1)
	v_fmac_f32_e32 v32, v9, v38
	v_fmac_f32_e32 v32, v10, v39
	s_delay_alu instid0(VALU_DEP_1) | instskip(NEXT) | instid1(VALU_DEP_1)
	v_fmac_f32_e32 v32, v11, v40
	v_sub_f32_e32 v3, v3, v32
	v_cmpx_ne_u32_e32 0, v0
	s_cbranch_execz .LBB73_80
; %bb.79:
	v_dual_mov_b32 v41, v11 :: v_dual_mov_b32 v40, v10
	s_delay_alu instid0(VALU_DEP_3)
	v_dual_mov_b32 v33, v3 :: v_dual_mov_b32 v32, v2
	v_dual_mov_b32 v32, s1 :: v_dual_mov_b32 v39, v9
	v_dual_mov_b32 v38, v8 :: v_dual_mov_b32 v37, v7
	v_dual_mov_b32 v36, v6 :: v_dual_mov_b32 v35, v5
	v_mov_b32_e32 v34, v4
	ds_store_b32 v1, v2
	v_dual_mov_b32 v2, v32 :: v_dual_mov_b32 v3, v33
	v_dual_mov_b32 v5, v35 :: v_dual_mov_b32 v4, v34
	;; [unrolled: 1-line block ×5, first 2 shown]
.LBB73_80:
	s_or_b32 exec_lo, exec_lo, s0
	v_mov_b32_e32 v38, 0
	s_waitcnt lgkmcnt(0)
	s_barrier
	buffer_gl0_inv
	s_and_b32 vcc_lo, exec_lo, s12
	ds_load_2addr_b32 v[0:1], v38 offset0:13 offset1:14
	ds_load_2addr_b32 v[32:33], v38 offset0:15 offset1:16
	;; [unrolled: 1-line block ×4, first 2 shown]
	s_waitcnt lgkmcnt(3)
	v_fma_f32 v0, v3, v0, 0
	s_delay_alu instid0(VALU_DEP_1) | instskip(SKIP_3) | instid1(VALU_DEP_1)
	v_fmac_f32_e32 v0, v4, v1
	ds_load_b32 v1, v38 offset:84
	s_waitcnt lgkmcnt(3)
	v_fmac_f32_e32 v0, v5, v32
	v_fmac_f32_e32 v0, v6, v33
	s_waitcnt lgkmcnt(2)
	s_delay_alu instid0(VALU_DEP_1) | instskip(NEXT) | instid1(VALU_DEP_1)
	v_fmac_f32_e32 v0, v7, v34
	v_fmac_f32_e32 v0, v8, v35
	s_waitcnt lgkmcnt(1)
	s_delay_alu instid0(VALU_DEP_1) | instskip(NEXT) | instid1(VALU_DEP_1)
	;; [unrolled: 4-line block ×3, first 2 shown]
	v_fmac_f32_e32 v0, v11, v1
	v_sub_f32_e32 v2, v2, v0
	s_cbranch_vccz .LBB73_100
; %bb.81:
	v_dual_mov_b32 v0, s8 :: v_dual_mov_b32 v1, s9
	s_mov_b32 s6, exec_lo
	flat_load_b32 v0, v[0:1] offset:32
	s_waitcnt vmcnt(0) lgkmcnt(0)
	v_add_nc_u32_e32 v0, -1, v0
	s_delay_alu instid0(VALU_DEP_1)
	v_cmpx_ne_u32_e32 8, v0
	s_cbranch_execz .LBB73_83
; %bb.82:
	v_cmp_eq_u32_e32 vcc_lo, 1, v0
	v_cmp_eq_u32_e64 s0, 2, v0
	v_cmp_eq_u32_e64 s1, 3, v0
	;; [unrolled: 1-line block ×6, first 2 shown]
	v_cndmask_b32_e64 v34, v4, v10, s0
	v_cndmask_b32_e32 v33, v3, v10, vcc_lo
	v_cndmask_b32_e64 v35, v5, v10, s1
	v_cndmask_b32_e64 v36, v6, v10, s2
	;; [unrolled: 1-line block ×5, first 2 shown]
	v_cndmask_b32_e32 v1, v2, v3, vcc_lo
	v_cmp_eq_u32_e32 vcc_lo, 9, v0
	s_delay_alu instid0(VALU_DEP_2) | instskip(SKIP_2) | instid1(VALU_DEP_3)
	v_cndmask_b32_e64 v1, v1, v4, s0
	v_cmp_eq_u32_e64 s0, 8, v0
	v_cndmask_b32_e32 v41, v11, v10, vcc_lo
	v_cndmask_b32_e64 v1, v1, v5, s1
	s_delay_alu instid0(VALU_DEP_1) | instskip(NEXT) | instid1(VALU_DEP_1)
	v_cndmask_b32_e64 v1, v1, v6, s2
	v_cndmask_b32_e64 v1, v1, v7, s3
	s_delay_alu instid0(VALU_DEP_1) | instskip(NEXT) | instid1(VALU_DEP_1)
	v_cndmask_b32_e64 v1, v1, v8, s4
	;; [unrolled: 3-line block ×3, first 2 shown]
	v_cndmask_b32_e32 v1, v1, v11, vcc_lo
	v_cmp_eq_u32_e32 vcc_lo, 0, v0
	v_cndmask_b32_e32 v32, v2, v10, vcc_lo
	s_delay_alu instid0(VALU_DEP_3) | instskip(NEXT) | instid1(VALU_DEP_2)
	v_cndmask_b32_e64 v40, v1, v10, s0
	v_dual_mov_b32 v2, v32 :: v_dual_mov_b32 v3, v33
	v_dual_mov_b32 v4, v34 :: v_dual_mov_b32 v5, v35
	;; [unrolled: 1-line block ×5, first 2 shown]
.LBB73_83:
	s_or_b32 exec_lo, exec_lo, s6
	v_dual_mov_b32 v0, s8 :: v_dual_mov_b32 v1, s9
	s_mov_b32 s6, exec_lo
	flat_load_b32 v0, v[0:1] offset:28
	s_waitcnt vmcnt(0) lgkmcnt(0)
	v_add_nc_u32_e32 v0, -1, v0
	s_delay_alu instid0(VALU_DEP_1)
	v_cmpx_ne_u32_e32 7, v0
	s_cbranch_execz .LBB73_85
; %bb.84:
	v_cmp_eq_u32_e32 vcc_lo, 1, v0
	v_cmp_eq_u32_e64 s0, 2, v0
	v_cmp_eq_u32_e64 s1, 3, v0
	;; [unrolled: 1-line block ×5, first 2 shown]
	v_cndmask_b32_e64 v34, v4, v9, s0
	v_cndmask_b32_e32 v33, v3, v9, vcc_lo
	v_cndmask_b32_e64 v35, v5, v9, s1
	v_cndmask_b32_e64 v36, v6, v9, s2
	;; [unrolled: 1-line block ×4, first 2 shown]
	v_cndmask_b32_e32 v1, v2, v3, vcc_lo
	v_cmp_eq_u32_e64 s5, 7, v0
	v_cmp_eq_u32_e32 vcc_lo, 9, v0
	s_delay_alu instid0(VALU_DEP_3) | instskip(SKIP_2) | instid1(VALU_DEP_3)
	v_cndmask_b32_e64 v1, v1, v4, s0
	v_cmp_eq_u32_e64 s0, 8, v0
	v_cndmask_b32_e32 v41, v11, v9, vcc_lo
	v_cndmask_b32_e64 v1, v1, v5, s1
	s_delay_alu instid0(VALU_DEP_3) | instskip(NEXT) | instid1(VALU_DEP_2)
	v_cndmask_b32_e64 v40, v10, v9, s0
	v_cndmask_b32_e64 v1, v1, v6, s2
	s_delay_alu instid0(VALU_DEP_1) | instskip(NEXT) | instid1(VALU_DEP_1)
	v_cndmask_b32_e64 v1, v1, v7, s3
	v_cndmask_b32_e64 v1, v1, v8, s4
	s_delay_alu instid0(VALU_DEP_1) | instskip(NEXT) | instid1(VALU_DEP_1)
	v_cndmask_b32_e64 v1, v1, v9, s5
	v_cndmask_b32_e64 v1, v1, v10, s0
	s_delay_alu instid0(VALU_DEP_1) | instskip(SKIP_2) | instid1(VALU_DEP_3)
	v_cndmask_b32_e32 v1, v1, v11, vcc_lo
	v_cmp_eq_u32_e32 vcc_lo, 0, v0
	v_cndmask_b32_e32 v32, v2, v9, vcc_lo
	v_cndmask_b32_e64 v39, v1, v9, s5
	s_delay_alu instid0(VALU_DEP_2) | instskip(SKIP_2) | instid1(VALU_DEP_4)
	v_dual_mov_b32 v2, v32 :: v_dual_mov_b32 v3, v33
	v_dual_mov_b32 v4, v34 :: v_dual_mov_b32 v5, v35
	;; [unrolled: 1-line block ×5, first 2 shown]
.LBB73_85:
	s_or_b32 exec_lo, exec_lo, s6
	v_dual_mov_b32 v0, s8 :: v_dual_mov_b32 v1, s9
	s_mov_b32 s6, exec_lo
	flat_load_b32 v0, v[0:1] offset:24
	s_waitcnt vmcnt(0) lgkmcnt(0)
	v_add_nc_u32_e32 v0, -1, v0
	s_delay_alu instid0(VALU_DEP_1)
	v_cmpx_ne_u32_e32 6, v0
	s_cbranch_execz .LBB73_87
; %bb.86:
	v_cmp_eq_u32_e32 vcc_lo, 1, v0
	v_cmp_eq_u32_e64 s0, 2, v0
	v_cmp_eq_u32_e64 s1, 3, v0
	;; [unrolled: 1-line block ×5, first 2 shown]
	v_cndmask_b32_e64 v34, v4, v8, s0
	v_cndmask_b32_e32 v33, v3, v8, vcc_lo
	v_cndmask_b32_e64 v35, v5, v8, s1
	v_cndmask_b32_e64 v36, v6, v8, s2
	;; [unrolled: 1-line block ×4, first 2 shown]
	v_cndmask_b32_e32 v1, v2, v3, vcc_lo
	v_cmp_eq_u32_e64 s4, 6, v0
	v_cmp_eq_u32_e32 vcc_lo, 9, v0
	s_delay_alu instid0(VALU_DEP_3) | instskip(SKIP_2) | instid1(VALU_DEP_3)
	v_cndmask_b32_e64 v1, v1, v4, s0
	v_cmp_eq_u32_e64 s0, 8, v0
	v_cndmask_b32_e32 v41, v11, v8, vcc_lo
	v_cndmask_b32_e64 v1, v1, v5, s1
	s_delay_alu instid0(VALU_DEP_3) | instskip(NEXT) | instid1(VALU_DEP_2)
	v_cndmask_b32_e64 v40, v10, v8, s0
	v_cndmask_b32_e64 v1, v1, v6, s2
	s_delay_alu instid0(VALU_DEP_1) | instskip(NEXT) | instid1(VALU_DEP_1)
	v_cndmask_b32_e64 v1, v1, v7, s3
	v_cndmask_b32_e64 v1, v1, v8, s4
	s_delay_alu instid0(VALU_DEP_1) | instskip(NEXT) | instid1(VALU_DEP_1)
	v_cndmask_b32_e64 v1, v1, v9, s5
	v_cndmask_b32_e64 v1, v1, v10, s0
	s_delay_alu instid0(VALU_DEP_1) | instskip(SKIP_2) | instid1(VALU_DEP_3)
	v_cndmask_b32_e32 v1, v1, v11, vcc_lo
	v_cmp_eq_u32_e32 vcc_lo, 0, v0
	v_cndmask_b32_e32 v32, v2, v8, vcc_lo
	v_cndmask_b32_e64 v38, v1, v8, s4
	s_delay_alu instid0(VALU_DEP_2) | instskip(SKIP_2) | instid1(VALU_DEP_4)
	v_dual_mov_b32 v2, v32 :: v_dual_mov_b32 v3, v33
	v_dual_mov_b32 v4, v34 :: v_dual_mov_b32 v5, v35
	;; [unrolled: 1-line block ×5, first 2 shown]
.LBB73_87:
	s_or_b32 exec_lo, exec_lo, s6
	v_dual_mov_b32 v0, s8 :: v_dual_mov_b32 v1, s9
	s_mov_b32 s6, exec_lo
	flat_load_b32 v0, v[0:1] offset:20
	s_waitcnt vmcnt(0) lgkmcnt(0)
	v_add_nc_u32_e32 v0, -1, v0
	s_delay_alu instid0(VALU_DEP_1)
	v_cmpx_ne_u32_e32 5, v0
	s_cbranch_execz .LBB73_89
; %bb.88:
	v_cmp_eq_u32_e32 vcc_lo, 1, v0
	v_cmp_eq_u32_e64 s0, 2, v0
	v_cmp_eq_u32_e64 s1, 3, v0
	v_cmp_eq_u32_e64 s2, 4, v0
	v_cmp_eq_u32_e64 s4, 6, v0
	v_cmp_eq_u32_e64 s5, 7, v0
	v_cndmask_b32_e64 v34, v4, v7, s0
	v_cndmask_b32_e32 v33, v3, v7, vcc_lo
	v_cndmask_b32_e64 v35, v5, v7, s1
	v_cndmask_b32_e64 v36, v6, v7, s2
	;; [unrolled: 1-line block ×4, first 2 shown]
	v_cndmask_b32_e32 v1, v2, v3, vcc_lo
	v_cmp_eq_u32_e64 s3, 5, v0
	v_cmp_eq_u32_e32 vcc_lo, 9, v0
	s_delay_alu instid0(VALU_DEP_3) | instskip(SKIP_2) | instid1(VALU_DEP_3)
	v_cndmask_b32_e64 v1, v1, v4, s0
	v_cmp_eq_u32_e64 s0, 8, v0
	v_cndmask_b32_e32 v41, v11, v7, vcc_lo
	v_cndmask_b32_e64 v1, v1, v5, s1
	s_delay_alu instid0(VALU_DEP_3) | instskip(NEXT) | instid1(VALU_DEP_2)
	v_cndmask_b32_e64 v40, v10, v7, s0
	v_cndmask_b32_e64 v1, v1, v6, s2
	s_delay_alu instid0(VALU_DEP_1) | instskip(NEXT) | instid1(VALU_DEP_1)
	v_cndmask_b32_e64 v1, v1, v7, s3
	v_cndmask_b32_e64 v1, v1, v8, s4
	s_delay_alu instid0(VALU_DEP_1) | instskip(NEXT) | instid1(VALU_DEP_1)
	v_cndmask_b32_e64 v1, v1, v9, s5
	v_cndmask_b32_e64 v1, v1, v10, s0
	s_delay_alu instid0(VALU_DEP_1) | instskip(SKIP_1) | instid1(VALU_DEP_2)
	v_cndmask_b32_e32 v1, v1, v11, vcc_lo
	v_cmp_eq_u32_e32 vcc_lo, 0, v0
	v_cndmask_b32_e64 v37, v1, v7, s3
	v_cndmask_b32_e32 v32, v2, v7, vcc_lo
	s_delay_alu instid0(VALU_DEP_1)
	v_mov_b32_e32 v2, v32
	v_dual_mov_b32 v4, v34 :: v_dual_mov_b32 v3, v33
	v_dual_mov_b32 v6, v36 :: v_dual_mov_b32 v5, v35
	;; [unrolled: 1-line block ×4, first 2 shown]
	v_mov_b32_e32 v11, v41
.LBB73_89:
	s_or_b32 exec_lo, exec_lo, s6
	v_dual_mov_b32 v0, s8 :: v_dual_mov_b32 v1, s9
	s_mov_b32 s6, exec_lo
	flat_load_b32 v0, v[0:1] offset:16
	s_waitcnt vmcnt(0) lgkmcnt(0)
	v_add_nc_u32_e32 v0, -1, v0
	s_delay_alu instid0(VALU_DEP_1)
	v_cmpx_ne_u32_e32 4, v0
	s_cbranch_execz .LBB73_91
; %bb.90:
	v_cmp_eq_u32_e32 vcc_lo, 1, v0
	v_cmp_eq_u32_e64 s0, 2, v0
	v_cmp_eq_u32_e64 s1, 3, v0
	;; [unrolled: 1-line block ×5, first 2 shown]
	v_cndmask_b32_e64 v34, v4, v6, s0
	v_cndmask_b32_e32 v33, v3, v6, vcc_lo
	v_cndmask_b32_e64 v35, v5, v6, s1
	v_cndmask_b32_e64 v37, v7, v6, s3
	;; [unrolled: 1-line block ×4, first 2 shown]
	v_cndmask_b32_e32 v1, v2, v3, vcc_lo
	v_cmp_eq_u32_e64 s2, 4, v0
	v_cmp_eq_u32_e32 vcc_lo, 9, v0
	s_delay_alu instid0(VALU_DEP_3) | instskip(SKIP_2) | instid1(VALU_DEP_3)
	v_cndmask_b32_e64 v1, v1, v4, s0
	v_cmp_eq_u32_e64 s0, 8, v0
	v_cndmask_b32_e32 v41, v11, v6, vcc_lo
	v_cndmask_b32_e64 v1, v1, v5, s1
	s_delay_alu instid0(VALU_DEP_3) | instskip(NEXT) | instid1(VALU_DEP_2)
	v_cndmask_b32_e64 v40, v10, v6, s0
	v_cndmask_b32_e64 v1, v1, v6, s2
	s_delay_alu instid0(VALU_DEP_1) | instskip(NEXT) | instid1(VALU_DEP_1)
	v_cndmask_b32_e64 v1, v1, v7, s3
	v_cndmask_b32_e64 v1, v1, v8, s4
	s_delay_alu instid0(VALU_DEP_1) | instskip(NEXT) | instid1(VALU_DEP_1)
	v_cndmask_b32_e64 v1, v1, v9, s5
	v_cndmask_b32_e64 v1, v1, v10, s0
	s_delay_alu instid0(VALU_DEP_1) | instskip(SKIP_2) | instid1(VALU_DEP_3)
	v_cndmask_b32_e32 v1, v1, v11, vcc_lo
	v_cmp_eq_u32_e32 vcc_lo, 0, v0
	v_cndmask_b32_e32 v32, v2, v6, vcc_lo
	v_cndmask_b32_e64 v36, v1, v6, s2
	s_delay_alu instid0(VALU_DEP_2) | instskip(SKIP_1) | instid1(VALU_DEP_3)
	v_dual_mov_b32 v2, v32 :: v_dual_mov_b32 v3, v33
	v_dual_mov_b32 v4, v34 :: v_dual_mov_b32 v5, v35
	;; [unrolled: 1-line block ×5, first 2 shown]
.LBB73_91:
	s_or_b32 exec_lo, exec_lo, s6
	v_dual_mov_b32 v0, s8 :: v_dual_mov_b32 v1, s9
	s_mov_b32 s6, exec_lo
	flat_load_b32 v0, v[0:1] offset:12
	s_waitcnt vmcnt(0) lgkmcnt(0)
	v_add_nc_u32_e32 v0, -1, v0
	s_delay_alu instid0(VALU_DEP_1)
	v_cmpx_ne_u32_e32 3, v0
	s_cbranch_execz .LBB73_93
; %bb.92:
	v_cmp_eq_u32_e32 vcc_lo, 1, v0
	v_cmp_eq_u32_e64 s0, 2, v0
	v_cmp_eq_u32_e64 s2, 4, v0
	;; [unrolled: 1-line block ×5, first 2 shown]
	v_cndmask_b32_e64 v34, v4, v5, s0
	v_cndmask_b32_e32 v33, v3, v5, vcc_lo
	v_cndmask_b32_e64 v36, v6, v5, s2
	v_cndmask_b32_e64 v37, v7, v5, s3
	;; [unrolled: 1-line block ×4, first 2 shown]
	v_cndmask_b32_e32 v1, v2, v3, vcc_lo
	v_cmp_eq_u32_e64 s1, 3, v0
	v_cmp_eq_u32_e32 vcc_lo, 9, v0
	s_delay_alu instid0(VALU_DEP_3) | instskip(SKIP_2) | instid1(VALU_DEP_3)
	v_cndmask_b32_e64 v1, v1, v4, s0
	v_cmp_eq_u32_e64 s0, 8, v0
	v_cndmask_b32_e32 v41, v11, v5, vcc_lo
	v_cndmask_b32_e64 v1, v1, v5, s1
	s_delay_alu instid0(VALU_DEP_3) | instskip(NEXT) | instid1(VALU_DEP_2)
	v_cndmask_b32_e64 v40, v10, v5, s0
	v_cndmask_b32_e64 v1, v1, v6, s2
	s_delay_alu instid0(VALU_DEP_1) | instskip(NEXT) | instid1(VALU_DEP_1)
	v_cndmask_b32_e64 v1, v1, v7, s3
	v_cndmask_b32_e64 v1, v1, v8, s4
	s_delay_alu instid0(VALU_DEP_1) | instskip(NEXT) | instid1(VALU_DEP_1)
	v_cndmask_b32_e64 v1, v1, v9, s5
	v_cndmask_b32_e64 v1, v1, v10, s0
	s_delay_alu instid0(VALU_DEP_1) | instskip(SKIP_2) | instid1(VALU_DEP_3)
	v_cndmask_b32_e32 v1, v1, v11, vcc_lo
	v_cmp_eq_u32_e32 vcc_lo, 0, v0
	v_cndmask_b32_e32 v32, v2, v5, vcc_lo
	v_cndmask_b32_e64 v35, v1, v5, s1
	s_delay_alu instid0(VALU_DEP_2) | instskip(NEXT) | instid1(VALU_DEP_2)
	v_dual_mov_b32 v2, v32 :: v_dual_mov_b32 v3, v33
	v_dual_mov_b32 v4, v34 :: v_dual_mov_b32 v5, v35
	;; [unrolled: 1-line block ×5, first 2 shown]
.LBB73_93:
	s_or_b32 exec_lo, exec_lo, s6
	v_dual_mov_b32 v0, s8 :: v_dual_mov_b32 v1, s9
	s_mov_b32 s6, exec_lo
	flat_load_b32 v0, v[0:1] offset:8
	s_waitcnt vmcnt(0) lgkmcnt(0)
	v_add_nc_u32_e32 v0, -1, v0
	s_delay_alu instid0(VALU_DEP_1)
	v_cmpx_ne_u32_e32 2, v0
	s_cbranch_execz .LBB73_95
; %bb.94:
	v_cmp_eq_u32_e32 vcc_lo, 1, v0
	v_cmp_eq_u32_e64 s1, 3, v0
	v_cmp_eq_u32_e64 s2, 4, v0
	;; [unrolled: 1-line block ×6, first 2 shown]
	v_cndmask_b32_e32 v33, v3, v4, vcc_lo
	v_cndmask_b32_e64 v35, v5, v4, s1
	v_cndmask_b32_e64 v36, v6, v4, s2
	v_cndmask_b32_e64 v37, v7, v4, s3
	v_cndmask_b32_e64 v38, v8, v4, s4
	v_cndmask_b32_e64 v39, v9, v4, s5
	v_cndmask_b32_e32 v1, v2, v3, vcc_lo
	v_cmp_eq_u32_e32 vcc_lo, 8, v0
	s_delay_alu instid0(VALU_DEP_2) | instskip(SKIP_1) | instid1(VALU_DEP_2)
	v_cndmask_b32_e64 v1, v1, v4, s0
	v_cndmask_b32_e32 v40, v10, v4, vcc_lo
	v_cndmask_b32_e64 v1, v1, v5, s1
	v_cmp_eq_u32_e64 s1, 9, v0
	s_delay_alu instid0(VALU_DEP_2) | instskip(NEXT) | instid1(VALU_DEP_2)
	v_cndmask_b32_e64 v1, v1, v6, s2
	v_cndmask_b32_e64 v41, v11, v4, s1
	s_delay_alu instid0(VALU_DEP_2) | instskip(NEXT) | instid1(VALU_DEP_1)
	v_cndmask_b32_e64 v1, v1, v7, s3
	v_cndmask_b32_e64 v1, v1, v8, s4
	s_delay_alu instid0(VALU_DEP_1) | instskip(NEXT) | instid1(VALU_DEP_1)
	v_cndmask_b32_e64 v1, v1, v9, s5
	v_cndmask_b32_e32 v1, v1, v10, vcc_lo
	v_cmp_eq_u32_e32 vcc_lo, 0, v0
	s_delay_alu instid0(VALU_DEP_2) | instskip(SKIP_1) | instid1(VALU_DEP_2)
	v_cndmask_b32_e64 v1, v1, v11, s1
	v_cndmask_b32_e32 v32, v2, v4, vcc_lo
	v_cndmask_b32_e64 v34, v1, v4, s0
	s_delay_alu instid0(VALU_DEP_2) | instskip(SKIP_1) | instid1(VALU_DEP_3)
	v_dual_mov_b32 v2, v32 :: v_dual_mov_b32 v3, v33
	v_dual_mov_b32 v5, v35 :: v_dual_mov_b32 v6, v36
	;; [unrolled: 1-line block ×5, first 2 shown]
.LBB73_95:
	s_or_b32 exec_lo, exec_lo, s6
	v_dual_mov_b32 v0, s8 :: v_dual_mov_b32 v1, s9
	s_mov_b32 s6, exec_lo
	flat_load_b32 v0, v[0:1] offset:4
	s_waitcnt vmcnt(0) lgkmcnt(0)
	v_add_nc_u32_e32 v0, -1, v0
	s_delay_alu instid0(VALU_DEP_1)
	v_cmpx_ne_u32_e32 1, v0
	s_cbranch_execz .LBB73_97
; %bb.96:
	v_cmp_eq_u32_e32 vcc_lo, 1, v0
	v_cmp_eq_u32_e64 s0, 2, v0
	v_cmp_eq_u32_e64 s1, 3, v0
	;; [unrolled: 1-line block ×6, first 2 shown]
	v_cndmask_b32_e64 v34, v4, v3, s0
	v_cndmask_b32_e64 v35, v5, v3, s1
	;; [unrolled: 1-line block ×6, first 2 shown]
	v_cndmask_b32_e32 v1, v2, v3, vcc_lo
	s_delay_alu instid0(VALU_DEP_1) | instskip(SKIP_1) | instid1(VALU_DEP_2)
	v_cndmask_b32_e64 v1, v1, v4, s0
	v_cmp_eq_u32_e64 s0, 8, v0
	v_cndmask_b32_e64 v1, v1, v5, s1
	v_cmp_eq_u32_e64 s1, 9, v0
	s_delay_alu instid0(VALU_DEP_3) | instskip(NEXT) | instid1(VALU_DEP_3)
	v_cndmask_b32_e64 v40, v10, v3, s0
	v_cndmask_b32_e64 v1, v1, v6, s2
	s_delay_alu instid0(VALU_DEP_3) | instskip(NEXT) | instid1(VALU_DEP_2)
	v_cndmask_b32_e64 v41, v11, v3, s1
	v_cndmask_b32_e64 v1, v1, v7, s3
	s_delay_alu instid0(VALU_DEP_1) | instskip(NEXT) | instid1(VALU_DEP_1)
	v_cndmask_b32_e64 v1, v1, v8, s4
	v_cndmask_b32_e64 v1, v1, v9, s5
	s_delay_alu instid0(VALU_DEP_1) | instskip(NEXT) | instid1(VALU_DEP_1)
	v_cndmask_b32_e64 v1, v1, v10, s0
	v_cndmask_b32_e64 v1, v1, v11, s1
	s_delay_alu instid0(VALU_DEP_1) | instskip(SKIP_2) | instid1(VALU_DEP_1)
	v_cndmask_b32_e32 v33, v1, v3, vcc_lo
	v_cmp_eq_u32_e32 vcc_lo, 0, v0
	v_cndmask_b32_e32 v32, v2, v3, vcc_lo
	v_dual_mov_b32 v2, v32 :: v_dual_mov_b32 v3, v33
	v_dual_mov_b32 v4, v34 :: v_dual_mov_b32 v5, v35
	;; [unrolled: 1-line block ×5, first 2 shown]
.LBB73_97:
	s_or_b32 exec_lo, exec_lo, s6
	v_dual_mov_b32 v0, s8 :: v_dual_mov_b32 v1, s9
	s_mov_b32 s6, exec_lo
	flat_load_b32 v0, v[0:1]
	s_waitcnt vmcnt(0) lgkmcnt(0)
	v_add_nc_u32_e32 v0, -1, v0
	s_delay_alu instid0(VALU_DEP_1)
	v_cmpx_ne_u32_e32 0, v0
	s_cbranch_execz .LBB73_99
; %bb.98:
	v_cmp_eq_u32_e32 vcc_lo, 1, v0
	v_cmp_eq_u32_e64 s0, 2, v0
	v_cmp_eq_u32_e64 s1, 3, v0
	;; [unrolled: 1-line block ×6, first 2 shown]
	v_cndmask_b32_e64 v34, v4, v2, s0
	v_cndmask_b32_e64 v35, v5, v2, s1
	;; [unrolled: 1-line block ×6, first 2 shown]
	v_cndmask_b32_e32 v33, v3, v2, vcc_lo
	v_cndmask_b32_e32 v1, v2, v3, vcc_lo
	s_delay_alu instid0(VALU_DEP_1) | instskip(SKIP_1) | instid1(VALU_DEP_2)
	v_cndmask_b32_e64 v1, v1, v4, s0
	v_cmp_eq_u32_e64 s0, 8, v0
	v_cndmask_b32_e64 v1, v1, v5, s1
	v_cmp_eq_u32_e64 s1, 9, v0
	s_delay_alu instid0(VALU_DEP_3) | instskip(NEXT) | instid1(VALU_DEP_3)
	v_cndmask_b32_e64 v40, v10, v2, s0
	v_cndmask_b32_e64 v1, v1, v6, s2
	s_delay_alu instid0(VALU_DEP_3) | instskip(NEXT) | instid1(VALU_DEP_2)
	v_cndmask_b32_e64 v41, v11, v2, s1
	v_cndmask_b32_e64 v1, v1, v7, s3
	s_delay_alu instid0(VALU_DEP_1) | instskip(NEXT) | instid1(VALU_DEP_1)
	v_cndmask_b32_e64 v1, v1, v8, s4
	v_cndmask_b32_e64 v1, v1, v9, s5
	s_delay_alu instid0(VALU_DEP_1) | instskip(SKIP_1) | instid1(VALU_DEP_2)
	v_cndmask_b32_e64 v1, v1, v10, s0
	v_cmp_eq_u32_e64 s0, 0, v0
	v_cndmask_b32_e64 v1, v1, v11, s1
	s_delay_alu instid0(VALU_DEP_1) | instskip(NEXT) | instid1(VALU_DEP_1)
	v_cndmask_b32_e64 v32, v1, v2, s0
	v_dual_mov_b32 v2, v32 :: v_dual_mov_b32 v3, v33
	v_dual_mov_b32 v4, v34 :: v_dual_mov_b32 v5, v35
	v_dual_mov_b32 v6, v36 :: v_dual_mov_b32 v7, v37
	v_dual_mov_b32 v8, v38 :: v_dual_mov_b32 v9, v39
	v_dual_mov_b32 v10, v40 :: v_dual_mov_b32 v11, v41
.LBB73_99:
	s_or_b32 exec_lo, exec_lo, s6
.LBB73_100:
	s_clause 0x9
	global_store_b32 v[12:13], v2, off
	global_store_b32 v[14:15], v3, off
	;; [unrolled: 1-line block ×10, first 2 shown]
	s_nop 0
	s_sendmsg sendmsg(MSG_DEALLOC_VGPRS)
	s_endpgm
	.section	.rodata,"a",@progbits
	.p2align	6, 0x0
	.amdhsa_kernel _ZN9rocsolver6v33100L18getri_kernel_smallILi10EfPKPfEEvT1_iilPiilS6_bb
		.amdhsa_group_segment_fixed_size 88
		.amdhsa_private_segment_fixed_size 0
		.amdhsa_kernarg_size 60
		.amdhsa_user_sgpr_count 15
		.amdhsa_user_sgpr_dispatch_ptr 0
		.amdhsa_user_sgpr_queue_ptr 0
		.amdhsa_user_sgpr_kernarg_segment_ptr 1
		.amdhsa_user_sgpr_dispatch_id 0
		.amdhsa_user_sgpr_private_segment_size 0
		.amdhsa_wavefront_size32 1
		.amdhsa_uses_dynamic_stack 0
		.amdhsa_enable_private_segment 0
		.amdhsa_system_sgpr_workgroup_id_x 1
		.amdhsa_system_sgpr_workgroup_id_y 0
		.amdhsa_system_sgpr_workgroup_id_z 0
		.amdhsa_system_sgpr_workgroup_info 0
		.amdhsa_system_vgpr_workitem_id 0
		.amdhsa_next_free_vgpr 43
		.amdhsa_next_free_sgpr 17
		.amdhsa_reserve_vcc 1
		.amdhsa_float_round_mode_32 0
		.amdhsa_float_round_mode_16_64 0
		.amdhsa_float_denorm_mode_32 3
		.amdhsa_float_denorm_mode_16_64 3
		.amdhsa_dx10_clamp 1
		.amdhsa_ieee_mode 1
		.amdhsa_fp16_overflow 0
		.amdhsa_workgroup_processor_mode 1
		.amdhsa_memory_ordered 1
		.amdhsa_forward_progress 0
		.amdhsa_shared_vgpr_count 0
		.amdhsa_exception_fp_ieee_invalid_op 0
		.amdhsa_exception_fp_denorm_src 0
		.amdhsa_exception_fp_ieee_div_zero 0
		.amdhsa_exception_fp_ieee_overflow 0
		.amdhsa_exception_fp_ieee_underflow 0
		.amdhsa_exception_fp_ieee_inexact 0
		.amdhsa_exception_int_div_zero 0
	.end_amdhsa_kernel
	.section	.text._ZN9rocsolver6v33100L18getri_kernel_smallILi10EfPKPfEEvT1_iilPiilS6_bb,"axG",@progbits,_ZN9rocsolver6v33100L18getri_kernel_smallILi10EfPKPfEEvT1_iilPiilS6_bb,comdat
.Lfunc_end73:
	.size	_ZN9rocsolver6v33100L18getri_kernel_smallILi10EfPKPfEEvT1_iilPiilS6_bb, .Lfunc_end73-_ZN9rocsolver6v33100L18getri_kernel_smallILi10EfPKPfEEvT1_iilPiilS6_bb
                                        ; -- End function
	.section	.AMDGPU.csdata,"",@progbits
; Kernel info:
; codeLenInByte = 9600
; NumSgprs: 19
; NumVgprs: 43
; ScratchSize: 0
; MemoryBound: 0
; FloatMode: 240
; IeeeMode: 1
; LDSByteSize: 88 bytes/workgroup (compile time only)
; SGPRBlocks: 2
; VGPRBlocks: 5
; NumSGPRsForWavesPerEU: 19
; NumVGPRsForWavesPerEU: 43
; Occupancy: 16
; WaveLimiterHint : 1
; COMPUTE_PGM_RSRC2:SCRATCH_EN: 0
; COMPUTE_PGM_RSRC2:USER_SGPR: 15
; COMPUTE_PGM_RSRC2:TRAP_HANDLER: 0
; COMPUTE_PGM_RSRC2:TGID_X_EN: 1
; COMPUTE_PGM_RSRC2:TGID_Y_EN: 0
; COMPUTE_PGM_RSRC2:TGID_Z_EN: 0
; COMPUTE_PGM_RSRC2:TIDIG_COMP_CNT: 0
	.section	.text._ZN9rocsolver6v33100L18getri_kernel_smallILi11EfPKPfEEvT1_iilPiilS6_bb,"axG",@progbits,_ZN9rocsolver6v33100L18getri_kernel_smallILi11EfPKPfEEvT1_iilPiilS6_bb,comdat
	.globl	_ZN9rocsolver6v33100L18getri_kernel_smallILi11EfPKPfEEvT1_iilPiilS6_bb ; -- Begin function _ZN9rocsolver6v33100L18getri_kernel_smallILi11EfPKPfEEvT1_iilPiilS6_bb
	.p2align	8
	.type	_ZN9rocsolver6v33100L18getri_kernel_smallILi11EfPKPfEEvT1_iilPiilS6_bb,@function
_ZN9rocsolver6v33100L18getri_kernel_smallILi11EfPKPfEEvT1_iilPiilS6_bb: ; @_ZN9rocsolver6v33100L18getri_kernel_smallILi11EfPKPfEEvT1_iilPiilS6_bb
; %bb.0:
	s_mov_b32 s2, exec_lo
	v_cmpx_gt_u32_e32 11, v0
	s_cbranch_execz .LBB74_16
; %bb.1:
	s_clause 0x1
	s_load_b32 s13, s[0:1], 0x38
	s_load_b64 s[2:3], s[0:1], 0x0
	s_mov_b32 s10, s15
	s_load_b128 s[4:7], s[0:1], 0x28
	s_waitcnt lgkmcnt(0)
	s_bitcmp1_b32 s13, 8
	s_cselect_b32 s12, -1, 0
	s_ashr_i32 s11, s15, 31
	s_delay_alu instid0(SALU_CYCLE_1) | instskip(NEXT) | instid1(SALU_CYCLE_1)
	s_lshl_b64 s[8:9], s[10:11], 3
	s_add_u32 s2, s2, s8
	s_addc_u32 s3, s3, s9
	s_bfe_u32 s8, s13, 0x10008
	s_load_b64 s[2:3], s[2:3], 0x0
	s_cmp_eq_u32 s8, 0
                                        ; implicit-def: $sgpr8_sgpr9
	s_cbranch_scc1 .LBB74_3
; %bb.2:
	s_clause 0x1
	s_load_b32 s8, s[0:1], 0x20
	s_load_b64 s[14:15], s[0:1], 0x18
	s_mul_i32 s5, s10, s5
	s_mul_hi_u32 s9, s10, s4
	s_mul_i32 s16, s11, s4
	s_add_i32 s5, s9, s5
	s_mul_i32 s4, s10, s4
	s_add_i32 s5, s5, s16
	s_delay_alu instid0(SALU_CYCLE_1)
	s_lshl_b64 s[4:5], s[4:5], 2
	s_waitcnt lgkmcnt(0)
	s_ashr_i32 s9, s8, 31
	s_add_u32 s14, s14, s4
	s_addc_u32 s15, s15, s5
	s_lshl_b64 s[4:5], s[8:9], 2
	s_delay_alu instid0(SALU_CYCLE_1)
	s_add_u32 s8, s14, s4
	s_addc_u32 s9, s15, s5
.LBB74_3:
	s_load_b64 s[0:1], s[0:1], 0x8
	v_lshlrev_b32_e32 v35, 2, v0
	s_waitcnt lgkmcnt(0)
	v_add3_u32 v1, s1, s1, v0
	s_ashr_i32 s5, s0, 31
	s_mov_b32 s4, s0
	s_mov_b32 s14, s1
	s_lshl_b64 s[4:5], s[4:5], 2
	v_add_nc_u32_e32 v3, s1, v1
	v_ashrrev_i32_e32 v2, 31, v1
	s_add_u32 s2, s2, s4
	s_addc_u32 s3, s3, s5
	v_add_co_u32 v13, s0, s2, v35
	v_add_nc_u32_e32 v5, s1, v3
	s_ashr_i32 s15, s1, 31
	v_add_co_ci_u32_e64 v14, null, s3, 0, s0
	v_lshlrev_b64 v[1:2], 2, v[1:2]
	v_ashrrev_i32_e32 v4, 31, v3
	s_lshl_b64 s[4:5], s[14:15], 2
	v_ashrrev_i32_e32 v6, 31, v5
	v_add_co_u32 v15, vcc_lo, v13, s4
	v_add_nc_u32_e32 v7, s1, v5
	v_add_co_ci_u32_e32 v16, vcc_lo, s5, v14, vcc_lo
	v_lshlrev_b64 v[3:4], 2, v[3:4]
	v_add_co_u32 v17, vcc_lo, s2, v1
	v_add_co_ci_u32_e32 v18, vcc_lo, s3, v2, vcc_lo
	v_lshlrev_b64 v[1:2], 2, v[5:6]
	v_ashrrev_i32_e32 v8, 31, v7
	v_add_nc_u32_e32 v5, s1, v7
	v_add_co_u32 v19, vcc_lo, s2, v3
	v_add_co_ci_u32_e32 v20, vcc_lo, s3, v4, vcc_lo
	s_delay_alu instid0(VALU_DEP_4) | instskip(NEXT) | instid1(VALU_DEP_4)
	v_lshlrev_b64 v[3:4], 2, v[7:8]
	v_ashrrev_i32_e32 v6, 31, v5
	v_add_nc_u32_e32 v7, s1, v5
	v_add_co_u32 v21, vcc_lo, s2, v1
	v_add_co_ci_u32_e32 v22, vcc_lo, s3, v2, vcc_lo
	s_delay_alu instid0(VALU_DEP_4) | instskip(NEXT) | instid1(VALU_DEP_4)
	;; [unrolled: 6-line block ×4, first 2 shown]
	v_lshlrev_b64 v[1:2], 2, v[5:6]
	v_add_nc_u32_e32 v5, s1, v7
	v_ashrrev_i32_e32 v8, 31, v7
	v_add_co_u32 v27, vcc_lo, s2, v3
	v_add_co_ci_u32_e32 v28, vcc_lo, s3, v4, vcc_lo
	s_delay_alu instid0(VALU_DEP_4) | instskip(NEXT) | instid1(VALU_DEP_4)
	v_ashrrev_i32_e32 v6, 31, v5
	v_lshlrev_b64 v[3:4], 2, v[7:8]
	v_add_co_u32 v29, vcc_lo, s2, v1
	v_add_co_ci_u32_e32 v30, vcc_lo, s3, v2, vcc_lo
	s_delay_alu instid0(VALU_DEP_4) | instskip(NEXT) | instid1(VALU_DEP_4)
	v_lshlrev_b64 v[1:2], 2, v[5:6]
	v_add_co_u32 v31, vcc_lo, s2, v3
	v_add_co_ci_u32_e32 v32, vcc_lo, s3, v4, vcc_lo
	s_bitcmp0_b32 s13, 0
	s_delay_alu instid0(VALU_DEP_3) | instskip(NEXT) | instid1(VALU_DEP_4)
	v_add_co_u32 v33, vcc_lo, s2, v1
	v_add_co_ci_u32_e32 v34, vcc_lo, s3, v2, vcc_lo
	s_clause 0xa
	global_load_b32 v3, v[15:16], off
	global_load_b32 v4, v[17:18], off
	;; [unrolled: 1-line block ×9, first 2 shown]
	global_load_b32 v2, v35, s[2:3]
	global_load_b32 v12, v[33:34], off
	v_mov_b32_e32 v1, 0
	s_mov_b32 s0, -1
	s_cbranch_scc1 .LBB74_14
; %bb.4:
	v_cmp_eq_u32_e64 s0, 0, v0
	s_delay_alu instid0(VALU_DEP_1)
	s_and_saveexec_b32 s1, s0
	s_cbranch_execz .LBB74_6
; %bb.5:
	v_mov_b32_e32 v36, 0
	ds_store_b32 v36, v36 offset:44
.LBB74_6:
	s_or_b32 exec_lo, exec_lo, s1
	v_cmp_eq_u32_e32 vcc_lo, 1, v0
	s_mov_b32 s2, exec_lo
	s_waitcnt vmcnt(0) lgkmcnt(0)
	s_barrier
	buffer_gl0_inv
	v_cndmask_b32_e32 v36, v2, v3, vcc_lo
	v_cmp_eq_u32_e32 vcc_lo, 2, v0
	s_delay_alu instid0(VALU_DEP_2) | instskip(SKIP_1) | instid1(VALU_DEP_2)
	v_cndmask_b32_e32 v36, v36, v4, vcc_lo
	v_cmp_eq_u32_e32 vcc_lo, 3, v0
	v_cndmask_b32_e32 v36, v36, v5, vcc_lo
	v_cmp_eq_u32_e32 vcc_lo, 4, v0
	s_delay_alu instid0(VALU_DEP_2) | instskip(SKIP_1) | instid1(VALU_DEP_2)
	v_cndmask_b32_e32 v36, v36, v6, vcc_lo
	v_cmp_eq_u32_e32 vcc_lo, 5, v0
	;; [unrolled: 5-line block ×4, first 2 shown]
	v_cndmask_b32_e32 v36, v36, v11, vcc_lo
	v_cmp_eq_u32_e32 vcc_lo, 10, v0
	s_delay_alu instid0(VALU_DEP_2) | instskip(NEXT) | instid1(VALU_DEP_1)
	v_cndmask_b32_e32 v36, v36, v12, vcc_lo
	v_cmpx_eq_f32_e32 0, v36
	s_cbranch_execz .LBB74_10
; %bb.7:
	v_mov_b32_e32 v37, 0
	ds_load_b32 v38, v37 offset:44
	s_waitcnt lgkmcnt(0)
	v_readfirstlane_b32 s1, v38
	v_add_nc_u32_e32 v38, 1, v0
	s_delay_alu instid0(VALU_DEP_2) | instskip(NEXT) | instid1(VALU_DEP_1)
	s_cmp_eq_u32 s1, 0
	v_cmp_gt_i32_e32 vcc_lo, s1, v38
	s_cselect_b32 s3, -1, 0
	s_delay_alu instid0(SALU_CYCLE_1) | instskip(NEXT) | instid1(SALU_CYCLE_1)
	s_or_b32 s3, s3, vcc_lo
	s_and_b32 exec_lo, exec_lo, s3
	s_cbranch_execz .LBB74_10
; %bb.8:
	v_mov_b32_e32 v39, s1
	s_mov_b32 s3, 0
.LBB74_9:                               ; =>This Inner Loop Header: Depth=1
	ds_cmpstore_rtn_b32 v39, v37, v38, v39 offset:44
	s_waitcnt lgkmcnt(0)
	v_cmp_ne_u32_e32 vcc_lo, 0, v39
	v_cmp_le_i32_e64 s1, v39, v38
	s_delay_alu instid0(VALU_DEP_1) | instskip(NEXT) | instid1(SALU_CYCLE_1)
	s_and_b32 s1, vcc_lo, s1
	s_and_b32 s1, exec_lo, s1
	s_delay_alu instid0(SALU_CYCLE_1) | instskip(NEXT) | instid1(SALU_CYCLE_1)
	s_or_b32 s3, s1, s3
	s_and_not1_b32 exec_lo, exec_lo, s3
	s_cbranch_execnz .LBB74_9
.LBB74_10:
	s_or_b32 exec_lo, exec_lo, s2
	v_mov_b32_e32 v37, 0
	s_barrier
	buffer_gl0_inv
	ds_load_b32 v38, v37 offset:44
	s_and_saveexec_b32 s1, s0
	s_cbranch_execz .LBB74_12
; %bb.11:
	s_lshl_b64 s[2:3], s[10:11], 2
	s_delay_alu instid0(SALU_CYCLE_1)
	s_add_u32 s2, s6, s2
	s_addc_u32 s3, s7, s3
	s_waitcnt lgkmcnt(0)
	global_store_b32 v37, v38, s[2:3]
.LBB74_12:
	s_or_b32 exec_lo, exec_lo, s1
	s_waitcnt lgkmcnt(0)
	v_cmp_ne_u32_e32 vcc_lo, 0, v38
	s_cbranch_vccz .LBB74_17
; %bb.13:
	s_mov_b32 s0, 0
                                        ; implicit-def: $vgpr2_vgpr3_vgpr4_vgpr5_vgpr6_vgpr7_vgpr8_vgpr9_vgpr10_vgpr11_vgpr12
.LBB74_14:
	s_delay_alu instid0(SALU_CYCLE_1)
	s_and_b32 vcc_lo, exec_lo, s0
	s_cbranch_vccz .LBB74_16
.LBB74_15:
	s_lshl_b64 s[0:1], s[10:11], 2
	v_mov_b32_e32 v1, 0
	s_add_u32 s0, s6, s0
	s_addc_u32 s1, s7, s1
	global_load_b32 v1, v1, s[0:1]
	s_waitcnt vmcnt(0)
	v_cmp_ne_u32_e32 vcc_lo, 0, v1
	s_cbranch_vccz .LBB74_66
.LBB74_16:
	s_nop 0
	s_sendmsg sendmsg(MSG_DEALLOC_VGPRS)
	s_endpgm
.LBB74_17:
	v_div_scale_f32 v37, null, v36, v36, 1.0
	v_div_scale_f32 v40, vcc_lo, 1.0, v36, 1.0
	s_delay_alu instid0(VALU_DEP_2) | instskip(SKIP_2) | instid1(VALU_DEP_1)
	v_rcp_f32_e32 v38, v37
	s_waitcnt_depctr 0xfff
	v_fma_f32 v39, -v37, v38, 1.0
	v_fmac_f32_e32 v38, v39, v38
	s_delay_alu instid0(VALU_DEP_1) | instskip(NEXT) | instid1(VALU_DEP_1)
	v_mul_f32_e32 v39, v40, v38
	v_fma_f32 v41, -v37, v39, v40
	s_delay_alu instid0(VALU_DEP_1) | instskip(NEXT) | instid1(VALU_DEP_1)
	v_fmac_f32_e32 v39, v41, v38
	v_fma_f32 v37, -v37, v39, v40
	s_delay_alu instid0(VALU_DEP_1) | instskip(SKIP_1) | instid1(VALU_DEP_2)
	v_div_fmas_f32 v37, v37, v38, v39
	v_cmp_eq_u32_e32 vcc_lo, 10, v0
	v_div_fixup_f32 v36, v37, v36, 1.0
	s_delay_alu instid0(VALU_DEP_1)
	v_dual_cndmask_b32 v12, v12, v36 :: v_dual_add_nc_u32 v37, 48, v35
	v_cmp_eq_u32_e32 vcc_lo, 9, v0
	v_xor_b32_e32 v38, 0x80000000, v36
	v_cndmask_b32_e32 v11, v11, v36, vcc_lo
	v_cmp_eq_u32_e32 vcc_lo, 8, v0
	v_cndmask_b32_e32 v10, v10, v36, vcc_lo
	v_cmp_eq_u32_e32 vcc_lo, 7, v0
	;; [unrolled: 2-line block ×8, first 2 shown]
	ds_store_2addr_b32 v35, v38, v3 offset1:12
	v_cndmask_b32_e32 v4, v4, v36, vcc_lo
	v_cmp_eq_u32_e32 vcc_lo, 0, v0
	s_waitcnt lgkmcnt(0)
	s_waitcnt_vscnt null, 0x0
	s_barrier
	buffer_gl0_inv
	v_cndmask_b32_e32 v2, v2, v36, vcc_lo
	s_and_saveexec_b32 s1, s0
	s_cbranch_execz .LBB74_19
; %bb.18:
	v_mov_b32_e32 v3, 0
	ds_load_b32 v35, v37
	ds_load_b32 v3, v3 offset:4
	s_waitcnt lgkmcnt(1)
	v_fma_f32 v35, v36, v35, 0
	s_waitcnt lgkmcnt(0)
	s_delay_alu instid0(VALU_DEP_1)
	v_mul_f32_e32 v3, v35, v3
.LBB74_19:
	s_or_b32 exec_lo, exec_lo, s1
	v_cmp_gt_u32_e32 vcc_lo, 2, v0
	s_barrier
	buffer_gl0_inv
	ds_store_b32 v37, v4
	s_waitcnt lgkmcnt(0)
	s_barrier
	buffer_gl0_inv
	s_and_saveexec_b32 s2, vcc_lo
	s_cbranch_execz .LBB74_21
; %bb.20:
	v_cmp_eq_u32_e64 s1, 1, v0
	ds_load_b32 v38, v37
	v_cndmask_b32_e64 v35, v2, v3, s1
	v_cmp_eq_u32_e64 s1, 2, v0
	s_delay_alu instid0(VALU_DEP_1) | instskip(SKIP_2) | instid1(VALU_DEP_2)
	v_cndmask_b32_e64 v4, v35, v4, s1
	v_cmp_eq_u32_e64 s1, 3, v0
	v_mov_b32_e32 v35, 0
	v_cndmask_b32_e64 v4, v4, v5, s1
	v_cmp_eq_u32_e64 s1, 4, v0
	ds_load_2addr_b32 v[35:36], v35 offset0:2 offset1:13
	v_cndmask_b32_e64 v4, v4, v6, s1
	v_cmp_eq_u32_e64 s1, 5, v0
	s_delay_alu instid0(VALU_DEP_1) | instskip(SKIP_1) | instid1(VALU_DEP_1)
	v_cndmask_b32_e64 v4, v4, v7, s1
	v_cmp_eq_u32_e64 s1, 6, v0
	v_cndmask_b32_e64 v4, v4, v8, s1
	v_cmp_eq_u32_e64 s1, 7, v0
	s_delay_alu instid0(VALU_DEP_1) | instskip(SKIP_1) | instid1(VALU_DEP_1)
	v_cndmask_b32_e64 v4, v4, v9, s1
	v_cmp_eq_u32_e64 s1, 8, v0
	;; [unrolled: 5-line block ×3, first 2 shown]
	v_cndmask_b32_e64 v4, v4, v12, s1
	s_waitcnt lgkmcnt(1)
	s_delay_alu instid0(VALU_DEP_1) | instskip(SKIP_1) | instid1(VALU_DEP_1)
	v_fma_f32 v4, v4, v38, 0
	s_waitcnt lgkmcnt(0)
	v_fma_f32 v36, v3, v36, v4
	s_delay_alu instid0(VALU_DEP_1) | instskip(NEXT) | instid1(VALU_DEP_1)
	v_cndmask_b32_e64 v4, v4, v36, s0
	v_mul_f32_e32 v4, v4, v35
.LBB74_21:
	s_or_b32 exec_lo, exec_lo, s2
	s_delay_alu instid0(SALU_CYCLE_1)
	s_mov_b32 s3, exec_lo
	s_barrier
	buffer_gl0_inv
	ds_store_b32 v37, v5
	s_waitcnt lgkmcnt(0)
	s_barrier
	buffer_gl0_inv
	v_cmpx_gt_u32_e32 3, v0
	s_cbranch_execz .LBB74_25
; %bb.22:
	v_mov_b32_e32 v36, v1
	v_lshl_add_u32 v39, v0, 2, 48
	v_dual_mov_b32 v38, 0 :: v_dual_mov_b32 v35, v0
	s_mov_b32 s4, 0
.LBB74_23:                              ; =>This Inner Loop Header: Depth=1
	s_delay_alu instid0(VALU_DEP_1) | instskip(SKIP_3) | instid1(VALU_DEP_1)
	v_cmp_eq_u32_e64 s1, 1, v35
	ds_load_b32 v41, v39
	v_cndmask_b32_e64 v40, v2, v3, s1
	v_cmp_eq_u32_e64 s1, 2, v35
	v_cndmask_b32_e64 v40, v40, v4, s1
	v_cmp_eq_u32_e64 s1, 3, v35
	s_delay_alu instid0(VALU_DEP_1) | instskip(SKIP_1) | instid1(VALU_DEP_1)
	v_cndmask_b32_e64 v40, v40, v5, s1
	v_cmp_eq_u32_e64 s1, 4, v35
	v_cndmask_b32_e64 v40, v40, v6, s1
	v_cmp_eq_u32_e64 s1, 5, v35
	s_delay_alu instid0(VALU_DEP_1) | instskip(SKIP_1) | instid1(VALU_DEP_1)
	;; [unrolled: 5-line block ×3, first 2 shown]
	v_cndmask_b32_e64 v40, v40, v9, s1
	v_cmp_eq_u32_e64 s1, 8, v35
	v_cndmask_b32_e64 v40, v40, v10, s1
	v_cmp_eq_u32_e64 s1, 9, v35
	s_delay_alu instid0(VALU_DEP_1) | instskip(SKIP_2) | instid1(VALU_DEP_1)
	v_cndmask_b32_e64 v40, v40, v11, s1
	v_cmp_eq_u32_e64 s1, 10, v35
	v_add_co_u32 v35, s2, v35, 1
	v_add_co_ci_u32_e64 v36, s2, 0, v36, s2
	s_delay_alu instid0(VALU_DEP_3) | instskip(NEXT) | instid1(VALU_DEP_3)
	v_cndmask_b32_e64 v40, v40, v12, s1
	v_add_nc_u32_e32 v42, -1, v35
	s_waitcnt lgkmcnt(0)
	s_delay_alu instid0(VALU_DEP_2) | instskip(NEXT) | instid1(VALU_DEP_2)
	v_dual_fmac_f32 v38, v40, v41 :: v_dual_add_nc_u32 v39, 4, v39
	v_cmp_lt_u32_e64 s1, 1, v42
	s_delay_alu instid0(VALU_DEP_1) | instskip(NEXT) | instid1(SALU_CYCLE_1)
	s_or_b32 s4, s1, s4
	s_and_not1_b32 exec_lo, exec_lo, s4
	s_cbranch_execnz .LBB74_23
; %bb.24:
	s_or_b32 exec_lo, exec_lo, s4
	v_mov_b32_e32 v5, 0
	ds_load_b32 v5, v5 offset:12
	s_waitcnt lgkmcnt(0)
	v_mul_f32_e32 v5, v38, v5
.LBB74_25:
	s_or_b32 exec_lo, exec_lo, s3
	v_cmp_gt_u32_e64 s1, 4, v0
	s_barrier
	buffer_gl0_inv
	ds_store_b32 v37, v6
	s_waitcnt lgkmcnt(0)
	s_barrier
	buffer_gl0_inv
	s_and_saveexec_b32 s4, s1
	s_cbranch_execz .LBB74_29
; %bb.26:
	v_mov_b32_e32 v36, v1
	v_lshl_add_u32 v39, v0, 2, 48
	v_dual_mov_b32 v38, 0 :: v_dual_mov_b32 v35, v0
	s_mov_b32 s5, 0
.LBB74_27:                              ; =>This Inner Loop Header: Depth=1
	s_delay_alu instid0(VALU_DEP_1) | instskip(SKIP_3) | instid1(VALU_DEP_1)
	v_cmp_eq_u32_e64 s2, 1, v35
	ds_load_b32 v41, v39
	v_cndmask_b32_e64 v40, v2, v3, s2
	v_cmp_eq_u32_e64 s2, 2, v35
	v_cndmask_b32_e64 v40, v40, v4, s2
	v_cmp_eq_u32_e64 s2, 3, v35
	s_delay_alu instid0(VALU_DEP_1) | instskip(SKIP_1) | instid1(VALU_DEP_1)
	v_cndmask_b32_e64 v40, v40, v5, s2
	v_cmp_eq_u32_e64 s2, 4, v35
	v_cndmask_b32_e64 v40, v40, v6, s2
	v_cmp_eq_u32_e64 s2, 5, v35
	s_delay_alu instid0(VALU_DEP_1) | instskip(SKIP_1) | instid1(VALU_DEP_1)
	;; [unrolled: 5-line block ×3, first 2 shown]
	v_cndmask_b32_e64 v40, v40, v9, s2
	v_cmp_eq_u32_e64 s2, 8, v35
	v_cndmask_b32_e64 v40, v40, v10, s2
	v_cmp_eq_u32_e64 s2, 9, v35
	s_delay_alu instid0(VALU_DEP_1) | instskip(SKIP_2) | instid1(VALU_DEP_1)
	v_cndmask_b32_e64 v40, v40, v11, s2
	v_cmp_eq_u32_e64 s2, 10, v35
	v_add_co_u32 v35, s3, v35, 1
	v_add_co_ci_u32_e64 v36, s3, 0, v36, s3
	s_delay_alu instid0(VALU_DEP_3) | instskip(NEXT) | instid1(VALU_DEP_3)
	v_cndmask_b32_e64 v40, v40, v12, s2
	v_add_nc_u32_e32 v42, -1, v35
	s_waitcnt lgkmcnt(0)
	s_delay_alu instid0(VALU_DEP_2) | instskip(NEXT) | instid1(VALU_DEP_2)
	v_dual_fmac_f32 v38, v40, v41 :: v_dual_add_nc_u32 v39, 4, v39
	v_cmp_lt_u32_e64 s2, 2, v42
	s_delay_alu instid0(VALU_DEP_1) | instskip(NEXT) | instid1(SALU_CYCLE_1)
	s_or_b32 s5, s2, s5
	s_and_not1_b32 exec_lo, exec_lo, s5
	s_cbranch_execnz .LBB74_27
; %bb.28:
	s_or_b32 exec_lo, exec_lo, s5
	v_mov_b32_e32 v6, 0
	ds_load_b32 v6, v6 offset:16
	s_waitcnt lgkmcnt(0)
	v_mul_f32_e32 v6, v38, v6
.LBB74_29:
	s_or_b32 exec_lo, exec_lo, s4
	s_delay_alu instid0(SALU_CYCLE_1)
	s_mov_b32 s4, exec_lo
	s_barrier
	buffer_gl0_inv
	ds_store_b32 v37, v7
	s_waitcnt lgkmcnt(0)
	s_barrier
	buffer_gl0_inv
	v_cmpx_gt_u32_e32 5, v0
	s_cbranch_execz .LBB74_33
; %bb.30:
	v_mov_b32_e32 v36, v1
	v_lshl_add_u32 v39, v0, 2, 48
	v_dual_mov_b32 v38, 0 :: v_dual_mov_b32 v35, v0
	s_mov_b32 s5, 0
.LBB74_31:                              ; =>This Inner Loop Header: Depth=1
	s_delay_alu instid0(VALU_DEP_1) | instskip(SKIP_3) | instid1(VALU_DEP_1)
	v_cmp_eq_u32_e64 s2, 1, v35
	ds_load_b32 v41, v39
	v_cndmask_b32_e64 v40, v2, v3, s2
	v_cmp_eq_u32_e64 s2, 2, v35
	v_cndmask_b32_e64 v40, v40, v4, s2
	v_cmp_eq_u32_e64 s2, 3, v35
	s_delay_alu instid0(VALU_DEP_1) | instskip(SKIP_1) | instid1(VALU_DEP_1)
	v_cndmask_b32_e64 v40, v40, v5, s2
	v_cmp_eq_u32_e64 s2, 4, v35
	v_cndmask_b32_e64 v40, v40, v6, s2
	v_cmp_eq_u32_e64 s2, 5, v35
	s_delay_alu instid0(VALU_DEP_1) | instskip(SKIP_1) | instid1(VALU_DEP_1)
	;; [unrolled: 5-line block ×3, first 2 shown]
	v_cndmask_b32_e64 v40, v40, v9, s2
	v_cmp_eq_u32_e64 s2, 8, v35
	v_cndmask_b32_e64 v40, v40, v10, s2
	v_cmp_eq_u32_e64 s2, 9, v35
	s_delay_alu instid0(VALU_DEP_1) | instskip(SKIP_2) | instid1(VALU_DEP_1)
	v_cndmask_b32_e64 v40, v40, v11, s2
	v_cmp_eq_u32_e64 s2, 10, v35
	v_add_co_u32 v35, s3, v35, 1
	v_add_co_ci_u32_e64 v36, s3, 0, v36, s3
	s_delay_alu instid0(VALU_DEP_3) | instskip(NEXT) | instid1(VALU_DEP_3)
	v_cndmask_b32_e64 v40, v40, v12, s2
	v_add_nc_u32_e32 v42, -1, v35
	s_waitcnt lgkmcnt(0)
	s_delay_alu instid0(VALU_DEP_2) | instskip(NEXT) | instid1(VALU_DEP_2)
	v_dual_fmac_f32 v38, v40, v41 :: v_dual_add_nc_u32 v39, 4, v39
	v_cmp_lt_u32_e64 s2, 3, v42
	s_delay_alu instid0(VALU_DEP_1) | instskip(NEXT) | instid1(SALU_CYCLE_1)
	s_or_b32 s5, s2, s5
	s_and_not1_b32 exec_lo, exec_lo, s5
	s_cbranch_execnz .LBB74_31
; %bb.32:
	s_or_b32 exec_lo, exec_lo, s5
	v_mov_b32_e32 v7, 0
	ds_load_b32 v7, v7 offset:20
	s_waitcnt lgkmcnt(0)
	v_mul_f32_e32 v7, v38, v7
.LBB74_33:
	s_or_b32 exec_lo, exec_lo, s4
	v_cmp_gt_u32_e64 s2, 6, v0
	s_barrier
	buffer_gl0_inv
	ds_store_b32 v37, v8
	s_waitcnt lgkmcnt(0)
	s_barrier
	buffer_gl0_inv
	s_and_saveexec_b32 s5, s2
	s_cbranch_execz .LBB74_37
; %bb.34:
	v_mov_b32_e32 v36, v1
	v_lshl_add_u32 v39, v0, 2, 48
	v_dual_mov_b32 v38, 0 :: v_dual_mov_b32 v35, v0
	s_mov_b32 s13, 0
.LBB74_35:                              ; =>This Inner Loop Header: Depth=1
	s_delay_alu instid0(VALU_DEP_1) | instskip(SKIP_3) | instid1(VALU_DEP_1)
	v_cmp_eq_u32_e64 s3, 1, v35
	ds_load_b32 v41, v39
	v_cndmask_b32_e64 v40, v2, v3, s3
	v_cmp_eq_u32_e64 s3, 2, v35
	v_cndmask_b32_e64 v40, v40, v4, s3
	v_cmp_eq_u32_e64 s3, 3, v35
	s_delay_alu instid0(VALU_DEP_1) | instskip(SKIP_1) | instid1(VALU_DEP_1)
	v_cndmask_b32_e64 v40, v40, v5, s3
	v_cmp_eq_u32_e64 s3, 4, v35
	v_cndmask_b32_e64 v40, v40, v6, s3
	v_cmp_eq_u32_e64 s3, 5, v35
	s_delay_alu instid0(VALU_DEP_1) | instskip(SKIP_1) | instid1(VALU_DEP_1)
	;; [unrolled: 5-line block ×3, first 2 shown]
	v_cndmask_b32_e64 v40, v40, v9, s3
	v_cmp_eq_u32_e64 s3, 8, v35
	v_cndmask_b32_e64 v40, v40, v10, s3
	v_cmp_eq_u32_e64 s3, 9, v35
	s_delay_alu instid0(VALU_DEP_1) | instskip(SKIP_2) | instid1(VALU_DEP_1)
	v_cndmask_b32_e64 v40, v40, v11, s3
	v_cmp_eq_u32_e64 s3, 10, v35
	v_add_co_u32 v35, s4, v35, 1
	v_add_co_ci_u32_e64 v36, s4, 0, v36, s4
	s_delay_alu instid0(VALU_DEP_3) | instskip(NEXT) | instid1(VALU_DEP_3)
	v_cndmask_b32_e64 v40, v40, v12, s3
	v_add_nc_u32_e32 v42, -1, v35
	s_waitcnt lgkmcnt(0)
	s_delay_alu instid0(VALU_DEP_2) | instskip(NEXT) | instid1(VALU_DEP_2)
	v_dual_fmac_f32 v38, v40, v41 :: v_dual_add_nc_u32 v39, 4, v39
	v_cmp_lt_u32_e64 s3, 4, v42
	s_delay_alu instid0(VALU_DEP_1) | instskip(NEXT) | instid1(SALU_CYCLE_1)
	s_or_b32 s13, s3, s13
	s_and_not1_b32 exec_lo, exec_lo, s13
	s_cbranch_execnz .LBB74_35
; %bb.36:
	s_or_b32 exec_lo, exec_lo, s13
	v_mov_b32_e32 v8, 0
	ds_load_b32 v8, v8 offset:24
	s_waitcnt lgkmcnt(0)
	v_mul_f32_e32 v8, v38, v8
.LBB74_37:
	s_or_b32 exec_lo, exec_lo, s5
	s_delay_alu instid0(SALU_CYCLE_1)
	s_mov_b32 s5, exec_lo
	s_barrier
	buffer_gl0_inv
	ds_store_b32 v37, v9
	s_waitcnt lgkmcnt(0)
	s_barrier
	buffer_gl0_inv
	v_cmpx_gt_u32_e32 7, v0
	s_cbranch_execz .LBB74_41
; %bb.38:
	v_mov_b32_e32 v36, v1
	v_lshl_add_u32 v39, v0, 2, 48
	v_dual_mov_b32 v38, 0 :: v_dual_mov_b32 v35, v0
	s_mov_b32 s13, 0
.LBB74_39:                              ; =>This Inner Loop Header: Depth=1
	s_delay_alu instid0(VALU_DEP_1) | instskip(SKIP_3) | instid1(VALU_DEP_1)
	v_cmp_eq_u32_e64 s3, 1, v35
	ds_load_b32 v41, v39
	v_cndmask_b32_e64 v40, v2, v3, s3
	v_cmp_eq_u32_e64 s3, 2, v35
	v_cndmask_b32_e64 v40, v40, v4, s3
	v_cmp_eq_u32_e64 s3, 3, v35
	s_delay_alu instid0(VALU_DEP_1) | instskip(SKIP_1) | instid1(VALU_DEP_1)
	v_cndmask_b32_e64 v40, v40, v5, s3
	v_cmp_eq_u32_e64 s3, 4, v35
	v_cndmask_b32_e64 v40, v40, v6, s3
	v_cmp_eq_u32_e64 s3, 5, v35
	s_delay_alu instid0(VALU_DEP_1) | instskip(SKIP_1) | instid1(VALU_DEP_1)
	;; [unrolled: 5-line block ×3, first 2 shown]
	v_cndmask_b32_e64 v40, v40, v9, s3
	v_cmp_eq_u32_e64 s3, 8, v35
	v_cndmask_b32_e64 v40, v40, v10, s3
	v_cmp_eq_u32_e64 s3, 9, v35
	s_delay_alu instid0(VALU_DEP_1) | instskip(SKIP_2) | instid1(VALU_DEP_1)
	v_cndmask_b32_e64 v40, v40, v11, s3
	v_cmp_eq_u32_e64 s3, 10, v35
	v_add_co_u32 v35, s4, v35, 1
	v_add_co_ci_u32_e64 v36, s4, 0, v36, s4
	s_delay_alu instid0(VALU_DEP_3) | instskip(NEXT) | instid1(VALU_DEP_3)
	v_cndmask_b32_e64 v40, v40, v12, s3
	v_add_nc_u32_e32 v42, -1, v35
	s_waitcnt lgkmcnt(0)
	s_delay_alu instid0(VALU_DEP_2) | instskip(NEXT) | instid1(VALU_DEP_2)
	v_dual_fmac_f32 v38, v40, v41 :: v_dual_add_nc_u32 v39, 4, v39
	v_cmp_lt_u32_e64 s3, 5, v42
	s_delay_alu instid0(VALU_DEP_1) | instskip(NEXT) | instid1(SALU_CYCLE_1)
	s_or_b32 s13, s3, s13
	s_and_not1_b32 exec_lo, exec_lo, s13
	s_cbranch_execnz .LBB74_39
; %bb.40:
	s_or_b32 exec_lo, exec_lo, s13
	v_mov_b32_e32 v9, 0
	ds_load_b32 v9, v9 offset:28
	s_waitcnt lgkmcnt(0)
	v_mul_f32_e32 v9, v38, v9
.LBB74_41:
	s_or_b32 exec_lo, exec_lo, s5
	s_delay_alu instid0(SALU_CYCLE_1)
	s_mov_b32 s4, exec_lo
	s_barrier
	buffer_gl0_inv
	ds_store_b32 v37, v10
	s_waitcnt lgkmcnt(0)
	s_barrier
	buffer_gl0_inv
	v_cmpx_gt_u32_e32 8, v0
	s_cbranch_execz .LBB74_57
; %bb.42:
	v_cmp_eq_u32_e64 s3, 1, v0
	ds_load_b32 v36, v37
	s_mov_b32 s5, exec_lo
	v_cndmask_b32_e64 v35, v2, v3, s3
	v_cmp_eq_u32_e64 s3, 2, v0
	s_delay_alu instid0(VALU_DEP_1) | instskip(SKIP_1) | instid1(VALU_DEP_1)
	v_cndmask_b32_e64 v35, v35, v4, s3
	v_cmp_eq_u32_e64 s3, 3, v0
	v_cndmask_b32_e64 v35, v35, v5, s3
	v_cmp_eq_u32_e64 s3, 4, v0
	s_delay_alu instid0(VALU_DEP_1) | instskip(SKIP_1) | instid1(VALU_DEP_1)
	v_cndmask_b32_e64 v35, v35, v6, s3
	v_cmp_eq_u32_e64 s3, 5, v0
	;; [unrolled: 5-line block ×4, first 2 shown]
	v_cndmask_b32_e64 v35, v35, v11, s3
	v_cmp_eq_u32_e64 s3, 10, v0
	s_delay_alu instid0(VALU_DEP_1) | instskip(SKIP_2) | instid1(VALU_DEP_2)
	v_cndmask_b32_e64 v38, v35, v12, s3
	v_mov_b32_e32 v35, 0
	s_waitcnt lgkmcnt(0)
	v_fma_f32 v36, v38, v36, 0
	v_cmpx_ne_u32_e32 7, v0
	s_cbranch_execz .LBB74_56
; %bb.43:
	v_add_nc_u32_e32 v38, 1, v0
	ds_load_b32 v40, v37 offset:4
	v_cmp_eq_u32_e64 s3, 1, v38
	s_delay_alu instid0(VALU_DEP_1) | instskip(SKIP_1) | instid1(VALU_DEP_1)
	v_cndmask_b32_e64 v39, v2, v3, s3
	v_cmp_eq_u32_e64 s3, 2, v38
	v_cndmask_b32_e64 v39, v39, v4, s3
	v_cmp_eq_u32_e64 s3, 3, v38
	s_delay_alu instid0(VALU_DEP_1) | instskip(SKIP_1) | instid1(VALU_DEP_1)
	v_cndmask_b32_e64 v39, v39, v5, s3
	v_cmp_eq_u32_e64 s3, 4, v38
	v_cndmask_b32_e64 v39, v39, v6, s3
	v_cmp_eq_u32_e64 s3, 5, v38
	s_delay_alu instid0(VALU_DEP_1) | instskip(SKIP_1) | instid1(VALU_DEP_1)
	v_cndmask_b32_e64 v39, v39, v7, s3
	v_cmp_eq_u32_e64 s3, 6, v38
	v_cndmask_b32_e64 v39, v39, v8, s3
	v_cmp_eq_u32_e64 s3, 7, v38
	s_delay_alu instid0(VALU_DEP_1) | instskip(SKIP_1) | instid1(VALU_DEP_1)
	v_cndmask_b32_e64 v39, v39, v9, s3
	v_cmp_eq_u32_e64 s3, 8, v38
	v_cndmask_b32_e64 v39, v39, v10, s3
	v_cmp_eq_u32_e64 s3, 9, v38
	s_delay_alu instid0(VALU_DEP_1) | instskip(SKIP_1) | instid1(VALU_DEP_1)
	v_cndmask_b32_e64 v39, v39, v11, s3
	v_cmp_eq_u32_e64 s3, 10, v38
	v_cndmask_b32_e64 v38, v39, v12, s3
	s_waitcnt lgkmcnt(0)
	s_delay_alu instid0(VALU_DEP_1)
	v_fmac_f32_e32 v36, v38, v40
	s_and_saveexec_b32 s3, s2
	s_cbranch_execz .LBB74_55
; %bb.44:
	v_add_nc_u32_e32 v38, 2, v0
	ds_load_b32 v40, v37 offset:8
	s_mov_b32 s13, exec_lo
	v_cmp_eq_u32_e64 s2, 1, v38
	s_delay_alu instid0(VALU_DEP_1) | instskip(SKIP_1) | instid1(VALU_DEP_1)
	v_cndmask_b32_e64 v39, v2, v3, s2
	v_cmp_eq_u32_e64 s2, 2, v38
	v_cndmask_b32_e64 v39, v39, v4, s2
	v_cmp_eq_u32_e64 s2, 3, v38
	s_delay_alu instid0(VALU_DEP_1) | instskip(SKIP_1) | instid1(VALU_DEP_1)
	v_cndmask_b32_e64 v39, v39, v5, s2
	v_cmp_eq_u32_e64 s2, 4, v38
	v_cndmask_b32_e64 v39, v39, v6, s2
	;; [unrolled: 5-line block ×5, first 2 shown]
	s_waitcnt lgkmcnt(0)
	s_delay_alu instid0(VALU_DEP_1)
	v_fmac_f32_e32 v36, v38, v40
	v_cmpx_ne_u32_e32 5, v0
	s_cbranch_execz .LBB74_54
; %bb.45:
	v_add_nc_u32_e32 v38, 3, v0
	ds_load_b32 v40, v37 offset:12
	v_cmp_eq_u32_e64 s2, 1, v38
	s_delay_alu instid0(VALU_DEP_1) | instskip(SKIP_1) | instid1(VALU_DEP_1)
	v_cndmask_b32_e64 v39, v2, v3, s2
	v_cmp_eq_u32_e64 s2, 2, v38
	v_cndmask_b32_e64 v39, v39, v4, s2
	v_cmp_eq_u32_e64 s2, 3, v38
	s_delay_alu instid0(VALU_DEP_1) | instskip(SKIP_1) | instid1(VALU_DEP_1)
	v_cndmask_b32_e64 v39, v39, v5, s2
	v_cmp_eq_u32_e64 s2, 4, v38
	v_cndmask_b32_e64 v39, v39, v6, s2
	;; [unrolled: 5-line block ×5, first 2 shown]
	s_waitcnt lgkmcnt(0)
	s_delay_alu instid0(VALU_DEP_1)
	v_fmac_f32_e32 v36, v38, v40
	s_and_saveexec_b32 s2, s1
	s_cbranch_execz .LBB74_53
; %bb.46:
	v_or_b32_e32 v38, 4, v0
	ds_load_b32 v40, v37 offset:16
	s_mov_b32 s14, exec_lo
	v_cmp_eq_u32_e64 s1, 1, v38
	s_delay_alu instid0(VALU_DEP_1) | instskip(SKIP_1) | instid1(VALU_DEP_1)
	v_cndmask_b32_e64 v39, v2, v3, s1
	v_cmp_eq_u32_e64 s1, 2, v38
	v_cndmask_b32_e64 v39, v39, v4, s1
	v_cmp_eq_u32_e64 s1, 3, v38
	s_delay_alu instid0(VALU_DEP_1) | instskip(SKIP_1) | instid1(VALU_DEP_1)
	v_cndmask_b32_e64 v39, v39, v5, s1
	v_cmp_eq_u32_e64 s1, 4, v38
	v_cndmask_b32_e64 v39, v39, v6, s1
	;; [unrolled: 5-line block ×5, first 2 shown]
	s_waitcnt lgkmcnt(0)
	s_delay_alu instid0(VALU_DEP_1)
	v_fmac_f32_e32 v36, v38, v40
	v_cmpx_ne_u32_e32 3, v0
	s_cbranch_execz .LBB74_52
; %bb.47:
	v_add_nc_u32_e32 v38, 5, v0
	ds_load_b32 v40, v37 offset:20
	v_cmp_eq_u32_e64 s1, 1, v38
	s_delay_alu instid0(VALU_DEP_1) | instskip(SKIP_1) | instid1(VALU_DEP_1)
	v_cndmask_b32_e64 v39, v2, v3, s1
	v_cmp_eq_u32_e64 s1, 2, v38
	v_cndmask_b32_e64 v39, v39, v4, s1
	v_cmp_eq_u32_e64 s1, 3, v38
	s_delay_alu instid0(VALU_DEP_1) | instskip(SKIP_1) | instid1(VALU_DEP_1)
	v_cndmask_b32_e64 v39, v39, v5, s1
	v_cmp_eq_u32_e64 s1, 4, v38
	v_cndmask_b32_e64 v39, v39, v6, s1
	;; [unrolled: 5-line block ×5, first 2 shown]
	s_waitcnt lgkmcnt(0)
	s_delay_alu instid0(VALU_DEP_1)
	v_fmac_f32_e32 v36, v38, v40
	s_and_saveexec_b32 s1, vcc_lo
	s_cbranch_execz .LBB74_51
; %bb.48:
	v_or_b32_e32 v38, 6, v0
	ds_load_b32 v40, v37 offset:24
	v_cmp_eq_u32_e32 vcc_lo, 1, v38
	v_cndmask_b32_e32 v39, v2, v3, vcc_lo
	v_cmp_eq_u32_e32 vcc_lo, 2, v38
	s_delay_alu instid0(VALU_DEP_2) | instskip(SKIP_1) | instid1(VALU_DEP_2)
	v_cndmask_b32_e32 v39, v39, v4, vcc_lo
	v_cmp_eq_u32_e32 vcc_lo, 3, v38
	v_cndmask_b32_e32 v39, v39, v5, vcc_lo
	v_cmp_eq_u32_e32 vcc_lo, 4, v38
	s_delay_alu instid0(VALU_DEP_2) | instskip(SKIP_1) | instid1(VALU_DEP_2)
	v_cndmask_b32_e32 v39, v39, v6, vcc_lo
	;; [unrolled: 5-line block ×4, first 2 shown]
	v_cmp_eq_u32_e32 vcc_lo, 9, v38
	v_cndmask_b32_e32 v10, v10, v11, vcc_lo
	v_cmp_eq_u32_e32 vcc_lo, 10, v38
	s_delay_alu instid0(VALU_DEP_2) | instskip(SKIP_1) | instid1(VALU_DEP_1)
	v_cndmask_b32_e32 v10, v10, v12, vcc_lo
	s_waitcnt lgkmcnt(0)
	v_fmac_f32_e32 v36, v10, v40
	s_and_saveexec_b32 s15, s0
	s_cbranch_execz .LBB74_50
; %bb.49:
	ds_load_b32 v10, v37 offset:28
	s_waitcnt lgkmcnt(0)
	v_fmac_f32_e32 v36, v9, v10
.LBB74_50:
	s_or_b32 exec_lo, exec_lo, s15
.LBB74_51:
	s_delay_alu instid0(SALU_CYCLE_1)
	s_or_b32 exec_lo, exec_lo, s1
.LBB74_52:
	s_delay_alu instid0(SALU_CYCLE_1)
	s_or_b32 exec_lo, exec_lo, s14
.LBB74_53:
	s_delay_alu instid0(SALU_CYCLE_1)
	s_or_b32 exec_lo, exec_lo, s2
.LBB74_54:
	s_delay_alu instid0(SALU_CYCLE_1)
	s_or_b32 exec_lo, exec_lo, s13
.LBB74_55:
	s_delay_alu instid0(SALU_CYCLE_1)
	s_or_b32 exec_lo, exec_lo, s3
.LBB74_56:
	s_delay_alu instid0(SALU_CYCLE_1)
	s_or_b32 exec_lo, exec_lo, s5
	ds_load_b32 v10, v35 offset:32
	s_waitcnt lgkmcnt(0)
	v_mul_f32_e32 v10, v36, v10
.LBB74_57:
	s_or_b32 exec_lo, exec_lo, s4
	s_delay_alu instid0(SALU_CYCLE_1)
	s_mov_b32 s1, exec_lo
	s_barrier
	buffer_gl0_inv
	ds_store_b32 v37, v11
	s_waitcnt lgkmcnt(0)
	s_barrier
	buffer_gl0_inv
	v_cmpx_gt_u32_e32 9, v0
	s_cbranch_execz .LBB74_61
; %bb.58:
	v_mov_b32_e32 v36, v1
	v_lshl_add_u32 v39, v0, 2, 48
	v_dual_mov_b32 v38, 0 :: v_dual_mov_b32 v35, v0
	s_mov_b32 s2, 0
	s_set_inst_prefetch_distance 0x1
	.p2align	6
.LBB74_59:                              ; =>This Inner Loop Header: Depth=1
	s_delay_alu instid0(VALU_DEP_1) | instskip(SKIP_4) | instid1(VALU_DEP_2)
	v_cmp_eq_u32_e32 vcc_lo, 1, v35
	ds_load_b32 v41, v39
	v_add_nc_u32_e32 v39, 4, v39
	v_cndmask_b32_e32 v40, v2, v3, vcc_lo
	v_cmp_eq_u32_e32 vcc_lo, 2, v35
	v_cndmask_b32_e32 v40, v40, v4, vcc_lo
	v_cmp_eq_u32_e32 vcc_lo, 3, v35
	s_delay_alu instid0(VALU_DEP_2) | instskip(SKIP_1) | instid1(VALU_DEP_2)
	v_cndmask_b32_e32 v40, v40, v5, vcc_lo
	v_cmp_eq_u32_e32 vcc_lo, 4, v35
	v_cndmask_b32_e32 v40, v40, v6, vcc_lo
	v_cmp_eq_u32_e32 vcc_lo, 5, v35
	s_delay_alu instid0(VALU_DEP_2) | instskip(SKIP_1) | instid1(VALU_DEP_2)
	;; [unrolled: 5-line block ×3, first 2 shown]
	v_cndmask_b32_e32 v40, v40, v9, vcc_lo
	v_cmp_eq_u32_e32 vcc_lo, 8, v35
	v_cndmask_b32_e32 v40, v40, v10, vcc_lo
	v_cmp_eq_u32_e32 vcc_lo, 9, v35
	s_delay_alu instid0(VALU_DEP_2) | instskip(SKIP_2) | instid1(VALU_DEP_1)
	v_cndmask_b32_e32 v40, v40, v11, vcc_lo
	v_cmp_eq_u32_e32 vcc_lo, 10, v35
	v_add_co_u32 v35, s0, v35, 1
	v_add_co_ci_u32_e64 v36, s0, 0, v36, s0
	s_delay_alu instid0(VALU_DEP_4) | instskip(NEXT) | instid1(VALU_DEP_3)
	v_cndmask_b32_e32 v40, v40, v12, vcc_lo
	v_add_nc_u32_e32 v42, -1, v35
	s_waitcnt lgkmcnt(0)
	s_delay_alu instid0(VALU_DEP_2) | instskip(NEXT) | instid1(VALU_DEP_2)
	v_fmac_f32_e32 v38, v40, v41
	v_cmp_lt_u32_e32 vcc_lo, 7, v42
	s_or_b32 s2, vcc_lo, s2
	s_delay_alu instid0(SALU_CYCLE_1)
	s_and_not1_b32 exec_lo, exec_lo, s2
	s_cbranch_execnz .LBB74_59
; %bb.60:
	s_set_inst_prefetch_distance 0x2
	s_or_b32 exec_lo, exec_lo, s2
	v_mov_b32_e32 v11, 0
	ds_load_b32 v11, v11 offset:36
	s_waitcnt lgkmcnt(0)
	v_mul_f32_e32 v11, v38, v11
.LBB74_61:
	s_or_b32 exec_lo, exec_lo, s1
	s_delay_alu instid0(SALU_CYCLE_1)
	s_mov_b32 s1, exec_lo
	s_barrier
	buffer_gl0_inv
	ds_store_b32 v37, v12
	s_waitcnt lgkmcnt(0)
	s_barrier
	buffer_gl0_inv
	v_cmpx_ne_u32_e32 10, v0
	s_cbranch_execz .LBB74_65
; %bb.62:
	v_dual_mov_b32 v37, 0 :: v_dual_mov_b32 v36, v1
	v_lshl_add_u32 v38, v0, 2, 48
	v_mov_b32_e32 v35, v0
	s_mov_b32 s2, 0
	s_set_inst_prefetch_distance 0x1
	.p2align	6
.LBB74_63:                              ; =>This Inner Loop Header: Depth=1
	s_delay_alu instid0(VALU_DEP_1) | instskip(SKIP_3) | instid1(VALU_DEP_2)
	v_cmp_eq_u32_e32 vcc_lo, 1, v35
	ds_load_b32 v39, v38
	v_dual_cndmask_b32 v1, v2, v3 :: v_dual_add_nc_u32 v38, 4, v38
	v_cmp_eq_u32_e32 vcc_lo, 2, v35
	v_cndmask_b32_e32 v1, v1, v4, vcc_lo
	v_cmp_eq_u32_e32 vcc_lo, 3, v35
	s_delay_alu instid0(VALU_DEP_2) | instskip(SKIP_1) | instid1(VALU_DEP_2)
	v_cndmask_b32_e32 v1, v1, v5, vcc_lo
	v_cmp_eq_u32_e32 vcc_lo, 4, v35
	v_cndmask_b32_e32 v1, v1, v6, vcc_lo
	v_cmp_eq_u32_e32 vcc_lo, 5, v35
	s_delay_alu instid0(VALU_DEP_2) | instskip(SKIP_1) | instid1(VALU_DEP_2)
	v_cndmask_b32_e32 v1, v1, v7, vcc_lo
	;; [unrolled: 5-line block ×3, first 2 shown]
	v_cmp_eq_u32_e32 vcc_lo, 8, v35
	v_cndmask_b32_e32 v1, v1, v10, vcc_lo
	v_cmp_eq_u32_e32 vcc_lo, 9, v35
	s_delay_alu instid0(VALU_DEP_2) | instskip(SKIP_2) | instid1(VALU_DEP_1)
	v_cndmask_b32_e32 v1, v1, v11, vcc_lo
	v_cmp_eq_u32_e32 vcc_lo, 10, v35
	v_add_co_u32 v35, s0, v35, 1
	v_add_co_ci_u32_e64 v36, s0, 0, v36, s0
	s_delay_alu instid0(VALU_DEP_2) | instskip(SKIP_1) | instid1(VALU_DEP_1)
	v_dual_cndmask_b32 v1, v1, v12 :: v_dual_add_nc_u32 v40, -1, v35
	s_waitcnt lgkmcnt(0)
	v_fmac_f32_e32 v37, v1, v39
	s_delay_alu instid0(VALU_DEP_2) | instskip(SKIP_1) | instid1(SALU_CYCLE_1)
	v_cmp_lt_u32_e32 vcc_lo, 8, v40
	s_or_b32 s2, vcc_lo, s2
	s_and_not1_b32 exec_lo, exec_lo, s2
	s_cbranch_execnz .LBB74_63
; %bb.64:
	s_set_inst_prefetch_distance 0x2
	s_or_b32 exec_lo, exec_lo, s2
	v_mov_b32_e32 v1, 0
	ds_load_b32 v1, v1 offset:40
	s_waitcnt lgkmcnt(0)
	v_mul_f32_e32 v12, v37, v1
.LBB74_65:
	s_or_b32 exec_lo, exec_lo, s1
	s_barrier
	buffer_gl0_inv
	s_cbranch_execnz .LBB74_15
	s_branch .LBB74_16
.LBB74_66:
	v_lshl_add_u32 v1, v0, 2, 48
	s_mov_b32 s0, exec_lo
	v_cmpx_eq_u32_e32 10, v0
	s_cbranch_execz .LBB74_68
; %bb.67:
	s_mov_b32 s1, 0
	ds_store_b32 v1, v11
	v_mov_b32_e32 v11, s1
.LBB74_68:
	s_or_b32 exec_lo, exec_lo, s0
	v_mov_b32_e32 v35, 0
	s_waitcnt lgkmcnt(0)
	s_waitcnt_vscnt null, 0x0
	s_barrier
	buffer_gl0_inv
	s_mov_b32 s0, exec_lo
	ds_load_b32 v36, v35 offset:88
	s_waitcnt lgkmcnt(0)
	v_fma_f32 v36, v12, v36, 0
	s_delay_alu instid0(VALU_DEP_1)
	v_sub_f32_e32 v11, v11, v36
	v_cmpx_lt_u32_e32 8, v0
	s_cbranch_execz .LBB74_70
; %bb.69:
	s_mov_b32 s1, 0
	s_delay_alu instid0(VALU_DEP_2)
	v_dual_mov_b32 v46, v12 :: v_dual_mov_b32 v45, v11
	v_dual_mov_b32 v44, v10 :: v_dual_mov_b32 v43, v9
	v_mov_b32_e32 v36, v2
	v_dual_mov_b32 v42, v8 :: v_dual_mov_b32 v41, v7
	v_dual_mov_b32 v40, v6 :: v_dual_mov_b32 v39, v5
	;; [unrolled: 1-line block ×3, first 2 shown]
	v_mov_b32_e32 v44, s1
	ds_store_b32 v1, v10
	v_mov_b32_e32 v2, v36
	v_dual_mov_b32 v4, v38 :: v_dual_mov_b32 v5, v39
	v_dual_mov_b32 v3, v37 :: v_dual_mov_b32 v6, v40
	;; [unrolled: 1-line block ×5, first 2 shown]
.LBB74_70:
	s_or_b32 exec_lo, exec_lo, s0
	s_waitcnt lgkmcnt(0)
	s_barrier
	buffer_gl0_inv
	ds_load_2addr_b32 v[35:36], v35 offset0:21 offset1:22
	s_mov_b32 s0, exec_lo
	s_waitcnt lgkmcnt(0)
	v_fma_f32 v35, v11, v35, 0
	s_delay_alu instid0(VALU_DEP_1) | instskip(NEXT) | instid1(VALU_DEP_1)
	v_fmac_f32_e32 v35, v12, v36
	v_sub_f32_e32 v10, v10, v35
	v_cmpx_lt_u32_e32 7, v0
	s_cbranch_execz .LBB74_72
; %bb.71:
	s_mov_b32 s1, 0
	v_dual_mov_b32 v45, v12 :: v_dual_mov_b32 v44, v11
	v_dual_mov_b32 v43, v10 :: v_dual_mov_b32 v42, v9
	;; [unrolled: 1-line block ×6, first 2 shown]
	ds_store_b32 v1, v9
	v_dual_mov_b32 v2, v35 :: v_dual_mov_b32 v5, v38
	v_dual_mov_b32 v4, v37 :: v_dual_mov_b32 v3, v36
	;; [unrolled: 1-line block ×5, first 2 shown]
	v_mov_b32_e32 v12, v45
.LBB74_72:
	s_or_b32 exec_lo, exec_lo, s0
	v_mov_b32_e32 v35, 0
	s_waitcnt lgkmcnt(0)
	s_barrier
	buffer_gl0_inv
	s_mov_b32 s0, exec_lo
	ds_load_b96 v[36:38], v35 offset:80
	s_waitcnt lgkmcnt(0)
	v_fma_f32 v36, v10, v36, 0
	s_delay_alu instid0(VALU_DEP_1) | instskip(NEXT) | instid1(VALU_DEP_1)
	v_fmac_f32_e32 v36, v11, v37
	v_fmac_f32_e32 v36, v12, v38
	s_delay_alu instid0(VALU_DEP_1)
	v_sub_f32_e32 v9, v9, v36
	v_cmpx_lt_u32_e32 6, v0
	s_cbranch_execz .LBB74_74
; %bb.73:
	s_mov_b32 s1, 0
	v_dual_mov_b32 v46, v12 :: v_dual_mov_b32 v45, v11
	v_dual_mov_b32 v42, v8 :: v_dual_mov_b32 v41, v7
	v_mov_b32_e32 v36, v2
	v_dual_mov_b32 v44, v10 :: v_dual_mov_b32 v43, v9
	v_dual_mov_b32 v40, v6 :: v_dual_mov_b32 v39, v5
	v_dual_mov_b32 v38, v4 :: v_dual_mov_b32 v37, v3
	v_mov_b32_e32 v42, s1
	ds_store_b32 v1, v8
	v_mov_b32_e32 v2, v36
	v_dual_mov_b32 v4, v38 :: v_dual_mov_b32 v5, v39
	v_dual_mov_b32 v3, v37 :: v_dual_mov_b32 v6, v40
	;; [unrolled: 1-line block ×5, first 2 shown]
.LBB74_74:
	s_or_b32 exec_lo, exec_lo, s0
	s_waitcnt lgkmcnt(0)
	s_barrier
	buffer_gl0_inv
	ds_load_2addr_b32 v[36:37], v35 offset0:19 offset1:20
	ds_load_2addr_b32 v[38:39], v35 offset0:21 offset1:22
	s_mov_b32 s0, exec_lo
	s_waitcnt lgkmcnt(1)
	v_fma_f32 v35, v9, v36, 0
	s_delay_alu instid0(VALU_DEP_1) | instskip(SKIP_1) | instid1(VALU_DEP_1)
	v_fmac_f32_e32 v35, v10, v37
	s_waitcnt lgkmcnt(0)
	v_fmac_f32_e32 v35, v11, v38
	s_delay_alu instid0(VALU_DEP_1) | instskip(NEXT) | instid1(VALU_DEP_1)
	v_fmac_f32_e32 v35, v12, v39
	v_sub_f32_e32 v8, v8, v35
	v_cmpx_lt_u32_e32 5, v0
	s_cbranch_execz .LBB74_76
; %bb.75:
	s_mov_b32 s1, 0
	v_dual_mov_b32 v45, v12 :: v_dual_mov_b32 v44, v11
	v_dual_mov_b32 v41, v8 :: v_dual_mov_b32 v40, v7
	;; [unrolled: 1-line block ×6, first 2 shown]
	ds_store_b32 v1, v7
	v_dual_mov_b32 v2, v35 :: v_dual_mov_b32 v5, v38
	v_dual_mov_b32 v4, v37 :: v_dual_mov_b32 v3, v36
	;; [unrolled: 1-line block ×5, first 2 shown]
	v_mov_b32_e32 v12, v45
.LBB74_76:
	s_or_b32 exec_lo, exec_lo, s0
	v_mov_b32_e32 v35, 0
	s_waitcnt lgkmcnt(0)
	s_barrier
	buffer_gl0_inv
	s_mov_b32 s0, exec_lo
	ds_load_2addr_b64 v[36:39], v35 offset0:9 offset1:10
	ds_load_b32 v40, v35 offset:88
	s_waitcnt lgkmcnt(1)
	v_fma_f32 v36, v8, v36, 0
	s_delay_alu instid0(VALU_DEP_1) | instskip(NEXT) | instid1(VALU_DEP_1)
	v_fmac_f32_e32 v36, v9, v37
	v_fmac_f32_e32 v36, v10, v38
	s_delay_alu instid0(VALU_DEP_1) | instskip(SKIP_1) | instid1(VALU_DEP_1)
	v_fmac_f32_e32 v36, v11, v39
	s_waitcnt lgkmcnt(0)
	v_fmac_f32_e32 v36, v12, v40
	s_delay_alu instid0(VALU_DEP_1)
	v_sub_f32_e32 v7, v7, v36
	v_cmpx_lt_u32_e32 4, v0
	s_cbranch_execz .LBB74_78
; %bb.77:
	s_mov_b32 s1, 0
	v_dual_mov_b32 v46, v12 :: v_dual_mov_b32 v45, v11
	v_dual_mov_b32 v40, v6 :: v_dual_mov_b32 v39, v5
	v_mov_b32_e32 v36, v2
	v_dual_mov_b32 v44, v10 :: v_dual_mov_b32 v43, v9
	v_dual_mov_b32 v42, v8 :: v_dual_mov_b32 v41, v7
	;; [unrolled: 1-line block ×3, first 2 shown]
	v_mov_b32_e32 v40, s1
	ds_store_b32 v1, v6
	v_mov_b32_e32 v2, v36
	v_dual_mov_b32 v4, v38 :: v_dual_mov_b32 v5, v39
	v_dual_mov_b32 v3, v37 :: v_dual_mov_b32 v6, v40
	;; [unrolled: 1-line block ×5, first 2 shown]
.LBB74_78:
	s_or_b32 exec_lo, exec_lo, s0
	s_waitcnt lgkmcnt(0)
	s_barrier
	buffer_gl0_inv
	ds_load_2addr_b32 v[36:37], v35 offset0:17 offset1:18
	ds_load_2addr_b32 v[38:39], v35 offset0:19 offset1:20
	;; [unrolled: 1-line block ×3, first 2 shown]
	s_mov_b32 s0, exec_lo
	s_waitcnt lgkmcnt(2)
	v_fma_f32 v35, v7, v36, 0
	s_delay_alu instid0(VALU_DEP_1) | instskip(SKIP_1) | instid1(VALU_DEP_1)
	v_fmac_f32_e32 v35, v8, v37
	s_waitcnt lgkmcnt(1)
	v_fmac_f32_e32 v35, v9, v38
	s_delay_alu instid0(VALU_DEP_1) | instskip(SKIP_1) | instid1(VALU_DEP_1)
	v_fmac_f32_e32 v35, v10, v39
	s_waitcnt lgkmcnt(0)
	v_fmac_f32_e32 v35, v11, v40
	s_delay_alu instid0(VALU_DEP_1) | instskip(NEXT) | instid1(VALU_DEP_1)
	v_fmac_f32_e32 v35, v12, v41
	v_sub_f32_e32 v6, v6, v35
	v_cmpx_lt_u32_e32 3, v0
	s_cbranch_execz .LBB74_80
; %bb.79:
	s_mov_b32 s1, 0
	v_dual_mov_b32 v45, v12 :: v_dual_mov_b32 v44, v11
	v_dual_mov_b32 v39, v6 :: v_dual_mov_b32 v38, v5
	;; [unrolled: 1-line block ×6, first 2 shown]
	ds_store_b32 v1, v5
	v_dual_mov_b32 v2, v35 :: v_dual_mov_b32 v5, v38
	v_dual_mov_b32 v4, v37 :: v_dual_mov_b32 v3, v36
	;; [unrolled: 1-line block ×5, first 2 shown]
	v_mov_b32_e32 v12, v45
.LBB74_80:
	s_or_b32 exec_lo, exec_lo, s0
	v_mov_b32_e32 v35, 0
	s_waitcnt lgkmcnt(0)
	s_barrier
	buffer_gl0_inv
	s_mov_b32 s0, exec_lo
	ds_load_b128 v[36:39], v35 offset:64
	ds_load_b96 v[40:42], v35 offset:80
	s_waitcnt lgkmcnt(1)
	v_fma_f32 v36, v6, v36, 0
	s_delay_alu instid0(VALU_DEP_1) | instskip(NEXT) | instid1(VALU_DEP_1)
	v_fmac_f32_e32 v36, v7, v37
	v_fmac_f32_e32 v36, v8, v38
	s_delay_alu instid0(VALU_DEP_1) | instskip(SKIP_1) | instid1(VALU_DEP_1)
	v_fmac_f32_e32 v36, v9, v39
	s_waitcnt lgkmcnt(0)
	v_fmac_f32_e32 v36, v10, v40
	s_delay_alu instid0(VALU_DEP_1) | instskip(NEXT) | instid1(VALU_DEP_1)
	v_fmac_f32_e32 v36, v11, v41
	v_fmac_f32_e32 v36, v12, v42
	s_delay_alu instid0(VALU_DEP_1)
	v_sub_f32_e32 v5, v5, v36
	v_cmpx_lt_u32_e32 2, v0
	s_cbranch_execz .LBB74_82
; %bb.81:
	s_mov_b32 s1, 0
	v_dual_mov_b32 v46, v12 :: v_dual_mov_b32 v45, v11
	v_dual_mov_b32 v38, v4 :: v_dual_mov_b32 v37, v3
	v_mov_b32_e32 v36, v2
	v_dual_mov_b32 v44, v10 :: v_dual_mov_b32 v43, v9
	v_dual_mov_b32 v42, v8 :: v_dual_mov_b32 v41, v7
	;; [unrolled: 1-line block ×3, first 2 shown]
	v_mov_b32_e32 v38, s1
	ds_store_b32 v1, v4
	v_dual_mov_b32 v2, v36 :: v_dual_mov_b32 v3, v37
	v_dual_mov_b32 v5, v39 :: v_dual_mov_b32 v4, v38
	v_dual_mov_b32 v6, v40 :: v_dual_mov_b32 v7, v41
	v_dual_mov_b32 v8, v42 :: v_dual_mov_b32 v9, v43
	v_dual_mov_b32 v10, v44 :: v_dual_mov_b32 v11, v45
	v_mov_b32_e32 v12, v46
.LBB74_82:
	s_or_b32 exec_lo, exec_lo, s0
	s_waitcnt lgkmcnt(0)
	s_barrier
	buffer_gl0_inv
	ds_load_2addr_b32 v[36:37], v35 offset0:15 offset1:16
	ds_load_2addr_b32 v[38:39], v35 offset0:17 offset1:18
	ds_load_2addr_b32 v[40:41], v35 offset0:19 offset1:20
	ds_load_2addr_b32 v[42:43], v35 offset0:21 offset1:22
	s_mov_b32 s0, exec_lo
	s_waitcnt lgkmcnt(3)
	v_fma_f32 v35, v5, v36, 0
	s_delay_alu instid0(VALU_DEP_1) | instskip(SKIP_1) | instid1(VALU_DEP_1)
	v_fmac_f32_e32 v35, v6, v37
	s_waitcnt lgkmcnt(2)
	v_fmac_f32_e32 v35, v7, v38
	s_delay_alu instid0(VALU_DEP_1) | instskip(SKIP_1) | instid1(VALU_DEP_1)
	v_fmac_f32_e32 v35, v8, v39
	s_waitcnt lgkmcnt(1)
	v_fmac_f32_e32 v35, v9, v40
	s_delay_alu instid0(VALU_DEP_1) | instskip(SKIP_1) | instid1(VALU_DEP_1)
	v_fmac_f32_e32 v35, v10, v41
	s_waitcnt lgkmcnt(0)
	v_fmac_f32_e32 v35, v11, v42
	s_delay_alu instid0(VALU_DEP_1) | instskip(NEXT) | instid1(VALU_DEP_1)
	v_fmac_f32_e32 v35, v12, v43
	v_sub_f32_e32 v4, v4, v35
	v_cmpx_lt_u32_e32 1, v0
	s_cbranch_execz .LBB74_84
; %bb.83:
	s_mov_b32 s1, 0
	v_dual_mov_b32 v45, v12 :: v_dual_mov_b32 v44, v11
	v_dual_mov_b32 v37, v4 :: v_dual_mov_b32 v36, v3
	;; [unrolled: 1-line block ×6, first 2 shown]
	ds_store_b32 v1, v3
	v_dual_mov_b32 v2, v35 :: v_dual_mov_b32 v3, v36
	v_dual_mov_b32 v4, v37 :: v_dual_mov_b32 v5, v38
	;; [unrolled: 1-line block ×5, first 2 shown]
	v_mov_b32_e32 v12, v45
.LBB74_84:
	s_or_b32 exec_lo, exec_lo, s0
	v_mov_b32_e32 v35, 0
	s_waitcnt lgkmcnt(0)
	s_barrier
	buffer_gl0_inv
	s_mov_b32 s1, 0
	ds_load_2addr_b64 v[36:39], v35 offset0:7 offset1:8
	ds_load_2addr_b64 v[40:43], v35 offset0:9 offset1:10
	s_mov_b32 s0, exec_lo
	s_waitcnt lgkmcnt(1)
	v_fma_f32 v36, v4, v36, 0
	s_delay_alu instid0(VALU_DEP_1) | instskip(SKIP_2) | instid1(VALU_DEP_1)
	v_fmac_f32_e32 v36, v5, v37
	ds_load_b32 v37, v35 offset:88
	v_fmac_f32_e32 v36, v6, v38
	v_fmac_f32_e32 v36, v7, v39
	s_waitcnt lgkmcnt(1)
	s_delay_alu instid0(VALU_DEP_1) | instskip(NEXT) | instid1(VALU_DEP_1)
	v_fmac_f32_e32 v36, v8, v40
	v_fmac_f32_e32 v36, v9, v41
	s_delay_alu instid0(VALU_DEP_1) | instskip(NEXT) | instid1(VALU_DEP_1)
	v_fmac_f32_e32 v36, v10, v42
	v_fmac_f32_e32 v36, v11, v43
	s_waitcnt lgkmcnt(0)
	s_delay_alu instid0(VALU_DEP_1) | instskip(NEXT) | instid1(VALU_DEP_1)
	v_fmac_f32_e32 v36, v12, v37
	v_sub_f32_e32 v3, v3, v36
	v_cmpx_ne_u32_e32 0, v0
	s_cbranch_execz .LBB74_86
; %bb.85:
	v_dual_mov_b32 v46, v12 :: v_dual_mov_b32 v45, v11
	v_mov_b32_e32 v36, v2
	v_mov_b32_e32 v36, s1
	v_dual_mov_b32 v44, v10 :: v_dual_mov_b32 v43, v9
	v_dual_mov_b32 v42, v8 :: v_dual_mov_b32 v41, v7
	;; [unrolled: 1-line block ×4, first 2 shown]
	ds_store_b32 v1, v2
	v_dual_mov_b32 v2, v36 :: v_dual_mov_b32 v5, v39
	v_dual_mov_b32 v4, v38 :: v_dual_mov_b32 v3, v37
	;; [unrolled: 1-line block ×5, first 2 shown]
	v_mov_b32_e32 v12, v46
.LBB74_86:
	s_or_b32 exec_lo, exec_lo, s0
	s_waitcnt lgkmcnt(0)
	s_barrier
	buffer_gl0_inv
	ds_load_2addr_b32 v[0:1], v35 offset0:13 offset1:14
	ds_load_2addr_b32 v[36:37], v35 offset0:15 offset1:16
	;; [unrolled: 1-line block ×4, first 2 shown]
	s_and_b32 vcc_lo, exec_lo, s12
	s_waitcnt lgkmcnt(3)
	v_fma_f32 v42, v3, v0, 0
	s_delay_alu instid0(VALU_DEP_1) | instskip(SKIP_3) | instid1(VALU_DEP_1)
	v_fmac_f32_e32 v42, v4, v1
	ds_load_2addr_b32 v[0:1], v35 offset0:21 offset1:22
	s_waitcnt lgkmcnt(3)
	v_fmac_f32_e32 v42, v5, v36
	v_fmac_f32_e32 v42, v6, v37
	s_waitcnt lgkmcnt(2)
	s_delay_alu instid0(VALU_DEP_1) | instskip(NEXT) | instid1(VALU_DEP_1)
	v_fmac_f32_e32 v42, v7, v38
	v_fmac_f32_e32 v42, v8, v39
	s_waitcnt lgkmcnt(1)
	s_delay_alu instid0(VALU_DEP_1) | instskip(NEXT) | instid1(VALU_DEP_1)
	;; [unrolled: 4-line block ×3, first 2 shown]
	v_fmac_f32_e32 v42, v11, v0
	v_fmac_f32_e32 v42, v12, v1
	s_delay_alu instid0(VALU_DEP_1)
	v_sub_f32_e32 v2, v2, v42
	s_cbranch_vccz .LBB74_108
; %bb.87:
	v_dual_mov_b32 v0, s8 :: v_dual_mov_b32 v1, s9
	s_mov_b32 s7, exec_lo
	flat_load_b32 v0, v[0:1] offset:36
	s_waitcnt vmcnt(0) lgkmcnt(0)
	v_add_nc_u32_e32 v0, -1, v0
	s_delay_alu instid0(VALU_DEP_1)
	v_cmpx_ne_u32_e32 9, v0
	s_cbranch_execz .LBB74_89
; %bb.88:
	v_cmp_eq_u32_e32 vcc_lo, 1, v0
	v_cmp_eq_u32_e64 s0, 2, v0
	v_cmp_eq_u32_e64 s1, 3, v0
	;; [unrolled: 1-line block ×7, first 2 shown]
	v_cndmask_b32_e64 v37, v4, v11, s0
	v_cndmask_b32_e32 v36, v3, v11, vcc_lo
	v_cndmask_b32_e64 v38, v5, v11, s1
	v_cndmask_b32_e64 v39, v6, v11, s2
	;; [unrolled: 1-line block ×6, first 2 shown]
	v_cndmask_b32_e32 v1, v2, v3, vcc_lo
	v_cmp_eq_u32_e32 vcc_lo, 9, v0
	s_delay_alu instid0(VALU_DEP_2) | instskip(SKIP_1) | instid1(VALU_DEP_2)
	v_cndmask_b32_e64 v1, v1, v4, s0
	v_cmp_eq_u32_e64 s0, 10, v0
	v_cndmask_b32_e64 v1, v1, v5, s1
	s_delay_alu instid0(VALU_DEP_2) | instskip(NEXT) | instid1(VALU_DEP_2)
	v_cndmask_b32_e64 v45, v12, v11, s0
	v_cndmask_b32_e64 v1, v1, v6, s2
	s_delay_alu instid0(VALU_DEP_1) | instskip(NEXT) | instid1(VALU_DEP_1)
	v_cndmask_b32_e64 v1, v1, v7, s3
	v_cndmask_b32_e64 v1, v1, v8, s4
	s_delay_alu instid0(VALU_DEP_1) | instskip(NEXT) | instid1(VALU_DEP_1)
	;; [unrolled: 3-line block ×3, first 2 shown]
	v_cndmask_b32_e32 v1, v1, v11, vcc_lo
	v_cndmask_b32_e64 v1, v1, v12, s0
	s_delay_alu instid0(VALU_DEP_1) | instskip(SKIP_2) | instid1(VALU_DEP_1)
	v_cndmask_b32_e32 v44, v1, v11, vcc_lo
	v_cmp_eq_u32_e32 vcc_lo, 0, v0
	v_cndmask_b32_e32 v35, v2, v11, vcc_lo
	v_mov_b32_e32 v2, v35
	v_dual_mov_b32 v6, v39 :: v_dual_mov_b32 v3, v36
	v_dual_mov_b32 v4, v37 :: v_dual_mov_b32 v5, v38
	;; [unrolled: 1-line block ×5, first 2 shown]
.LBB74_89:
	s_or_b32 exec_lo, exec_lo, s7
	v_dual_mov_b32 v0, s8 :: v_dual_mov_b32 v1, s9
	s_mov_b32 s7, exec_lo
	flat_load_b32 v0, v[0:1] offset:32
	s_waitcnt vmcnt(0) lgkmcnt(0)
	v_add_nc_u32_e32 v0, -1, v0
	s_delay_alu instid0(VALU_DEP_1)
	v_cmpx_ne_u32_e32 8, v0
	s_cbranch_execz .LBB74_91
; %bb.90:
	v_cmp_eq_u32_e32 vcc_lo, 1, v0
	v_cmp_eq_u32_e64 s0, 2, v0
	v_cmp_eq_u32_e64 s1, 3, v0
	v_cmp_eq_u32_e64 s2, 4, v0
	v_cmp_eq_u32_e64 s3, 5, v0
	v_dual_cndmask_b32 v1, v2, v3 :: v_dual_cndmask_b32 v36, v3, v10
	v_cmp_eq_u32_e64 s4, 6, v0
	v_cmp_eq_u32_e64 s5, 7, v0
	;; [unrolled: 1-line block ×3, first 2 shown]
	s_delay_alu instid0(VALU_DEP_4)
	v_cndmask_b32_e64 v1, v1, v4, s0
	v_cmp_eq_u32_e32 vcc_lo, 9, v0
	v_cndmask_b32_e64 v37, v4, v10, s0
	v_cmp_eq_u32_e64 s0, 10, v0
	v_cndmask_b32_e64 v38, v5, v10, s1
	v_cndmask_b32_e64 v1, v1, v5, s1
	;; [unrolled: 1-line block ×8, first 2 shown]
	v_cndmask_b32_e32 v44, v11, v10, vcc_lo
	s_delay_alu instid0(VALU_DEP_3) | instskip(NEXT) | instid1(VALU_DEP_1)
	v_cndmask_b32_e64 v1, v1, v7, s3
	v_cndmask_b32_e64 v1, v1, v8, s4
	s_delay_alu instid0(VALU_DEP_1) | instskip(NEXT) | instid1(VALU_DEP_1)
	v_cndmask_b32_e64 v1, v1, v9, s5
	v_cndmask_b32_e64 v1, v1, v10, s6
	s_delay_alu instid0(VALU_DEP_1) | instskip(SKIP_1) | instid1(VALU_DEP_2)
	v_cndmask_b32_e32 v1, v1, v11, vcc_lo
	v_cmp_eq_u32_e32 vcc_lo, 0, v0
	v_cndmask_b32_e64 v1, v1, v12, s0
	v_cndmask_b32_e32 v35, v2, v10, vcc_lo
	s_delay_alu instid0(VALU_DEP_2) | instskip(NEXT) | instid1(VALU_DEP_2)
	v_cndmask_b32_e64 v43, v1, v10, s6
	v_dual_mov_b32 v2, v35 :: v_dual_mov_b32 v3, v36
	v_dual_mov_b32 v4, v37 :: v_dual_mov_b32 v5, v38
	;; [unrolled: 1-line block ×5, first 2 shown]
	v_mov_b32_e32 v12, v45
.LBB74_91:
	s_or_b32 exec_lo, exec_lo, s7
	v_dual_mov_b32 v0, s8 :: v_dual_mov_b32 v1, s9
	s_mov_b32 s7, exec_lo
	flat_load_b32 v0, v[0:1] offset:28
	s_waitcnt vmcnt(0) lgkmcnt(0)
	v_add_nc_u32_e32 v0, -1, v0
	s_delay_alu instid0(VALU_DEP_1)
	v_cmpx_ne_u32_e32 7, v0
	s_cbranch_execz .LBB74_93
; %bb.92:
	v_cmp_eq_u32_e32 vcc_lo, 1, v0
	v_cmp_eq_u32_e64 s0, 2, v0
	v_cmp_eq_u32_e64 s1, 3, v0
	v_cmp_eq_u32_e64 s2, 4, v0
	v_cmp_eq_u32_e64 s3, 5, v0
	v_dual_cndmask_b32 v1, v2, v3 :: v_dual_cndmask_b32 v36, v3, v9
	v_cmp_eq_u32_e64 s4, 6, v0
	v_cmp_eq_u32_e64 s5, 7, v0
	;; [unrolled: 1-line block ×3, first 2 shown]
	s_delay_alu instid0(VALU_DEP_4)
	v_cndmask_b32_e64 v1, v1, v4, s0
	v_cmp_eq_u32_e32 vcc_lo, 9, v0
	v_cndmask_b32_e64 v37, v4, v9, s0
	v_cmp_eq_u32_e64 s0, 10, v0
	v_cndmask_b32_e64 v38, v5, v9, s1
	v_cndmask_b32_e64 v1, v1, v5, s1
	;; [unrolled: 1-line block ×8, first 2 shown]
	v_cndmask_b32_e32 v44, v11, v9, vcc_lo
	s_delay_alu instid0(VALU_DEP_3) | instskip(NEXT) | instid1(VALU_DEP_1)
	v_cndmask_b32_e64 v1, v1, v7, s3
	v_cndmask_b32_e64 v1, v1, v8, s4
	s_delay_alu instid0(VALU_DEP_1) | instskip(NEXT) | instid1(VALU_DEP_1)
	v_cndmask_b32_e64 v1, v1, v9, s5
	v_cndmask_b32_e64 v1, v1, v10, s6
	s_delay_alu instid0(VALU_DEP_1) | instskip(SKIP_1) | instid1(VALU_DEP_2)
	v_cndmask_b32_e32 v1, v1, v11, vcc_lo
	v_cmp_eq_u32_e32 vcc_lo, 0, v0
	v_cndmask_b32_e64 v1, v1, v12, s0
	v_cndmask_b32_e32 v35, v2, v9, vcc_lo
	s_delay_alu instid0(VALU_DEP_2) | instskip(NEXT) | instid1(VALU_DEP_2)
	v_cndmask_b32_e64 v42, v1, v9, s5
	v_dual_mov_b32 v2, v35 :: v_dual_mov_b32 v3, v36
	v_dual_mov_b32 v4, v37 :: v_dual_mov_b32 v5, v38
	;; [unrolled: 1-line block ×3, first 2 shown]
	s_delay_alu instid0(VALU_DEP_4)
	v_dual_mov_b32 v8, v41 :: v_dual_mov_b32 v9, v42
	v_dual_mov_b32 v10, v43 :: v_dual_mov_b32 v11, v44
	v_mov_b32_e32 v12, v45
.LBB74_93:
	s_or_b32 exec_lo, exec_lo, s7
	v_dual_mov_b32 v0, s8 :: v_dual_mov_b32 v1, s9
	s_mov_b32 s7, exec_lo
	flat_load_b32 v0, v[0:1] offset:24
	s_waitcnt vmcnt(0) lgkmcnt(0)
	v_add_nc_u32_e32 v0, -1, v0
	s_delay_alu instid0(VALU_DEP_1)
	v_cmpx_ne_u32_e32 6, v0
	s_cbranch_execz .LBB74_95
; %bb.94:
	v_cmp_eq_u32_e32 vcc_lo, 1, v0
	v_cmp_eq_u32_e64 s0, 2, v0
	v_cmp_eq_u32_e64 s1, 3, v0
	;; [unrolled: 1-line block ×4, first 2 shown]
	v_dual_cndmask_b32 v1, v2, v3 :: v_dual_cndmask_b32 v36, v3, v8
	v_cmp_eq_u32_e64 s4, 6, v0
	v_cmp_eq_u32_e64 s5, 7, v0
	;; [unrolled: 1-line block ×3, first 2 shown]
	s_delay_alu instid0(VALU_DEP_4)
	v_cndmask_b32_e64 v1, v1, v4, s0
	v_cmp_eq_u32_e32 vcc_lo, 9, v0
	v_cndmask_b32_e64 v37, v4, v8, s0
	v_cmp_eq_u32_e64 s0, 10, v0
	v_cndmask_b32_e64 v38, v5, v8, s1
	v_cndmask_b32_e64 v1, v1, v5, s1
	;; [unrolled: 1-line block ×8, first 2 shown]
	v_cndmask_b32_e32 v44, v11, v8, vcc_lo
	s_delay_alu instid0(VALU_DEP_3) | instskip(NEXT) | instid1(VALU_DEP_1)
	v_cndmask_b32_e64 v1, v1, v7, s3
	v_cndmask_b32_e64 v1, v1, v8, s4
	s_delay_alu instid0(VALU_DEP_1) | instskip(NEXT) | instid1(VALU_DEP_1)
	v_cndmask_b32_e64 v1, v1, v9, s5
	v_cndmask_b32_e64 v1, v1, v10, s6
	s_delay_alu instid0(VALU_DEP_1) | instskip(SKIP_1) | instid1(VALU_DEP_2)
	v_cndmask_b32_e32 v1, v1, v11, vcc_lo
	v_cmp_eq_u32_e32 vcc_lo, 0, v0
	v_cndmask_b32_e64 v1, v1, v12, s0
	v_cndmask_b32_e32 v35, v2, v8, vcc_lo
	s_delay_alu instid0(VALU_DEP_2) | instskip(NEXT) | instid1(VALU_DEP_2)
	v_cndmask_b32_e64 v41, v1, v8, s4
	v_dual_mov_b32 v2, v35 :: v_dual_mov_b32 v3, v36
	v_dual_mov_b32 v4, v37 :: v_dual_mov_b32 v5, v38
	;; [unrolled: 1-line block ×3, first 2 shown]
	s_delay_alu instid0(VALU_DEP_4)
	v_dual_mov_b32 v8, v41 :: v_dual_mov_b32 v9, v42
	v_dual_mov_b32 v10, v43 :: v_dual_mov_b32 v11, v44
	v_mov_b32_e32 v12, v45
.LBB74_95:
	s_or_b32 exec_lo, exec_lo, s7
	v_dual_mov_b32 v0, s8 :: v_dual_mov_b32 v1, s9
	s_mov_b32 s7, exec_lo
	flat_load_b32 v0, v[0:1] offset:20
	s_waitcnt vmcnt(0) lgkmcnt(0)
	v_add_nc_u32_e32 v0, -1, v0
	s_delay_alu instid0(VALU_DEP_1)
	v_cmpx_ne_u32_e32 5, v0
	s_cbranch_execz .LBB74_97
; %bb.96:
	v_cmp_eq_u32_e32 vcc_lo, 1, v0
	v_cmp_eq_u32_e64 s0, 2, v0
	v_cmp_eq_u32_e64 s1, 3, v0
	;; [unrolled: 1-line block ×6, first 2 shown]
	v_cndmask_b32_e64 v37, v4, v7, s0
	v_cndmask_b32_e32 v36, v3, v7, vcc_lo
	v_cndmask_b32_e64 v38, v5, v7, s1
	v_cndmask_b32_e64 v39, v6, v7, s2
	;; [unrolled: 1-line block ×5, first 2 shown]
	v_cndmask_b32_e32 v1, v2, v3, vcc_lo
	v_cmp_eq_u32_e64 s3, 5, v0
	v_cmp_eq_u32_e32 vcc_lo, 9, v0
	s_delay_alu instid0(VALU_DEP_3) | instskip(SKIP_2) | instid1(VALU_DEP_3)
	v_cndmask_b32_e64 v1, v1, v4, s0
	v_cmp_eq_u32_e64 s0, 10, v0
	v_cndmask_b32_e32 v44, v11, v7, vcc_lo
	v_cndmask_b32_e64 v1, v1, v5, s1
	s_delay_alu instid0(VALU_DEP_3) | instskip(NEXT) | instid1(VALU_DEP_2)
	v_cndmask_b32_e64 v45, v12, v7, s0
	v_cndmask_b32_e64 v1, v1, v6, s2
	s_delay_alu instid0(VALU_DEP_1) | instskip(NEXT) | instid1(VALU_DEP_1)
	v_cndmask_b32_e64 v1, v1, v7, s3
	v_cndmask_b32_e64 v1, v1, v8, s4
	s_delay_alu instid0(VALU_DEP_1) | instskip(NEXT) | instid1(VALU_DEP_1)
	v_cndmask_b32_e64 v1, v1, v9, s5
	v_cndmask_b32_e64 v1, v1, v10, s6
	s_delay_alu instid0(VALU_DEP_1) | instskip(SKIP_1) | instid1(VALU_DEP_2)
	v_cndmask_b32_e32 v1, v1, v11, vcc_lo
	v_cmp_eq_u32_e32 vcc_lo, 0, v0
	v_cndmask_b32_e64 v1, v1, v12, s0
	v_cndmask_b32_e32 v35, v2, v7, vcc_lo
	s_delay_alu instid0(VALU_DEP_2) | instskip(NEXT) | instid1(VALU_DEP_2)
	v_cndmask_b32_e64 v40, v1, v7, s3
	v_mov_b32_e32 v2, v35
	v_dual_mov_b32 v6, v39 :: v_dual_mov_b32 v3, v36
	v_dual_mov_b32 v4, v37 :: v_dual_mov_b32 v5, v38
	s_delay_alu instid0(VALU_DEP_4)
	v_dual_mov_b32 v8, v41 :: v_dual_mov_b32 v7, v40
	v_dual_mov_b32 v10, v43 :: v_dual_mov_b32 v9, v42
	;; [unrolled: 1-line block ×3, first 2 shown]
.LBB74_97:
	s_or_b32 exec_lo, exec_lo, s7
	v_dual_mov_b32 v0, s8 :: v_dual_mov_b32 v1, s9
	s_mov_b32 s7, exec_lo
	flat_load_b32 v0, v[0:1] offset:16
	s_waitcnt vmcnt(0) lgkmcnt(0)
	v_add_nc_u32_e32 v0, -1, v0
	s_delay_alu instid0(VALU_DEP_1)
	v_cmpx_ne_u32_e32 4, v0
	s_cbranch_execz .LBB74_99
; %bb.98:
	v_cmp_eq_u32_e32 vcc_lo, 1, v0
	v_cmp_eq_u32_e64 s0, 2, v0
	v_cmp_eq_u32_e64 s1, 3, v0
	;; [unrolled: 1-line block ×4, first 2 shown]
	v_dual_cndmask_b32 v1, v2, v3 :: v_dual_cndmask_b32 v36, v3, v6
	v_cmp_eq_u32_e64 s4, 6, v0
	v_cmp_eq_u32_e64 s5, 7, v0
	;; [unrolled: 1-line block ×3, first 2 shown]
	s_delay_alu instid0(VALU_DEP_4)
	v_cndmask_b32_e64 v1, v1, v4, s0
	v_cmp_eq_u32_e32 vcc_lo, 9, v0
	v_cndmask_b32_e64 v37, v4, v6, s0
	v_cmp_eq_u32_e64 s0, 10, v0
	v_cndmask_b32_e64 v38, v5, v6, s1
	v_cndmask_b32_e64 v1, v1, v5, s1
	;; [unrolled: 1-line block ×8, first 2 shown]
	v_cndmask_b32_e32 v44, v11, v6, vcc_lo
	s_delay_alu instid0(VALU_DEP_3) | instskip(NEXT) | instid1(VALU_DEP_1)
	v_cndmask_b32_e64 v1, v1, v7, s3
	v_cndmask_b32_e64 v1, v1, v8, s4
	s_delay_alu instid0(VALU_DEP_1) | instskip(NEXT) | instid1(VALU_DEP_1)
	v_cndmask_b32_e64 v1, v1, v9, s5
	v_cndmask_b32_e64 v1, v1, v10, s6
	s_delay_alu instid0(VALU_DEP_1) | instskip(SKIP_1) | instid1(VALU_DEP_2)
	v_cndmask_b32_e32 v1, v1, v11, vcc_lo
	v_cmp_eq_u32_e32 vcc_lo, 0, v0
	v_cndmask_b32_e64 v1, v1, v12, s0
	v_cndmask_b32_e32 v35, v2, v6, vcc_lo
	s_delay_alu instid0(VALU_DEP_2) | instskip(NEXT) | instid1(VALU_DEP_2)
	v_cndmask_b32_e64 v39, v1, v6, s2
	v_dual_mov_b32 v2, v35 :: v_dual_mov_b32 v3, v36
	v_dual_mov_b32 v4, v37 :: v_dual_mov_b32 v5, v38
	s_delay_alu instid0(VALU_DEP_3)
	v_dual_mov_b32 v6, v39 :: v_dual_mov_b32 v7, v40
	v_dual_mov_b32 v8, v41 :: v_dual_mov_b32 v9, v42
	;; [unrolled: 1-line block ×3, first 2 shown]
	v_mov_b32_e32 v12, v45
.LBB74_99:
	s_or_b32 exec_lo, exec_lo, s7
	v_dual_mov_b32 v0, s8 :: v_dual_mov_b32 v1, s9
	s_mov_b32 s7, exec_lo
	flat_load_b32 v0, v[0:1] offset:12
	s_waitcnt vmcnt(0) lgkmcnt(0)
	v_add_nc_u32_e32 v0, -1, v0
	s_delay_alu instid0(VALU_DEP_1)
	v_cmpx_ne_u32_e32 3, v0
	s_cbranch_execz .LBB74_101
; %bb.100:
	v_cmp_eq_u32_e32 vcc_lo, 1, v0
	v_cmp_eq_u32_e64 s0, 2, v0
	v_cmp_eq_u32_e64 s1, 3, v0
	;; [unrolled: 1-line block ×4, first 2 shown]
	v_dual_cndmask_b32 v1, v2, v3 :: v_dual_cndmask_b32 v36, v3, v5
	v_cmp_eq_u32_e64 s4, 6, v0
	v_cmp_eq_u32_e64 s5, 7, v0
	;; [unrolled: 1-line block ×3, first 2 shown]
	s_delay_alu instid0(VALU_DEP_4)
	v_cndmask_b32_e64 v1, v1, v4, s0
	v_cmp_eq_u32_e32 vcc_lo, 9, v0
	v_cndmask_b32_e64 v37, v4, v5, s0
	v_cmp_eq_u32_e64 s0, 10, v0
	v_cndmask_b32_e64 v39, v6, v5, s2
	v_cndmask_b32_e64 v1, v1, v5, s1
	;; [unrolled: 1-line block ×8, first 2 shown]
	v_cndmask_b32_e32 v44, v11, v5, vcc_lo
	s_delay_alu instid0(VALU_DEP_3) | instskip(NEXT) | instid1(VALU_DEP_1)
	v_cndmask_b32_e64 v1, v1, v7, s3
	v_cndmask_b32_e64 v1, v1, v8, s4
	s_delay_alu instid0(VALU_DEP_1) | instskip(NEXT) | instid1(VALU_DEP_1)
	v_cndmask_b32_e64 v1, v1, v9, s5
	v_cndmask_b32_e64 v1, v1, v10, s6
	s_delay_alu instid0(VALU_DEP_1) | instskip(SKIP_1) | instid1(VALU_DEP_2)
	v_cndmask_b32_e32 v1, v1, v11, vcc_lo
	v_cmp_eq_u32_e32 vcc_lo, 0, v0
	v_cndmask_b32_e64 v1, v1, v12, s0
	v_cndmask_b32_e32 v35, v2, v5, vcc_lo
	s_delay_alu instid0(VALU_DEP_2) | instskip(NEXT) | instid1(VALU_DEP_2)
	v_cndmask_b32_e64 v38, v1, v5, s1
	v_dual_mov_b32 v2, v35 :: v_dual_mov_b32 v3, v36
	v_mov_b32_e32 v4, v37
	v_dual_mov_b32 v6, v39 :: v_dual_mov_b32 v7, v40
	s_delay_alu instid0(VALU_DEP_4)
	v_dual_mov_b32 v5, v38 :: v_dual_mov_b32 v8, v41
	v_dual_mov_b32 v9, v42 :: v_dual_mov_b32 v10, v43
	;; [unrolled: 1-line block ×3, first 2 shown]
.LBB74_101:
	s_or_b32 exec_lo, exec_lo, s7
	v_dual_mov_b32 v0, s8 :: v_dual_mov_b32 v1, s9
	s_mov_b32 s7, exec_lo
	flat_load_b32 v0, v[0:1] offset:8
	s_waitcnt vmcnt(0) lgkmcnt(0)
	v_add_nc_u32_e32 v0, -1, v0
	s_delay_alu instid0(VALU_DEP_1)
	v_cmpx_ne_u32_e32 2, v0
	s_cbranch_execz .LBB74_103
; %bb.102:
	v_cmp_eq_u32_e32 vcc_lo, 1, v0
	v_cmp_eq_u32_e64 s0, 2, v0
	v_cmp_eq_u32_e64 s1, 3, v0
	;; [unrolled: 1-line block ×4, first 2 shown]
	v_dual_cndmask_b32 v1, v2, v3 :: v_dual_cndmask_b32 v36, v3, v4
	v_cmp_eq_u32_e64 s4, 6, v0
	v_cmp_eq_u32_e64 s5, 7, v0
	;; [unrolled: 1-line block ×3, first 2 shown]
	s_delay_alu instid0(VALU_DEP_4)
	v_cndmask_b32_e64 v1, v1, v4, s0
	v_cmp_eq_u32_e32 vcc_lo, 9, v0
	v_cndmask_b32_e64 v38, v5, v4, s1
	v_cndmask_b32_e64 v39, v6, v4, s2
	;; [unrolled: 1-line block ×4, first 2 shown]
	v_cmp_eq_u32_e64 s1, 10, v0
	v_cndmask_b32_e64 v41, v8, v4, s4
	v_cndmask_b32_e64 v42, v9, v4, s5
	;; [unrolled: 1-line block ×5, first 2 shown]
	v_cndmask_b32_e32 v44, v11, v4, vcc_lo
	s_delay_alu instid0(VALU_DEP_3) | instskip(NEXT) | instid1(VALU_DEP_1)
	v_cndmask_b32_e64 v1, v1, v7, s3
	v_cndmask_b32_e64 v1, v1, v8, s4
	s_delay_alu instid0(VALU_DEP_1) | instskip(NEXT) | instid1(VALU_DEP_1)
	v_cndmask_b32_e64 v1, v1, v9, s5
	v_cndmask_b32_e64 v1, v1, v10, s6
	s_delay_alu instid0(VALU_DEP_1) | instskip(SKIP_1) | instid1(VALU_DEP_2)
	v_cndmask_b32_e32 v1, v1, v11, vcc_lo
	v_cmp_eq_u32_e32 vcc_lo, 0, v0
	v_cndmask_b32_e64 v1, v1, v12, s1
	v_cndmask_b32_e32 v35, v2, v4, vcc_lo
	s_delay_alu instid0(VALU_DEP_2) | instskip(NEXT) | instid1(VALU_DEP_2)
	v_cndmask_b32_e64 v37, v1, v4, s0
	v_dual_mov_b32 v2, v35 :: v_dual_mov_b32 v3, v36
	v_dual_mov_b32 v6, v39 :: v_dual_mov_b32 v7, v40
	s_delay_alu instid0(VALU_DEP_3)
	v_dual_mov_b32 v4, v37 :: v_dual_mov_b32 v5, v38
	v_dual_mov_b32 v8, v41 :: v_dual_mov_b32 v9, v42
	v_dual_mov_b32 v10, v43 :: v_dual_mov_b32 v11, v44
	v_mov_b32_e32 v12, v45
.LBB74_103:
	s_or_b32 exec_lo, exec_lo, s7
	v_dual_mov_b32 v0, s8 :: v_dual_mov_b32 v1, s9
	s_mov_b32 s7, exec_lo
	flat_load_b32 v0, v[0:1] offset:4
	s_waitcnt vmcnt(0) lgkmcnt(0)
	v_add_nc_u32_e32 v0, -1, v0
	s_delay_alu instid0(VALU_DEP_1)
	v_cmpx_ne_u32_e32 1, v0
	s_cbranch_execz .LBB74_105
; %bb.104:
	v_cmp_eq_u32_e32 vcc_lo, 1, v0
	v_cmp_eq_u32_e64 s0, 2, v0
	v_cmp_eq_u32_e64 s1, 3, v0
	;; [unrolled: 1-line block ×7, first 2 shown]
	v_cndmask_b32_e64 v37, v4, v3, s0
	v_cndmask_b32_e64 v38, v5, v3, s1
	;; [unrolled: 1-line block ×7, first 2 shown]
	v_cndmask_b32_e32 v1, v2, v3, vcc_lo
	s_delay_alu instid0(VALU_DEP_1) | instskip(SKIP_1) | instid1(VALU_DEP_2)
	v_cndmask_b32_e64 v1, v1, v4, s0
	v_cmp_eq_u32_e64 s0, 9, v0
	v_cndmask_b32_e64 v1, v1, v5, s1
	v_cmp_eq_u32_e64 s1, 10, v0
	s_delay_alu instid0(VALU_DEP_3) | instskip(NEXT) | instid1(VALU_DEP_3)
	v_cndmask_b32_e64 v44, v11, v3, s0
	v_cndmask_b32_e64 v1, v1, v6, s2
	s_delay_alu instid0(VALU_DEP_3) | instskip(NEXT) | instid1(VALU_DEP_2)
	v_cndmask_b32_e64 v45, v12, v3, s1
	v_cndmask_b32_e64 v1, v1, v7, s3
	s_delay_alu instid0(VALU_DEP_1) | instskip(NEXT) | instid1(VALU_DEP_1)
	v_cndmask_b32_e64 v1, v1, v8, s4
	v_cndmask_b32_e64 v1, v1, v9, s5
	s_delay_alu instid0(VALU_DEP_1) | instskip(NEXT) | instid1(VALU_DEP_1)
	;; [unrolled: 3-line block ×3, first 2 shown]
	v_cndmask_b32_e64 v1, v1, v12, s1
	v_cndmask_b32_e32 v36, v1, v3, vcc_lo
	v_cmp_eq_u32_e32 vcc_lo, 0, v0
	v_cndmask_b32_e32 v35, v2, v3, vcc_lo
	s_delay_alu instid0(VALU_DEP_1)
	v_dual_mov_b32 v2, v35 :: v_dual_mov_b32 v3, v36
	v_dual_mov_b32 v4, v37 :: v_dual_mov_b32 v5, v38
	;; [unrolled: 1-line block ×5, first 2 shown]
	v_mov_b32_e32 v12, v45
.LBB74_105:
	s_or_b32 exec_lo, exec_lo, s7
	v_dual_mov_b32 v0, s8 :: v_dual_mov_b32 v1, s9
	s_mov_b32 s7, exec_lo
	flat_load_b32 v0, v[0:1]
	s_waitcnt vmcnt(0) lgkmcnt(0)
	v_add_nc_u32_e32 v0, -1, v0
	s_delay_alu instid0(VALU_DEP_1)
	v_cmpx_ne_u32_e32 0, v0
	s_cbranch_execz .LBB74_107
; %bb.106:
	v_cmp_eq_u32_e32 vcc_lo, 1, v0
	v_cmp_eq_u32_e64 s0, 2, v0
	v_cmp_eq_u32_e64 s1, 3, v0
	;; [unrolled: 1-line block ×4, first 2 shown]
	v_dual_cndmask_b32 v1, v2, v3 :: v_dual_cndmask_b32 v36, v3, v2
	v_cmp_eq_u32_e64 s4, 6, v0
	v_cmp_eq_u32_e64 s5, 7, v0
	v_cmp_eq_u32_e64 s6, 8, v0
	s_delay_alu instid0(VALU_DEP_4)
	v_cndmask_b32_e64 v1, v1, v4, s0
	v_cndmask_b32_e64 v37, v4, v2, s0
	v_cmp_eq_u32_e64 s0, 9, v0
	v_cndmask_b32_e64 v38, v5, v2, s1
	v_cndmask_b32_e64 v39, v6, v2, s2
	v_cndmask_b32_e64 v1, v1, v5, s1
	v_cmp_eq_u32_e64 s1, 10, v0
	v_cndmask_b32_e64 v44, v11, v2, s0
	v_cndmask_b32_e64 v40, v7, v2, s3
	;; [unrolled: 1-line block ×7, first 2 shown]
	s_delay_alu instid0(VALU_DEP_4) | instskip(NEXT) | instid1(VALU_DEP_1)
	v_cndmask_b32_e64 v1, v1, v7, s3
	v_cndmask_b32_e64 v1, v1, v8, s4
	s_delay_alu instid0(VALU_DEP_1) | instskip(NEXT) | instid1(VALU_DEP_1)
	v_cndmask_b32_e64 v1, v1, v9, s5
	v_cndmask_b32_e64 v1, v1, v10, s6
	s_delay_alu instid0(VALU_DEP_1) | instskip(SKIP_1) | instid1(VALU_DEP_2)
	v_cndmask_b32_e64 v1, v1, v11, s0
	v_cmp_eq_u32_e64 s0, 0, v0
	v_cndmask_b32_e64 v1, v1, v12, s1
	s_delay_alu instid0(VALU_DEP_1) | instskip(NEXT) | instid1(VALU_DEP_1)
	v_cndmask_b32_e64 v35, v1, v2, s0
	v_dual_mov_b32 v2, v35 :: v_dual_mov_b32 v3, v36
	v_dual_mov_b32 v4, v37 :: v_dual_mov_b32 v5, v38
	v_dual_mov_b32 v6, v39 :: v_dual_mov_b32 v7, v40
	v_dual_mov_b32 v8, v41 :: v_dual_mov_b32 v9, v42
	v_dual_mov_b32 v10, v43 :: v_dual_mov_b32 v11, v44
	v_mov_b32_e32 v12, v45
.LBB74_107:
	s_or_b32 exec_lo, exec_lo, s7
.LBB74_108:
	s_clause 0xa
	global_store_b32 v[13:14], v2, off
	global_store_b32 v[15:16], v3, off
	;; [unrolled: 1-line block ×11, first 2 shown]
	s_nop 0
	s_sendmsg sendmsg(MSG_DEALLOC_VGPRS)
	s_endpgm
	.section	.rodata,"a",@progbits
	.p2align	6, 0x0
	.amdhsa_kernel _ZN9rocsolver6v33100L18getri_kernel_smallILi11EfPKPfEEvT1_iilPiilS6_bb
		.amdhsa_group_segment_fixed_size 92
		.amdhsa_private_segment_fixed_size 0
		.amdhsa_kernarg_size 60
		.amdhsa_user_sgpr_count 15
		.amdhsa_user_sgpr_dispatch_ptr 0
		.amdhsa_user_sgpr_queue_ptr 0
		.amdhsa_user_sgpr_kernarg_segment_ptr 1
		.amdhsa_user_sgpr_dispatch_id 0
		.amdhsa_user_sgpr_private_segment_size 0
		.amdhsa_wavefront_size32 1
		.amdhsa_uses_dynamic_stack 0
		.amdhsa_enable_private_segment 0
		.amdhsa_system_sgpr_workgroup_id_x 1
		.amdhsa_system_sgpr_workgroup_id_y 0
		.amdhsa_system_sgpr_workgroup_id_z 0
		.amdhsa_system_sgpr_workgroup_info 0
		.amdhsa_system_vgpr_workitem_id 0
		.amdhsa_next_free_vgpr 47
		.amdhsa_next_free_sgpr 17
		.amdhsa_reserve_vcc 1
		.amdhsa_float_round_mode_32 0
		.amdhsa_float_round_mode_16_64 0
		.amdhsa_float_denorm_mode_32 3
		.amdhsa_float_denorm_mode_16_64 3
		.amdhsa_dx10_clamp 1
		.amdhsa_ieee_mode 1
		.amdhsa_fp16_overflow 0
		.amdhsa_workgroup_processor_mode 1
		.amdhsa_memory_ordered 1
		.amdhsa_forward_progress 0
		.amdhsa_shared_vgpr_count 0
		.amdhsa_exception_fp_ieee_invalid_op 0
		.amdhsa_exception_fp_denorm_src 0
		.amdhsa_exception_fp_ieee_div_zero 0
		.amdhsa_exception_fp_ieee_overflow 0
		.amdhsa_exception_fp_ieee_underflow 0
		.amdhsa_exception_fp_ieee_inexact 0
		.amdhsa_exception_int_div_zero 0
	.end_amdhsa_kernel
	.section	.text._ZN9rocsolver6v33100L18getri_kernel_smallILi11EfPKPfEEvT1_iilPiilS6_bb,"axG",@progbits,_ZN9rocsolver6v33100L18getri_kernel_smallILi11EfPKPfEEvT1_iilPiilS6_bb,comdat
.Lfunc_end74:
	.size	_ZN9rocsolver6v33100L18getri_kernel_smallILi11EfPKPfEEvT1_iilPiilS6_bb, .Lfunc_end74-_ZN9rocsolver6v33100L18getri_kernel_smallILi11EfPKPfEEvT1_iilPiilS6_bb
                                        ; -- End function
	.section	.AMDGPU.csdata,"",@progbits
; Kernel info:
; codeLenInByte = 11072
; NumSgprs: 19
; NumVgprs: 47
; ScratchSize: 0
; MemoryBound: 0
; FloatMode: 240
; IeeeMode: 1
; LDSByteSize: 92 bytes/workgroup (compile time only)
; SGPRBlocks: 2
; VGPRBlocks: 5
; NumSGPRsForWavesPerEU: 19
; NumVGPRsForWavesPerEU: 47
; Occupancy: 16
; WaveLimiterHint : 1
; COMPUTE_PGM_RSRC2:SCRATCH_EN: 0
; COMPUTE_PGM_RSRC2:USER_SGPR: 15
; COMPUTE_PGM_RSRC2:TRAP_HANDLER: 0
; COMPUTE_PGM_RSRC2:TGID_X_EN: 1
; COMPUTE_PGM_RSRC2:TGID_Y_EN: 0
; COMPUTE_PGM_RSRC2:TGID_Z_EN: 0
; COMPUTE_PGM_RSRC2:TIDIG_COMP_CNT: 0
	.section	.text._ZN9rocsolver6v33100L18getri_kernel_smallILi12EfPKPfEEvT1_iilPiilS6_bb,"axG",@progbits,_ZN9rocsolver6v33100L18getri_kernel_smallILi12EfPKPfEEvT1_iilPiilS6_bb,comdat
	.globl	_ZN9rocsolver6v33100L18getri_kernel_smallILi12EfPKPfEEvT1_iilPiilS6_bb ; -- Begin function _ZN9rocsolver6v33100L18getri_kernel_smallILi12EfPKPfEEvT1_iilPiilS6_bb
	.p2align	8
	.type	_ZN9rocsolver6v33100L18getri_kernel_smallILi12EfPKPfEEvT1_iilPiilS6_bb,@function
_ZN9rocsolver6v33100L18getri_kernel_smallILi12EfPKPfEEvT1_iilPiilS6_bb: ; @_ZN9rocsolver6v33100L18getri_kernel_smallILi12EfPKPfEEvT1_iilPiilS6_bb
; %bb.0:
	s_mov_b32 s2, exec_lo
	v_cmpx_gt_u32_e32 12, v0
	s_cbranch_execz .LBB75_16
; %bb.1:
	s_clause 0x1
	s_load_b32 s13, s[0:1], 0x38
	s_load_b64 s[2:3], s[0:1], 0x0
	s_mov_b32 s10, s15
	s_load_b128 s[4:7], s[0:1], 0x28
	s_waitcnt lgkmcnt(0)
	s_bitcmp1_b32 s13, 8
	s_cselect_b32 s12, -1, 0
	s_ashr_i32 s11, s15, 31
	s_delay_alu instid0(SALU_CYCLE_1) | instskip(NEXT) | instid1(SALU_CYCLE_1)
	s_lshl_b64 s[8:9], s[10:11], 3
	s_add_u32 s2, s2, s8
	s_addc_u32 s3, s3, s9
	s_bfe_u32 s8, s13, 0x10008
	s_load_b64 s[2:3], s[2:3], 0x0
	s_cmp_eq_u32 s8, 0
                                        ; implicit-def: $sgpr8_sgpr9
	s_cbranch_scc1 .LBB75_3
; %bb.2:
	s_clause 0x1
	s_load_b32 s8, s[0:1], 0x20
	s_load_b64 s[14:15], s[0:1], 0x18
	s_mul_i32 s5, s10, s5
	s_mul_hi_u32 s9, s10, s4
	s_mul_i32 s16, s11, s4
	s_add_i32 s5, s9, s5
	s_mul_i32 s4, s10, s4
	s_add_i32 s5, s5, s16
	s_delay_alu instid0(SALU_CYCLE_1)
	s_lshl_b64 s[4:5], s[4:5], 2
	s_waitcnt lgkmcnt(0)
	s_ashr_i32 s9, s8, 31
	s_add_u32 s14, s14, s4
	s_addc_u32 s15, s15, s5
	s_lshl_b64 s[4:5], s[8:9], 2
	s_delay_alu instid0(SALU_CYCLE_1)
	s_add_u32 s8, s14, s4
	s_addc_u32 s9, s15, s5
.LBB75_3:
	s_load_b64 s[0:1], s[0:1], 0x8
	v_lshlrev_b32_e32 v38, 2, v0
	s_waitcnt lgkmcnt(0)
	v_add3_u32 v1, s1, s1, v0
	s_ashr_i32 s5, s0, 31
	s_mov_b32 s4, s0
	s_mov_b32 s14, s1
	s_lshl_b64 s[4:5], s[4:5], 2
	v_add_nc_u32_e32 v3, s1, v1
	v_ashrrev_i32_e32 v2, 31, v1
	s_add_u32 s2, s2, s4
	s_addc_u32 s3, s3, s5
	v_add_co_u32 v14, s0, s2, v38
	v_add_nc_u32_e32 v5, s1, v3
	s_ashr_i32 s15, s1, 31
	v_add_co_ci_u32_e64 v15, null, s3, 0, s0
	v_lshlrev_b64 v[1:2], 2, v[1:2]
	v_ashrrev_i32_e32 v4, 31, v3
	s_lshl_b64 s[4:5], s[14:15], 2
	v_ashrrev_i32_e32 v6, 31, v5
	v_add_co_u32 v16, vcc_lo, v14, s4
	v_add_nc_u32_e32 v7, s1, v5
	v_add_co_ci_u32_e32 v17, vcc_lo, s5, v15, vcc_lo
	v_lshlrev_b64 v[3:4], 2, v[3:4]
	v_add_co_u32 v18, vcc_lo, s2, v1
	v_add_co_ci_u32_e32 v19, vcc_lo, s3, v2, vcc_lo
	v_lshlrev_b64 v[1:2], 2, v[5:6]
	v_ashrrev_i32_e32 v8, 31, v7
	v_add_nc_u32_e32 v5, s1, v7
	v_add_co_u32 v20, vcc_lo, s2, v3
	v_add_co_ci_u32_e32 v21, vcc_lo, s3, v4, vcc_lo
	s_delay_alu instid0(VALU_DEP_4) | instskip(NEXT) | instid1(VALU_DEP_4)
	v_lshlrev_b64 v[3:4], 2, v[7:8]
	v_ashrrev_i32_e32 v6, 31, v5
	v_add_nc_u32_e32 v7, s1, v5
	v_add_co_u32 v22, vcc_lo, s2, v1
	v_add_co_ci_u32_e32 v23, vcc_lo, s3, v2, vcc_lo
	s_delay_alu instid0(VALU_DEP_4) | instskip(NEXT) | instid1(VALU_DEP_4)
	;; [unrolled: 6-line block ×5, first 2 shown]
	v_lshlrev_b64 v[3:4], 2, v[7:8]
	v_add_nc_u32_e32 v7, s1, v5
	v_ashrrev_i32_e32 v6, 31, v5
	v_add_co_u32 v30, vcc_lo, s2, v1
	v_add_co_ci_u32_e32 v31, vcc_lo, s3, v2, vcc_lo
	s_delay_alu instid0(VALU_DEP_4) | instskip(NEXT) | instid1(VALU_DEP_4)
	v_ashrrev_i32_e32 v8, 31, v7
	v_lshlrev_b64 v[1:2], 2, v[5:6]
	v_add_co_u32 v32, vcc_lo, s2, v3
	v_add_co_ci_u32_e32 v33, vcc_lo, s3, v4, vcc_lo
	s_delay_alu instid0(VALU_DEP_4) | instskip(NEXT) | instid1(VALU_DEP_4)
	v_lshlrev_b64 v[3:4], 2, v[7:8]
	v_add_co_u32 v34, vcc_lo, s2, v1
	v_mov_b32_e32 v1, 0
	v_add_co_ci_u32_e32 v35, vcc_lo, s3, v2, vcc_lo
	s_delay_alu instid0(VALU_DEP_4)
	v_add_co_u32 v36, vcc_lo, s2, v3
	v_add_co_ci_u32_e32 v37, vcc_lo, s3, v4, vcc_lo
	s_clause 0xb
	global_load_b32 v3, v[16:17], off
	global_load_b32 v4, v[18:19], off
	;; [unrolled: 1-line block ×10, first 2 shown]
	global_load_b32 v2, v38, s[2:3]
	global_load_b32 v13, v[36:37], off
	s_bitcmp0_b32 s13, 0
	s_mov_b32 s0, -1
	s_cbranch_scc1 .LBB75_14
; %bb.4:
	v_cmp_eq_u32_e64 s0, 0, v0
	s_delay_alu instid0(VALU_DEP_1)
	s_and_saveexec_b32 s1, s0
	s_cbranch_execz .LBB75_6
; %bb.5:
	v_mov_b32_e32 v39, 0
	ds_store_b32 v39, v39 offset:96
.LBB75_6:
	s_or_b32 exec_lo, exec_lo, s1
	v_cmp_eq_u32_e32 vcc_lo, 1, v0
	s_mov_b32 s2, exec_lo
	s_waitcnt vmcnt(0) lgkmcnt(0)
	s_barrier
	buffer_gl0_inv
	v_cndmask_b32_e32 v39, v2, v3, vcc_lo
	v_cmp_eq_u32_e32 vcc_lo, 2, v0
	s_delay_alu instid0(VALU_DEP_2) | instskip(SKIP_1) | instid1(VALU_DEP_2)
	v_cndmask_b32_e32 v39, v39, v4, vcc_lo
	v_cmp_eq_u32_e32 vcc_lo, 3, v0
	v_cndmask_b32_e32 v39, v39, v5, vcc_lo
	v_cmp_eq_u32_e32 vcc_lo, 4, v0
	s_delay_alu instid0(VALU_DEP_2) | instskip(SKIP_1) | instid1(VALU_DEP_2)
	v_cndmask_b32_e32 v39, v39, v6, vcc_lo
	v_cmp_eq_u32_e32 vcc_lo, 5, v0
	;; [unrolled: 5-line block ×5, first 2 shown]
	v_cndmask_b32_e32 v39, v39, v13, vcc_lo
	s_delay_alu instid0(VALU_DEP_1)
	v_cmpx_eq_f32_e32 0, v39
	s_cbranch_execz .LBB75_10
; %bb.7:
	v_mov_b32_e32 v40, 0
	ds_load_b32 v41, v40 offset:96
	s_waitcnt lgkmcnt(0)
	v_readfirstlane_b32 s1, v41
	v_add_nc_u32_e32 v41, 1, v0
	s_delay_alu instid0(VALU_DEP_2) | instskip(NEXT) | instid1(VALU_DEP_1)
	s_cmp_eq_u32 s1, 0
	v_cmp_gt_i32_e32 vcc_lo, s1, v41
	s_cselect_b32 s3, -1, 0
	s_delay_alu instid0(SALU_CYCLE_1) | instskip(NEXT) | instid1(SALU_CYCLE_1)
	s_or_b32 s3, s3, vcc_lo
	s_and_b32 exec_lo, exec_lo, s3
	s_cbranch_execz .LBB75_10
; %bb.8:
	v_mov_b32_e32 v42, s1
	s_mov_b32 s3, 0
.LBB75_9:                               ; =>This Inner Loop Header: Depth=1
	ds_cmpstore_rtn_b32 v42, v40, v41, v42 offset:96
	s_waitcnt lgkmcnt(0)
	v_cmp_ne_u32_e32 vcc_lo, 0, v42
	v_cmp_le_i32_e64 s1, v42, v41
	s_delay_alu instid0(VALU_DEP_1) | instskip(NEXT) | instid1(SALU_CYCLE_1)
	s_and_b32 s1, vcc_lo, s1
	s_and_b32 s1, exec_lo, s1
	s_delay_alu instid0(SALU_CYCLE_1) | instskip(NEXT) | instid1(SALU_CYCLE_1)
	s_or_b32 s3, s1, s3
	s_and_not1_b32 exec_lo, exec_lo, s3
	s_cbranch_execnz .LBB75_9
.LBB75_10:
	s_or_b32 exec_lo, exec_lo, s2
	v_mov_b32_e32 v40, 0
	s_barrier
	buffer_gl0_inv
	ds_load_b32 v41, v40 offset:96
	s_and_saveexec_b32 s1, s0
	s_cbranch_execz .LBB75_12
; %bb.11:
	s_lshl_b64 s[2:3], s[10:11], 2
	s_delay_alu instid0(SALU_CYCLE_1)
	s_add_u32 s2, s6, s2
	s_addc_u32 s3, s7, s3
	s_waitcnt lgkmcnt(0)
	global_store_b32 v40, v41, s[2:3]
.LBB75_12:
	s_or_b32 exec_lo, exec_lo, s1
	s_waitcnt lgkmcnt(0)
	v_cmp_ne_u32_e32 vcc_lo, 0, v41
	s_cbranch_vccz .LBB75_17
; %bb.13:
	s_mov_b32 s0, 0
                                        ; implicit-def: $vgpr2_vgpr3_vgpr4_vgpr5_vgpr6_vgpr7_vgpr8_vgpr9_vgpr10_vgpr11_vgpr12_vgpr13
.LBB75_14:
	s_delay_alu instid0(SALU_CYCLE_1)
	s_and_b32 vcc_lo, exec_lo, s0
	s_cbranch_vccz .LBB75_16
.LBB75_15:
	s_lshl_b64 s[0:1], s[10:11], 2
	v_mov_b32_e32 v1, 0
	s_add_u32 s0, s6, s0
	s_addc_u32 s1, s7, s1
	global_load_b32 v1, v1, s[0:1]
	s_waitcnt vmcnt(0)
	v_cmp_ne_u32_e32 vcc_lo, 0, v1
	s_cbranch_vccz .LBB75_70
.LBB75_16:
	s_nop 0
	s_sendmsg sendmsg(MSG_DEALLOC_VGPRS)
	s_endpgm
.LBB75_17:
	v_div_scale_f32 v40, null, v39, v39, 1.0
	v_div_scale_f32 v43, vcc_lo, 1.0, v39, 1.0
	s_delay_alu instid0(VALU_DEP_2) | instskip(SKIP_2) | instid1(VALU_DEP_1)
	v_rcp_f32_e32 v41, v40
	s_waitcnt_depctr 0xfff
	v_fma_f32 v42, -v40, v41, 1.0
	v_fmac_f32_e32 v41, v42, v41
	s_delay_alu instid0(VALU_DEP_1) | instskip(NEXT) | instid1(VALU_DEP_1)
	v_mul_f32_e32 v42, v43, v41
	v_fma_f32 v44, -v40, v42, v43
	s_delay_alu instid0(VALU_DEP_1) | instskip(NEXT) | instid1(VALU_DEP_1)
	v_fmac_f32_e32 v42, v44, v41
	v_fma_f32 v40, -v40, v42, v43
	s_delay_alu instid0(VALU_DEP_1) | instskip(SKIP_1) | instid1(VALU_DEP_2)
	v_div_fmas_f32 v40, v40, v41, v42
	v_cmp_eq_u32_e32 vcc_lo, 11, v0
	v_div_fixup_f32 v39, v40, v39, 1.0
	s_delay_alu instid0(VALU_DEP_1)
	v_dual_cndmask_b32 v13, v13, v39 :: v_dual_add_nc_u32 v40, 48, v38
	v_cmp_eq_u32_e32 vcc_lo, 10, v0
	v_xor_b32_e32 v41, 0x80000000, v39
	v_cndmask_b32_e32 v12, v12, v39, vcc_lo
	v_cmp_eq_u32_e32 vcc_lo, 9, v0
	v_cndmask_b32_e32 v11, v11, v39, vcc_lo
	v_cmp_eq_u32_e32 vcc_lo, 8, v0
	;; [unrolled: 2-line block ×9, first 2 shown]
	ds_store_2addr_b32 v38, v41, v3 offset1:12
	v_cndmask_b32_e32 v4, v4, v39, vcc_lo
	v_cmp_eq_u32_e32 vcc_lo, 0, v0
	s_waitcnt lgkmcnt(0)
	s_waitcnt_vscnt null, 0x0
	s_barrier
	buffer_gl0_inv
	v_cndmask_b32_e32 v2, v2, v39, vcc_lo
	s_and_saveexec_b32 s1, s0
	s_cbranch_execz .LBB75_19
; %bb.18:
	v_mov_b32_e32 v3, 0
	ds_load_b32 v38, v40
	ds_load_b32 v3, v3 offset:4
	s_waitcnt lgkmcnt(1)
	v_fma_f32 v38, v39, v38, 0
	s_waitcnt lgkmcnt(0)
	s_delay_alu instid0(VALU_DEP_1)
	v_mul_f32_e32 v3, v38, v3
.LBB75_19:
	s_or_b32 exec_lo, exec_lo, s1
	v_cmp_gt_u32_e32 vcc_lo, 2, v0
	s_barrier
	buffer_gl0_inv
	ds_store_b32 v40, v4
	s_waitcnt lgkmcnt(0)
	s_barrier
	buffer_gl0_inv
	s_and_saveexec_b32 s2, vcc_lo
	s_cbranch_execz .LBB75_21
; %bb.20:
	v_cmp_eq_u32_e64 s1, 1, v0
	ds_load_b32 v41, v40
	v_cndmask_b32_e64 v38, v2, v3, s1
	v_cmp_eq_u32_e64 s1, 2, v0
	s_delay_alu instid0(VALU_DEP_1) | instskip(SKIP_2) | instid1(VALU_DEP_2)
	v_cndmask_b32_e64 v4, v38, v4, s1
	v_cmp_eq_u32_e64 s1, 3, v0
	v_mov_b32_e32 v38, 0
	v_cndmask_b32_e64 v4, v4, v5, s1
	v_cmp_eq_u32_e64 s1, 4, v0
	ds_load_2addr_b32 v[38:39], v38 offset0:2 offset1:13
	v_cndmask_b32_e64 v4, v4, v6, s1
	v_cmp_eq_u32_e64 s1, 5, v0
	s_delay_alu instid0(VALU_DEP_1) | instskip(SKIP_1) | instid1(VALU_DEP_1)
	v_cndmask_b32_e64 v4, v4, v7, s1
	v_cmp_eq_u32_e64 s1, 6, v0
	v_cndmask_b32_e64 v4, v4, v8, s1
	v_cmp_eq_u32_e64 s1, 7, v0
	s_delay_alu instid0(VALU_DEP_1) | instskip(SKIP_1) | instid1(VALU_DEP_1)
	v_cndmask_b32_e64 v4, v4, v9, s1
	v_cmp_eq_u32_e64 s1, 8, v0
	;; [unrolled: 5-line block ×3, first 2 shown]
	v_cndmask_b32_e64 v4, v4, v12, s1
	v_cmp_eq_u32_e64 s1, 11, v0
	s_delay_alu instid0(VALU_DEP_1) | instskip(SKIP_1) | instid1(VALU_DEP_1)
	v_cndmask_b32_e64 v4, v4, v13, s1
	s_waitcnt lgkmcnt(1)
	v_fma_f32 v4, v4, v41, 0
	s_waitcnt lgkmcnt(0)
	s_delay_alu instid0(VALU_DEP_1) | instskip(NEXT) | instid1(VALU_DEP_1)
	v_fma_f32 v39, v3, v39, v4
	v_cndmask_b32_e64 v4, v4, v39, s0
	s_delay_alu instid0(VALU_DEP_1)
	v_mul_f32_e32 v4, v4, v38
.LBB75_21:
	s_or_b32 exec_lo, exec_lo, s2
	s_delay_alu instid0(SALU_CYCLE_1)
	s_mov_b32 s3, exec_lo
	s_barrier
	buffer_gl0_inv
	ds_store_b32 v40, v5
	s_waitcnt lgkmcnt(0)
	s_barrier
	buffer_gl0_inv
	v_cmpx_gt_u32_e32 3, v0
	s_cbranch_execz .LBB75_25
; %bb.22:
	v_mov_b32_e32 v39, v1
	v_lshl_add_u32 v42, v0, 2, 48
	v_dual_mov_b32 v41, 0 :: v_dual_mov_b32 v38, v0
	s_mov_b32 s4, 0
.LBB75_23:                              ; =>This Inner Loop Header: Depth=1
	s_delay_alu instid0(VALU_DEP_1) | instskip(SKIP_3) | instid1(VALU_DEP_1)
	v_cmp_eq_u32_e64 s1, 1, v38
	ds_load_b32 v44, v42
	v_cndmask_b32_e64 v43, v2, v3, s1
	v_cmp_eq_u32_e64 s1, 2, v38
	v_cndmask_b32_e64 v43, v43, v4, s1
	v_cmp_eq_u32_e64 s1, 3, v38
	s_delay_alu instid0(VALU_DEP_1) | instskip(SKIP_1) | instid1(VALU_DEP_1)
	v_cndmask_b32_e64 v43, v43, v5, s1
	v_cmp_eq_u32_e64 s1, 4, v38
	v_cndmask_b32_e64 v43, v43, v6, s1
	v_cmp_eq_u32_e64 s1, 5, v38
	s_delay_alu instid0(VALU_DEP_1) | instskip(SKIP_1) | instid1(VALU_DEP_1)
	;; [unrolled: 5-line block ×4, first 2 shown]
	v_cndmask_b32_e64 v43, v43, v11, s1
	v_cmp_eq_u32_e64 s1, 10, v38
	v_cndmask_b32_e64 v43, v43, v12, s1
	v_cmp_eq_u32_e64 s1, 11, v38
	v_add_co_u32 v38, s2, v38, 1
	s_delay_alu instid0(VALU_DEP_1) | instskip(NEXT) | instid1(VALU_DEP_3)
	v_add_co_ci_u32_e64 v39, s2, 0, v39, s2
	v_cndmask_b32_e64 v43, v43, v13, s1
	s_delay_alu instid0(VALU_DEP_3) | instskip(SKIP_1) | instid1(VALU_DEP_2)
	v_add_nc_u32_e32 v45, -1, v38
	s_waitcnt lgkmcnt(0)
	v_dual_fmac_f32 v41, v43, v44 :: v_dual_add_nc_u32 v42, 4, v42
	s_delay_alu instid0(VALU_DEP_2) | instskip(NEXT) | instid1(VALU_DEP_1)
	v_cmp_lt_u32_e64 s1, 1, v45
	s_or_b32 s4, s1, s4
	s_delay_alu instid0(SALU_CYCLE_1)
	s_and_not1_b32 exec_lo, exec_lo, s4
	s_cbranch_execnz .LBB75_23
; %bb.24:
	s_or_b32 exec_lo, exec_lo, s4
	v_mov_b32_e32 v5, 0
	ds_load_b32 v5, v5 offset:12
	s_waitcnt lgkmcnt(0)
	v_mul_f32_e32 v5, v41, v5
.LBB75_25:
	s_or_b32 exec_lo, exec_lo, s3
	v_cmp_gt_u32_e64 s1, 4, v0
	s_barrier
	buffer_gl0_inv
	ds_store_b32 v40, v6
	s_waitcnt lgkmcnt(0)
	s_barrier
	buffer_gl0_inv
	s_and_saveexec_b32 s4, s1
	s_cbranch_execz .LBB75_29
; %bb.26:
	v_mov_b32_e32 v39, v1
	v_lshl_add_u32 v42, v0, 2, 48
	v_dual_mov_b32 v41, 0 :: v_dual_mov_b32 v38, v0
	s_mov_b32 s5, 0
.LBB75_27:                              ; =>This Inner Loop Header: Depth=1
	s_delay_alu instid0(VALU_DEP_1) | instskip(SKIP_3) | instid1(VALU_DEP_1)
	v_cmp_eq_u32_e64 s2, 1, v38
	ds_load_b32 v44, v42
	v_cndmask_b32_e64 v43, v2, v3, s2
	v_cmp_eq_u32_e64 s2, 2, v38
	v_cndmask_b32_e64 v43, v43, v4, s2
	v_cmp_eq_u32_e64 s2, 3, v38
	s_delay_alu instid0(VALU_DEP_1) | instskip(SKIP_1) | instid1(VALU_DEP_1)
	v_cndmask_b32_e64 v43, v43, v5, s2
	v_cmp_eq_u32_e64 s2, 4, v38
	v_cndmask_b32_e64 v43, v43, v6, s2
	v_cmp_eq_u32_e64 s2, 5, v38
	s_delay_alu instid0(VALU_DEP_1) | instskip(SKIP_1) | instid1(VALU_DEP_1)
	;; [unrolled: 5-line block ×4, first 2 shown]
	v_cndmask_b32_e64 v43, v43, v11, s2
	v_cmp_eq_u32_e64 s2, 10, v38
	v_cndmask_b32_e64 v43, v43, v12, s2
	v_cmp_eq_u32_e64 s2, 11, v38
	v_add_co_u32 v38, s3, v38, 1
	s_delay_alu instid0(VALU_DEP_1) | instskip(NEXT) | instid1(VALU_DEP_3)
	v_add_co_ci_u32_e64 v39, s3, 0, v39, s3
	v_cndmask_b32_e64 v43, v43, v13, s2
	s_delay_alu instid0(VALU_DEP_3) | instskip(SKIP_1) | instid1(VALU_DEP_2)
	v_add_nc_u32_e32 v45, -1, v38
	s_waitcnt lgkmcnt(0)
	v_dual_fmac_f32 v41, v43, v44 :: v_dual_add_nc_u32 v42, 4, v42
	s_delay_alu instid0(VALU_DEP_2) | instskip(NEXT) | instid1(VALU_DEP_1)
	v_cmp_lt_u32_e64 s2, 2, v45
	s_or_b32 s5, s2, s5
	s_delay_alu instid0(SALU_CYCLE_1)
	s_and_not1_b32 exec_lo, exec_lo, s5
	s_cbranch_execnz .LBB75_27
; %bb.28:
	s_or_b32 exec_lo, exec_lo, s5
	v_mov_b32_e32 v6, 0
	ds_load_b32 v6, v6 offset:16
	s_waitcnt lgkmcnt(0)
	v_mul_f32_e32 v6, v41, v6
.LBB75_29:
	s_or_b32 exec_lo, exec_lo, s4
	s_delay_alu instid0(SALU_CYCLE_1)
	s_mov_b32 s4, exec_lo
	s_barrier
	buffer_gl0_inv
	ds_store_b32 v40, v7
	s_waitcnt lgkmcnt(0)
	s_barrier
	buffer_gl0_inv
	v_cmpx_gt_u32_e32 5, v0
	s_cbranch_execz .LBB75_33
; %bb.30:
	v_mov_b32_e32 v39, v1
	v_lshl_add_u32 v42, v0, 2, 48
	v_dual_mov_b32 v41, 0 :: v_dual_mov_b32 v38, v0
	s_mov_b32 s5, 0
.LBB75_31:                              ; =>This Inner Loop Header: Depth=1
	s_delay_alu instid0(VALU_DEP_1) | instskip(SKIP_3) | instid1(VALU_DEP_1)
	v_cmp_eq_u32_e64 s2, 1, v38
	ds_load_b32 v44, v42
	v_cndmask_b32_e64 v43, v2, v3, s2
	v_cmp_eq_u32_e64 s2, 2, v38
	v_cndmask_b32_e64 v43, v43, v4, s2
	v_cmp_eq_u32_e64 s2, 3, v38
	s_delay_alu instid0(VALU_DEP_1) | instskip(SKIP_1) | instid1(VALU_DEP_1)
	v_cndmask_b32_e64 v43, v43, v5, s2
	v_cmp_eq_u32_e64 s2, 4, v38
	v_cndmask_b32_e64 v43, v43, v6, s2
	v_cmp_eq_u32_e64 s2, 5, v38
	s_delay_alu instid0(VALU_DEP_1) | instskip(SKIP_1) | instid1(VALU_DEP_1)
	;; [unrolled: 5-line block ×4, first 2 shown]
	v_cndmask_b32_e64 v43, v43, v11, s2
	v_cmp_eq_u32_e64 s2, 10, v38
	v_cndmask_b32_e64 v43, v43, v12, s2
	v_cmp_eq_u32_e64 s2, 11, v38
	v_add_co_u32 v38, s3, v38, 1
	s_delay_alu instid0(VALU_DEP_1) | instskip(NEXT) | instid1(VALU_DEP_3)
	v_add_co_ci_u32_e64 v39, s3, 0, v39, s3
	v_cndmask_b32_e64 v43, v43, v13, s2
	s_delay_alu instid0(VALU_DEP_3) | instskip(SKIP_1) | instid1(VALU_DEP_2)
	v_add_nc_u32_e32 v45, -1, v38
	s_waitcnt lgkmcnt(0)
	v_dual_fmac_f32 v41, v43, v44 :: v_dual_add_nc_u32 v42, 4, v42
	s_delay_alu instid0(VALU_DEP_2) | instskip(NEXT) | instid1(VALU_DEP_1)
	v_cmp_lt_u32_e64 s2, 3, v45
	s_or_b32 s5, s2, s5
	s_delay_alu instid0(SALU_CYCLE_1)
	s_and_not1_b32 exec_lo, exec_lo, s5
	s_cbranch_execnz .LBB75_31
; %bb.32:
	s_or_b32 exec_lo, exec_lo, s5
	v_mov_b32_e32 v7, 0
	ds_load_b32 v7, v7 offset:20
	s_waitcnt lgkmcnt(0)
	v_mul_f32_e32 v7, v41, v7
.LBB75_33:
	s_or_b32 exec_lo, exec_lo, s4
	v_cmp_gt_u32_e64 s2, 6, v0
	s_barrier
	buffer_gl0_inv
	ds_store_b32 v40, v8
	s_waitcnt lgkmcnt(0)
	s_barrier
	buffer_gl0_inv
	s_and_saveexec_b32 s5, s2
	s_cbranch_execz .LBB75_37
; %bb.34:
	v_mov_b32_e32 v39, v1
	v_lshl_add_u32 v42, v0, 2, 48
	v_dual_mov_b32 v41, 0 :: v_dual_mov_b32 v38, v0
	s_mov_b32 s13, 0
.LBB75_35:                              ; =>This Inner Loop Header: Depth=1
	s_delay_alu instid0(VALU_DEP_1) | instskip(SKIP_3) | instid1(VALU_DEP_1)
	v_cmp_eq_u32_e64 s3, 1, v38
	ds_load_b32 v44, v42
	v_cndmask_b32_e64 v43, v2, v3, s3
	v_cmp_eq_u32_e64 s3, 2, v38
	v_cndmask_b32_e64 v43, v43, v4, s3
	v_cmp_eq_u32_e64 s3, 3, v38
	s_delay_alu instid0(VALU_DEP_1) | instskip(SKIP_1) | instid1(VALU_DEP_1)
	v_cndmask_b32_e64 v43, v43, v5, s3
	v_cmp_eq_u32_e64 s3, 4, v38
	v_cndmask_b32_e64 v43, v43, v6, s3
	v_cmp_eq_u32_e64 s3, 5, v38
	s_delay_alu instid0(VALU_DEP_1) | instskip(SKIP_1) | instid1(VALU_DEP_1)
	;; [unrolled: 5-line block ×4, first 2 shown]
	v_cndmask_b32_e64 v43, v43, v11, s3
	v_cmp_eq_u32_e64 s3, 10, v38
	v_cndmask_b32_e64 v43, v43, v12, s3
	v_cmp_eq_u32_e64 s3, 11, v38
	v_add_co_u32 v38, s4, v38, 1
	s_delay_alu instid0(VALU_DEP_1) | instskip(NEXT) | instid1(VALU_DEP_3)
	v_add_co_ci_u32_e64 v39, s4, 0, v39, s4
	v_cndmask_b32_e64 v43, v43, v13, s3
	s_delay_alu instid0(VALU_DEP_3) | instskip(SKIP_1) | instid1(VALU_DEP_2)
	v_add_nc_u32_e32 v45, -1, v38
	s_waitcnt lgkmcnt(0)
	v_dual_fmac_f32 v41, v43, v44 :: v_dual_add_nc_u32 v42, 4, v42
	s_delay_alu instid0(VALU_DEP_2) | instskip(NEXT) | instid1(VALU_DEP_1)
	v_cmp_lt_u32_e64 s3, 4, v45
	s_or_b32 s13, s3, s13
	s_delay_alu instid0(SALU_CYCLE_1)
	s_and_not1_b32 exec_lo, exec_lo, s13
	s_cbranch_execnz .LBB75_35
; %bb.36:
	s_or_b32 exec_lo, exec_lo, s13
	v_mov_b32_e32 v8, 0
	ds_load_b32 v8, v8 offset:24
	s_waitcnt lgkmcnt(0)
	v_mul_f32_e32 v8, v41, v8
.LBB75_37:
	s_or_b32 exec_lo, exec_lo, s5
	s_delay_alu instid0(SALU_CYCLE_1)
	s_mov_b32 s5, exec_lo
	s_barrier
	buffer_gl0_inv
	ds_store_b32 v40, v9
	s_waitcnt lgkmcnt(0)
	s_barrier
	buffer_gl0_inv
	v_cmpx_gt_u32_e32 7, v0
	s_cbranch_execz .LBB75_41
; %bb.38:
	v_mov_b32_e32 v39, v1
	v_lshl_add_u32 v42, v0, 2, 48
	v_dual_mov_b32 v41, 0 :: v_dual_mov_b32 v38, v0
	s_mov_b32 s13, 0
.LBB75_39:                              ; =>This Inner Loop Header: Depth=1
	s_delay_alu instid0(VALU_DEP_1) | instskip(SKIP_3) | instid1(VALU_DEP_1)
	v_cmp_eq_u32_e64 s3, 1, v38
	ds_load_b32 v44, v42
	v_cndmask_b32_e64 v43, v2, v3, s3
	v_cmp_eq_u32_e64 s3, 2, v38
	v_cndmask_b32_e64 v43, v43, v4, s3
	v_cmp_eq_u32_e64 s3, 3, v38
	s_delay_alu instid0(VALU_DEP_1) | instskip(SKIP_1) | instid1(VALU_DEP_1)
	v_cndmask_b32_e64 v43, v43, v5, s3
	v_cmp_eq_u32_e64 s3, 4, v38
	v_cndmask_b32_e64 v43, v43, v6, s3
	v_cmp_eq_u32_e64 s3, 5, v38
	s_delay_alu instid0(VALU_DEP_1) | instskip(SKIP_1) | instid1(VALU_DEP_1)
	;; [unrolled: 5-line block ×4, first 2 shown]
	v_cndmask_b32_e64 v43, v43, v11, s3
	v_cmp_eq_u32_e64 s3, 10, v38
	v_cndmask_b32_e64 v43, v43, v12, s3
	v_cmp_eq_u32_e64 s3, 11, v38
	v_add_co_u32 v38, s4, v38, 1
	s_delay_alu instid0(VALU_DEP_1) | instskip(NEXT) | instid1(VALU_DEP_3)
	v_add_co_ci_u32_e64 v39, s4, 0, v39, s4
	v_cndmask_b32_e64 v43, v43, v13, s3
	s_delay_alu instid0(VALU_DEP_3) | instskip(SKIP_1) | instid1(VALU_DEP_2)
	v_add_nc_u32_e32 v45, -1, v38
	s_waitcnt lgkmcnt(0)
	v_dual_fmac_f32 v41, v43, v44 :: v_dual_add_nc_u32 v42, 4, v42
	s_delay_alu instid0(VALU_DEP_2) | instskip(NEXT) | instid1(VALU_DEP_1)
	v_cmp_lt_u32_e64 s3, 5, v45
	s_or_b32 s13, s3, s13
	s_delay_alu instid0(SALU_CYCLE_1)
	s_and_not1_b32 exec_lo, exec_lo, s13
	s_cbranch_execnz .LBB75_39
; %bb.40:
	s_or_b32 exec_lo, exec_lo, s13
	v_mov_b32_e32 v9, 0
	ds_load_b32 v9, v9 offset:28
	s_waitcnt lgkmcnt(0)
	v_mul_f32_e32 v9, v41, v9
.LBB75_41:
	s_or_b32 exec_lo, exec_lo, s5
	s_delay_alu instid0(SALU_CYCLE_1)
	s_mov_b32 s4, exec_lo
	s_barrier
	buffer_gl0_inv
	ds_store_b32 v40, v10
	s_waitcnt lgkmcnt(0)
	s_barrier
	buffer_gl0_inv
	v_cmpx_gt_u32_e32 8, v0
	s_cbranch_execz .LBB75_57
; %bb.42:
	v_cmp_eq_u32_e64 s3, 1, v0
	ds_load_b32 v39, v40
	s_mov_b32 s5, exec_lo
	v_cndmask_b32_e64 v38, v2, v3, s3
	v_cmp_eq_u32_e64 s3, 2, v0
	s_delay_alu instid0(VALU_DEP_1) | instskip(SKIP_1) | instid1(VALU_DEP_1)
	v_cndmask_b32_e64 v38, v38, v4, s3
	v_cmp_eq_u32_e64 s3, 3, v0
	v_cndmask_b32_e64 v38, v38, v5, s3
	v_cmp_eq_u32_e64 s3, 4, v0
	s_delay_alu instid0(VALU_DEP_1) | instskip(SKIP_1) | instid1(VALU_DEP_1)
	v_cndmask_b32_e64 v38, v38, v6, s3
	v_cmp_eq_u32_e64 s3, 5, v0
	;; [unrolled: 5-line block ×5, first 2 shown]
	v_cndmask_b32_e64 v41, v38, v13, s3
	v_mov_b32_e32 v38, 0
	s_waitcnt lgkmcnt(0)
	s_delay_alu instid0(VALU_DEP_2)
	v_fma_f32 v39, v41, v39, 0
	v_cmpx_ne_u32_e32 7, v0
	s_cbranch_execz .LBB75_56
; %bb.43:
	v_add_nc_u32_e32 v41, 1, v0
	ds_load_b32 v43, v40 offset:4
	v_cmp_eq_u32_e64 s3, 1, v41
	s_delay_alu instid0(VALU_DEP_1) | instskip(SKIP_1) | instid1(VALU_DEP_1)
	v_cndmask_b32_e64 v42, v2, v3, s3
	v_cmp_eq_u32_e64 s3, 2, v41
	v_cndmask_b32_e64 v42, v42, v4, s3
	v_cmp_eq_u32_e64 s3, 3, v41
	s_delay_alu instid0(VALU_DEP_1) | instskip(SKIP_1) | instid1(VALU_DEP_1)
	v_cndmask_b32_e64 v42, v42, v5, s3
	v_cmp_eq_u32_e64 s3, 4, v41
	v_cndmask_b32_e64 v42, v42, v6, s3
	;; [unrolled: 5-line block ×5, first 2 shown]
	v_cmp_eq_u32_e64 s3, 11, v41
	s_delay_alu instid0(VALU_DEP_1) | instskip(SKIP_1) | instid1(VALU_DEP_1)
	v_cndmask_b32_e64 v41, v42, v13, s3
	s_waitcnt lgkmcnt(0)
	v_fmac_f32_e32 v39, v41, v43
	s_and_saveexec_b32 s3, s2
	s_cbranch_execz .LBB75_55
; %bb.44:
	v_add_nc_u32_e32 v41, 2, v0
	ds_load_b32 v43, v40 offset:8
	s_mov_b32 s13, exec_lo
	v_cmp_eq_u32_e64 s2, 1, v41
	s_delay_alu instid0(VALU_DEP_1) | instskip(SKIP_1) | instid1(VALU_DEP_1)
	v_cndmask_b32_e64 v42, v2, v3, s2
	v_cmp_eq_u32_e64 s2, 2, v41
	v_cndmask_b32_e64 v42, v42, v4, s2
	v_cmp_eq_u32_e64 s2, 3, v41
	s_delay_alu instid0(VALU_DEP_1) | instskip(SKIP_1) | instid1(VALU_DEP_1)
	v_cndmask_b32_e64 v42, v42, v5, s2
	v_cmp_eq_u32_e64 s2, 4, v41
	v_cndmask_b32_e64 v42, v42, v6, s2
	;; [unrolled: 5-line block ×5, first 2 shown]
	v_cmp_eq_u32_e64 s2, 11, v41
	s_delay_alu instid0(VALU_DEP_1) | instskip(SKIP_1) | instid1(VALU_DEP_1)
	v_cndmask_b32_e64 v41, v42, v13, s2
	s_waitcnt lgkmcnt(0)
	v_fmac_f32_e32 v39, v41, v43
	v_cmpx_ne_u32_e32 5, v0
	s_cbranch_execz .LBB75_54
; %bb.45:
	v_add_nc_u32_e32 v41, 3, v0
	ds_load_b32 v43, v40 offset:12
	v_cmp_eq_u32_e64 s2, 1, v41
	s_delay_alu instid0(VALU_DEP_1) | instskip(SKIP_1) | instid1(VALU_DEP_1)
	v_cndmask_b32_e64 v42, v2, v3, s2
	v_cmp_eq_u32_e64 s2, 2, v41
	v_cndmask_b32_e64 v42, v42, v4, s2
	v_cmp_eq_u32_e64 s2, 3, v41
	s_delay_alu instid0(VALU_DEP_1) | instskip(SKIP_1) | instid1(VALU_DEP_1)
	v_cndmask_b32_e64 v42, v42, v5, s2
	v_cmp_eq_u32_e64 s2, 4, v41
	v_cndmask_b32_e64 v42, v42, v6, s2
	;; [unrolled: 5-line block ×5, first 2 shown]
	v_cmp_eq_u32_e64 s2, 11, v41
	s_delay_alu instid0(VALU_DEP_1) | instskip(SKIP_1) | instid1(VALU_DEP_1)
	v_cndmask_b32_e64 v41, v42, v13, s2
	s_waitcnt lgkmcnt(0)
	v_fmac_f32_e32 v39, v41, v43
	s_and_saveexec_b32 s2, s1
	s_cbranch_execz .LBB75_53
; %bb.46:
	v_or_b32_e32 v41, 4, v0
	ds_load_b32 v43, v40 offset:16
	s_mov_b32 s14, exec_lo
	v_cmp_eq_u32_e64 s1, 1, v41
	s_delay_alu instid0(VALU_DEP_1) | instskip(SKIP_1) | instid1(VALU_DEP_1)
	v_cndmask_b32_e64 v42, v2, v3, s1
	v_cmp_eq_u32_e64 s1, 2, v41
	v_cndmask_b32_e64 v42, v42, v4, s1
	v_cmp_eq_u32_e64 s1, 3, v41
	s_delay_alu instid0(VALU_DEP_1) | instskip(SKIP_1) | instid1(VALU_DEP_1)
	v_cndmask_b32_e64 v42, v42, v5, s1
	v_cmp_eq_u32_e64 s1, 4, v41
	v_cndmask_b32_e64 v42, v42, v6, s1
	;; [unrolled: 5-line block ×5, first 2 shown]
	v_cmp_eq_u32_e64 s1, 11, v41
	s_delay_alu instid0(VALU_DEP_1) | instskip(SKIP_1) | instid1(VALU_DEP_1)
	v_cndmask_b32_e64 v41, v42, v13, s1
	s_waitcnt lgkmcnt(0)
	v_fmac_f32_e32 v39, v41, v43
	v_cmpx_ne_u32_e32 3, v0
	s_cbranch_execz .LBB75_52
; %bb.47:
	v_add_nc_u32_e32 v41, 5, v0
	ds_load_b32 v43, v40 offset:20
	v_cmp_eq_u32_e64 s1, 1, v41
	s_delay_alu instid0(VALU_DEP_1) | instskip(SKIP_1) | instid1(VALU_DEP_1)
	v_cndmask_b32_e64 v42, v2, v3, s1
	v_cmp_eq_u32_e64 s1, 2, v41
	v_cndmask_b32_e64 v42, v42, v4, s1
	v_cmp_eq_u32_e64 s1, 3, v41
	s_delay_alu instid0(VALU_DEP_1) | instskip(SKIP_1) | instid1(VALU_DEP_1)
	v_cndmask_b32_e64 v42, v42, v5, s1
	v_cmp_eq_u32_e64 s1, 4, v41
	v_cndmask_b32_e64 v42, v42, v6, s1
	;; [unrolled: 5-line block ×5, first 2 shown]
	v_cmp_eq_u32_e64 s1, 11, v41
	s_delay_alu instid0(VALU_DEP_1) | instskip(SKIP_1) | instid1(VALU_DEP_1)
	v_cndmask_b32_e64 v41, v42, v13, s1
	s_waitcnt lgkmcnt(0)
	v_fmac_f32_e32 v39, v41, v43
	s_and_saveexec_b32 s1, vcc_lo
	s_cbranch_execz .LBB75_51
; %bb.48:
	v_or_b32_e32 v41, 6, v0
	s_delay_alu instid0(VALU_DEP_1) | instskip(SKIP_2) | instid1(VALU_DEP_2)
	v_cmp_eq_u32_e32 vcc_lo, 1, v41
	v_cndmask_b32_e32 v42, v2, v3, vcc_lo
	v_cmp_eq_u32_e32 vcc_lo, 2, v41
	v_cndmask_b32_e32 v42, v42, v4, vcc_lo
	v_cmp_eq_u32_e32 vcc_lo, 3, v41
	s_delay_alu instid0(VALU_DEP_2) | instskip(SKIP_1) | instid1(VALU_DEP_2)
	v_cndmask_b32_e32 v42, v42, v5, vcc_lo
	v_cmp_eq_u32_e32 vcc_lo, 4, v41
	v_cndmask_b32_e32 v42, v42, v6, vcc_lo
	v_cmp_eq_u32_e32 vcc_lo, 5, v41
	s_delay_alu instid0(VALU_DEP_2) | instskip(SKIP_1) | instid1(VALU_DEP_2)
	;; [unrolled: 5-line block ×3, first 2 shown]
	v_cndmask_b32_e32 v42, v42, v9, vcc_lo
	v_cmp_eq_u32_e32 vcc_lo, 8, v41
	v_cndmask_b32_e32 v10, v42, v10, vcc_lo
	ds_load_b32 v42, v40 offset:24
	v_cmp_eq_u32_e32 vcc_lo, 9, v41
	v_cndmask_b32_e32 v10, v10, v11, vcc_lo
	v_cmp_eq_u32_e32 vcc_lo, 10, v41
	s_delay_alu instid0(VALU_DEP_2) | instskip(SKIP_1) | instid1(VALU_DEP_2)
	v_cndmask_b32_e32 v10, v10, v12, vcc_lo
	v_cmp_eq_u32_e32 vcc_lo, 11, v41
	v_cndmask_b32_e32 v10, v10, v13, vcc_lo
	s_waitcnt lgkmcnt(0)
	s_delay_alu instid0(VALU_DEP_1)
	v_fmac_f32_e32 v39, v10, v42
	s_and_saveexec_b32 s15, s0
	s_cbranch_execz .LBB75_50
; %bb.49:
	ds_load_b32 v10, v40 offset:28
	s_waitcnt lgkmcnt(0)
	v_fmac_f32_e32 v39, v9, v10
.LBB75_50:
	s_or_b32 exec_lo, exec_lo, s15
.LBB75_51:
	s_delay_alu instid0(SALU_CYCLE_1)
	s_or_b32 exec_lo, exec_lo, s1
.LBB75_52:
	s_delay_alu instid0(SALU_CYCLE_1)
	s_or_b32 exec_lo, exec_lo, s14
.LBB75_53:
	s_delay_alu instid0(SALU_CYCLE_1)
	s_or_b32 exec_lo, exec_lo, s2
.LBB75_54:
	s_delay_alu instid0(SALU_CYCLE_1)
	s_or_b32 exec_lo, exec_lo, s13
.LBB75_55:
	s_delay_alu instid0(SALU_CYCLE_1)
	s_or_b32 exec_lo, exec_lo, s3
.LBB75_56:
	s_delay_alu instid0(SALU_CYCLE_1)
	s_or_b32 exec_lo, exec_lo, s5
	ds_load_b32 v10, v38 offset:32
	s_waitcnt lgkmcnt(0)
	v_mul_f32_e32 v10, v39, v10
.LBB75_57:
	s_or_b32 exec_lo, exec_lo, s4
	s_delay_alu instid0(SALU_CYCLE_1)
	s_mov_b32 s1, exec_lo
	s_barrier
	buffer_gl0_inv
	ds_store_b32 v40, v11
	s_waitcnt lgkmcnt(0)
	s_barrier
	buffer_gl0_inv
	v_cmpx_gt_u32_e32 9, v0
	s_cbranch_execz .LBB75_61
; %bb.58:
	v_mov_b32_e32 v39, v1
	v_lshl_add_u32 v42, v0, 2, 48
	v_dual_mov_b32 v41, 0 :: v_dual_mov_b32 v38, v0
	s_mov_b32 s2, 0
	s_set_inst_prefetch_distance 0x1
	.p2align	6
.LBB75_59:                              ; =>This Inner Loop Header: Depth=1
	s_delay_alu instid0(VALU_DEP_1) | instskip(SKIP_3) | instid1(VALU_DEP_2)
	v_cmp_eq_u32_e32 vcc_lo, 1, v38
	ds_load_b32 v44, v42
	v_dual_cndmask_b32 v43, v2, v3 :: v_dual_add_nc_u32 v42, 4, v42
	v_cmp_eq_u32_e32 vcc_lo, 2, v38
	v_cndmask_b32_e32 v43, v43, v4, vcc_lo
	v_cmp_eq_u32_e32 vcc_lo, 3, v38
	s_delay_alu instid0(VALU_DEP_2) | instskip(SKIP_1) | instid1(VALU_DEP_2)
	v_cndmask_b32_e32 v43, v43, v5, vcc_lo
	v_cmp_eq_u32_e32 vcc_lo, 4, v38
	v_cndmask_b32_e32 v43, v43, v6, vcc_lo
	v_cmp_eq_u32_e32 vcc_lo, 5, v38
	s_delay_alu instid0(VALU_DEP_2) | instskip(SKIP_1) | instid1(VALU_DEP_2)
	v_cndmask_b32_e32 v43, v43, v7, vcc_lo
	;; [unrolled: 5-line block ×4, first 2 shown]
	v_cmp_eq_u32_e32 vcc_lo, 10, v38
	v_cndmask_b32_e32 v43, v43, v12, vcc_lo
	v_cmp_eq_u32_e32 vcc_lo, 11, v38
	v_add_co_u32 v38, s0, v38, 1
	s_delay_alu instid0(VALU_DEP_1) | instskip(NEXT) | instid1(VALU_DEP_4)
	v_add_co_ci_u32_e64 v39, s0, 0, v39, s0
	v_cndmask_b32_e32 v43, v43, v13, vcc_lo
	s_delay_alu instid0(VALU_DEP_3) | instskip(SKIP_1) | instid1(VALU_DEP_2)
	v_add_nc_u32_e32 v45, -1, v38
	s_waitcnt lgkmcnt(0)
	v_fmac_f32_e32 v41, v43, v44
	s_delay_alu instid0(VALU_DEP_2) | instskip(SKIP_1) | instid1(SALU_CYCLE_1)
	v_cmp_lt_u32_e32 vcc_lo, 7, v45
	s_or_b32 s2, vcc_lo, s2
	s_and_not1_b32 exec_lo, exec_lo, s2
	s_cbranch_execnz .LBB75_59
; %bb.60:
	s_set_inst_prefetch_distance 0x2
	s_or_b32 exec_lo, exec_lo, s2
	v_mov_b32_e32 v11, 0
	ds_load_b32 v11, v11 offset:36
	s_waitcnt lgkmcnt(0)
	v_mul_f32_e32 v11, v41, v11
.LBB75_61:
	s_or_b32 exec_lo, exec_lo, s1
	s_delay_alu instid0(SALU_CYCLE_1)
	s_mov_b32 s1, exec_lo
	s_barrier
	buffer_gl0_inv
	ds_store_b32 v40, v12
	s_waitcnt lgkmcnt(0)
	s_barrier
	buffer_gl0_inv
	v_cmpx_gt_u32_e32 10, v0
	s_cbranch_execz .LBB75_65
; %bb.62:
	v_mov_b32_e32 v39, v1
	v_lshl_add_u32 v42, v0, 2, 48
	v_dual_mov_b32 v41, 0 :: v_dual_mov_b32 v38, v0
	s_mov_b32 s2, 0
	s_set_inst_prefetch_distance 0x1
	.p2align	6
.LBB75_63:                              ; =>This Inner Loop Header: Depth=1
	s_delay_alu instid0(VALU_DEP_1) | instskip(SKIP_3) | instid1(VALU_DEP_2)
	v_cmp_eq_u32_e32 vcc_lo, 1, v38
	ds_load_b32 v44, v42
	v_dual_cndmask_b32 v43, v2, v3 :: v_dual_add_nc_u32 v42, 4, v42
	v_cmp_eq_u32_e32 vcc_lo, 2, v38
	v_cndmask_b32_e32 v43, v43, v4, vcc_lo
	v_cmp_eq_u32_e32 vcc_lo, 3, v38
	s_delay_alu instid0(VALU_DEP_2) | instskip(SKIP_1) | instid1(VALU_DEP_2)
	v_cndmask_b32_e32 v43, v43, v5, vcc_lo
	v_cmp_eq_u32_e32 vcc_lo, 4, v38
	v_cndmask_b32_e32 v43, v43, v6, vcc_lo
	v_cmp_eq_u32_e32 vcc_lo, 5, v38
	s_delay_alu instid0(VALU_DEP_2) | instskip(SKIP_1) | instid1(VALU_DEP_2)
	v_cndmask_b32_e32 v43, v43, v7, vcc_lo
	;; [unrolled: 5-line block ×4, first 2 shown]
	v_cmp_eq_u32_e32 vcc_lo, 10, v38
	v_cndmask_b32_e32 v43, v43, v12, vcc_lo
	v_cmp_eq_u32_e32 vcc_lo, 11, v38
	v_add_co_u32 v38, s0, v38, 1
	s_delay_alu instid0(VALU_DEP_1) | instskip(NEXT) | instid1(VALU_DEP_4)
	v_add_co_ci_u32_e64 v39, s0, 0, v39, s0
	v_cndmask_b32_e32 v43, v43, v13, vcc_lo
	s_delay_alu instid0(VALU_DEP_3) | instskip(SKIP_1) | instid1(VALU_DEP_2)
	v_add_nc_u32_e32 v45, -1, v38
	s_waitcnt lgkmcnt(0)
	v_fmac_f32_e32 v41, v43, v44
	s_delay_alu instid0(VALU_DEP_2) | instskip(SKIP_1) | instid1(SALU_CYCLE_1)
	v_cmp_lt_u32_e32 vcc_lo, 8, v45
	s_or_b32 s2, vcc_lo, s2
	s_and_not1_b32 exec_lo, exec_lo, s2
	s_cbranch_execnz .LBB75_63
; %bb.64:
	s_set_inst_prefetch_distance 0x2
	s_or_b32 exec_lo, exec_lo, s2
	v_mov_b32_e32 v12, 0
	ds_load_b32 v12, v12 offset:40
	s_waitcnt lgkmcnt(0)
	v_mul_f32_e32 v12, v41, v12
.LBB75_65:
	s_or_b32 exec_lo, exec_lo, s1
	s_delay_alu instid0(SALU_CYCLE_1)
	s_mov_b32 s1, exec_lo
	s_barrier
	buffer_gl0_inv
	ds_store_b32 v40, v13
	s_waitcnt lgkmcnt(0)
	s_barrier
	buffer_gl0_inv
	v_cmpx_ne_u32_e32 11, v0
	s_cbranch_execz .LBB75_69
; %bb.66:
	v_dual_mov_b32 v40, 0 :: v_dual_mov_b32 v39, v1
	v_lshl_add_u32 v41, v0, 2, 48
	v_mov_b32_e32 v38, v0
	s_mov_b32 s2, 0
	s_set_inst_prefetch_distance 0x1
	.p2align	6
.LBB75_67:                              ; =>This Inner Loop Header: Depth=1
	s_delay_alu instid0(VALU_DEP_1) | instskip(SKIP_3) | instid1(VALU_DEP_2)
	v_cmp_eq_u32_e32 vcc_lo, 1, v38
	ds_load_b32 v42, v41
	v_cndmask_b32_e32 v1, v2, v3, vcc_lo
	v_cmp_eq_u32_e32 vcc_lo, 2, v38
	v_cndmask_b32_e32 v1, v1, v4, vcc_lo
	v_cmp_eq_u32_e32 vcc_lo, 3, v38
	s_delay_alu instid0(VALU_DEP_2) | instskip(SKIP_1) | instid1(VALU_DEP_2)
	v_cndmask_b32_e32 v1, v1, v5, vcc_lo
	v_cmp_eq_u32_e32 vcc_lo, 4, v38
	v_cndmask_b32_e32 v1, v1, v6, vcc_lo
	v_cmp_eq_u32_e32 vcc_lo, 5, v38
	s_delay_alu instid0(VALU_DEP_2) | instskip(SKIP_1) | instid1(VALU_DEP_2)
	;; [unrolled: 5-line block ×4, first 2 shown]
	v_cndmask_b32_e32 v1, v1, v11, vcc_lo
	v_cmp_eq_u32_e32 vcc_lo, 10, v38
	v_cndmask_b32_e32 v1, v1, v12, vcc_lo
	v_cmp_eq_u32_e32 vcc_lo, 11, v38
	v_add_co_u32 v38, s0, v38, 1
	s_delay_alu instid0(VALU_DEP_1) | instskip(NEXT) | instid1(VALU_DEP_4)
	v_add_co_ci_u32_e64 v39, s0, 0, v39, s0
	v_cndmask_b32_e32 v1, v1, v13, vcc_lo
	s_delay_alu instid0(VALU_DEP_3) | instskip(SKIP_1) | instid1(VALU_DEP_2)
	v_add_nc_u32_e32 v43, -1, v38
	s_waitcnt lgkmcnt(0)
	v_dual_fmac_f32 v40, v1, v42 :: v_dual_add_nc_u32 v41, 4, v41
	s_delay_alu instid0(VALU_DEP_2) | instskip(SKIP_1) | instid1(SALU_CYCLE_1)
	v_cmp_lt_u32_e32 vcc_lo, 9, v43
	s_or_b32 s2, vcc_lo, s2
	s_and_not1_b32 exec_lo, exec_lo, s2
	s_cbranch_execnz .LBB75_67
; %bb.68:
	s_set_inst_prefetch_distance 0x2
	s_or_b32 exec_lo, exec_lo, s2
	v_mov_b32_e32 v1, 0
	ds_load_b32 v1, v1 offset:44
	s_waitcnt lgkmcnt(0)
	v_mul_f32_e32 v13, v40, v1
.LBB75_69:
	s_or_b32 exec_lo, exec_lo, s1
	s_barrier
	buffer_gl0_inv
	s_cbranch_execnz .LBB75_15
	s_branch .LBB75_16
.LBB75_70:
	v_lshl_add_u32 v1, v0, 2, 48
	s_mov_b32 s0, exec_lo
	v_cmpx_eq_u32_e32 11, v0
	s_cbranch_execz .LBB75_72
; %bb.71:
	s_mov_b32 s1, 0
	ds_store_b32 v1, v12
	v_mov_b32_e32 v12, s1
.LBB75_72:
	s_or_b32 exec_lo, exec_lo, s0
	v_mov_b32_e32 v38, 0
	s_waitcnt lgkmcnt(0)
	s_waitcnt_vscnt null, 0x0
	s_barrier
	buffer_gl0_inv
	s_mov_b32 s0, exec_lo
	ds_load_b32 v39, v38 offset:92
	s_waitcnt lgkmcnt(0)
	v_fma_f32 v39, v13, v39, 0
	s_delay_alu instid0(VALU_DEP_1)
	v_sub_f32_e32 v12, v12, v39
	v_cmpx_lt_u32_e32 9, v0
	s_cbranch_execz .LBB75_74
; %bb.73:
	s_mov_b32 s1, 0
	s_delay_alu instid0(VALU_DEP_2)
	v_dual_mov_b32 v50, v13 :: v_dual_mov_b32 v49, v12
	v_dual_mov_b32 v48, v11 :: v_dual_mov_b32 v47, v10
	v_dual_mov_b32 v40, v3 :: v_dual_mov_b32 v39, v2
	v_dual_mov_b32 v46, v9 :: v_dual_mov_b32 v45, v8
	v_dual_mov_b32 v44, v7 :: v_dual_mov_b32 v43, v6
	v_dual_mov_b32 v42, v5 :: v_dual_mov_b32 v41, v4
	v_mov_b32_e32 v48, s1
	ds_store_b32 v1, v11
	v_dual_mov_b32 v2, v39 :: v_dual_mov_b32 v3, v40
	v_dual_mov_b32 v4, v41 :: v_dual_mov_b32 v5, v42
	;; [unrolled: 1-line block ×6, first 2 shown]
.LBB75_74:
	s_or_b32 exec_lo, exec_lo, s0
	s_waitcnt lgkmcnt(0)
	s_barrier
	buffer_gl0_inv
	ds_load_b64 v[38:39], v38 offset:88
	s_mov_b32 s0, exec_lo
	s_waitcnt lgkmcnt(0)
	v_fma_f32 v38, v12, v38, 0
	s_delay_alu instid0(VALU_DEP_1) | instskip(NEXT) | instid1(VALU_DEP_1)
	v_fmac_f32_e32 v38, v13, v39
	v_sub_f32_e32 v11, v11, v38
	v_cmpx_lt_u32_e32 8, v0
	s_cbranch_execz .LBB75_76
; %bb.75:
	s_mov_b32 s1, 0
	v_dual_mov_b32 v49, v13 :: v_dual_mov_b32 v48, v12
	v_dual_mov_b32 v47, v11 :: v_dual_mov_b32 v46, v10
	;; [unrolled: 1-line block ×6, first 2 shown]
	v_mov_b32_e32 v46, s1
	ds_store_b32 v1, v10
	v_dual_mov_b32 v2, v38 :: v_dual_mov_b32 v3, v39
	v_dual_mov_b32 v4, v40 :: v_dual_mov_b32 v5, v41
	;; [unrolled: 1-line block ×6, first 2 shown]
.LBB75_76:
	s_or_b32 exec_lo, exec_lo, s0
	v_mov_b32_e32 v38, 0
	s_waitcnt lgkmcnt(0)
	s_barrier
	buffer_gl0_inv
	s_mov_b32 s0, exec_lo
	ds_load_2addr_b32 v[39:40], v38 offset0:21 offset1:22
	ds_load_b32 v41, v38 offset:92
	s_waitcnt lgkmcnt(1)
	v_fma_f32 v39, v11, v39, 0
	s_delay_alu instid0(VALU_DEP_1) | instskip(SKIP_1) | instid1(VALU_DEP_1)
	v_fmac_f32_e32 v39, v12, v40
	s_waitcnt lgkmcnt(0)
	v_fmac_f32_e32 v39, v13, v41
	s_delay_alu instid0(VALU_DEP_1)
	v_sub_f32_e32 v10, v10, v39
	v_cmpx_lt_u32_e32 7, v0
	s_cbranch_execz .LBB75_78
; %bb.77:
	s_mov_b32 s1, 0
	v_dual_mov_b32 v50, v13 :: v_dual_mov_b32 v49, v12
	v_dual_mov_b32 v46, v9 :: v_dual_mov_b32 v45, v8
	v_dual_mov_b32 v40, v3 :: v_dual_mov_b32 v39, v2
	v_dual_mov_b32 v48, v11 :: v_dual_mov_b32 v47, v10
	v_dual_mov_b32 v44, v7 :: v_dual_mov_b32 v43, v6
	v_dual_mov_b32 v42, v5 :: v_dual_mov_b32 v41, v4
	v_mov_b32_e32 v46, s1
	ds_store_b32 v1, v9
	v_dual_mov_b32 v2, v39 :: v_dual_mov_b32 v3, v40
	v_dual_mov_b32 v4, v41 :: v_dual_mov_b32 v5, v42
	;; [unrolled: 1-line block ×6, first 2 shown]
.LBB75_78:
	s_or_b32 exec_lo, exec_lo, s0
	s_waitcnt lgkmcnt(0)
	s_barrier
	buffer_gl0_inv
	ds_load_b128 v[38:41], v38 offset:80
	s_mov_b32 s0, exec_lo
	s_waitcnt lgkmcnt(0)
	v_fma_f32 v38, v10, v38, 0
	s_delay_alu instid0(VALU_DEP_1) | instskip(NEXT) | instid1(VALU_DEP_1)
	v_fmac_f32_e32 v38, v11, v39
	v_fmac_f32_e32 v38, v12, v40
	s_delay_alu instid0(VALU_DEP_1) | instskip(NEXT) | instid1(VALU_DEP_1)
	v_fmac_f32_e32 v38, v13, v41
	v_sub_f32_e32 v9, v9, v38
	v_cmpx_lt_u32_e32 6, v0
	s_cbranch_execz .LBB75_80
; %bb.79:
	s_mov_b32 s1, 0
	v_dual_mov_b32 v49, v13 :: v_dual_mov_b32 v48, v12
	v_dual_mov_b32 v45, v9 :: v_dual_mov_b32 v44, v8
	;; [unrolled: 1-line block ×6, first 2 shown]
	v_mov_b32_e32 v44, s1
	ds_store_b32 v1, v8
	v_dual_mov_b32 v2, v38 :: v_dual_mov_b32 v3, v39
	v_dual_mov_b32 v4, v40 :: v_dual_mov_b32 v5, v41
	;; [unrolled: 1-line block ×6, first 2 shown]
.LBB75_80:
	s_or_b32 exec_lo, exec_lo, s0
	v_mov_b32_e32 v38, 0
	s_waitcnt lgkmcnt(0)
	s_barrier
	buffer_gl0_inv
	s_mov_b32 s0, exec_lo
	ds_load_2addr_b32 v[39:40], v38 offset0:19 offset1:20
	ds_load_2addr_b32 v[41:42], v38 offset0:21 offset1:22
	ds_load_b32 v43, v38 offset:92
	s_waitcnt lgkmcnt(2)
	v_fma_f32 v39, v9, v39, 0
	s_delay_alu instid0(VALU_DEP_1) | instskip(SKIP_1) | instid1(VALU_DEP_1)
	v_fmac_f32_e32 v39, v10, v40
	s_waitcnt lgkmcnt(1)
	v_fmac_f32_e32 v39, v11, v41
	s_delay_alu instid0(VALU_DEP_1) | instskip(SKIP_1) | instid1(VALU_DEP_1)
	v_fmac_f32_e32 v39, v12, v42
	s_waitcnt lgkmcnt(0)
	v_fmac_f32_e32 v39, v13, v43
	s_delay_alu instid0(VALU_DEP_1)
	v_sub_f32_e32 v8, v8, v39
	v_cmpx_lt_u32_e32 5, v0
	s_cbranch_execz .LBB75_82
; %bb.81:
	s_mov_b32 s1, 0
	v_dual_mov_b32 v50, v13 :: v_dual_mov_b32 v49, v12
	v_dual_mov_b32 v44, v7 :: v_dual_mov_b32 v43, v6
	;; [unrolled: 1-line block ×6, first 2 shown]
	v_mov_b32_e32 v44, s1
	ds_store_b32 v1, v7
	v_dual_mov_b32 v2, v39 :: v_dual_mov_b32 v3, v40
	v_dual_mov_b32 v4, v41 :: v_dual_mov_b32 v5, v42
	;; [unrolled: 1-line block ×6, first 2 shown]
.LBB75_82:
	s_or_b32 exec_lo, exec_lo, s0
	s_waitcnt lgkmcnt(0)
	s_barrier
	buffer_gl0_inv
	ds_load_2addr_b64 v[39:42], v38 offset0:9 offset1:10
	ds_load_b64 v[43:44], v38 offset:88
	s_mov_b32 s0, exec_lo
	s_waitcnt lgkmcnt(1)
	v_fma_f32 v38, v8, v39, 0
	s_delay_alu instid0(VALU_DEP_1) | instskip(NEXT) | instid1(VALU_DEP_1)
	v_fmac_f32_e32 v38, v9, v40
	v_fmac_f32_e32 v38, v10, v41
	s_delay_alu instid0(VALU_DEP_1) | instskip(SKIP_1) | instid1(VALU_DEP_1)
	v_fmac_f32_e32 v38, v11, v42
	s_waitcnt lgkmcnt(0)
	v_fmac_f32_e32 v38, v12, v43
	s_delay_alu instid0(VALU_DEP_1) | instskip(NEXT) | instid1(VALU_DEP_1)
	v_fmac_f32_e32 v38, v13, v44
	v_sub_f32_e32 v7, v7, v38
	v_cmpx_lt_u32_e32 4, v0
	s_cbranch_execz .LBB75_84
; %bb.83:
	s_mov_b32 s1, 0
	v_dual_mov_b32 v49, v13 :: v_dual_mov_b32 v48, v12
	v_dual_mov_b32 v43, v7 :: v_dual_mov_b32 v42, v6
	;; [unrolled: 1-line block ×6, first 2 shown]
	v_mov_b32_e32 v42, s1
	ds_store_b32 v1, v6
	v_dual_mov_b32 v2, v38 :: v_dual_mov_b32 v3, v39
	v_dual_mov_b32 v4, v40 :: v_dual_mov_b32 v5, v41
	v_dual_mov_b32 v6, v42 :: v_dual_mov_b32 v7, v43
	v_dual_mov_b32 v8, v44 :: v_dual_mov_b32 v9, v45
	v_dual_mov_b32 v10, v46 :: v_dual_mov_b32 v11, v47
	v_dual_mov_b32 v12, v48 :: v_dual_mov_b32 v13, v49
.LBB75_84:
	s_or_b32 exec_lo, exec_lo, s0
	v_mov_b32_e32 v38, 0
	s_waitcnt lgkmcnt(0)
	s_barrier
	buffer_gl0_inv
	s_mov_b32 s0, exec_lo
	ds_load_2addr_b32 v[39:40], v38 offset0:17 offset1:18
	ds_load_2addr_b32 v[41:42], v38 offset0:19 offset1:20
	;; [unrolled: 1-line block ×3, first 2 shown]
	ds_load_b32 v45, v38 offset:92
	s_waitcnt lgkmcnt(3)
	v_fma_f32 v39, v7, v39, 0
	s_delay_alu instid0(VALU_DEP_1) | instskip(SKIP_1) | instid1(VALU_DEP_1)
	v_fmac_f32_e32 v39, v8, v40
	s_waitcnt lgkmcnt(2)
	v_fmac_f32_e32 v39, v9, v41
	s_delay_alu instid0(VALU_DEP_1) | instskip(SKIP_1) | instid1(VALU_DEP_1)
	v_fmac_f32_e32 v39, v10, v42
	s_waitcnt lgkmcnt(1)
	v_fmac_f32_e32 v39, v11, v43
	;; [unrolled: 4-line block ×3, first 2 shown]
	s_delay_alu instid0(VALU_DEP_1)
	v_sub_f32_e32 v6, v6, v39
	v_cmpx_lt_u32_e32 3, v0
	s_cbranch_execz .LBB75_86
; %bb.85:
	s_mov_b32 s1, 0
	v_dual_mov_b32 v50, v13 :: v_dual_mov_b32 v49, v12
	v_dual_mov_b32 v42, v5 :: v_dual_mov_b32 v41, v4
	v_dual_mov_b32 v40, v3 :: v_dual_mov_b32 v39, v2
	v_dual_mov_b32 v48, v11 :: v_dual_mov_b32 v47, v10
	v_dual_mov_b32 v46, v9 :: v_dual_mov_b32 v45, v8
	v_dual_mov_b32 v44, v7 :: v_dual_mov_b32 v43, v6
	v_mov_b32_e32 v42, s1
	ds_store_b32 v1, v5
	v_dual_mov_b32 v2, v39 :: v_dual_mov_b32 v3, v40
	v_dual_mov_b32 v4, v41 :: v_dual_mov_b32 v5, v42
	;; [unrolled: 1-line block ×6, first 2 shown]
.LBB75_86:
	s_or_b32 exec_lo, exec_lo, s0
	s_waitcnt lgkmcnt(0)
	s_barrier
	buffer_gl0_inv
	ds_load_b128 v[39:42], v38 offset:64
	ds_load_b128 v[43:46], v38 offset:80
	s_mov_b32 s0, exec_lo
	s_waitcnt lgkmcnt(1)
	v_fma_f32 v38, v6, v39, 0
	s_delay_alu instid0(VALU_DEP_1) | instskip(NEXT) | instid1(VALU_DEP_1)
	v_fmac_f32_e32 v38, v7, v40
	v_fmac_f32_e32 v38, v8, v41
	s_delay_alu instid0(VALU_DEP_1) | instskip(SKIP_1) | instid1(VALU_DEP_1)
	v_fmac_f32_e32 v38, v9, v42
	s_waitcnt lgkmcnt(0)
	v_fmac_f32_e32 v38, v10, v43
	s_delay_alu instid0(VALU_DEP_1) | instskip(NEXT) | instid1(VALU_DEP_1)
	v_fmac_f32_e32 v38, v11, v44
	v_fmac_f32_e32 v38, v12, v45
	s_delay_alu instid0(VALU_DEP_1) | instskip(NEXT) | instid1(VALU_DEP_1)
	v_fmac_f32_e32 v38, v13, v46
	v_sub_f32_e32 v5, v5, v38
	v_cmpx_lt_u32_e32 2, v0
	s_cbranch_execz .LBB75_88
; %bb.87:
	s_mov_b32 s1, 0
	v_dual_mov_b32 v49, v13 :: v_dual_mov_b32 v48, v12
	v_dual_mov_b32 v41, v5 :: v_dual_mov_b32 v40, v4
	;; [unrolled: 1-line block ×6, first 2 shown]
	v_mov_b32_e32 v40, s1
	ds_store_b32 v1, v4
	v_dual_mov_b32 v2, v38 :: v_dual_mov_b32 v3, v39
	v_dual_mov_b32 v5, v41 :: v_dual_mov_b32 v4, v40
	;; [unrolled: 1-line block ×6, first 2 shown]
.LBB75_88:
	s_or_b32 exec_lo, exec_lo, s0
	v_mov_b32_e32 v38, 0
	s_waitcnt lgkmcnt(0)
	s_barrier
	buffer_gl0_inv
	s_mov_b32 s0, exec_lo
	ds_load_2addr_b32 v[39:40], v38 offset0:15 offset1:16
	ds_load_2addr_b32 v[41:42], v38 offset0:17 offset1:18
	;; [unrolled: 1-line block ×4, first 2 shown]
	s_waitcnt lgkmcnt(3)
	v_fma_f32 v39, v5, v39, 0
	s_delay_alu instid0(VALU_DEP_1) | instskip(SKIP_3) | instid1(VALU_DEP_1)
	v_fmac_f32_e32 v39, v6, v40
	ds_load_b32 v40, v38 offset:92
	s_waitcnt lgkmcnt(3)
	v_fmac_f32_e32 v39, v7, v41
	v_fmac_f32_e32 v39, v8, v42
	s_waitcnt lgkmcnt(2)
	s_delay_alu instid0(VALU_DEP_1) | instskip(NEXT) | instid1(VALU_DEP_1)
	v_fmac_f32_e32 v39, v9, v43
	v_fmac_f32_e32 v39, v10, v44
	s_waitcnt lgkmcnt(1)
	s_delay_alu instid0(VALU_DEP_1) | instskip(NEXT) | instid1(VALU_DEP_1)
	v_fmac_f32_e32 v39, v11, v45
	v_fmac_f32_e32 v39, v12, v46
	s_waitcnt lgkmcnt(0)
	s_delay_alu instid0(VALU_DEP_1) | instskip(NEXT) | instid1(VALU_DEP_1)
	v_fmac_f32_e32 v39, v13, v40
	v_sub_f32_e32 v4, v4, v39
	v_cmpx_lt_u32_e32 1, v0
	s_cbranch_execz .LBB75_90
; %bb.89:
	s_mov_b32 s1, 0
	v_dual_mov_b32 v50, v13 :: v_dual_mov_b32 v49, v12
	v_dual_mov_b32 v40, v3 :: v_dual_mov_b32 v39, v2
	;; [unrolled: 1-line block ×6, first 2 shown]
	v_mov_b32_e32 v40, s1
	ds_store_b32 v1, v3
	v_dual_mov_b32 v2, v39 :: v_dual_mov_b32 v5, v42
	v_dual_mov_b32 v4, v41 :: v_dual_mov_b32 v3, v40
	;; [unrolled: 1-line block ×6, first 2 shown]
.LBB75_90:
	s_or_b32 exec_lo, exec_lo, s0
	s_waitcnt lgkmcnt(0)
	s_barrier
	buffer_gl0_inv
	ds_load_2addr_b64 v[39:42], v38 offset0:7 offset1:8
	ds_load_2addr_b64 v[43:46], v38 offset0:9 offset1:10
	s_mov_b32 s1, 0
	s_mov_b32 s0, exec_lo
	s_waitcnt lgkmcnt(1)
	v_fma_f32 v47, v4, v39, 0
	ds_load_b64 v[38:39], v38 offset:88
	v_fmac_f32_e32 v47, v5, v40
	s_delay_alu instid0(VALU_DEP_1) | instskip(NEXT) | instid1(VALU_DEP_1)
	v_fmac_f32_e32 v47, v6, v41
	v_fmac_f32_e32 v47, v7, v42
	s_waitcnt lgkmcnt(1)
	s_delay_alu instid0(VALU_DEP_1) | instskip(NEXT) | instid1(VALU_DEP_1)
	v_fmac_f32_e32 v47, v8, v43
	v_fmac_f32_e32 v47, v9, v44
	s_delay_alu instid0(VALU_DEP_1) | instskip(NEXT) | instid1(VALU_DEP_1)
	v_fmac_f32_e32 v47, v10, v45
	v_fmac_f32_e32 v47, v11, v46
	s_waitcnt lgkmcnt(0)
	s_delay_alu instid0(VALU_DEP_1) | instskip(NEXT) | instid1(VALU_DEP_1)
	v_fmac_f32_e32 v47, v12, v38
	v_fmac_f32_e32 v47, v13, v39
	s_delay_alu instid0(VALU_DEP_1)
	v_sub_f32_e32 v3, v3, v47
	v_cmpx_ne_u32_e32 0, v0
	s_cbranch_execz .LBB75_92
; %bb.91:
	v_dual_mov_b32 v49, v13 :: v_dual_mov_b32 v48, v12
	s_delay_alu instid0(VALU_DEP_3)
	v_dual_mov_b32 v39, v3 :: v_dual_mov_b32 v38, v2
	v_dual_mov_b32 v38, s1 :: v_dual_mov_b32 v47, v11
	;; [unrolled: 1-line block ×5, first 2 shown]
	v_mov_b32_e32 v40, v4
	ds_store_b32 v1, v2
	v_dual_mov_b32 v2, v38 :: v_dual_mov_b32 v3, v39
	v_dual_mov_b32 v5, v41 :: v_dual_mov_b32 v4, v40
	v_dual_mov_b32 v6, v42 :: v_dual_mov_b32 v7, v43
	v_dual_mov_b32 v8, v44 :: v_dual_mov_b32 v9, v45
	v_dual_mov_b32 v10, v46 :: v_dual_mov_b32 v11, v47
	v_dual_mov_b32 v12, v48 :: v_dual_mov_b32 v13, v49
.LBB75_92:
	s_or_b32 exec_lo, exec_lo, s0
	v_mov_b32_e32 v44, 0
	s_waitcnt lgkmcnt(0)
	s_barrier
	buffer_gl0_inv
	s_and_b32 vcc_lo, exec_lo, s12
	ds_load_2addr_b32 v[0:1], v44 offset0:13 offset1:14
	ds_load_2addr_b32 v[38:39], v44 offset0:15 offset1:16
	;; [unrolled: 1-line block ×4, first 2 shown]
	s_waitcnt lgkmcnt(3)
	v_fma_f32 v45, v3, v0, 0
	s_delay_alu instid0(VALU_DEP_1)
	v_fmac_f32_e32 v45, v4, v1
	ds_load_2addr_b32 v[0:1], v44 offset0:21 offset1:22
	s_waitcnt lgkmcnt(3)
	v_fmac_f32_e32 v45, v5, v38
	ds_load_b32 v38, v44 offset:92
	v_fmac_f32_e32 v45, v6, v39
	s_waitcnt lgkmcnt(3)
	s_delay_alu instid0(VALU_DEP_1) | instskip(NEXT) | instid1(VALU_DEP_1)
	v_fmac_f32_e32 v45, v7, v40
	v_fmac_f32_e32 v45, v8, v41
	s_waitcnt lgkmcnt(2)
	s_delay_alu instid0(VALU_DEP_1) | instskip(NEXT) | instid1(VALU_DEP_1)
	v_fmac_f32_e32 v45, v9, v42
	;; [unrolled: 4-line block ×4, first 2 shown]
	v_sub_f32_e32 v2, v2, v45
	s_cbranch_vccz .LBB75_116
; %bb.93:
	v_dual_mov_b32 v0, s8 :: v_dual_mov_b32 v1, s9
	s_mov_b32 s10, exec_lo
	flat_load_b32 v0, v[0:1] offset:40
	s_waitcnt vmcnt(0) lgkmcnt(0)
	v_add_nc_u32_e32 v0, -1, v0
	s_delay_alu instid0(VALU_DEP_1)
	v_cmpx_ne_u32_e32 10, v0
	s_cbranch_execz .LBB75_95
; %bb.94:
	v_cmp_eq_u32_e32 vcc_lo, 1, v0
	v_cmp_eq_u32_e64 s0, 2, v0
	v_cmp_eq_u32_e64 s1, 3, v0
	;; [unrolled: 1-line block ×8, first 2 shown]
	v_cndmask_b32_e64 v40, v4, v12, s0
	v_cndmask_b32_e32 v39, v3, v12, vcc_lo
	v_cndmask_b32_e64 v41, v5, v12, s1
	v_cndmask_b32_e64 v42, v6, v12, s2
	;; [unrolled: 1-line block ×7, first 2 shown]
	v_cndmask_b32_e32 v1, v2, v3, vcc_lo
	v_cmp_eq_u32_e32 vcc_lo, 10, v0
	s_delay_alu instid0(VALU_DEP_2) | instskip(SKIP_1) | instid1(VALU_DEP_2)
	v_cndmask_b32_e64 v1, v1, v4, s0
	v_cmp_eq_u32_e64 s0, 11, v0
	v_cndmask_b32_e64 v1, v1, v5, s1
	s_delay_alu instid0(VALU_DEP_2) | instskip(NEXT) | instid1(VALU_DEP_2)
	v_cndmask_b32_e64 v49, v13, v12, s0
	v_cndmask_b32_e64 v1, v1, v6, s2
	s_delay_alu instid0(VALU_DEP_1) | instskip(NEXT) | instid1(VALU_DEP_1)
	v_cndmask_b32_e64 v1, v1, v7, s3
	v_cndmask_b32_e64 v1, v1, v8, s4
	s_delay_alu instid0(VALU_DEP_1) | instskip(NEXT) | instid1(VALU_DEP_1)
	;; [unrolled: 3-line block ×3, first 2 shown]
	v_cndmask_b32_e64 v1, v1, v11, s7
	v_cndmask_b32_e32 v1, v1, v12, vcc_lo
	s_delay_alu instid0(VALU_DEP_1) | instskip(NEXT) | instid1(VALU_DEP_1)
	v_cndmask_b32_e64 v1, v1, v13, s0
	v_cndmask_b32_e32 v48, v1, v12, vcc_lo
	v_cmp_eq_u32_e32 vcc_lo, 0, v0
	v_cndmask_b32_e32 v38, v2, v12, vcc_lo
	s_delay_alu instid0(VALU_DEP_1)
	v_dual_mov_b32 v2, v38 :: v_dual_mov_b32 v3, v39
	v_mov_b32_e32 v6, v42
	v_dual_mov_b32 v4, v40 :: v_dual_mov_b32 v5, v41
	v_dual_mov_b32 v8, v44 :: v_dual_mov_b32 v7, v43
	;; [unrolled: 1-line block ×4, first 2 shown]
	v_mov_b32_e32 v13, v49
.LBB75_95:
	s_or_b32 exec_lo, exec_lo, s10
	v_dual_mov_b32 v0, s8 :: v_dual_mov_b32 v1, s9
	s_mov_b32 s10, exec_lo
	flat_load_b32 v0, v[0:1] offset:36
	s_waitcnt vmcnt(0) lgkmcnt(0)
	v_add_nc_u32_e32 v0, -1, v0
	s_delay_alu instid0(VALU_DEP_1)
	v_cmpx_ne_u32_e32 9, v0
	s_cbranch_execz .LBB75_97
; %bb.96:
	v_cmp_eq_u32_e32 vcc_lo, 1, v0
	v_cmp_eq_u32_e64 s0, 2, v0
	v_cmp_eq_u32_e64 s1, 3, v0
	;; [unrolled: 1-line block ×7, first 2 shown]
	v_cndmask_b32_e64 v40, v4, v11, s0
	v_cndmask_b32_e32 v39, v3, v11, vcc_lo
	v_cndmask_b32_e64 v41, v5, v11, s1
	v_cndmask_b32_e64 v42, v6, v11, s2
	;; [unrolled: 1-line block ×6, first 2 shown]
	v_cndmask_b32_e32 v1, v2, v3, vcc_lo
	v_cmp_eq_u32_e64 s7, 9, v0
	v_cmp_eq_u32_e32 vcc_lo, 10, v0
	s_delay_alu instid0(VALU_DEP_3) | instskip(SKIP_2) | instid1(VALU_DEP_3)
	v_cndmask_b32_e64 v1, v1, v4, s0
	v_cmp_eq_u32_e64 s0, 11, v0
	v_cndmask_b32_e32 v48, v12, v11, vcc_lo
	v_cndmask_b32_e64 v1, v1, v5, s1
	s_delay_alu instid0(VALU_DEP_3) | instskip(NEXT) | instid1(VALU_DEP_2)
	v_cndmask_b32_e64 v49, v13, v11, s0
	v_cndmask_b32_e64 v1, v1, v6, s2
	s_delay_alu instid0(VALU_DEP_1) | instskip(NEXT) | instid1(VALU_DEP_1)
	v_cndmask_b32_e64 v1, v1, v7, s3
	v_cndmask_b32_e64 v1, v1, v8, s4
	s_delay_alu instid0(VALU_DEP_1) | instskip(NEXT) | instid1(VALU_DEP_1)
	;; [unrolled: 3-line block ×3, first 2 shown]
	v_cndmask_b32_e64 v1, v1, v11, s7
	v_cndmask_b32_e32 v1, v1, v12, vcc_lo
	v_cmp_eq_u32_e32 vcc_lo, 0, v0
	s_delay_alu instid0(VALU_DEP_2) | instskip(SKIP_1) | instid1(VALU_DEP_2)
	v_cndmask_b32_e64 v1, v1, v13, s0
	v_cndmask_b32_e32 v38, v2, v11, vcc_lo
	v_cndmask_b32_e64 v47, v1, v11, s7
	s_delay_alu instid0(VALU_DEP_2)
	v_dual_mov_b32 v2, v38 :: v_dual_mov_b32 v3, v39
	v_dual_mov_b32 v4, v40 :: v_dual_mov_b32 v5, v41
	;; [unrolled: 1-line block ×6, first 2 shown]
.LBB75_97:
	s_or_b32 exec_lo, exec_lo, s10
	v_dual_mov_b32 v0, s8 :: v_dual_mov_b32 v1, s9
	s_mov_b32 s10, exec_lo
	flat_load_b32 v0, v[0:1] offset:32
	s_waitcnt vmcnt(0) lgkmcnt(0)
	v_add_nc_u32_e32 v0, -1, v0
	s_delay_alu instid0(VALU_DEP_1)
	v_cmpx_ne_u32_e32 8, v0
	s_cbranch_execz .LBB75_99
; %bb.98:
	v_cmp_eq_u32_e32 vcc_lo, 1, v0
	v_cmp_eq_u32_e64 s0, 2, v0
	v_cmp_eq_u32_e64 s1, 3, v0
	;; [unrolled: 1-line block ×4, first 2 shown]
	v_cndmask_b32_e32 v1, v2, v3, vcc_lo
	v_cndmask_b32_e32 v39, v3, v10, vcc_lo
	v_cmp_eq_u32_e32 vcc_lo, 10, v0
	v_cmp_eq_u32_e64 s4, 6, v0
	v_cmp_eq_u32_e64 s5, 7, v0
	;; [unrolled: 1-line block ×4, first 2 shown]
	v_cndmask_b32_e32 v48, v12, v10, vcc_lo
	v_cndmask_b32_e64 v1, v1, v4, s0
	v_cndmask_b32_e64 v40, v4, v10, s0
	v_cmp_eq_u32_e64 s0, 11, v0
	v_cndmask_b32_e64 v41, v5, v10, s1
	v_cndmask_b32_e64 v42, v6, v10, s2
	;; [unrolled: 1-line block ×9, first 2 shown]
	s_delay_alu instid0(VALU_DEP_2) | instskip(NEXT) | instid1(VALU_DEP_1)
	v_cndmask_b32_e64 v1, v1, v7, s3
	v_cndmask_b32_e64 v1, v1, v8, s4
	s_delay_alu instid0(VALU_DEP_1) | instskip(NEXT) | instid1(VALU_DEP_1)
	v_cndmask_b32_e64 v1, v1, v9, s5
	v_cndmask_b32_e64 v1, v1, v10, s6
	s_delay_alu instid0(VALU_DEP_1) | instskip(NEXT) | instid1(VALU_DEP_1)
	v_cndmask_b32_e64 v1, v1, v11, s7
	v_cndmask_b32_e32 v1, v1, v12, vcc_lo
	v_cmp_eq_u32_e32 vcc_lo, 0, v0
	v_cndmask_b32_e32 v38, v2, v10, vcc_lo
	s_delay_alu instid0(VALU_DEP_3) | instskip(NEXT) | instid1(VALU_DEP_1)
	v_cndmask_b32_e64 v1, v1, v13, s0
	v_cndmask_b32_e64 v46, v1, v10, s6
	s_delay_alu instid0(VALU_DEP_3)
	v_dual_mov_b32 v2, v38 :: v_dual_mov_b32 v3, v39
	v_dual_mov_b32 v4, v40 :: v_dual_mov_b32 v5, v41
	;; [unrolled: 1-line block ×6, first 2 shown]
.LBB75_99:
	s_or_b32 exec_lo, exec_lo, s10
	v_dual_mov_b32 v0, s8 :: v_dual_mov_b32 v1, s9
	s_mov_b32 s10, exec_lo
	flat_load_b32 v0, v[0:1] offset:28
	s_waitcnt vmcnt(0) lgkmcnt(0)
	v_add_nc_u32_e32 v0, -1, v0
	s_delay_alu instid0(VALU_DEP_1)
	v_cmpx_ne_u32_e32 7, v0
	s_cbranch_execz .LBB75_101
; %bb.100:
	v_cmp_eq_u32_e32 vcc_lo, 1, v0
	v_cmp_eq_u32_e64 s0, 2, v0
	v_cmp_eq_u32_e64 s1, 3, v0
	;; [unrolled: 1-line block ×4, first 2 shown]
	v_cndmask_b32_e32 v1, v2, v3, vcc_lo
	v_cndmask_b32_e32 v39, v3, v9, vcc_lo
	v_cmp_eq_u32_e32 vcc_lo, 10, v0
	v_cmp_eq_u32_e64 s4, 6, v0
	v_cmp_eq_u32_e64 s5, 7, v0
	;; [unrolled: 1-line block ×4, first 2 shown]
	v_cndmask_b32_e32 v48, v12, v9, vcc_lo
	v_cndmask_b32_e64 v1, v1, v4, s0
	v_cndmask_b32_e64 v40, v4, v9, s0
	v_cmp_eq_u32_e64 s0, 11, v0
	v_cndmask_b32_e64 v41, v5, v9, s1
	v_cndmask_b32_e64 v42, v6, v9, s2
	;; [unrolled: 1-line block ×9, first 2 shown]
	s_delay_alu instid0(VALU_DEP_2) | instskip(NEXT) | instid1(VALU_DEP_1)
	v_cndmask_b32_e64 v1, v1, v7, s3
	v_cndmask_b32_e64 v1, v1, v8, s4
	s_delay_alu instid0(VALU_DEP_1) | instskip(NEXT) | instid1(VALU_DEP_1)
	v_cndmask_b32_e64 v1, v1, v9, s5
	v_cndmask_b32_e64 v1, v1, v10, s6
	s_delay_alu instid0(VALU_DEP_1) | instskip(NEXT) | instid1(VALU_DEP_1)
	v_cndmask_b32_e64 v1, v1, v11, s7
	v_cndmask_b32_e32 v1, v1, v12, vcc_lo
	v_cmp_eq_u32_e32 vcc_lo, 0, v0
	v_cndmask_b32_e32 v38, v2, v9, vcc_lo
	s_delay_alu instid0(VALU_DEP_3) | instskip(NEXT) | instid1(VALU_DEP_1)
	v_cndmask_b32_e64 v1, v1, v13, s0
	v_cndmask_b32_e64 v45, v1, v9, s5
	s_delay_alu instid0(VALU_DEP_3) | instskip(SKIP_2) | instid1(VALU_DEP_4)
	v_dual_mov_b32 v2, v38 :: v_dual_mov_b32 v3, v39
	v_dual_mov_b32 v4, v40 :: v_dual_mov_b32 v5, v41
	;; [unrolled: 1-line block ×6, first 2 shown]
.LBB75_101:
	s_or_b32 exec_lo, exec_lo, s10
	v_dual_mov_b32 v0, s8 :: v_dual_mov_b32 v1, s9
	s_mov_b32 s10, exec_lo
	flat_load_b32 v0, v[0:1] offset:24
	s_waitcnt vmcnt(0) lgkmcnt(0)
	v_add_nc_u32_e32 v0, -1, v0
	s_delay_alu instid0(VALU_DEP_1)
	v_cmpx_ne_u32_e32 6, v0
	s_cbranch_execz .LBB75_103
; %bb.102:
	v_cmp_eq_u32_e32 vcc_lo, 1, v0
	v_cmp_eq_u32_e64 s0, 2, v0
	v_cmp_eq_u32_e64 s1, 3, v0
	;; [unrolled: 1-line block ×4, first 2 shown]
	v_cndmask_b32_e32 v1, v2, v3, vcc_lo
	v_cndmask_b32_e32 v39, v3, v8, vcc_lo
	v_cmp_eq_u32_e32 vcc_lo, 10, v0
	v_cmp_eq_u32_e64 s4, 6, v0
	v_cmp_eq_u32_e64 s5, 7, v0
	;; [unrolled: 1-line block ×4, first 2 shown]
	v_cndmask_b32_e32 v48, v12, v8, vcc_lo
	v_cndmask_b32_e64 v1, v1, v4, s0
	v_cndmask_b32_e64 v40, v4, v8, s0
	v_cmp_eq_u32_e64 s0, 11, v0
	v_cndmask_b32_e64 v41, v5, v8, s1
	v_cndmask_b32_e64 v42, v6, v8, s2
	;; [unrolled: 1-line block ×9, first 2 shown]
	s_delay_alu instid0(VALU_DEP_2) | instskip(NEXT) | instid1(VALU_DEP_1)
	v_cndmask_b32_e64 v1, v1, v7, s3
	v_cndmask_b32_e64 v1, v1, v8, s4
	s_delay_alu instid0(VALU_DEP_1) | instskip(NEXT) | instid1(VALU_DEP_1)
	v_cndmask_b32_e64 v1, v1, v9, s5
	v_cndmask_b32_e64 v1, v1, v10, s6
	s_delay_alu instid0(VALU_DEP_1) | instskip(NEXT) | instid1(VALU_DEP_1)
	v_cndmask_b32_e64 v1, v1, v11, s7
	v_cndmask_b32_e32 v1, v1, v12, vcc_lo
	v_cmp_eq_u32_e32 vcc_lo, 0, v0
	s_delay_alu instid0(VALU_DEP_2) | instskip(SKIP_1) | instid1(VALU_DEP_2)
	v_cndmask_b32_e64 v1, v1, v13, s0
	v_cndmask_b32_e32 v38, v2, v8, vcc_lo
	v_cndmask_b32_e64 v44, v1, v8, s4
	s_delay_alu instid0(VALU_DEP_2) | instskip(SKIP_2) | instid1(VALU_DEP_4)
	v_dual_mov_b32 v2, v38 :: v_dual_mov_b32 v3, v39
	v_dual_mov_b32 v4, v40 :: v_dual_mov_b32 v5, v41
	;; [unrolled: 1-line block ×6, first 2 shown]
.LBB75_103:
	s_or_b32 exec_lo, exec_lo, s10
	v_dual_mov_b32 v0, s8 :: v_dual_mov_b32 v1, s9
	s_mov_b32 s10, exec_lo
	flat_load_b32 v0, v[0:1] offset:20
	s_waitcnt vmcnt(0) lgkmcnt(0)
	v_add_nc_u32_e32 v0, -1, v0
	s_delay_alu instid0(VALU_DEP_1)
	v_cmpx_ne_u32_e32 5, v0
	s_cbranch_execz .LBB75_105
; %bb.104:
	v_cmp_eq_u32_e32 vcc_lo, 1, v0
	v_cmp_eq_u32_e64 s0, 2, v0
	v_cmp_eq_u32_e64 s1, 3, v0
	;; [unrolled: 1-line block ×7, first 2 shown]
	v_cndmask_b32_e64 v40, v4, v7, s0
	v_cndmask_b32_e32 v39, v3, v7, vcc_lo
	v_cndmask_b32_e64 v41, v5, v7, s1
	v_cndmask_b32_e64 v42, v6, v7, s2
	;; [unrolled: 1-line block ×6, first 2 shown]
	v_cndmask_b32_e32 v1, v2, v3, vcc_lo
	v_cmp_eq_u32_e64 s3, 5, v0
	v_cmp_eq_u32_e32 vcc_lo, 10, v0
	s_delay_alu instid0(VALU_DEP_3) | instskip(SKIP_2) | instid1(VALU_DEP_3)
	v_cndmask_b32_e64 v1, v1, v4, s0
	v_cmp_eq_u32_e64 s0, 11, v0
	v_cndmask_b32_e32 v48, v12, v7, vcc_lo
	v_cndmask_b32_e64 v1, v1, v5, s1
	s_delay_alu instid0(VALU_DEP_3) | instskip(NEXT) | instid1(VALU_DEP_2)
	v_cndmask_b32_e64 v49, v13, v7, s0
	v_cndmask_b32_e64 v1, v1, v6, s2
	s_delay_alu instid0(VALU_DEP_1) | instskip(NEXT) | instid1(VALU_DEP_1)
	v_cndmask_b32_e64 v1, v1, v7, s3
	v_cndmask_b32_e64 v1, v1, v8, s4
	s_delay_alu instid0(VALU_DEP_1) | instskip(NEXT) | instid1(VALU_DEP_1)
	;; [unrolled: 3-line block ×3, first 2 shown]
	v_cndmask_b32_e64 v1, v1, v11, s7
	v_cndmask_b32_e32 v1, v1, v12, vcc_lo
	v_cmp_eq_u32_e32 vcc_lo, 0, v0
	s_delay_alu instid0(VALU_DEP_2) | instskip(SKIP_1) | instid1(VALU_DEP_2)
	v_cndmask_b32_e64 v1, v1, v13, s0
	v_cndmask_b32_e32 v38, v2, v7, vcc_lo
	v_cndmask_b32_e64 v43, v1, v7, s3
	s_delay_alu instid0(VALU_DEP_2) | instskip(SKIP_1) | instid1(VALU_DEP_3)
	v_dual_mov_b32 v2, v38 :: v_dual_mov_b32 v3, v39
	v_dual_mov_b32 v4, v40 :: v_dual_mov_b32 v5, v41
	;; [unrolled: 1-line block ×6, first 2 shown]
.LBB75_105:
	s_or_b32 exec_lo, exec_lo, s10
	v_dual_mov_b32 v0, s8 :: v_dual_mov_b32 v1, s9
	s_mov_b32 s10, exec_lo
	flat_load_b32 v0, v[0:1] offset:16
	s_waitcnt vmcnt(0) lgkmcnt(0)
	v_add_nc_u32_e32 v0, -1, v0
	s_delay_alu instid0(VALU_DEP_1)
	v_cmpx_ne_u32_e32 4, v0
	s_cbranch_execz .LBB75_107
; %bb.106:
	v_cmp_eq_u32_e32 vcc_lo, 1, v0
	v_cmp_eq_u32_e64 s0, 2, v0
	v_cmp_eq_u32_e64 s1, 3, v0
	;; [unrolled: 1-line block ×4, first 2 shown]
	v_cndmask_b32_e32 v1, v2, v3, vcc_lo
	v_cndmask_b32_e32 v39, v3, v6, vcc_lo
	v_cmp_eq_u32_e32 vcc_lo, 10, v0
	v_cmp_eq_u32_e64 s4, 6, v0
	v_cmp_eq_u32_e64 s5, 7, v0
	;; [unrolled: 1-line block ×4, first 2 shown]
	v_cndmask_b32_e32 v48, v12, v6, vcc_lo
	v_cndmask_b32_e64 v1, v1, v4, s0
	v_cndmask_b32_e64 v40, v4, v6, s0
	v_cmp_eq_u32_e64 s0, 11, v0
	v_cndmask_b32_e64 v41, v5, v6, s1
	v_cndmask_b32_e64 v43, v7, v6, s3
	;; [unrolled: 1-line block ×9, first 2 shown]
	s_delay_alu instid0(VALU_DEP_2) | instskip(NEXT) | instid1(VALU_DEP_1)
	v_cndmask_b32_e64 v1, v1, v7, s3
	v_cndmask_b32_e64 v1, v1, v8, s4
	s_delay_alu instid0(VALU_DEP_1) | instskip(NEXT) | instid1(VALU_DEP_1)
	v_cndmask_b32_e64 v1, v1, v9, s5
	v_cndmask_b32_e64 v1, v1, v10, s6
	s_delay_alu instid0(VALU_DEP_1) | instskip(NEXT) | instid1(VALU_DEP_1)
	v_cndmask_b32_e64 v1, v1, v11, s7
	v_cndmask_b32_e32 v1, v1, v12, vcc_lo
	v_cmp_eq_u32_e32 vcc_lo, 0, v0
	v_cndmask_b32_e32 v38, v2, v6, vcc_lo
	s_delay_alu instid0(VALU_DEP_3) | instskip(NEXT) | instid1(VALU_DEP_1)
	v_cndmask_b32_e64 v1, v1, v13, s0
	v_cndmask_b32_e64 v42, v1, v6, s2
	s_delay_alu instid0(VALU_DEP_3) | instskip(SKIP_1) | instid1(VALU_DEP_3)
	v_dual_mov_b32 v2, v38 :: v_dual_mov_b32 v3, v39
	v_dual_mov_b32 v4, v40 :: v_dual_mov_b32 v5, v41
	v_dual_mov_b32 v6, v42 :: v_dual_mov_b32 v7, v43
	v_dual_mov_b32 v8, v44 :: v_dual_mov_b32 v9, v45
	v_dual_mov_b32 v10, v46 :: v_dual_mov_b32 v11, v47
	v_dual_mov_b32 v12, v48 :: v_dual_mov_b32 v13, v49
.LBB75_107:
	s_or_b32 exec_lo, exec_lo, s10
	v_dual_mov_b32 v0, s8 :: v_dual_mov_b32 v1, s9
	s_mov_b32 s10, exec_lo
	flat_load_b32 v0, v[0:1] offset:12
	s_waitcnt vmcnt(0) lgkmcnt(0)
	v_add_nc_u32_e32 v0, -1, v0
	s_delay_alu instid0(VALU_DEP_1)
	v_cmpx_ne_u32_e32 3, v0
	s_cbranch_execz .LBB75_109
; %bb.108:
	v_cmp_eq_u32_e32 vcc_lo, 1, v0
	v_cmp_eq_u32_e64 s0, 2, v0
	v_cmp_eq_u32_e64 s1, 3, v0
	;; [unrolled: 1-line block ×4, first 2 shown]
	v_cndmask_b32_e32 v1, v2, v3, vcc_lo
	v_cndmask_b32_e32 v39, v3, v5, vcc_lo
	v_cmp_eq_u32_e32 vcc_lo, 10, v0
	v_cmp_eq_u32_e64 s4, 6, v0
	v_cmp_eq_u32_e64 s5, 7, v0
	;; [unrolled: 1-line block ×4, first 2 shown]
	v_cndmask_b32_e32 v48, v12, v5, vcc_lo
	v_cndmask_b32_e64 v1, v1, v4, s0
	v_cndmask_b32_e64 v40, v4, v5, s0
	v_cmp_eq_u32_e64 s0, 11, v0
	v_cndmask_b32_e64 v42, v6, v5, s2
	v_cndmask_b32_e64 v43, v7, v5, s3
	;; [unrolled: 1-line block ×9, first 2 shown]
	s_delay_alu instid0(VALU_DEP_2) | instskip(NEXT) | instid1(VALU_DEP_1)
	v_cndmask_b32_e64 v1, v1, v7, s3
	v_cndmask_b32_e64 v1, v1, v8, s4
	s_delay_alu instid0(VALU_DEP_1) | instskip(NEXT) | instid1(VALU_DEP_1)
	v_cndmask_b32_e64 v1, v1, v9, s5
	v_cndmask_b32_e64 v1, v1, v10, s6
	s_delay_alu instid0(VALU_DEP_1) | instskip(NEXT) | instid1(VALU_DEP_1)
	v_cndmask_b32_e64 v1, v1, v11, s7
	v_cndmask_b32_e32 v1, v1, v12, vcc_lo
	v_cmp_eq_u32_e32 vcc_lo, 0, v0
	v_cndmask_b32_e32 v38, v2, v5, vcc_lo
	s_delay_alu instid0(VALU_DEP_3) | instskip(NEXT) | instid1(VALU_DEP_1)
	v_cndmask_b32_e64 v1, v1, v13, s0
	v_cndmask_b32_e64 v41, v1, v5, s1
	s_delay_alu instid0(VALU_DEP_3) | instskip(SKIP_2) | instid1(VALU_DEP_4)
	v_dual_mov_b32 v2, v38 :: v_dual_mov_b32 v3, v39
	v_mov_b32_e32 v4, v40
	v_dual_mov_b32 v6, v42 :: v_dual_mov_b32 v7, v43
	v_dual_mov_b32 v5, v41 :: v_dual_mov_b32 v8, v44
	;; [unrolled: 1-line block ×4, first 2 shown]
	v_mov_b32_e32 v13, v49
.LBB75_109:
	s_or_b32 exec_lo, exec_lo, s10
	v_dual_mov_b32 v0, s8 :: v_dual_mov_b32 v1, s9
	s_mov_b32 s10, exec_lo
	flat_load_b32 v0, v[0:1] offset:8
	s_waitcnt vmcnt(0) lgkmcnt(0)
	v_add_nc_u32_e32 v0, -1, v0
	s_delay_alu instid0(VALU_DEP_1)
	v_cmpx_ne_u32_e32 2, v0
	s_cbranch_execz .LBB75_111
; %bb.110:
	v_cmp_eq_u32_e32 vcc_lo, 1, v0
	v_cmp_eq_u32_e64 s0, 2, v0
	v_cmp_eq_u32_e64 s1, 3, v0
	;; [unrolled: 1-line block ×4, first 2 shown]
	v_cndmask_b32_e32 v1, v2, v3, vcc_lo
	v_cndmask_b32_e32 v39, v3, v4, vcc_lo
	v_cmp_eq_u32_e32 vcc_lo, 10, v0
	v_cmp_eq_u32_e64 s4, 6, v0
	v_cmp_eq_u32_e64 s5, 7, v0
	;; [unrolled: 1-line block ×4, first 2 shown]
	v_cndmask_b32_e32 v48, v12, v4, vcc_lo
	v_cndmask_b32_e64 v1, v1, v4, s0
	v_cndmask_b32_e64 v41, v5, v4, s1
	;; [unrolled: 1-line block ×6, first 2 shown]
	v_cmp_eq_u32_e64 s1, 11, v0
	v_cndmask_b32_e64 v45, v9, v4, s5
	v_cndmask_b32_e64 v46, v10, v4, s6
	;; [unrolled: 1-line block ×5, first 2 shown]
	s_delay_alu instid0(VALU_DEP_2) | instskip(NEXT) | instid1(VALU_DEP_1)
	v_cndmask_b32_e64 v1, v1, v7, s3
	v_cndmask_b32_e64 v1, v1, v8, s4
	s_delay_alu instid0(VALU_DEP_1) | instskip(NEXT) | instid1(VALU_DEP_1)
	v_cndmask_b32_e64 v1, v1, v9, s5
	v_cndmask_b32_e64 v1, v1, v10, s6
	s_delay_alu instid0(VALU_DEP_1) | instskip(NEXT) | instid1(VALU_DEP_1)
	v_cndmask_b32_e64 v1, v1, v11, s7
	v_cndmask_b32_e32 v1, v1, v12, vcc_lo
	v_cmp_eq_u32_e32 vcc_lo, 0, v0
	s_delay_alu instid0(VALU_DEP_2) | instskip(SKIP_1) | instid1(VALU_DEP_2)
	v_cndmask_b32_e64 v1, v1, v13, s1
	v_cndmask_b32_e32 v38, v2, v4, vcc_lo
	v_cndmask_b32_e64 v40, v1, v4, s0
	s_delay_alu instid0(VALU_DEP_2) | instskip(SKIP_1) | instid1(VALU_DEP_3)
	v_dual_mov_b32 v2, v38 :: v_dual_mov_b32 v3, v39
	v_dual_mov_b32 v5, v41 :: v_dual_mov_b32 v6, v42
	;; [unrolled: 1-line block ×6, first 2 shown]
.LBB75_111:
	s_or_b32 exec_lo, exec_lo, s10
	v_dual_mov_b32 v0, s8 :: v_dual_mov_b32 v1, s9
	s_mov_b32 s10, exec_lo
	flat_load_b32 v0, v[0:1] offset:4
	s_waitcnt vmcnt(0) lgkmcnt(0)
	v_add_nc_u32_e32 v0, -1, v0
	s_delay_alu instid0(VALU_DEP_1)
	v_cmpx_ne_u32_e32 1, v0
	s_cbranch_execz .LBB75_113
; %bb.112:
	v_cmp_eq_u32_e32 vcc_lo, 1, v0
	v_cmp_eq_u32_e64 s0, 2, v0
	v_cmp_eq_u32_e64 s1, 3, v0
	v_cmp_eq_u32_e64 s2, 4, v0
	v_cmp_eq_u32_e64 s3, 5, v0
	v_cmp_eq_u32_e64 s4, 6, v0
	v_cmp_eq_u32_e64 s5, 7, v0
	v_cmp_eq_u32_e64 s6, 8, v0
	v_cmp_eq_u32_e64 s7, 9, v0
	v_cndmask_b32_e64 v40, v4, v3, s0
	v_cndmask_b32_e64 v41, v5, v3, s1
	;; [unrolled: 1-line block ×8, first 2 shown]
	v_cndmask_b32_e32 v1, v2, v3, vcc_lo
	s_delay_alu instid0(VALU_DEP_1) | instskip(SKIP_1) | instid1(VALU_DEP_2)
	v_cndmask_b32_e64 v1, v1, v4, s0
	v_cmp_eq_u32_e64 s0, 10, v0
	v_cndmask_b32_e64 v1, v1, v5, s1
	v_cmp_eq_u32_e64 s1, 11, v0
	s_delay_alu instid0(VALU_DEP_3) | instskip(NEXT) | instid1(VALU_DEP_3)
	v_cndmask_b32_e64 v48, v12, v3, s0
	v_cndmask_b32_e64 v1, v1, v6, s2
	s_delay_alu instid0(VALU_DEP_3) | instskip(NEXT) | instid1(VALU_DEP_2)
	v_cndmask_b32_e64 v49, v13, v3, s1
	v_cndmask_b32_e64 v1, v1, v7, s3
	s_delay_alu instid0(VALU_DEP_1) | instskip(NEXT) | instid1(VALU_DEP_1)
	v_cndmask_b32_e64 v1, v1, v8, s4
	v_cndmask_b32_e64 v1, v1, v9, s5
	s_delay_alu instid0(VALU_DEP_1) | instskip(NEXT) | instid1(VALU_DEP_1)
	;; [unrolled: 3-line block ×3, first 2 shown]
	v_cndmask_b32_e64 v1, v1, v12, s0
	v_cndmask_b32_e64 v1, v1, v13, s1
	s_delay_alu instid0(VALU_DEP_1) | instskip(SKIP_2) | instid1(VALU_DEP_1)
	v_cndmask_b32_e32 v39, v1, v3, vcc_lo
	v_cmp_eq_u32_e32 vcc_lo, 0, v0
	v_cndmask_b32_e32 v38, v2, v3, vcc_lo
	v_dual_mov_b32 v2, v38 :: v_dual_mov_b32 v3, v39
	v_dual_mov_b32 v4, v40 :: v_dual_mov_b32 v5, v41
	;; [unrolled: 1-line block ×6, first 2 shown]
.LBB75_113:
	s_or_b32 exec_lo, exec_lo, s10
	v_dual_mov_b32 v0, s8 :: v_dual_mov_b32 v1, s9
	s_mov_b32 s7, exec_lo
	flat_load_b32 v0, v[0:1]
	s_waitcnt vmcnt(0) lgkmcnt(0)
	v_add_nc_u32_e32 v0, -1, v0
	s_delay_alu instid0(VALU_DEP_1)
	v_cmpx_ne_u32_e32 0, v0
	s_cbranch_execz .LBB75_115
; %bb.114:
	v_cmp_eq_u32_e32 vcc_lo, 1, v0
	v_cmp_eq_u32_e64 s0, 2, v0
	v_cmp_eq_u32_e64 s1, 3, v0
	;; [unrolled: 1-line block ×7, first 2 shown]
	v_cndmask_b32_e64 v40, v4, v2, s0
	v_cndmask_b32_e64 v41, v5, v2, s1
	;; [unrolled: 1-line block ×7, first 2 shown]
	v_cndmask_b32_e32 v39, v3, v2, vcc_lo
	v_cndmask_b32_e32 v1, v2, v3, vcc_lo
	s_delay_alu instid0(VALU_DEP_1) | instskip(SKIP_1) | instid1(VALU_DEP_2)
	v_cndmask_b32_e64 v1, v1, v4, s0
	v_cmp_eq_u32_e64 s0, 9, v0
	v_cndmask_b32_e64 v1, v1, v5, s1
	v_cmp_eq_u32_e64 s1, 10, v0
	s_delay_alu instid0(VALU_DEP_3) | instskip(NEXT) | instid1(VALU_DEP_3)
	v_cndmask_b32_e64 v47, v11, v2, s0
	v_cndmask_b32_e64 v1, v1, v6, s2
	v_cmp_eq_u32_e64 s2, 11, v0
	s_delay_alu instid0(VALU_DEP_4) | instskip(NEXT) | instid1(VALU_DEP_3)
	v_cndmask_b32_e64 v48, v12, v2, s1
	v_cndmask_b32_e64 v1, v1, v7, s3
	s_delay_alu instid0(VALU_DEP_3) | instskip(NEXT) | instid1(VALU_DEP_2)
	v_cndmask_b32_e64 v49, v13, v2, s2
	v_cndmask_b32_e64 v1, v1, v8, s4
	s_delay_alu instid0(VALU_DEP_1) | instskip(NEXT) | instid1(VALU_DEP_1)
	v_cndmask_b32_e64 v1, v1, v9, s5
	v_cndmask_b32_e64 v1, v1, v10, s6
	s_delay_alu instid0(VALU_DEP_1) | instskip(SKIP_1) | instid1(VALU_DEP_2)
	v_cndmask_b32_e64 v1, v1, v11, s0
	v_cmp_eq_u32_e64 s0, 0, v0
	v_cndmask_b32_e64 v1, v1, v12, s1
	s_delay_alu instid0(VALU_DEP_1) | instskip(NEXT) | instid1(VALU_DEP_1)
	v_cndmask_b32_e64 v1, v1, v13, s2
	v_cndmask_b32_e64 v38, v1, v2, s0
	s_delay_alu instid0(VALU_DEP_1)
	v_dual_mov_b32 v2, v38 :: v_dual_mov_b32 v3, v39
	v_dual_mov_b32 v4, v40 :: v_dual_mov_b32 v5, v41
	;; [unrolled: 1-line block ×6, first 2 shown]
.LBB75_115:
	s_or_b32 exec_lo, exec_lo, s7
.LBB75_116:
	s_clause 0xb
	global_store_b32 v[14:15], v2, off
	global_store_b32 v[16:17], v3, off
	;; [unrolled: 1-line block ×12, first 2 shown]
	s_nop 0
	s_sendmsg sendmsg(MSG_DEALLOC_VGPRS)
	s_endpgm
	.section	.rodata,"a",@progbits
	.p2align	6, 0x0
	.amdhsa_kernel _ZN9rocsolver6v33100L18getri_kernel_smallILi12EfPKPfEEvT1_iilPiilS6_bb
		.amdhsa_group_segment_fixed_size 100
		.amdhsa_private_segment_fixed_size 0
		.amdhsa_kernarg_size 60
		.amdhsa_user_sgpr_count 15
		.amdhsa_user_sgpr_dispatch_ptr 0
		.amdhsa_user_sgpr_queue_ptr 0
		.amdhsa_user_sgpr_kernarg_segment_ptr 1
		.amdhsa_user_sgpr_dispatch_id 0
		.amdhsa_user_sgpr_private_segment_size 0
		.amdhsa_wavefront_size32 1
		.amdhsa_uses_dynamic_stack 0
		.amdhsa_enable_private_segment 0
		.amdhsa_system_sgpr_workgroup_id_x 1
		.amdhsa_system_sgpr_workgroup_id_y 0
		.amdhsa_system_sgpr_workgroup_id_z 0
		.amdhsa_system_sgpr_workgroup_info 0
		.amdhsa_system_vgpr_workitem_id 0
		.amdhsa_next_free_vgpr 51
		.amdhsa_next_free_sgpr 17
		.amdhsa_reserve_vcc 1
		.amdhsa_float_round_mode_32 0
		.amdhsa_float_round_mode_16_64 0
		.amdhsa_float_denorm_mode_32 3
		.amdhsa_float_denorm_mode_16_64 3
		.amdhsa_dx10_clamp 1
		.amdhsa_ieee_mode 1
		.amdhsa_fp16_overflow 0
		.amdhsa_workgroup_processor_mode 1
		.amdhsa_memory_ordered 1
		.amdhsa_forward_progress 0
		.amdhsa_shared_vgpr_count 0
		.amdhsa_exception_fp_ieee_invalid_op 0
		.amdhsa_exception_fp_denorm_src 0
		.amdhsa_exception_fp_ieee_div_zero 0
		.amdhsa_exception_fp_ieee_overflow 0
		.amdhsa_exception_fp_ieee_underflow 0
		.amdhsa_exception_fp_ieee_inexact 0
		.amdhsa_exception_int_div_zero 0
	.end_amdhsa_kernel
	.section	.text._ZN9rocsolver6v33100L18getri_kernel_smallILi12EfPKPfEEvT1_iilPiilS6_bb,"axG",@progbits,_ZN9rocsolver6v33100L18getri_kernel_smallILi12EfPKPfEEvT1_iilPiilS6_bb,comdat
.Lfunc_end75:
	.size	_ZN9rocsolver6v33100L18getri_kernel_smallILi12EfPKPfEEvT1_iilPiilS6_bb, .Lfunc_end75-_ZN9rocsolver6v33100L18getri_kernel_smallILi12EfPKPfEEvT1_iilPiilS6_bb
                                        ; -- End function
	.section	.AMDGPU.csdata,"",@progbits
; Kernel info:
; codeLenInByte = 12692
; NumSgprs: 19
; NumVgprs: 51
; ScratchSize: 0
; MemoryBound: 0
; FloatMode: 240
; IeeeMode: 1
; LDSByteSize: 100 bytes/workgroup (compile time only)
; SGPRBlocks: 2
; VGPRBlocks: 6
; NumSGPRsForWavesPerEU: 19
; NumVGPRsForWavesPerEU: 51
; Occupancy: 16
; WaveLimiterHint : 1
; COMPUTE_PGM_RSRC2:SCRATCH_EN: 0
; COMPUTE_PGM_RSRC2:USER_SGPR: 15
; COMPUTE_PGM_RSRC2:TRAP_HANDLER: 0
; COMPUTE_PGM_RSRC2:TGID_X_EN: 1
; COMPUTE_PGM_RSRC2:TGID_Y_EN: 0
; COMPUTE_PGM_RSRC2:TGID_Z_EN: 0
; COMPUTE_PGM_RSRC2:TIDIG_COMP_CNT: 0
	.section	.text._ZN9rocsolver6v33100L18getri_kernel_smallILi13EfPKPfEEvT1_iilPiilS6_bb,"axG",@progbits,_ZN9rocsolver6v33100L18getri_kernel_smallILi13EfPKPfEEvT1_iilPiilS6_bb,comdat
	.globl	_ZN9rocsolver6v33100L18getri_kernel_smallILi13EfPKPfEEvT1_iilPiilS6_bb ; -- Begin function _ZN9rocsolver6v33100L18getri_kernel_smallILi13EfPKPfEEvT1_iilPiilS6_bb
	.p2align	8
	.type	_ZN9rocsolver6v33100L18getri_kernel_smallILi13EfPKPfEEvT1_iilPiilS6_bb,@function
_ZN9rocsolver6v33100L18getri_kernel_smallILi13EfPKPfEEvT1_iilPiilS6_bb: ; @_ZN9rocsolver6v33100L18getri_kernel_smallILi13EfPKPfEEvT1_iilPiilS6_bb
; %bb.0:
	s_mov_b32 s2, exec_lo
	v_cmpx_gt_u32_e32 13, v0
	s_cbranch_execz .LBB76_16
; %bb.1:
	s_clause 0x1
	s_load_b32 s13, s[0:1], 0x38
	s_load_b64 s[2:3], s[0:1], 0x0
	s_mov_b32 s10, s15
	s_load_b128 s[4:7], s[0:1], 0x28
	s_waitcnt lgkmcnt(0)
	s_bitcmp1_b32 s13, 8
	s_cselect_b32 s12, -1, 0
	s_ashr_i32 s11, s15, 31
	s_delay_alu instid0(SALU_CYCLE_1) | instskip(NEXT) | instid1(SALU_CYCLE_1)
	s_lshl_b64 s[8:9], s[10:11], 3
	s_add_u32 s2, s2, s8
	s_addc_u32 s3, s3, s9
	s_bfe_u32 s8, s13, 0x10008
	s_load_b64 s[2:3], s[2:3], 0x0
	s_cmp_eq_u32 s8, 0
                                        ; implicit-def: $sgpr8_sgpr9
	s_cbranch_scc1 .LBB76_3
; %bb.2:
	s_clause 0x1
	s_load_b32 s8, s[0:1], 0x20
	s_load_b64 s[14:15], s[0:1], 0x18
	s_mul_i32 s5, s10, s5
	s_mul_hi_u32 s9, s10, s4
	s_mul_i32 s16, s11, s4
	s_add_i32 s5, s9, s5
	s_mul_i32 s4, s10, s4
	s_add_i32 s5, s5, s16
	s_delay_alu instid0(SALU_CYCLE_1)
	s_lshl_b64 s[4:5], s[4:5], 2
	s_waitcnt lgkmcnt(0)
	s_ashr_i32 s9, s8, 31
	s_add_u32 s14, s14, s4
	s_addc_u32 s15, s15, s5
	s_lshl_b64 s[4:5], s[8:9], 2
	s_delay_alu instid0(SALU_CYCLE_1)
	s_add_u32 s8, s14, s4
	s_addc_u32 s9, s15, s5
.LBB76_3:
	s_load_b64 s[0:1], s[0:1], 0x8
	v_lshlrev_b32_e32 v15, 2, v0
	s_waitcnt lgkmcnt(0)
	v_add3_u32 v1, s1, s1, v0
	s_ashr_i32 s5, s0, 31
	s_mov_b32 s4, s0
	s_mov_b32 s14, s1
	s_lshl_b64 s[4:5], s[4:5], 2
	v_add_nc_u32_e32 v3, s1, v1
	v_ashrrev_i32_e32 v2, 31, v1
	s_add_u32 s2, s2, s4
	s_addc_u32 s3, s3, s5
	v_add_co_u32 v31, s0, s2, v15
	v_add_nc_u32_e32 v5, s1, v3
	s_ashr_i32 s15, s1, 31
	v_add_co_ci_u32_e64 v32, null, s3, 0, s0
	v_lshlrev_b64 v[1:2], 2, v[1:2]
	v_ashrrev_i32_e32 v4, 31, v3
	s_lshl_b64 s[4:5], s[14:15], 2
	v_ashrrev_i32_e32 v6, 31, v5
	v_add_co_u32 v33, vcc_lo, v31, s4
	v_add_nc_u32_e32 v7, s1, v5
	v_add_co_ci_u32_e32 v34, vcc_lo, s5, v32, vcc_lo
	v_lshlrev_b64 v[3:4], 2, v[3:4]
	v_add_co_u32 v35, vcc_lo, s2, v1
	v_add_co_ci_u32_e32 v36, vcc_lo, s3, v2, vcc_lo
	v_lshlrev_b64 v[1:2], 2, v[5:6]
	v_ashrrev_i32_e32 v8, 31, v7
	v_add_nc_u32_e32 v5, s1, v7
	v_add_co_u32 v37, vcc_lo, s2, v3
	v_add_co_ci_u32_e32 v38, vcc_lo, s3, v4, vcc_lo
	s_delay_alu instid0(VALU_DEP_4) | instskip(NEXT) | instid1(VALU_DEP_4)
	v_lshlrev_b64 v[3:4], 2, v[7:8]
	v_ashrrev_i32_e32 v6, 31, v5
	v_add_nc_u32_e32 v7, s1, v5
	v_add_co_u32 v39, vcc_lo, s2, v1
	v_add_co_ci_u32_e32 v40, vcc_lo, s3, v2, vcc_lo
	s_delay_alu instid0(VALU_DEP_4) | instskip(NEXT) | instid1(VALU_DEP_4)
	v_lshlrev_b64 v[1:2], 2, v[5:6]
	v_add_nc_u32_e32 v5, s1, v7
	v_ashrrev_i32_e32 v8, 31, v7
	v_add_co_u32 v41, vcc_lo, s2, v3
	v_add_co_ci_u32_e32 v42, vcc_lo, s3, v4, vcc_lo
	s_delay_alu instid0(VALU_DEP_4) | instskip(NEXT) | instid1(VALU_DEP_4)
	v_ashrrev_i32_e32 v6, 31, v5
	v_lshlrev_b64 v[3:4], 2, v[7:8]
	v_add_nc_u32_e32 v7, s1, v5
	v_add_co_u32 v43, vcc_lo, s2, v1
	v_add_co_ci_u32_e32 v44, vcc_lo, s3, v2, vcc_lo
	v_lshlrev_b64 v[1:2], 2, v[5:6]
	s_delay_alu instid0(VALU_DEP_4)
	v_add_nc_u32_e32 v11, s1, v7
	v_add_co_u32 v45, vcc_lo, s2, v3
	v_ashrrev_i32_e32 v8, 31, v7
	v_add_co_ci_u32_e32 v46, vcc_lo, s3, v4, vcc_lo
	v_add_co_u32 v47, vcc_lo, s2, v1
	v_add_nc_u32_e32 v13, s1, v11
	v_add_co_ci_u32_e32 v48, vcc_lo, s3, v2, vcc_lo
	v_lshlrev_b64 v[1:2], 2, v[7:8]
	v_ashrrev_i32_e32 v12, 31, v11
	s_delay_alu instid0(VALU_DEP_4)
	v_ashrrev_i32_e32 v14, 31, v13
	v_add_nc_u32_e32 v16, s1, v13
	s_clause 0x7
	global_load_b32 v3, v[33:34], off
	global_load_b32 v4, v[35:36], off
	;; [unrolled: 1-line block ×8, first 2 shown]
	s_bitcmp0_b32 s13, 0
	v_lshlrev_b64 v[11:12], 2, v[11:12]
	v_add_co_u32 v49, vcc_lo, s2, v1
	v_add_co_ci_u32_e32 v50, vcc_lo, s3, v2, vcc_lo
	v_lshlrev_b64 v[1:2], 2, v[13:14]
	s_delay_alu instid0(VALU_DEP_4) | instskip(SKIP_2) | instid1(VALU_DEP_3)
	v_add_co_u32 v51, vcc_lo, s2, v11
	v_add_co_ci_u32_e32 v52, vcc_lo, s3, v12, vcc_lo
	s_mov_b32 s0, -1
	v_add_co_u32 v53, vcc_lo, s2, v1
	v_mov_b32_e32 v1, 0
	v_ashrrev_i32_e32 v17, 31, v16
	v_add_co_ci_u32_e32 v54, vcc_lo, s3, v2, vcc_lo
	s_delay_alu instid0(VALU_DEP_2) | instskip(NEXT) | instid1(VALU_DEP_1)
	v_lshlrev_b64 v[11:12], 2, v[16:17]
	v_add_co_u32 v55, vcc_lo, s2, v11
	s_delay_alu instid0(VALU_DEP_2)
	v_add_co_ci_u32_e32 v56, vcc_lo, s3, v12, vcc_lo
	s_clause 0x4
	global_load_b32 v11, v[49:50], off
	global_load_b32 v12, v[51:52], off
	;; [unrolled: 1-line block ×3, first 2 shown]
	global_load_b32 v2, v15, s[2:3]
	global_load_b32 v14, v[55:56], off
	s_cbranch_scc1 .LBB76_14
; %bb.4:
	v_cmp_eq_u32_e64 s0, 0, v0
	s_delay_alu instid0(VALU_DEP_1)
	s_and_saveexec_b32 s1, s0
	s_cbranch_execz .LBB76_6
; %bb.5:
	v_mov_b32_e32 v16, 0
	ds_store_b32 v16, v16 offset:52
.LBB76_6:
	s_or_b32 exec_lo, exec_lo, s1
	v_cmp_eq_u32_e32 vcc_lo, 1, v0
	s_mov_b32 s2, exec_lo
	s_waitcnt vmcnt(0) lgkmcnt(0)
	s_barrier
	buffer_gl0_inv
	v_cndmask_b32_e32 v16, v2, v3, vcc_lo
	v_cmp_eq_u32_e32 vcc_lo, 2, v0
	s_delay_alu instid0(VALU_DEP_2) | instskip(SKIP_1) | instid1(VALU_DEP_2)
	v_cndmask_b32_e32 v16, v16, v4, vcc_lo
	v_cmp_eq_u32_e32 vcc_lo, 3, v0
	v_cndmask_b32_e32 v16, v16, v5, vcc_lo
	v_cmp_eq_u32_e32 vcc_lo, 4, v0
	s_delay_alu instid0(VALU_DEP_2) | instskip(SKIP_1) | instid1(VALU_DEP_2)
	v_cndmask_b32_e32 v16, v16, v6, vcc_lo
	v_cmp_eq_u32_e32 vcc_lo, 5, v0
	v_cndmask_b32_e32 v16, v16, v7, vcc_lo
	v_cmp_eq_u32_e32 vcc_lo, 6, v0
	s_delay_alu instid0(VALU_DEP_2) | instskip(SKIP_1) | instid1(VALU_DEP_2)
	v_cndmask_b32_e32 v16, v16, v8, vcc_lo
	v_cmp_eq_u32_e32 vcc_lo, 7, v0
	v_cndmask_b32_e32 v16, v16, v9, vcc_lo
	v_cmp_eq_u32_e32 vcc_lo, 8, v0
	s_delay_alu instid0(VALU_DEP_2) | instskip(SKIP_1) | instid1(VALU_DEP_2)
	v_cndmask_b32_e32 v16, v16, v10, vcc_lo
	v_cmp_eq_u32_e32 vcc_lo, 9, v0
	v_cndmask_b32_e32 v16, v16, v11, vcc_lo
	v_cmp_eq_u32_e32 vcc_lo, 10, v0
	s_delay_alu instid0(VALU_DEP_2) | instskip(SKIP_1) | instid1(VALU_DEP_2)
	v_cndmask_b32_e32 v16, v16, v12, vcc_lo
	v_cmp_eq_u32_e32 vcc_lo, 11, v0
	v_cndmask_b32_e32 v16, v16, v13, vcc_lo
	v_cmp_eq_u32_e32 vcc_lo, 12, v0
	s_delay_alu instid0(VALU_DEP_2) | instskip(NEXT) | instid1(VALU_DEP_1)
	v_cndmask_b32_e32 v16, v16, v14, vcc_lo
	v_cmpx_eq_f32_e32 0, v16
	s_cbranch_execz .LBB76_10
; %bb.7:
	v_mov_b32_e32 v17, 0
	ds_load_b32 v18, v17 offset:52
	s_waitcnt lgkmcnt(0)
	v_readfirstlane_b32 s1, v18
	v_add_nc_u32_e32 v18, 1, v0
	s_delay_alu instid0(VALU_DEP_2) | instskip(NEXT) | instid1(VALU_DEP_1)
	s_cmp_eq_u32 s1, 0
	v_cmp_gt_i32_e32 vcc_lo, s1, v18
	s_cselect_b32 s3, -1, 0
	s_delay_alu instid0(SALU_CYCLE_1) | instskip(NEXT) | instid1(SALU_CYCLE_1)
	s_or_b32 s3, s3, vcc_lo
	s_and_b32 exec_lo, exec_lo, s3
	s_cbranch_execz .LBB76_10
; %bb.8:
	v_mov_b32_e32 v19, s1
	s_mov_b32 s3, 0
.LBB76_9:                               ; =>This Inner Loop Header: Depth=1
	ds_cmpstore_rtn_b32 v19, v17, v18, v19 offset:52
	s_waitcnt lgkmcnt(0)
	v_cmp_ne_u32_e32 vcc_lo, 0, v19
	v_cmp_le_i32_e64 s1, v19, v18
	s_delay_alu instid0(VALU_DEP_1) | instskip(NEXT) | instid1(SALU_CYCLE_1)
	s_and_b32 s1, vcc_lo, s1
	s_and_b32 s1, exec_lo, s1
	s_delay_alu instid0(SALU_CYCLE_1) | instskip(NEXT) | instid1(SALU_CYCLE_1)
	s_or_b32 s3, s1, s3
	s_and_not1_b32 exec_lo, exec_lo, s3
	s_cbranch_execnz .LBB76_9
.LBB76_10:
	s_or_b32 exec_lo, exec_lo, s2
	v_mov_b32_e32 v17, 0
	s_barrier
	buffer_gl0_inv
	ds_load_b32 v18, v17 offset:52
	s_and_saveexec_b32 s1, s0
	s_cbranch_execz .LBB76_12
; %bb.11:
	s_lshl_b64 s[2:3], s[10:11], 2
	s_delay_alu instid0(SALU_CYCLE_1)
	s_add_u32 s2, s6, s2
	s_addc_u32 s3, s7, s3
	s_waitcnt lgkmcnt(0)
	global_store_b32 v17, v18, s[2:3]
.LBB76_12:
	s_or_b32 exec_lo, exec_lo, s1
	s_waitcnt lgkmcnt(0)
	v_cmp_ne_u32_e32 vcc_lo, 0, v18
	s_cbranch_vccz .LBB76_17
; %bb.13:
	s_mov_b32 s0, 0
                                        ; implicit-def: $vgpr2_vgpr3_vgpr4_vgpr5_vgpr6_vgpr7_vgpr8_vgpr9_vgpr10_vgpr11_vgpr12_vgpr13_vgpr14_vgpr15_vgpr16_vgpr17
.LBB76_14:
	s_delay_alu instid0(SALU_CYCLE_1)
	s_and_b32 vcc_lo, exec_lo, s0
	s_cbranch_vccz .LBB76_16
.LBB76_15:
	s_lshl_b64 s[0:1], s[10:11], 2
	v_mov_b32_e32 v1, 0
	s_add_u32 s0, s6, s0
	s_addc_u32 s1, s7, s1
	global_load_b32 v1, v1, s[0:1]
	s_waitcnt vmcnt(0)
	v_cmp_ne_u32_e32 vcc_lo, 0, v1
	s_cbranch_vccz .LBB76_74
.LBB76_16:
	s_nop 0
	s_sendmsg sendmsg(MSG_DEALLOC_VGPRS)
	s_endpgm
.LBB76_17:
	v_div_scale_f32 v17, null, v16, v16, 1.0
	v_div_scale_f32 v20, vcc_lo, 1.0, v16, 1.0
	s_delay_alu instid0(VALU_DEP_2) | instskip(SKIP_2) | instid1(VALU_DEP_1)
	v_rcp_f32_e32 v18, v17
	s_waitcnt_depctr 0xfff
	v_fma_f32 v19, -v17, v18, 1.0
	v_fmac_f32_e32 v18, v19, v18
	s_delay_alu instid0(VALU_DEP_1) | instskip(NEXT) | instid1(VALU_DEP_1)
	v_mul_f32_e32 v19, v20, v18
	v_fma_f32 v21, -v17, v19, v20
	s_delay_alu instid0(VALU_DEP_1) | instskip(NEXT) | instid1(VALU_DEP_1)
	v_fmac_f32_e32 v19, v21, v18
	v_fma_f32 v17, -v17, v19, v20
	s_delay_alu instid0(VALU_DEP_1) | instskip(SKIP_1) | instid1(VALU_DEP_2)
	v_div_fmas_f32 v17, v17, v18, v19
	v_cmp_eq_u32_e32 vcc_lo, 12, v0
	v_div_fixup_f32 v16, v17, v16, 1.0
	s_delay_alu instid0(VALU_DEP_1)
	v_dual_cndmask_b32 v14, v14, v16 :: v_dual_add_nc_u32 v17, 64, v15
	v_cmp_eq_u32_e32 vcc_lo, 11, v0
	v_xor_b32_e32 v18, 0x80000000, v16
	v_cndmask_b32_e32 v13, v13, v16, vcc_lo
	v_cmp_eq_u32_e32 vcc_lo, 10, v0
	v_cndmask_b32_e32 v12, v12, v16, vcc_lo
	v_cmp_eq_u32_e32 vcc_lo, 9, v0
	;; [unrolled: 2-line block ×10, first 2 shown]
	ds_store_2addr_b32 v15, v18, v3 offset1:16
	v_cndmask_b32_e32 v4, v4, v16, vcc_lo
	v_cmp_eq_u32_e32 vcc_lo, 0, v0
	s_waitcnt lgkmcnt(0)
	s_waitcnt_vscnt null, 0x0
	s_barrier
	buffer_gl0_inv
	v_cndmask_b32_e32 v2, v2, v16, vcc_lo
	s_and_saveexec_b32 s1, s0
	s_cbranch_execz .LBB76_19
; %bb.18:
	v_mov_b32_e32 v3, 0
	ds_load_b32 v15, v17
	ds_load_b32 v3, v3 offset:4
	s_waitcnt lgkmcnt(1)
	v_fma_f32 v15, v16, v15, 0
	s_waitcnt lgkmcnt(0)
	s_delay_alu instid0(VALU_DEP_1)
	v_mul_f32_e32 v3, v15, v3
.LBB76_19:
	s_or_b32 exec_lo, exec_lo, s1
	v_cmp_gt_u32_e32 vcc_lo, 2, v0
	s_barrier
	buffer_gl0_inv
	ds_store_b32 v17, v4
	s_waitcnt lgkmcnt(0)
	s_barrier
	buffer_gl0_inv
	s_and_saveexec_b32 s2, vcc_lo
	s_cbranch_execz .LBB76_21
; %bb.20:
	v_cmp_eq_u32_e64 s1, 1, v0
	ds_load_b32 v18, v17
	v_cndmask_b32_e64 v15, v2, v3, s1
	v_cmp_eq_u32_e64 s1, 2, v0
	s_delay_alu instid0(VALU_DEP_1) | instskip(SKIP_2) | instid1(VALU_DEP_2)
	v_cndmask_b32_e64 v4, v15, v4, s1
	v_cmp_eq_u32_e64 s1, 3, v0
	v_mov_b32_e32 v15, 0
	v_cndmask_b32_e64 v4, v4, v5, s1
	v_cmp_eq_u32_e64 s1, 4, v0
	ds_load_2addr_b32 v[15:16], v15 offset0:2 offset1:17
	v_cndmask_b32_e64 v4, v4, v6, s1
	v_cmp_eq_u32_e64 s1, 5, v0
	s_delay_alu instid0(VALU_DEP_1) | instskip(SKIP_1) | instid1(VALU_DEP_1)
	v_cndmask_b32_e64 v4, v4, v7, s1
	v_cmp_eq_u32_e64 s1, 6, v0
	v_cndmask_b32_e64 v4, v4, v8, s1
	v_cmp_eq_u32_e64 s1, 7, v0
	s_delay_alu instid0(VALU_DEP_1) | instskip(SKIP_1) | instid1(VALU_DEP_1)
	v_cndmask_b32_e64 v4, v4, v9, s1
	v_cmp_eq_u32_e64 s1, 8, v0
	;; [unrolled: 5-line block ×4, first 2 shown]
	v_cndmask_b32_e64 v4, v4, v14, s1
	s_waitcnt lgkmcnt(1)
	s_delay_alu instid0(VALU_DEP_1) | instskip(SKIP_1) | instid1(VALU_DEP_1)
	v_fma_f32 v4, v4, v18, 0
	s_waitcnt lgkmcnt(0)
	v_fma_f32 v16, v3, v16, v4
	s_delay_alu instid0(VALU_DEP_1) | instskip(NEXT) | instid1(VALU_DEP_1)
	v_cndmask_b32_e64 v4, v4, v16, s0
	v_mul_f32_e32 v4, v4, v15
.LBB76_21:
	s_or_b32 exec_lo, exec_lo, s2
	s_delay_alu instid0(SALU_CYCLE_1)
	s_mov_b32 s3, exec_lo
	s_barrier
	buffer_gl0_inv
	ds_store_b32 v17, v5
	s_waitcnt lgkmcnt(0)
	s_barrier
	buffer_gl0_inv
	v_cmpx_gt_u32_e32 3, v0
	s_cbranch_execz .LBB76_25
; %bb.22:
	v_mov_b32_e32 v16, v1
	v_lshl_add_u32 v19, v0, 2, 64
	v_dual_mov_b32 v18, 0 :: v_dual_mov_b32 v15, v0
	s_mov_b32 s4, 0
.LBB76_23:                              ; =>This Inner Loop Header: Depth=1
	s_delay_alu instid0(VALU_DEP_1) | instskip(SKIP_3) | instid1(VALU_DEP_1)
	v_cmp_eq_u32_e64 s1, 1, v15
	ds_load_b32 v21, v19
	v_cndmask_b32_e64 v20, v2, v3, s1
	v_cmp_eq_u32_e64 s1, 2, v15
	v_cndmask_b32_e64 v20, v20, v4, s1
	v_cmp_eq_u32_e64 s1, 3, v15
	s_delay_alu instid0(VALU_DEP_1) | instskip(SKIP_1) | instid1(VALU_DEP_1)
	v_cndmask_b32_e64 v20, v20, v5, s1
	v_cmp_eq_u32_e64 s1, 4, v15
	v_cndmask_b32_e64 v20, v20, v6, s1
	v_cmp_eq_u32_e64 s1, 5, v15
	s_delay_alu instid0(VALU_DEP_1) | instskip(SKIP_1) | instid1(VALU_DEP_1)
	;; [unrolled: 5-line block ×4, first 2 shown]
	v_cndmask_b32_e64 v20, v20, v11, s1
	v_cmp_eq_u32_e64 s1, 10, v15
	v_cndmask_b32_e64 v20, v20, v12, s1
	v_cmp_eq_u32_e64 s1, 11, v15
	s_delay_alu instid0(VALU_DEP_1) | instskip(SKIP_2) | instid1(VALU_DEP_1)
	v_cndmask_b32_e64 v20, v20, v13, s1
	v_cmp_eq_u32_e64 s1, 12, v15
	v_add_co_u32 v15, s2, v15, 1
	v_add_co_ci_u32_e64 v16, s2, 0, v16, s2
	s_delay_alu instid0(VALU_DEP_3) | instskip(NEXT) | instid1(VALU_DEP_3)
	v_cndmask_b32_e64 v20, v20, v14, s1
	v_add_nc_u32_e32 v22, -1, v15
	s_waitcnt lgkmcnt(0)
	s_delay_alu instid0(VALU_DEP_2) | instskip(NEXT) | instid1(VALU_DEP_2)
	v_dual_fmac_f32 v18, v20, v21 :: v_dual_add_nc_u32 v19, 4, v19
	v_cmp_lt_u32_e64 s1, 1, v22
	s_delay_alu instid0(VALU_DEP_1) | instskip(NEXT) | instid1(SALU_CYCLE_1)
	s_or_b32 s4, s1, s4
	s_and_not1_b32 exec_lo, exec_lo, s4
	s_cbranch_execnz .LBB76_23
; %bb.24:
	s_or_b32 exec_lo, exec_lo, s4
	v_mov_b32_e32 v5, 0
	ds_load_b32 v5, v5 offset:12
	s_waitcnt lgkmcnt(0)
	v_mul_f32_e32 v5, v18, v5
.LBB76_25:
	s_or_b32 exec_lo, exec_lo, s3
	v_cmp_gt_u32_e64 s1, 4, v0
	s_barrier
	buffer_gl0_inv
	ds_store_b32 v17, v6
	s_waitcnt lgkmcnt(0)
	s_barrier
	buffer_gl0_inv
	s_and_saveexec_b32 s4, s1
	s_cbranch_execz .LBB76_29
; %bb.26:
	v_mov_b32_e32 v16, v1
	v_lshl_add_u32 v19, v0, 2, 64
	v_dual_mov_b32 v18, 0 :: v_dual_mov_b32 v15, v0
	s_mov_b32 s5, 0
.LBB76_27:                              ; =>This Inner Loop Header: Depth=1
	s_delay_alu instid0(VALU_DEP_1) | instskip(SKIP_3) | instid1(VALU_DEP_1)
	v_cmp_eq_u32_e64 s2, 1, v15
	ds_load_b32 v21, v19
	v_cndmask_b32_e64 v20, v2, v3, s2
	v_cmp_eq_u32_e64 s2, 2, v15
	v_cndmask_b32_e64 v20, v20, v4, s2
	v_cmp_eq_u32_e64 s2, 3, v15
	s_delay_alu instid0(VALU_DEP_1) | instskip(SKIP_1) | instid1(VALU_DEP_1)
	v_cndmask_b32_e64 v20, v20, v5, s2
	v_cmp_eq_u32_e64 s2, 4, v15
	v_cndmask_b32_e64 v20, v20, v6, s2
	v_cmp_eq_u32_e64 s2, 5, v15
	s_delay_alu instid0(VALU_DEP_1) | instskip(SKIP_1) | instid1(VALU_DEP_1)
	;; [unrolled: 5-line block ×4, first 2 shown]
	v_cndmask_b32_e64 v20, v20, v11, s2
	v_cmp_eq_u32_e64 s2, 10, v15
	v_cndmask_b32_e64 v20, v20, v12, s2
	v_cmp_eq_u32_e64 s2, 11, v15
	s_delay_alu instid0(VALU_DEP_1) | instskip(SKIP_2) | instid1(VALU_DEP_1)
	v_cndmask_b32_e64 v20, v20, v13, s2
	v_cmp_eq_u32_e64 s2, 12, v15
	v_add_co_u32 v15, s3, v15, 1
	v_add_co_ci_u32_e64 v16, s3, 0, v16, s3
	s_delay_alu instid0(VALU_DEP_3) | instskip(NEXT) | instid1(VALU_DEP_3)
	v_cndmask_b32_e64 v20, v20, v14, s2
	v_add_nc_u32_e32 v22, -1, v15
	s_waitcnt lgkmcnt(0)
	s_delay_alu instid0(VALU_DEP_2) | instskip(NEXT) | instid1(VALU_DEP_2)
	v_dual_fmac_f32 v18, v20, v21 :: v_dual_add_nc_u32 v19, 4, v19
	v_cmp_lt_u32_e64 s2, 2, v22
	s_delay_alu instid0(VALU_DEP_1) | instskip(NEXT) | instid1(SALU_CYCLE_1)
	s_or_b32 s5, s2, s5
	s_and_not1_b32 exec_lo, exec_lo, s5
	s_cbranch_execnz .LBB76_27
; %bb.28:
	s_or_b32 exec_lo, exec_lo, s5
	v_mov_b32_e32 v6, 0
	ds_load_b32 v6, v6 offset:16
	s_waitcnt lgkmcnt(0)
	v_mul_f32_e32 v6, v18, v6
.LBB76_29:
	s_or_b32 exec_lo, exec_lo, s4
	s_delay_alu instid0(SALU_CYCLE_1)
	s_mov_b32 s4, exec_lo
	s_barrier
	buffer_gl0_inv
	ds_store_b32 v17, v7
	s_waitcnt lgkmcnt(0)
	s_barrier
	buffer_gl0_inv
	v_cmpx_gt_u32_e32 5, v0
	s_cbranch_execz .LBB76_33
; %bb.30:
	v_mov_b32_e32 v16, v1
	v_lshl_add_u32 v19, v0, 2, 64
	v_dual_mov_b32 v18, 0 :: v_dual_mov_b32 v15, v0
	s_mov_b32 s5, 0
.LBB76_31:                              ; =>This Inner Loop Header: Depth=1
	s_delay_alu instid0(VALU_DEP_1) | instskip(SKIP_3) | instid1(VALU_DEP_1)
	v_cmp_eq_u32_e64 s2, 1, v15
	ds_load_b32 v21, v19
	v_cndmask_b32_e64 v20, v2, v3, s2
	v_cmp_eq_u32_e64 s2, 2, v15
	v_cndmask_b32_e64 v20, v20, v4, s2
	v_cmp_eq_u32_e64 s2, 3, v15
	s_delay_alu instid0(VALU_DEP_1) | instskip(SKIP_1) | instid1(VALU_DEP_1)
	v_cndmask_b32_e64 v20, v20, v5, s2
	v_cmp_eq_u32_e64 s2, 4, v15
	v_cndmask_b32_e64 v20, v20, v6, s2
	v_cmp_eq_u32_e64 s2, 5, v15
	s_delay_alu instid0(VALU_DEP_1) | instskip(SKIP_1) | instid1(VALU_DEP_1)
	;; [unrolled: 5-line block ×4, first 2 shown]
	v_cndmask_b32_e64 v20, v20, v11, s2
	v_cmp_eq_u32_e64 s2, 10, v15
	v_cndmask_b32_e64 v20, v20, v12, s2
	v_cmp_eq_u32_e64 s2, 11, v15
	s_delay_alu instid0(VALU_DEP_1) | instskip(SKIP_2) | instid1(VALU_DEP_1)
	v_cndmask_b32_e64 v20, v20, v13, s2
	v_cmp_eq_u32_e64 s2, 12, v15
	v_add_co_u32 v15, s3, v15, 1
	v_add_co_ci_u32_e64 v16, s3, 0, v16, s3
	s_delay_alu instid0(VALU_DEP_3) | instskip(NEXT) | instid1(VALU_DEP_3)
	v_cndmask_b32_e64 v20, v20, v14, s2
	v_add_nc_u32_e32 v22, -1, v15
	s_waitcnt lgkmcnt(0)
	s_delay_alu instid0(VALU_DEP_2) | instskip(NEXT) | instid1(VALU_DEP_2)
	v_dual_fmac_f32 v18, v20, v21 :: v_dual_add_nc_u32 v19, 4, v19
	v_cmp_lt_u32_e64 s2, 3, v22
	s_delay_alu instid0(VALU_DEP_1) | instskip(NEXT) | instid1(SALU_CYCLE_1)
	s_or_b32 s5, s2, s5
	s_and_not1_b32 exec_lo, exec_lo, s5
	s_cbranch_execnz .LBB76_31
; %bb.32:
	s_or_b32 exec_lo, exec_lo, s5
	v_mov_b32_e32 v7, 0
	ds_load_b32 v7, v7 offset:20
	s_waitcnt lgkmcnt(0)
	v_mul_f32_e32 v7, v18, v7
.LBB76_33:
	s_or_b32 exec_lo, exec_lo, s4
	v_cmp_gt_u32_e64 s2, 6, v0
	s_barrier
	buffer_gl0_inv
	ds_store_b32 v17, v8
	s_waitcnt lgkmcnt(0)
	s_barrier
	buffer_gl0_inv
	s_and_saveexec_b32 s5, s2
	s_cbranch_execz .LBB76_37
; %bb.34:
	v_mov_b32_e32 v16, v1
	v_lshl_add_u32 v19, v0, 2, 64
	v_dual_mov_b32 v18, 0 :: v_dual_mov_b32 v15, v0
	s_mov_b32 s13, 0
.LBB76_35:                              ; =>This Inner Loop Header: Depth=1
	s_delay_alu instid0(VALU_DEP_1) | instskip(SKIP_3) | instid1(VALU_DEP_1)
	v_cmp_eq_u32_e64 s3, 1, v15
	ds_load_b32 v21, v19
	v_cndmask_b32_e64 v20, v2, v3, s3
	v_cmp_eq_u32_e64 s3, 2, v15
	v_cndmask_b32_e64 v20, v20, v4, s3
	v_cmp_eq_u32_e64 s3, 3, v15
	s_delay_alu instid0(VALU_DEP_1) | instskip(SKIP_1) | instid1(VALU_DEP_1)
	v_cndmask_b32_e64 v20, v20, v5, s3
	v_cmp_eq_u32_e64 s3, 4, v15
	v_cndmask_b32_e64 v20, v20, v6, s3
	v_cmp_eq_u32_e64 s3, 5, v15
	s_delay_alu instid0(VALU_DEP_1) | instskip(SKIP_1) | instid1(VALU_DEP_1)
	;; [unrolled: 5-line block ×4, first 2 shown]
	v_cndmask_b32_e64 v20, v20, v11, s3
	v_cmp_eq_u32_e64 s3, 10, v15
	v_cndmask_b32_e64 v20, v20, v12, s3
	v_cmp_eq_u32_e64 s3, 11, v15
	s_delay_alu instid0(VALU_DEP_1) | instskip(SKIP_2) | instid1(VALU_DEP_1)
	v_cndmask_b32_e64 v20, v20, v13, s3
	v_cmp_eq_u32_e64 s3, 12, v15
	v_add_co_u32 v15, s4, v15, 1
	v_add_co_ci_u32_e64 v16, s4, 0, v16, s4
	s_delay_alu instid0(VALU_DEP_3) | instskip(NEXT) | instid1(VALU_DEP_3)
	v_cndmask_b32_e64 v20, v20, v14, s3
	v_add_nc_u32_e32 v22, -1, v15
	s_waitcnt lgkmcnt(0)
	s_delay_alu instid0(VALU_DEP_2) | instskip(NEXT) | instid1(VALU_DEP_2)
	v_dual_fmac_f32 v18, v20, v21 :: v_dual_add_nc_u32 v19, 4, v19
	v_cmp_lt_u32_e64 s3, 4, v22
	s_delay_alu instid0(VALU_DEP_1) | instskip(NEXT) | instid1(SALU_CYCLE_1)
	s_or_b32 s13, s3, s13
	s_and_not1_b32 exec_lo, exec_lo, s13
	s_cbranch_execnz .LBB76_35
; %bb.36:
	s_or_b32 exec_lo, exec_lo, s13
	v_mov_b32_e32 v8, 0
	ds_load_b32 v8, v8 offset:24
	s_waitcnt lgkmcnt(0)
	v_mul_f32_e32 v8, v18, v8
.LBB76_37:
	s_or_b32 exec_lo, exec_lo, s5
	s_delay_alu instid0(SALU_CYCLE_1)
	s_mov_b32 s5, exec_lo
	s_barrier
	buffer_gl0_inv
	ds_store_b32 v17, v9
	s_waitcnt lgkmcnt(0)
	s_barrier
	buffer_gl0_inv
	v_cmpx_gt_u32_e32 7, v0
	s_cbranch_execz .LBB76_41
; %bb.38:
	v_mov_b32_e32 v16, v1
	v_lshl_add_u32 v19, v0, 2, 64
	v_dual_mov_b32 v18, 0 :: v_dual_mov_b32 v15, v0
	s_mov_b32 s13, 0
.LBB76_39:                              ; =>This Inner Loop Header: Depth=1
	s_delay_alu instid0(VALU_DEP_1) | instskip(SKIP_3) | instid1(VALU_DEP_1)
	v_cmp_eq_u32_e64 s3, 1, v15
	ds_load_b32 v21, v19
	v_cndmask_b32_e64 v20, v2, v3, s3
	v_cmp_eq_u32_e64 s3, 2, v15
	v_cndmask_b32_e64 v20, v20, v4, s3
	v_cmp_eq_u32_e64 s3, 3, v15
	s_delay_alu instid0(VALU_DEP_1) | instskip(SKIP_1) | instid1(VALU_DEP_1)
	v_cndmask_b32_e64 v20, v20, v5, s3
	v_cmp_eq_u32_e64 s3, 4, v15
	v_cndmask_b32_e64 v20, v20, v6, s3
	v_cmp_eq_u32_e64 s3, 5, v15
	s_delay_alu instid0(VALU_DEP_1) | instskip(SKIP_1) | instid1(VALU_DEP_1)
	;; [unrolled: 5-line block ×4, first 2 shown]
	v_cndmask_b32_e64 v20, v20, v11, s3
	v_cmp_eq_u32_e64 s3, 10, v15
	v_cndmask_b32_e64 v20, v20, v12, s3
	v_cmp_eq_u32_e64 s3, 11, v15
	s_delay_alu instid0(VALU_DEP_1) | instskip(SKIP_2) | instid1(VALU_DEP_1)
	v_cndmask_b32_e64 v20, v20, v13, s3
	v_cmp_eq_u32_e64 s3, 12, v15
	v_add_co_u32 v15, s4, v15, 1
	v_add_co_ci_u32_e64 v16, s4, 0, v16, s4
	s_delay_alu instid0(VALU_DEP_3) | instskip(NEXT) | instid1(VALU_DEP_3)
	v_cndmask_b32_e64 v20, v20, v14, s3
	v_add_nc_u32_e32 v22, -1, v15
	s_waitcnt lgkmcnt(0)
	s_delay_alu instid0(VALU_DEP_2) | instskip(NEXT) | instid1(VALU_DEP_2)
	v_dual_fmac_f32 v18, v20, v21 :: v_dual_add_nc_u32 v19, 4, v19
	v_cmp_lt_u32_e64 s3, 5, v22
	s_delay_alu instid0(VALU_DEP_1) | instskip(NEXT) | instid1(SALU_CYCLE_1)
	s_or_b32 s13, s3, s13
	s_and_not1_b32 exec_lo, exec_lo, s13
	s_cbranch_execnz .LBB76_39
; %bb.40:
	s_or_b32 exec_lo, exec_lo, s13
	v_mov_b32_e32 v9, 0
	ds_load_b32 v9, v9 offset:28
	s_waitcnt lgkmcnt(0)
	v_mul_f32_e32 v9, v18, v9
.LBB76_41:
	s_or_b32 exec_lo, exec_lo, s5
	s_delay_alu instid0(SALU_CYCLE_1)
	s_mov_b32 s4, exec_lo
	s_barrier
	buffer_gl0_inv
	ds_store_b32 v17, v10
	s_waitcnt lgkmcnt(0)
	s_barrier
	buffer_gl0_inv
	v_cmpx_gt_u32_e32 8, v0
	s_cbranch_execz .LBB76_57
; %bb.42:
	v_cmp_eq_u32_e64 s3, 1, v0
	ds_load_b32 v16, v17
	s_mov_b32 s5, exec_lo
	v_cndmask_b32_e64 v15, v2, v3, s3
	v_cmp_eq_u32_e64 s3, 2, v0
	s_delay_alu instid0(VALU_DEP_1) | instskip(SKIP_1) | instid1(VALU_DEP_1)
	v_cndmask_b32_e64 v15, v15, v4, s3
	v_cmp_eq_u32_e64 s3, 3, v0
	v_cndmask_b32_e64 v15, v15, v5, s3
	v_cmp_eq_u32_e64 s3, 4, v0
	s_delay_alu instid0(VALU_DEP_1) | instskip(SKIP_1) | instid1(VALU_DEP_1)
	v_cndmask_b32_e64 v15, v15, v6, s3
	v_cmp_eq_u32_e64 s3, 5, v0
	v_cndmask_b32_e64 v15, v15, v7, s3
	v_cmp_eq_u32_e64 s3, 6, v0
	s_delay_alu instid0(VALU_DEP_1) | instskip(SKIP_1) | instid1(VALU_DEP_1)
	v_cndmask_b32_e64 v15, v15, v8, s3
	v_cmp_eq_u32_e64 s3, 7, v0
	v_cndmask_b32_e64 v15, v15, v9, s3
	v_cmp_eq_u32_e64 s3, 8, v0
	s_delay_alu instid0(VALU_DEP_1) | instskip(SKIP_1) | instid1(VALU_DEP_1)
	v_cndmask_b32_e64 v15, v15, v10, s3
	v_cmp_eq_u32_e64 s3, 9, v0
	v_cndmask_b32_e64 v15, v15, v11, s3
	v_cmp_eq_u32_e64 s3, 10, v0
	s_delay_alu instid0(VALU_DEP_1) | instskip(SKIP_1) | instid1(VALU_DEP_1)
	v_cndmask_b32_e64 v15, v15, v12, s3
	v_cmp_eq_u32_e64 s3, 11, v0
	v_cndmask_b32_e64 v15, v15, v13, s3
	v_cmp_eq_u32_e64 s3, 12, v0
	s_delay_alu instid0(VALU_DEP_1) | instskip(SKIP_2) | instid1(VALU_DEP_2)
	v_cndmask_b32_e64 v18, v15, v14, s3
	v_mov_b32_e32 v15, 0
	s_waitcnt lgkmcnt(0)
	v_fma_f32 v16, v18, v16, 0
	v_cmpx_ne_u32_e32 7, v0
	s_cbranch_execz .LBB76_56
; %bb.43:
	v_add_nc_u32_e32 v18, 1, v0
	ds_load_b32 v20, v17 offset:4
	v_cmp_eq_u32_e64 s3, 1, v18
	s_delay_alu instid0(VALU_DEP_1) | instskip(SKIP_1) | instid1(VALU_DEP_1)
	v_cndmask_b32_e64 v19, v2, v3, s3
	v_cmp_eq_u32_e64 s3, 2, v18
	v_cndmask_b32_e64 v19, v19, v4, s3
	v_cmp_eq_u32_e64 s3, 3, v18
	s_delay_alu instid0(VALU_DEP_1) | instskip(SKIP_1) | instid1(VALU_DEP_1)
	v_cndmask_b32_e64 v19, v19, v5, s3
	v_cmp_eq_u32_e64 s3, 4, v18
	v_cndmask_b32_e64 v19, v19, v6, s3
	;; [unrolled: 5-line block ×6, first 2 shown]
	s_waitcnt lgkmcnt(0)
	s_delay_alu instid0(VALU_DEP_1)
	v_fmac_f32_e32 v16, v18, v20
	s_and_saveexec_b32 s3, s2
	s_cbranch_execz .LBB76_55
; %bb.44:
	v_add_nc_u32_e32 v18, 2, v0
	ds_load_b32 v20, v17 offset:8
	s_mov_b32 s13, exec_lo
	v_cmp_eq_u32_e64 s2, 1, v18
	s_delay_alu instid0(VALU_DEP_1) | instskip(SKIP_1) | instid1(VALU_DEP_1)
	v_cndmask_b32_e64 v19, v2, v3, s2
	v_cmp_eq_u32_e64 s2, 2, v18
	v_cndmask_b32_e64 v19, v19, v4, s2
	v_cmp_eq_u32_e64 s2, 3, v18
	s_delay_alu instid0(VALU_DEP_1) | instskip(SKIP_1) | instid1(VALU_DEP_1)
	v_cndmask_b32_e64 v19, v19, v5, s2
	v_cmp_eq_u32_e64 s2, 4, v18
	v_cndmask_b32_e64 v19, v19, v6, s2
	;; [unrolled: 5-line block ×6, first 2 shown]
	s_waitcnt lgkmcnt(0)
	s_delay_alu instid0(VALU_DEP_1)
	v_fmac_f32_e32 v16, v18, v20
	v_cmpx_ne_u32_e32 5, v0
	s_cbranch_execz .LBB76_54
; %bb.45:
	v_add_nc_u32_e32 v18, 3, v0
	ds_load_b32 v20, v17 offset:12
	v_cmp_eq_u32_e64 s2, 1, v18
	s_delay_alu instid0(VALU_DEP_1) | instskip(SKIP_1) | instid1(VALU_DEP_1)
	v_cndmask_b32_e64 v19, v2, v3, s2
	v_cmp_eq_u32_e64 s2, 2, v18
	v_cndmask_b32_e64 v19, v19, v4, s2
	v_cmp_eq_u32_e64 s2, 3, v18
	s_delay_alu instid0(VALU_DEP_1) | instskip(SKIP_1) | instid1(VALU_DEP_1)
	v_cndmask_b32_e64 v19, v19, v5, s2
	v_cmp_eq_u32_e64 s2, 4, v18
	v_cndmask_b32_e64 v19, v19, v6, s2
	;; [unrolled: 5-line block ×6, first 2 shown]
	s_waitcnt lgkmcnt(0)
	s_delay_alu instid0(VALU_DEP_1)
	v_fmac_f32_e32 v16, v18, v20
	s_and_saveexec_b32 s2, s1
	s_cbranch_execz .LBB76_53
; %bb.46:
	v_or_b32_e32 v18, 4, v0
	ds_load_b32 v20, v17 offset:16
	s_mov_b32 s14, exec_lo
	v_cmp_eq_u32_e64 s1, 1, v18
	s_delay_alu instid0(VALU_DEP_1) | instskip(SKIP_1) | instid1(VALU_DEP_1)
	v_cndmask_b32_e64 v19, v2, v3, s1
	v_cmp_eq_u32_e64 s1, 2, v18
	v_cndmask_b32_e64 v19, v19, v4, s1
	v_cmp_eq_u32_e64 s1, 3, v18
	s_delay_alu instid0(VALU_DEP_1) | instskip(SKIP_1) | instid1(VALU_DEP_1)
	v_cndmask_b32_e64 v19, v19, v5, s1
	v_cmp_eq_u32_e64 s1, 4, v18
	v_cndmask_b32_e64 v19, v19, v6, s1
	;; [unrolled: 5-line block ×6, first 2 shown]
	s_waitcnt lgkmcnt(0)
	s_delay_alu instid0(VALU_DEP_1)
	v_fmac_f32_e32 v16, v18, v20
	v_cmpx_ne_u32_e32 3, v0
	s_cbranch_execz .LBB76_52
; %bb.47:
	v_add_nc_u32_e32 v18, 5, v0
	ds_load_b32 v20, v17 offset:20
	v_cmp_eq_u32_e64 s1, 1, v18
	s_delay_alu instid0(VALU_DEP_1) | instskip(SKIP_1) | instid1(VALU_DEP_1)
	v_cndmask_b32_e64 v19, v2, v3, s1
	v_cmp_eq_u32_e64 s1, 2, v18
	v_cndmask_b32_e64 v19, v19, v4, s1
	v_cmp_eq_u32_e64 s1, 3, v18
	s_delay_alu instid0(VALU_DEP_1) | instskip(SKIP_1) | instid1(VALU_DEP_1)
	v_cndmask_b32_e64 v19, v19, v5, s1
	v_cmp_eq_u32_e64 s1, 4, v18
	v_cndmask_b32_e64 v19, v19, v6, s1
	;; [unrolled: 5-line block ×6, first 2 shown]
	s_waitcnt lgkmcnt(0)
	s_delay_alu instid0(VALU_DEP_1)
	v_fmac_f32_e32 v16, v18, v20
	s_and_saveexec_b32 s1, vcc_lo
	s_cbranch_execz .LBB76_51
; %bb.48:
	v_or_b32_e32 v18, 6, v0
	s_delay_alu instid0(VALU_DEP_1) | instskip(SKIP_2) | instid1(VALU_DEP_2)
	v_cmp_eq_u32_e32 vcc_lo, 1, v18
	v_cndmask_b32_e32 v19, v2, v3, vcc_lo
	v_cmp_eq_u32_e32 vcc_lo, 2, v18
	v_cndmask_b32_e32 v19, v19, v4, vcc_lo
	v_cmp_eq_u32_e32 vcc_lo, 3, v18
	s_delay_alu instid0(VALU_DEP_2) | instskip(SKIP_1) | instid1(VALU_DEP_2)
	v_cndmask_b32_e32 v19, v19, v5, vcc_lo
	v_cmp_eq_u32_e32 vcc_lo, 4, v18
	v_cndmask_b32_e32 v19, v19, v6, vcc_lo
	v_cmp_eq_u32_e32 vcc_lo, 5, v18
	s_delay_alu instid0(VALU_DEP_2) | instskip(SKIP_1) | instid1(VALU_DEP_2)
	;; [unrolled: 5-line block ×3, first 2 shown]
	v_cndmask_b32_e32 v19, v19, v9, vcc_lo
	v_cmp_eq_u32_e32 vcc_lo, 8, v18
	v_cndmask_b32_e32 v10, v19, v10, vcc_lo
	v_cmp_eq_u32_e32 vcc_lo, 9, v18
	ds_load_b32 v19, v17 offset:24
	v_cndmask_b32_e32 v10, v10, v11, vcc_lo
	v_cmp_eq_u32_e32 vcc_lo, 10, v18
	s_delay_alu instid0(VALU_DEP_2) | instskip(SKIP_1) | instid1(VALU_DEP_2)
	v_cndmask_b32_e32 v10, v10, v12, vcc_lo
	v_cmp_eq_u32_e32 vcc_lo, 11, v18
	v_cndmask_b32_e32 v10, v10, v13, vcc_lo
	v_cmp_eq_u32_e32 vcc_lo, 12, v18
	s_delay_alu instid0(VALU_DEP_2) | instskip(SKIP_1) | instid1(VALU_DEP_1)
	v_cndmask_b32_e32 v10, v10, v14, vcc_lo
	s_waitcnt lgkmcnt(0)
	v_fmac_f32_e32 v16, v10, v19
	s_and_saveexec_b32 s15, s0
	s_cbranch_execz .LBB76_50
; %bb.49:
	ds_load_b32 v10, v17 offset:28
	s_waitcnt lgkmcnt(0)
	v_fmac_f32_e32 v16, v9, v10
.LBB76_50:
	s_or_b32 exec_lo, exec_lo, s15
.LBB76_51:
	s_delay_alu instid0(SALU_CYCLE_1)
	s_or_b32 exec_lo, exec_lo, s1
.LBB76_52:
	s_delay_alu instid0(SALU_CYCLE_1)
	s_or_b32 exec_lo, exec_lo, s14
.LBB76_53:
	s_delay_alu instid0(SALU_CYCLE_1)
	s_or_b32 exec_lo, exec_lo, s2
.LBB76_54:
	s_delay_alu instid0(SALU_CYCLE_1)
	s_or_b32 exec_lo, exec_lo, s13
.LBB76_55:
	s_delay_alu instid0(SALU_CYCLE_1)
	s_or_b32 exec_lo, exec_lo, s3
.LBB76_56:
	s_delay_alu instid0(SALU_CYCLE_1)
	s_or_b32 exec_lo, exec_lo, s5
	ds_load_b32 v10, v15 offset:32
	s_waitcnt lgkmcnt(0)
	v_mul_f32_e32 v10, v16, v10
.LBB76_57:
	s_or_b32 exec_lo, exec_lo, s4
	s_delay_alu instid0(SALU_CYCLE_1)
	s_mov_b32 s1, exec_lo
	s_barrier
	buffer_gl0_inv
	ds_store_b32 v17, v11
	s_waitcnt lgkmcnt(0)
	s_barrier
	buffer_gl0_inv
	v_cmpx_gt_u32_e32 9, v0
	s_cbranch_execz .LBB76_61
; %bb.58:
	v_mov_b32_e32 v16, v1
	v_lshl_add_u32 v19, v0, 2, 64
	v_dual_mov_b32 v18, 0 :: v_dual_mov_b32 v15, v0
	s_mov_b32 s2, 0
	s_set_inst_prefetch_distance 0x1
	.p2align	6
.LBB76_59:                              ; =>This Inner Loop Header: Depth=1
	s_delay_alu instid0(VALU_DEP_1) | instskip(SKIP_4) | instid1(VALU_DEP_2)
	v_cmp_eq_u32_e32 vcc_lo, 1, v15
	ds_load_b32 v21, v19
	v_add_nc_u32_e32 v19, 4, v19
	v_cndmask_b32_e32 v20, v2, v3, vcc_lo
	v_cmp_eq_u32_e32 vcc_lo, 2, v15
	v_cndmask_b32_e32 v20, v20, v4, vcc_lo
	v_cmp_eq_u32_e32 vcc_lo, 3, v15
	s_delay_alu instid0(VALU_DEP_2) | instskip(SKIP_1) | instid1(VALU_DEP_2)
	v_cndmask_b32_e32 v20, v20, v5, vcc_lo
	v_cmp_eq_u32_e32 vcc_lo, 4, v15
	v_cndmask_b32_e32 v20, v20, v6, vcc_lo
	v_cmp_eq_u32_e32 vcc_lo, 5, v15
	s_delay_alu instid0(VALU_DEP_2) | instskip(SKIP_1) | instid1(VALU_DEP_2)
	;; [unrolled: 5-line block ×4, first 2 shown]
	v_cndmask_b32_e32 v20, v20, v11, vcc_lo
	v_cmp_eq_u32_e32 vcc_lo, 10, v15
	v_cndmask_b32_e32 v20, v20, v12, vcc_lo
	v_cmp_eq_u32_e32 vcc_lo, 11, v15
	s_delay_alu instid0(VALU_DEP_2) | instskip(SKIP_2) | instid1(VALU_DEP_1)
	v_cndmask_b32_e32 v20, v20, v13, vcc_lo
	v_cmp_eq_u32_e32 vcc_lo, 12, v15
	v_add_co_u32 v15, s0, v15, 1
	v_add_co_ci_u32_e64 v16, s0, 0, v16, s0
	s_delay_alu instid0(VALU_DEP_4) | instskip(NEXT) | instid1(VALU_DEP_3)
	v_cndmask_b32_e32 v20, v20, v14, vcc_lo
	v_add_nc_u32_e32 v22, -1, v15
	s_waitcnt lgkmcnt(0)
	s_delay_alu instid0(VALU_DEP_2) | instskip(NEXT) | instid1(VALU_DEP_2)
	v_fmac_f32_e32 v18, v20, v21
	v_cmp_lt_u32_e32 vcc_lo, 7, v22
	s_or_b32 s2, vcc_lo, s2
	s_delay_alu instid0(SALU_CYCLE_1)
	s_and_not1_b32 exec_lo, exec_lo, s2
	s_cbranch_execnz .LBB76_59
; %bb.60:
	s_set_inst_prefetch_distance 0x2
	s_or_b32 exec_lo, exec_lo, s2
	v_mov_b32_e32 v11, 0
	ds_load_b32 v11, v11 offset:36
	s_waitcnt lgkmcnt(0)
	v_mul_f32_e32 v11, v18, v11
.LBB76_61:
	s_or_b32 exec_lo, exec_lo, s1
	s_delay_alu instid0(SALU_CYCLE_1)
	s_mov_b32 s1, exec_lo
	s_barrier
	buffer_gl0_inv
	ds_store_b32 v17, v12
	s_waitcnt lgkmcnt(0)
	s_barrier
	buffer_gl0_inv
	v_cmpx_gt_u32_e32 10, v0
	s_cbranch_execz .LBB76_65
; %bb.62:
	v_mov_b32_e32 v16, v1
	v_lshl_add_u32 v19, v0, 2, 64
	v_dual_mov_b32 v18, 0 :: v_dual_mov_b32 v15, v0
	s_mov_b32 s2, 0
	s_set_inst_prefetch_distance 0x1
	.p2align	6
.LBB76_63:                              ; =>This Inner Loop Header: Depth=1
	s_delay_alu instid0(VALU_DEP_1) | instskip(SKIP_4) | instid1(VALU_DEP_2)
	v_cmp_eq_u32_e32 vcc_lo, 1, v15
	ds_load_b32 v21, v19
	v_add_nc_u32_e32 v19, 4, v19
	v_cndmask_b32_e32 v20, v2, v3, vcc_lo
	v_cmp_eq_u32_e32 vcc_lo, 2, v15
	v_cndmask_b32_e32 v20, v20, v4, vcc_lo
	v_cmp_eq_u32_e32 vcc_lo, 3, v15
	s_delay_alu instid0(VALU_DEP_2) | instskip(SKIP_1) | instid1(VALU_DEP_2)
	v_cndmask_b32_e32 v20, v20, v5, vcc_lo
	v_cmp_eq_u32_e32 vcc_lo, 4, v15
	v_cndmask_b32_e32 v20, v20, v6, vcc_lo
	v_cmp_eq_u32_e32 vcc_lo, 5, v15
	s_delay_alu instid0(VALU_DEP_2) | instskip(SKIP_1) | instid1(VALU_DEP_2)
	;; [unrolled: 5-line block ×4, first 2 shown]
	v_cndmask_b32_e32 v20, v20, v11, vcc_lo
	v_cmp_eq_u32_e32 vcc_lo, 10, v15
	v_cndmask_b32_e32 v20, v20, v12, vcc_lo
	v_cmp_eq_u32_e32 vcc_lo, 11, v15
	s_delay_alu instid0(VALU_DEP_2) | instskip(SKIP_2) | instid1(VALU_DEP_1)
	v_cndmask_b32_e32 v20, v20, v13, vcc_lo
	v_cmp_eq_u32_e32 vcc_lo, 12, v15
	v_add_co_u32 v15, s0, v15, 1
	v_add_co_ci_u32_e64 v16, s0, 0, v16, s0
	s_delay_alu instid0(VALU_DEP_4) | instskip(NEXT) | instid1(VALU_DEP_3)
	v_cndmask_b32_e32 v20, v20, v14, vcc_lo
	v_add_nc_u32_e32 v22, -1, v15
	s_waitcnt lgkmcnt(0)
	s_delay_alu instid0(VALU_DEP_2) | instskip(NEXT) | instid1(VALU_DEP_2)
	v_fmac_f32_e32 v18, v20, v21
	v_cmp_lt_u32_e32 vcc_lo, 8, v22
	s_or_b32 s2, vcc_lo, s2
	s_delay_alu instid0(SALU_CYCLE_1)
	s_and_not1_b32 exec_lo, exec_lo, s2
	s_cbranch_execnz .LBB76_63
; %bb.64:
	s_set_inst_prefetch_distance 0x2
	s_or_b32 exec_lo, exec_lo, s2
	v_mov_b32_e32 v12, 0
	ds_load_b32 v12, v12 offset:40
	s_waitcnt lgkmcnt(0)
	v_mul_f32_e32 v12, v18, v12
.LBB76_65:
	s_or_b32 exec_lo, exec_lo, s1
	s_delay_alu instid0(SALU_CYCLE_1)
	s_mov_b32 s1, exec_lo
	s_barrier
	buffer_gl0_inv
	ds_store_b32 v17, v13
	s_waitcnt lgkmcnt(0)
	s_barrier
	buffer_gl0_inv
	v_cmpx_gt_u32_e32 11, v0
	s_cbranch_execz .LBB76_69
; %bb.66:
	v_mov_b32_e32 v16, v1
	v_lshl_add_u32 v19, v0, 2, 64
	v_dual_mov_b32 v18, 0 :: v_dual_mov_b32 v15, v0
	s_mov_b32 s2, 0
	s_set_inst_prefetch_distance 0x1
	.p2align	6
.LBB76_67:                              ; =>This Inner Loop Header: Depth=1
	s_delay_alu instid0(VALU_DEP_1) | instskip(SKIP_4) | instid1(VALU_DEP_2)
	v_cmp_eq_u32_e32 vcc_lo, 1, v15
	ds_load_b32 v21, v19
	v_add_nc_u32_e32 v19, 4, v19
	v_cndmask_b32_e32 v20, v2, v3, vcc_lo
	v_cmp_eq_u32_e32 vcc_lo, 2, v15
	v_cndmask_b32_e32 v20, v20, v4, vcc_lo
	v_cmp_eq_u32_e32 vcc_lo, 3, v15
	s_delay_alu instid0(VALU_DEP_2) | instskip(SKIP_1) | instid1(VALU_DEP_2)
	v_cndmask_b32_e32 v20, v20, v5, vcc_lo
	v_cmp_eq_u32_e32 vcc_lo, 4, v15
	v_cndmask_b32_e32 v20, v20, v6, vcc_lo
	v_cmp_eq_u32_e32 vcc_lo, 5, v15
	s_delay_alu instid0(VALU_DEP_2) | instskip(SKIP_1) | instid1(VALU_DEP_2)
	;; [unrolled: 5-line block ×4, first 2 shown]
	v_cndmask_b32_e32 v20, v20, v11, vcc_lo
	v_cmp_eq_u32_e32 vcc_lo, 10, v15
	v_cndmask_b32_e32 v20, v20, v12, vcc_lo
	v_cmp_eq_u32_e32 vcc_lo, 11, v15
	s_delay_alu instid0(VALU_DEP_2) | instskip(SKIP_2) | instid1(VALU_DEP_1)
	v_cndmask_b32_e32 v20, v20, v13, vcc_lo
	v_cmp_eq_u32_e32 vcc_lo, 12, v15
	v_add_co_u32 v15, s0, v15, 1
	v_add_co_ci_u32_e64 v16, s0, 0, v16, s0
	s_delay_alu instid0(VALU_DEP_4) | instskip(NEXT) | instid1(VALU_DEP_3)
	v_cndmask_b32_e32 v20, v20, v14, vcc_lo
	v_add_nc_u32_e32 v22, -1, v15
	s_waitcnt lgkmcnt(0)
	s_delay_alu instid0(VALU_DEP_2) | instskip(NEXT) | instid1(VALU_DEP_2)
	v_fmac_f32_e32 v18, v20, v21
	v_cmp_lt_u32_e32 vcc_lo, 9, v22
	s_or_b32 s2, vcc_lo, s2
	s_delay_alu instid0(SALU_CYCLE_1)
	s_and_not1_b32 exec_lo, exec_lo, s2
	s_cbranch_execnz .LBB76_67
; %bb.68:
	s_set_inst_prefetch_distance 0x2
	s_or_b32 exec_lo, exec_lo, s2
	v_mov_b32_e32 v13, 0
	ds_load_b32 v13, v13 offset:44
	s_waitcnt lgkmcnt(0)
	v_mul_f32_e32 v13, v18, v13
.LBB76_69:
	s_or_b32 exec_lo, exec_lo, s1
	s_delay_alu instid0(SALU_CYCLE_1)
	s_mov_b32 s1, exec_lo
	s_barrier
	buffer_gl0_inv
	ds_store_b32 v17, v14
	s_waitcnt lgkmcnt(0)
	s_barrier
	buffer_gl0_inv
	v_cmpx_ne_u32_e32 12, v0
	s_cbranch_execz .LBB76_73
; %bb.70:
	v_dual_mov_b32 v17, 0 :: v_dual_mov_b32 v16, v1
	v_lshl_add_u32 v18, v0, 2, 64
	v_mov_b32_e32 v15, v0
	s_mov_b32 s2, 0
	s_set_inst_prefetch_distance 0x1
	.p2align	6
.LBB76_71:                              ; =>This Inner Loop Header: Depth=1
	s_delay_alu instid0(VALU_DEP_1) | instskip(SKIP_3) | instid1(VALU_DEP_2)
	v_cmp_eq_u32_e32 vcc_lo, 1, v15
	ds_load_b32 v19, v18
	v_dual_cndmask_b32 v1, v2, v3 :: v_dual_add_nc_u32 v18, 4, v18
	v_cmp_eq_u32_e32 vcc_lo, 2, v15
	v_cndmask_b32_e32 v1, v1, v4, vcc_lo
	v_cmp_eq_u32_e32 vcc_lo, 3, v15
	s_delay_alu instid0(VALU_DEP_2) | instskip(SKIP_1) | instid1(VALU_DEP_2)
	v_cndmask_b32_e32 v1, v1, v5, vcc_lo
	v_cmp_eq_u32_e32 vcc_lo, 4, v15
	v_cndmask_b32_e32 v1, v1, v6, vcc_lo
	v_cmp_eq_u32_e32 vcc_lo, 5, v15
	s_delay_alu instid0(VALU_DEP_2) | instskip(SKIP_1) | instid1(VALU_DEP_2)
	v_cndmask_b32_e32 v1, v1, v7, vcc_lo
	;; [unrolled: 5-line block ×4, first 2 shown]
	v_cmp_eq_u32_e32 vcc_lo, 10, v15
	v_cndmask_b32_e32 v1, v1, v12, vcc_lo
	v_cmp_eq_u32_e32 vcc_lo, 11, v15
	s_delay_alu instid0(VALU_DEP_2) | instskip(SKIP_2) | instid1(VALU_DEP_1)
	v_cndmask_b32_e32 v1, v1, v13, vcc_lo
	v_cmp_eq_u32_e32 vcc_lo, 12, v15
	v_add_co_u32 v15, s0, v15, 1
	v_add_co_ci_u32_e64 v16, s0, 0, v16, s0
	s_delay_alu instid0(VALU_DEP_2) | instskip(SKIP_1) | instid1(VALU_DEP_1)
	v_dual_cndmask_b32 v1, v1, v14 :: v_dual_add_nc_u32 v20, -1, v15
	s_waitcnt lgkmcnt(0)
	v_fmac_f32_e32 v17, v1, v19
	s_delay_alu instid0(VALU_DEP_2) | instskip(SKIP_1) | instid1(SALU_CYCLE_1)
	v_cmp_lt_u32_e32 vcc_lo, 10, v20
	s_or_b32 s2, vcc_lo, s2
	s_and_not1_b32 exec_lo, exec_lo, s2
	s_cbranch_execnz .LBB76_71
; %bb.72:
	s_set_inst_prefetch_distance 0x2
	s_or_b32 exec_lo, exec_lo, s2
	v_mov_b32_e32 v1, 0
	ds_load_b32 v1, v1 offset:48
	s_waitcnt lgkmcnt(0)
	v_mul_f32_e32 v14, v17, v1
.LBB76_73:
	s_or_b32 exec_lo, exec_lo, s1
	s_barrier
	buffer_gl0_inv
	s_cbranch_execnz .LBB76_15
	s_branch .LBB76_16
.LBB76_74:
	v_lshl_add_u32 v1, v0, 2, 64
	s_mov_b32 s0, exec_lo
	v_cmpx_eq_u32_e32 12, v0
	s_cbranch_execz .LBB76_76
; %bb.75:
	v_dual_mov_b32 v26, 0 :: v_dual_mov_b32 v15, v2
	v_dual_mov_b32 v18, v5 :: v_dual_mov_b32 v19, v6
	;; [unrolled: 1-line block ×6, first 2 shown]
	v_mov_b32_e32 v17, v4
	ds_store_b32 v1, v13
	v_mov_b32_e32 v2, v15
	v_dual_mov_b32 v3, v16 :: v_dual_mov_b32 v4, v17
	v_dual_mov_b32 v5, v18 :: v_dual_mov_b32 v6, v19
	;; [unrolled: 1-line block ×6, first 2 shown]
	v_mov_b32_e32 v15, v28
	v_mov_b32_e32 v16, v29
	;; [unrolled: 1-line block ×3, first 2 shown]
.LBB76_76:
	s_or_b32 exec_lo, exec_lo, s0
	v_mov_b32_e32 v25, 0
	s_waitcnt lgkmcnt(0)
	s_waitcnt_vscnt null, 0x0
	s_barrier
	buffer_gl0_inv
	s_mov_b32 s0, exec_lo
	ds_load_b32 v15, v25 offset:112
	s_waitcnt lgkmcnt(0)
	v_fma_f32 v15, v14, v15, 0
	s_delay_alu instid0(VALU_DEP_1)
	v_sub_f32_e32 v13, v13, v15
	v_cmpx_lt_u32_e32 10, v0
	s_cbranch_execz .LBB76_78
; %bb.77:
	v_dual_mov_b32 v15, v2 :: v_dual_mov_b32 v16, v3
	v_dual_mov_b32 v17, v4 :: v_dual_mov_b32 v18, v5
	;; [unrolled: 1-line block ×6, first 2 shown]
	ds_store_b32 v1, v12
	v_mov_b32_e32 v2, v15
	v_dual_mov_b32 v3, v16 :: v_dual_mov_b32 v4, v17
	v_dual_mov_b32 v5, v18 :: v_dual_mov_b32 v6, v19
	;; [unrolled: 1-line block ×6, first 2 shown]
	v_mov_b32_e32 v15, v28
	v_mov_b32_e32 v16, v29
	;; [unrolled: 1-line block ×3, first 2 shown]
.LBB76_78:
	s_or_b32 exec_lo, exec_lo, s0
	s_waitcnt lgkmcnt(0)
	s_barrier
	buffer_gl0_inv
	ds_load_2addr_b32 v[15:16], v25 offset0:27 offset1:28
	s_mov_b32 s0, exec_lo
	s_waitcnt lgkmcnt(0)
	v_fma_f32 v15, v13, v15, 0
	s_delay_alu instid0(VALU_DEP_1) | instskip(NEXT) | instid1(VALU_DEP_1)
	v_fmac_f32_e32 v15, v14, v16
	v_sub_f32_e32 v12, v12, v15
	v_cmpx_lt_u32_e32 9, v0
	s_cbranch_execz .LBB76_80
; %bb.79:
	v_dual_mov_b32 v24, 0 :: v_dual_mov_b32 v15, v2
	v_dual_mov_b32 v18, v5 :: v_dual_mov_b32 v19, v6
	;; [unrolled: 1-line block ×6, first 2 shown]
	v_mov_b32_e32 v17, v4
	ds_store_b32 v1, v11
	v_mov_b32_e32 v2, v15
	v_dual_mov_b32 v3, v16 :: v_dual_mov_b32 v4, v17
	v_dual_mov_b32 v5, v18 :: v_dual_mov_b32 v6, v19
	;; [unrolled: 1-line block ×6, first 2 shown]
	v_mov_b32_e32 v15, v28
	v_mov_b32_e32 v16, v29
	;; [unrolled: 1-line block ×3, first 2 shown]
.LBB76_80:
	s_or_b32 exec_lo, exec_lo, s0
	v_mov_b32_e32 v23, 0
	s_waitcnt lgkmcnt(0)
	s_barrier
	buffer_gl0_inv
	s_mov_b32 s0, exec_lo
	ds_load_b64 v[15:16], v23 offset:104
	ds_load_b32 v17, v23 offset:112
	s_waitcnt lgkmcnt(1)
	v_fma_f32 v15, v12, v15, 0
	s_delay_alu instid0(VALU_DEP_1) | instskip(SKIP_1) | instid1(VALU_DEP_1)
	v_fmac_f32_e32 v15, v13, v16
	s_waitcnt lgkmcnt(0)
	v_fmac_f32_e32 v15, v14, v17
	s_delay_alu instid0(VALU_DEP_1)
	v_sub_f32_e32 v11, v11, v15
	v_cmpx_lt_u32_e32 8, v0
	s_cbranch_execz .LBB76_82
; %bb.81:
	v_dual_mov_b32 v15, v2 :: v_dual_mov_b32 v16, v3
	v_dual_mov_b32 v17, v4 :: v_dual_mov_b32 v18, v5
	;; [unrolled: 1-line block ×6, first 2 shown]
	ds_store_b32 v1, v10
	v_mov_b32_e32 v2, v15
	v_dual_mov_b32 v3, v16 :: v_dual_mov_b32 v4, v17
	v_dual_mov_b32 v5, v18 :: v_dual_mov_b32 v6, v19
	;; [unrolled: 1-line block ×6, first 2 shown]
	v_mov_b32_e32 v15, v28
	v_mov_b32_e32 v16, v29
	;; [unrolled: 1-line block ×3, first 2 shown]
.LBB76_82:
	s_or_b32 exec_lo, exec_lo, s0
	s_waitcnt lgkmcnt(0)
	s_barrier
	buffer_gl0_inv
	ds_load_2addr_b32 v[15:16], v23 offset0:25 offset1:26
	ds_load_2addr_b32 v[17:18], v23 offset0:27 offset1:28
	s_mov_b32 s0, exec_lo
	s_waitcnt lgkmcnt(1)
	v_fma_f32 v15, v11, v15, 0
	s_delay_alu instid0(VALU_DEP_1) | instskip(SKIP_1) | instid1(VALU_DEP_1)
	v_fmac_f32_e32 v15, v12, v16
	s_waitcnt lgkmcnt(0)
	v_fmac_f32_e32 v15, v13, v17
	s_delay_alu instid0(VALU_DEP_1) | instskip(NEXT) | instid1(VALU_DEP_1)
	v_fmac_f32_e32 v15, v14, v18
	v_sub_f32_e32 v10, v10, v15
	v_cmpx_lt_u32_e32 7, v0
	s_cbranch_execz .LBB76_84
; %bb.83:
	v_dual_mov_b32 v22, 0 :: v_dual_mov_b32 v15, v2
	v_dual_mov_b32 v18, v5 :: v_dual_mov_b32 v19, v6
	v_dual_mov_b32 v20, v7 :: v_dual_mov_b32 v21, v8
	v_dual_mov_b32 v23, v10 :: v_dual_mov_b32 v24, v11
	v_dual_mov_b32 v25, v12 :: v_dual_mov_b32 v26, v13
	v_dual_mov_b32 v27, v14 :: v_dual_mov_b32 v16, v3
	v_mov_b32_e32 v17, v4
	ds_store_b32 v1, v9
	v_mov_b32_e32 v2, v15
	v_dual_mov_b32 v3, v16 :: v_dual_mov_b32 v4, v17
	v_dual_mov_b32 v5, v18 :: v_dual_mov_b32 v6, v19
	;; [unrolled: 1-line block ×6, first 2 shown]
	v_mov_b32_e32 v15, v28
	v_mov_b32_e32 v16, v29
	;; [unrolled: 1-line block ×3, first 2 shown]
.LBB76_84:
	s_or_b32 exec_lo, exec_lo, s0
	v_mov_b32_e32 v21, 0
	s_waitcnt lgkmcnt(0)
	s_barrier
	buffer_gl0_inv
	s_mov_b32 s0, exec_lo
	ds_load_b128 v[15:18], v21 offset:96
	ds_load_b32 v19, v21 offset:112
	s_waitcnt lgkmcnt(1)
	v_fma_f32 v15, v10, v15, 0
	s_delay_alu instid0(VALU_DEP_1) | instskip(NEXT) | instid1(VALU_DEP_1)
	v_fmac_f32_e32 v15, v11, v16
	v_fmac_f32_e32 v15, v12, v17
	s_delay_alu instid0(VALU_DEP_1) | instskip(SKIP_1) | instid1(VALU_DEP_1)
	v_fmac_f32_e32 v15, v13, v18
	s_waitcnt lgkmcnt(0)
	v_fmac_f32_e32 v15, v14, v19
	s_delay_alu instid0(VALU_DEP_1)
	v_sub_f32_e32 v9, v9, v15
	v_cmpx_lt_u32_e32 6, v0
	s_cbranch_execz .LBB76_86
; %bb.85:
	v_dual_mov_b32 v15, v2 :: v_dual_mov_b32 v16, v3
	v_dual_mov_b32 v17, v4 :: v_dual_mov_b32 v18, v5
	;; [unrolled: 1-line block ×6, first 2 shown]
	ds_store_b32 v1, v8
	v_mov_b32_e32 v2, v15
	v_dual_mov_b32 v3, v16 :: v_dual_mov_b32 v4, v17
	v_dual_mov_b32 v5, v18 :: v_dual_mov_b32 v6, v19
	;; [unrolled: 1-line block ×6, first 2 shown]
	v_mov_b32_e32 v15, v28
	v_mov_b32_e32 v16, v29
	v_mov_b32_e32 v17, v30
.LBB76_86:
	s_or_b32 exec_lo, exec_lo, s0
	s_waitcnt lgkmcnt(0)
	s_barrier
	buffer_gl0_inv
	ds_load_2addr_b32 v[15:16], v21 offset0:23 offset1:24
	ds_load_2addr_b32 v[17:18], v21 offset0:25 offset1:26
	;; [unrolled: 1-line block ×3, first 2 shown]
	s_mov_b32 s0, exec_lo
	s_waitcnt lgkmcnt(2)
	v_fma_f32 v15, v9, v15, 0
	s_delay_alu instid0(VALU_DEP_1) | instskip(SKIP_1) | instid1(VALU_DEP_1)
	v_fmac_f32_e32 v15, v10, v16
	s_waitcnt lgkmcnt(1)
	v_fmac_f32_e32 v15, v11, v17
	s_delay_alu instid0(VALU_DEP_1) | instskip(SKIP_1) | instid1(VALU_DEP_1)
	v_fmac_f32_e32 v15, v12, v18
	s_waitcnt lgkmcnt(0)
	v_fmac_f32_e32 v15, v13, v19
	s_delay_alu instid0(VALU_DEP_1) | instskip(NEXT) | instid1(VALU_DEP_1)
	v_fmac_f32_e32 v15, v14, v20
	v_sub_f32_e32 v8, v8, v15
	v_cmpx_lt_u32_e32 5, v0
	s_cbranch_execz .LBB76_88
; %bb.87:
	v_dual_mov_b32 v20, 0 :: v_dual_mov_b32 v15, v2
	v_dual_mov_b32 v18, v5 :: v_dual_mov_b32 v19, v6
	;; [unrolled: 1-line block ×6, first 2 shown]
	v_mov_b32_e32 v17, v4
	ds_store_b32 v1, v7
	v_mov_b32_e32 v2, v15
	v_dual_mov_b32 v3, v16 :: v_dual_mov_b32 v4, v17
	v_dual_mov_b32 v5, v18 :: v_dual_mov_b32 v6, v19
	;; [unrolled: 1-line block ×6, first 2 shown]
	v_mov_b32_e32 v15, v28
	v_mov_b32_e32 v16, v29
	;; [unrolled: 1-line block ×3, first 2 shown]
.LBB76_88:
	s_or_b32 exec_lo, exec_lo, s0
	v_mov_b32_e32 v19, 0
	s_waitcnt lgkmcnt(0)
	s_barrier
	buffer_gl0_inv
	s_mov_b32 s0, exec_lo
	ds_load_2addr_b64 v[15:18], v19 offset0:11 offset1:12
	ds_load_b64 v[20:21], v19 offset:104
	s_waitcnt lgkmcnt(1)
	v_fma_f32 v15, v8, v15, 0
	s_delay_alu instid0(VALU_DEP_1) | instskip(SKIP_2) | instid1(VALU_DEP_1)
	v_fmac_f32_e32 v15, v9, v16
	ds_load_b32 v16, v19 offset:112
	v_fmac_f32_e32 v15, v10, v17
	v_fmac_f32_e32 v15, v11, v18
	s_waitcnt lgkmcnt(1)
	s_delay_alu instid0(VALU_DEP_1) | instskip(NEXT) | instid1(VALU_DEP_1)
	v_fmac_f32_e32 v15, v12, v20
	v_fmac_f32_e32 v15, v13, v21
	s_waitcnt lgkmcnt(0)
	s_delay_alu instid0(VALU_DEP_1) | instskip(NEXT) | instid1(VALU_DEP_1)
	v_fmac_f32_e32 v15, v14, v16
	v_sub_f32_e32 v7, v7, v15
	v_cmpx_lt_u32_e32 4, v0
	s_cbranch_execz .LBB76_90
; %bb.89:
	v_dual_mov_b32 v15, v2 :: v_dual_mov_b32 v16, v3
	v_dual_mov_b32 v17, v4 :: v_dual_mov_b32 v18, v5
	;; [unrolled: 1-line block ×6, first 2 shown]
	ds_store_b32 v1, v6
	v_mov_b32_e32 v2, v15
	v_dual_mov_b32 v3, v16 :: v_dual_mov_b32 v4, v17
	v_dual_mov_b32 v5, v18 :: v_dual_mov_b32 v6, v19
	;; [unrolled: 1-line block ×6, first 2 shown]
	v_mov_b32_e32 v15, v28
	v_mov_b32_e32 v16, v29
	;; [unrolled: 1-line block ×3, first 2 shown]
.LBB76_90:
	s_or_b32 exec_lo, exec_lo, s0
	s_waitcnt lgkmcnt(0)
	s_barrier
	buffer_gl0_inv
	ds_load_2addr_b32 v[15:16], v19 offset0:21 offset1:22
	ds_load_2addr_b32 v[17:18], v19 offset0:23 offset1:24
	;; [unrolled: 1-line block ×4, first 2 shown]
	s_mov_b32 s0, exec_lo
	s_waitcnt lgkmcnt(3)
	v_fma_f32 v15, v7, v15, 0
	s_delay_alu instid0(VALU_DEP_1) | instskip(SKIP_1) | instid1(VALU_DEP_1)
	v_fmac_f32_e32 v15, v8, v16
	s_waitcnt lgkmcnt(2)
	v_fmac_f32_e32 v15, v9, v17
	s_delay_alu instid0(VALU_DEP_1) | instskip(SKIP_1) | instid1(VALU_DEP_1)
	v_fmac_f32_e32 v15, v10, v18
	s_waitcnt lgkmcnt(1)
	v_fmac_f32_e32 v15, v11, v20
	;; [unrolled: 4-line block ×3, first 2 shown]
	s_delay_alu instid0(VALU_DEP_1) | instskip(NEXT) | instid1(VALU_DEP_1)
	v_fmac_f32_e32 v15, v14, v23
	v_sub_f32_e32 v6, v6, v15
	v_cmpx_lt_u32_e32 3, v0
	s_cbranch_execz .LBB76_92
; %bb.91:
	v_dual_mov_b32 v18, 0 :: v_dual_mov_b32 v15, v2
	s_delay_alu instid0(VALU_DEP_3)
	v_dual_mov_b32 v19, v6 :: v_dual_mov_b32 v20, v7
	v_dual_mov_b32 v21, v8 :: v_dual_mov_b32 v22, v9
	;; [unrolled: 1-line block ×5, first 2 shown]
	v_mov_b32_e32 v17, v4
	ds_store_b32 v1, v5
	v_mov_b32_e32 v2, v15
	v_dual_mov_b32 v3, v16 :: v_dual_mov_b32 v4, v17
	v_dual_mov_b32 v5, v18 :: v_dual_mov_b32 v6, v19
	;; [unrolled: 1-line block ×6, first 2 shown]
	v_mov_b32_e32 v15, v28
	v_mov_b32_e32 v16, v29
	v_mov_b32_e32 v17, v30
.LBB76_92:
	s_or_b32 exec_lo, exec_lo, s0
	v_mov_b32_e32 v18, 0
	s_waitcnt lgkmcnt(0)
	s_barrier
	buffer_gl0_inv
	s_mov_b32 s0, exec_lo
	ds_load_b128 v[19:22], v18 offset:80
	ds_load_b128 v[23:26], v18 offset:96
	s_waitcnt lgkmcnt(1)
	v_fma_f32 v15, v6, v19, 0
	s_delay_alu instid0(VALU_DEP_1) | instskip(SKIP_2) | instid1(VALU_DEP_1)
	v_fmac_f32_e32 v15, v7, v20
	ds_load_b32 v16, v18 offset:112
	v_fmac_f32_e32 v15, v8, v21
	v_fmac_f32_e32 v15, v9, v22
	s_waitcnt lgkmcnt(1)
	s_delay_alu instid0(VALU_DEP_1) | instskip(NEXT) | instid1(VALU_DEP_1)
	v_fmac_f32_e32 v15, v10, v23
	v_fmac_f32_e32 v15, v11, v24
	s_delay_alu instid0(VALU_DEP_1) | instskip(NEXT) | instid1(VALU_DEP_1)
	v_fmac_f32_e32 v15, v12, v25
	v_fmac_f32_e32 v15, v13, v26
	s_waitcnt lgkmcnt(0)
	s_delay_alu instid0(VALU_DEP_1) | instskip(NEXT) | instid1(VALU_DEP_1)
	v_fmac_f32_e32 v15, v14, v16
	v_sub_f32_e32 v5, v5, v15
	v_cmpx_lt_u32_e32 2, v0
	s_cbranch_execz .LBB76_94
; %bb.93:
	v_dual_mov_b32 v16, v2 :: v_dual_mov_b32 v17, v3
	s_delay_alu instid0(VALU_DEP_3)
	v_dual_mov_b32 v19, v5 :: v_dual_mov_b32 v20, v6
	v_dual_mov_b32 v21, v7 :: v_dual_mov_b32 v22, v8
	;; [unrolled: 1-line block ×5, first 2 shown]
	ds_store_b32 v1, v4
	v_mov_b32_e32 v2, v16
	v_dual_mov_b32 v3, v17 :: v_dual_mov_b32 v4, v18
	v_dual_mov_b32 v5, v19 :: v_dual_mov_b32 v6, v20
	v_dual_mov_b32 v7, v21 :: v_dual_mov_b32 v8, v22
	v_dual_mov_b32 v9, v23 :: v_dual_mov_b32 v10, v24
	v_dual_mov_b32 v11, v25 :: v_dual_mov_b32 v12, v26
	v_dual_mov_b32 v13, v27 :: v_dual_mov_b32 v14, v28
	v_dual_mov_b32 v15, v29 :: v_dual_mov_b32 v16, v30
	v_mov_b32_e32 v17, v31
.LBB76_94:
	s_or_b32 exec_lo, exec_lo, s0
	s_waitcnt lgkmcnt(0)
	s_barrier
	buffer_gl0_inv
	ds_load_2addr_b32 v[15:16], v18 offset0:19 offset1:20
	ds_load_2addr_b32 v[19:20], v18 offset0:21 offset1:22
	;; [unrolled: 1-line block ×4, first 2 shown]
	s_mov_b32 s0, exec_lo
	s_waitcnt lgkmcnt(3)
	v_fma_f32 v17, v5, v15, 0
	s_delay_alu instid0(VALU_DEP_1) | instskip(SKIP_3) | instid1(VALU_DEP_1)
	v_fmac_f32_e32 v17, v6, v16
	ds_load_2addr_b32 v[15:16], v18 offset0:27 offset1:28
	s_waitcnt lgkmcnt(3)
	v_fmac_f32_e32 v17, v7, v19
	v_fmac_f32_e32 v17, v8, v20
	s_waitcnt lgkmcnt(2)
	s_delay_alu instid0(VALU_DEP_1) | instskip(NEXT) | instid1(VALU_DEP_1)
	v_fmac_f32_e32 v17, v9, v21
	v_fmac_f32_e32 v17, v10, v22
	s_waitcnt lgkmcnt(1)
	s_delay_alu instid0(VALU_DEP_1) | instskip(NEXT) | instid1(VALU_DEP_1)
	;; [unrolled: 4-line block ×3, first 2 shown]
	v_fmac_f32_e32 v17, v13, v15
	v_fmac_f32_e32 v17, v14, v16
	s_delay_alu instid0(VALU_DEP_1)
	v_sub_f32_e32 v4, v4, v17
	v_cmpx_lt_u32_e32 1, v0
	s_cbranch_execz .LBB76_96
; %bb.95:
	v_dual_mov_b32 v16, 0 :: v_dual_mov_b32 v15, v2
	s_delay_alu instid0(VALU_DEP_3)
	v_dual_mov_b32 v17, v4 :: v_dual_mov_b32 v18, v5
	v_dual_mov_b32 v19, v6 :: v_dual_mov_b32 v20, v7
	;; [unrolled: 1-line block ×5, first 2 shown]
	v_mov_b32_e32 v27, v14
	ds_store_b32 v1, v3
	v_mov_b32_e32 v2, v15
	v_dual_mov_b32 v3, v16 :: v_dual_mov_b32 v4, v17
	v_dual_mov_b32 v5, v18 :: v_dual_mov_b32 v6, v19
	v_dual_mov_b32 v7, v20 :: v_dual_mov_b32 v8, v21
	v_dual_mov_b32 v9, v22 :: v_dual_mov_b32 v10, v23
	v_dual_mov_b32 v11, v24 :: v_dual_mov_b32 v12, v25
	v_dual_mov_b32 v13, v26 :: v_dual_mov_b32 v14, v27
	v_mov_b32_e32 v15, v28
	v_mov_b32_e32 v16, v29
	;; [unrolled: 1-line block ×3, first 2 shown]
.LBB76_96:
	s_or_b32 exec_lo, exec_lo, s0
	v_mov_b32_e32 v18, 0
	s_waitcnt lgkmcnt(0)
	s_barrier
	buffer_gl0_inv
	s_mov_b32 s0, exec_lo
	ds_load_2addr_b64 v[19:22], v18 offset0:9 offset1:10
	ds_load_2addr_b64 v[23:26], v18 offset0:11 offset1:12
	s_waitcnt lgkmcnt(1)
	v_fma_f32 v17, v4, v19, 0
	s_delay_alu instid0(VALU_DEP_1) | instskip(SKIP_3) | instid1(VALU_DEP_1)
	v_fmac_f32_e32 v17, v5, v20
	ds_load_b64 v[15:16], v18 offset:104
	ds_load_b32 v19, v18 offset:112
	v_fmac_f32_e32 v17, v6, v21
	v_fmac_f32_e32 v17, v7, v22
	s_waitcnt lgkmcnt(2)
	s_delay_alu instid0(VALU_DEP_1) | instskip(NEXT) | instid1(VALU_DEP_1)
	v_fmac_f32_e32 v17, v8, v23
	v_fmac_f32_e32 v17, v9, v24
	s_delay_alu instid0(VALU_DEP_1) | instskip(NEXT) | instid1(VALU_DEP_1)
	v_fmac_f32_e32 v17, v10, v25
	v_fmac_f32_e32 v17, v11, v26
	s_waitcnt lgkmcnt(1)
	s_delay_alu instid0(VALU_DEP_1) | instskip(NEXT) | instid1(VALU_DEP_1)
	v_fmac_f32_e32 v17, v12, v15
	v_fmac_f32_e32 v17, v13, v16
	s_waitcnt lgkmcnt(0)
	s_delay_alu instid0(VALU_DEP_1) | instskip(NEXT) | instid1(VALU_DEP_1)
	v_fmac_f32_e32 v17, v14, v19
	v_sub_f32_e32 v3, v3, v17
	v_cmpx_ne_u32_e32 0, v0
	s_cbranch_execz .LBB76_98
; %bb.97:
	s_delay_alu instid0(VALU_DEP_2)
	v_dual_mov_b32 v19, v3 :: v_dual_mov_b32 v20, v4
	v_dual_mov_b32 v21, v5 :: v_dual_mov_b32 v22, v6
	v_dual_mov_b32 v23, v7 :: v_dual_mov_b32 v24, v8
	v_dual_mov_b32 v25, v9 :: v_dual_mov_b32 v26, v10
	v_dual_mov_b32 v27, v11 :: v_dual_mov_b32 v28, v12
	v_dual_mov_b32 v29, v13 :: v_dual_mov_b32 v30, v14
	ds_store_b32 v1, v2
	v_dual_mov_b32 v2, v18 :: v_dual_mov_b32 v3, v19
	v_dual_mov_b32 v4, v20 :: v_dual_mov_b32 v5, v21
	;; [unrolled: 1-line block ×8, first 2 shown]
.LBB76_98:
	s_or_b32 exec_lo, exec_lo, s0
	s_waitcnt lgkmcnt(0)
	s_barrier
	buffer_gl0_inv
	ds_load_2addr_b32 v[0:1], v18 offset0:17 offset1:18
	ds_load_2addr_b32 v[15:16], v18 offset0:19 offset1:20
	;; [unrolled: 1-line block ×4, first 2 shown]
	s_and_b32 vcc_lo, exec_lo, s12
	s_waitcnt lgkmcnt(3)
	v_fma_f32 v17, v3, v0, 0
	s_delay_alu instid0(VALU_DEP_1) | instskip(SKIP_3) | instid1(VALU_DEP_1)
	v_fmac_f32_e32 v17, v4, v1
	ds_load_2addr_b32 v[0:1], v18 offset0:25 offset1:26
	s_waitcnt lgkmcnt(3)
	v_fmac_f32_e32 v17, v5, v15
	v_fmac_f32_e32 v17, v6, v16
	ds_load_2addr_b32 v[15:16], v18 offset0:27 offset1:28
	s_waitcnt lgkmcnt(3)
	v_fmac_f32_e32 v17, v7, v19
	s_delay_alu instid0(VALU_DEP_1) | instskip(SKIP_1) | instid1(VALU_DEP_1)
	v_fmac_f32_e32 v17, v8, v20
	s_waitcnt lgkmcnt(2)
	v_fmac_f32_e32 v17, v9, v21
	s_delay_alu instid0(VALU_DEP_1) | instskip(SKIP_1) | instid1(VALU_DEP_1)
	v_fmac_f32_e32 v17, v10, v22
	;; [unrolled: 4-line block ×3, first 2 shown]
	s_waitcnt lgkmcnt(0)
	v_fmac_f32_e32 v17, v13, v15
	s_delay_alu instid0(VALU_DEP_1) | instskip(NEXT) | instid1(VALU_DEP_1)
	v_fmac_f32_e32 v17, v14, v16
	v_sub_f32_e32 v2, v2, v17
	s_cbranch_vccz .LBB76_124
; %bb.99:
	v_dual_mov_b32 v0, s8 :: v_dual_mov_b32 v1, s9
	s_mov_b32 s10, exec_lo
	flat_load_b32 v0, v[0:1] offset:44
	s_waitcnt vmcnt(0) lgkmcnt(0)
	v_add_nc_u32_e32 v0, -1, v0
	s_delay_alu instid0(VALU_DEP_1)
	v_cmpx_ne_u32_e32 11, v0
	s_cbranch_execz .LBB76_101
; %bb.100:
	v_cmp_eq_u32_e32 vcc_lo, 1, v0
	v_cmp_eq_u32_e64 s2, 4, v0
	v_cmp_eq_u32_e64 s3, 5, v0
	;; [unrolled: 1-line block ×7, first 2 shown]
	v_cndmask_b32_e64 v18, v6, v13, s2
	v_cndmask_b32_e64 v19, v7, v13, s3
	;; [unrolled: 1-line block ×6, first 2 shown]
	v_cndmask_b32_e32 v1, v2, v3, vcc_lo
	v_cmp_eq_u32_e64 s1, 3, v0
	v_cndmask_b32_e64 v16, v4, v13, s0
	v_cndmask_b32_e32 v15, v3, v13, vcc_lo
	v_cmp_eq_u32_e32 vcc_lo, 11, v0
	v_cndmask_b32_e64 v1, v1, v4, s0
	v_cmp_eq_u32_e64 s0, 10, v0
	v_cndmask_b32_e64 v17, v5, v13, s1
	s_delay_alu instid0(VALU_DEP_3) | instskip(SKIP_1) | instid1(VALU_DEP_4)
	v_cndmask_b32_e64 v1, v1, v5, s1
	v_cmp_eq_u32_e64 s1, 12, v0
	v_cndmask_b32_e64 v24, v12, v13, s0
	s_delay_alu instid0(VALU_DEP_3) | instskip(NEXT) | instid1(VALU_DEP_3)
	v_cndmask_b32_e64 v1, v1, v6, s2
	v_cndmask_b32_e64 v26, v14, v13, s1
	s_delay_alu instid0(VALU_DEP_2) | instskip(NEXT) | instid1(VALU_DEP_1)
	v_cndmask_b32_e64 v1, v1, v7, s3
	v_cndmask_b32_e64 v1, v1, v8, s4
	s_delay_alu instid0(VALU_DEP_1) | instskip(NEXT) | instid1(VALU_DEP_1)
	v_cndmask_b32_e64 v1, v1, v9, s5
	v_cndmask_b32_e64 v1, v1, v10, s6
	s_delay_alu instid0(VALU_DEP_1) | instskip(NEXT) | instid1(VALU_DEP_1)
	;; [unrolled: 3-line block ×3, first 2 shown]
	v_cndmask_b32_e32 v1, v1, v13, vcc_lo
	v_cndmask_b32_e64 v1, v1, v14, s1
	s_delay_alu instid0(VALU_DEP_1) | instskip(SKIP_2) | instid1(VALU_DEP_1)
	v_cndmask_b32_e32 v25, v1, v13, vcc_lo
	v_cmp_eq_u32_e32 vcc_lo, 0, v0
	v_cndmask_b32_e32 v14, v2, v13, vcc_lo
	v_mov_b32_e32 v2, v14
	v_dual_mov_b32 v3, v15 :: v_dual_mov_b32 v6, v18
	v_dual_mov_b32 v4, v16 :: v_dual_mov_b32 v5, v17
	;; [unrolled: 1-line block ×6, first 2 shown]
	v_mov_b32_e32 v15, v27
	v_mov_b32_e32 v16, v28
	;; [unrolled: 1-line block ×3, first 2 shown]
.LBB76_101:
	s_or_b32 exec_lo, exec_lo, s10
	v_dual_mov_b32 v0, s8 :: v_dual_mov_b32 v1, s9
	s_mov_b32 s10, exec_lo
	flat_load_b32 v0, v[0:1] offset:40
	s_waitcnt vmcnt(0) lgkmcnt(0)
	v_add_nc_u32_e32 v0, -1, v0
	s_delay_alu instid0(VALU_DEP_1)
	v_cmpx_ne_u32_e32 10, v0
	s_cbranch_execz .LBB76_103
; %bb.102:
	v_cmp_eq_u32_e32 vcc_lo, 1, v0
	v_cmp_eq_u32_e64 s2, 4, v0
	v_cmp_eq_u32_e64 s3, 5, v0
	;; [unrolled: 1-line block ×7, first 2 shown]
	v_cndmask_b32_e64 v18, v6, v12, s2
	v_cndmask_b32_e64 v19, v7, v12, s3
	;; [unrolled: 1-line block ×6, first 2 shown]
	v_cndmask_b32_e32 v1, v2, v3, vcc_lo
	v_cmp_eq_u32_e64 s1, 3, v0
	v_cndmask_b32_e64 v16, v4, v12, s0
	v_cndmask_b32_e32 v15, v3, v12, vcc_lo
	v_cmp_eq_u32_e32 vcc_lo, 11, v0
	v_cndmask_b32_e64 v1, v1, v4, s0
	v_cmp_eq_u32_e64 s0, 10, v0
	v_cndmask_b32_e64 v17, v5, v12, s1
	v_cndmask_b32_e32 v25, v13, v12, vcc_lo
	s_delay_alu instid0(VALU_DEP_4) | instskip(SKIP_1) | instid1(VALU_DEP_2)
	v_cndmask_b32_e64 v1, v1, v5, s1
	v_cmp_eq_u32_e64 s1, 12, v0
	v_cndmask_b32_e64 v1, v1, v6, s2
	s_delay_alu instid0(VALU_DEP_2) | instskip(NEXT) | instid1(VALU_DEP_2)
	v_cndmask_b32_e64 v26, v14, v12, s1
	v_cndmask_b32_e64 v1, v1, v7, s3
	s_delay_alu instid0(VALU_DEP_1) | instskip(NEXT) | instid1(VALU_DEP_1)
	v_cndmask_b32_e64 v1, v1, v8, s4
	v_cndmask_b32_e64 v1, v1, v9, s5
	s_delay_alu instid0(VALU_DEP_1) | instskip(NEXT) | instid1(VALU_DEP_1)
	;; [unrolled: 3-line block ×3, first 2 shown]
	v_cndmask_b32_e64 v1, v1, v12, s0
	v_cndmask_b32_e32 v1, v1, v13, vcc_lo
	v_cmp_eq_u32_e32 vcc_lo, 0, v0
	s_delay_alu instid0(VALU_DEP_2) | instskip(SKIP_1) | instid1(VALU_DEP_2)
	v_cndmask_b32_e64 v1, v1, v14, s1
	v_cndmask_b32_e32 v14, v2, v12, vcc_lo
	v_cndmask_b32_e64 v24, v1, v12, s0
	s_delay_alu instid0(VALU_DEP_2)
	v_mov_b32_e32 v2, v14
	v_dual_mov_b32 v3, v15 :: v_dual_mov_b32 v6, v18
	v_dual_mov_b32 v4, v16 :: v_dual_mov_b32 v5, v17
	;; [unrolled: 1-line block ×6, first 2 shown]
	v_mov_b32_e32 v15, v27
	v_mov_b32_e32 v16, v28
	;; [unrolled: 1-line block ×3, first 2 shown]
.LBB76_103:
	s_or_b32 exec_lo, exec_lo, s10
	v_dual_mov_b32 v0, s8 :: v_dual_mov_b32 v1, s9
	s_mov_b32 s10, exec_lo
	flat_load_b32 v0, v[0:1] offset:36
	s_waitcnt vmcnt(0) lgkmcnt(0)
	v_add_nc_u32_e32 v0, -1, v0
	s_delay_alu instid0(VALU_DEP_1)
	v_cmpx_ne_u32_e32 9, v0
	s_cbranch_execz .LBB76_105
; %bb.104:
	v_cmp_eq_u32_e32 vcc_lo, 1, v0
	v_cmp_eq_u32_e64 s2, 4, v0
	v_cmp_eq_u32_e64 s3, 5, v0
	;; [unrolled: 1-line block ×6, first 2 shown]
	v_cndmask_b32_e64 v18, v6, v11, s2
	v_cndmask_b32_e64 v19, v7, v11, s3
	;; [unrolled: 1-line block ×5, first 2 shown]
	v_cndmask_b32_e32 v1, v2, v3, vcc_lo
	v_cmp_eq_u32_e64 s1, 3, v0
	v_cmp_eq_u32_e64 s7, 9, v0
	v_cndmask_b32_e64 v16, v4, v11, s0
	v_cndmask_b32_e32 v15, v3, v11, vcc_lo
	v_cndmask_b32_e64 v1, v1, v4, s0
	v_cmp_eq_u32_e64 s0, 10, v0
	v_cmp_eq_u32_e32 vcc_lo, 11, v0
	v_cndmask_b32_e64 v17, v5, v11, s1
	s_delay_alu instid0(VALU_DEP_4) | instskip(SKIP_3) | instid1(VALU_DEP_4)
	v_cndmask_b32_e64 v1, v1, v5, s1
	v_cmp_eq_u32_e64 s1, 12, v0
	v_cndmask_b32_e32 v25, v13, v11, vcc_lo
	v_cndmask_b32_e64 v24, v12, v11, s0
	v_cndmask_b32_e64 v1, v1, v6, s2
	s_delay_alu instid0(VALU_DEP_4) | instskip(NEXT) | instid1(VALU_DEP_2)
	v_cndmask_b32_e64 v26, v14, v11, s1
	v_cndmask_b32_e64 v1, v1, v7, s3
	s_delay_alu instid0(VALU_DEP_1) | instskip(NEXT) | instid1(VALU_DEP_1)
	v_cndmask_b32_e64 v1, v1, v8, s4
	v_cndmask_b32_e64 v1, v1, v9, s5
	s_delay_alu instid0(VALU_DEP_1) | instskip(NEXT) | instid1(VALU_DEP_1)
	;; [unrolled: 3-line block ×3, first 2 shown]
	v_cndmask_b32_e64 v1, v1, v12, s0
	v_cndmask_b32_e32 v1, v1, v13, vcc_lo
	v_cmp_eq_u32_e32 vcc_lo, 0, v0
	s_delay_alu instid0(VALU_DEP_2) | instskip(SKIP_1) | instid1(VALU_DEP_2)
	v_cndmask_b32_e64 v1, v1, v14, s1
	v_cndmask_b32_e32 v14, v2, v11, vcc_lo
	v_cndmask_b32_e64 v23, v1, v11, s7
	s_delay_alu instid0(VALU_DEP_2)
	v_mov_b32_e32 v2, v14
	v_dual_mov_b32 v3, v15 :: v_dual_mov_b32 v6, v18
	v_dual_mov_b32 v4, v16 :: v_dual_mov_b32 v5, v17
	;; [unrolled: 1-line block ×6, first 2 shown]
	v_mov_b32_e32 v15, v27
	v_mov_b32_e32 v16, v28
	;; [unrolled: 1-line block ×3, first 2 shown]
.LBB76_105:
	s_or_b32 exec_lo, exec_lo, s10
	v_dual_mov_b32 v0, s8 :: v_dual_mov_b32 v1, s9
	s_mov_b32 s10, exec_lo
	flat_load_b32 v0, v[0:1] offset:32
	s_waitcnt vmcnt(0) lgkmcnt(0)
	v_add_nc_u32_e32 v0, -1, v0
	s_delay_alu instid0(VALU_DEP_1)
	v_cmpx_ne_u32_e32 8, v0
	s_cbranch_execz .LBB76_107
; %bb.106:
	v_cmp_eq_u32_e32 vcc_lo, 1, v0
	v_cmp_eq_u32_e64 s2, 4, v0
	v_cmp_eq_u32_e64 s3, 5, v0
	;; [unrolled: 1-line block ×6, first 2 shown]
	v_cndmask_b32_e64 v18, v6, v10, s2
	v_cndmask_b32_e64 v19, v7, v10, s3
	v_cndmask_b32_e64 v20, v8, v10, s4
	v_cndmask_b32_e64 v21, v9, v10, s5
	v_cndmask_b32_e64 v23, v11, v10, s7
	v_cndmask_b32_e32 v1, v2, v3, vcc_lo
	v_cmp_eq_u32_e64 s1, 3, v0
	v_cmp_eq_u32_e64 s6, 8, v0
	v_cndmask_b32_e64 v16, v4, v10, s0
	v_cndmask_b32_e32 v15, v3, v10, vcc_lo
	v_cndmask_b32_e64 v1, v1, v4, s0
	v_cmp_eq_u32_e64 s0, 10, v0
	v_cmp_eq_u32_e32 vcc_lo, 11, v0
	v_cndmask_b32_e64 v17, v5, v10, s1
	s_delay_alu instid0(VALU_DEP_4) | instskip(SKIP_3) | instid1(VALU_DEP_4)
	v_cndmask_b32_e64 v1, v1, v5, s1
	v_cmp_eq_u32_e64 s1, 12, v0
	v_cndmask_b32_e32 v25, v13, v10, vcc_lo
	v_cndmask_b32_e64 v24, v12, v10, s0
	v_cndmask_b32_e64 v1, v1, v6, s2
	s_delay_alu instid0(VALU_DEP_4) | instskip(NEXT) | instid1(VALU_DEP_2)
	v_cndmask_b32_e64 v26, v14, v10, s1
	v_cndmask_b32_e64 v1, v1, v7, s3
	s_delay_alu instid0(VALU_DEP_1) | instskip(NEXT) | instid1(VALU_DEP_1)
	v_cndmask_b32_e64 v1, v1, v8, s4
	v_cndmask_b32_e64 v1, v1, v9, s5
	s_delay_alu instid0(VALU_DEP_1) | instskip(NEXT) | instid1(VALU_DEP_1)
	;; [unrolled: 3-line block ×3, first 2 shown]
	v_cndmask_b32_e64 v1, v1, v12, s0
	v_cndmask_b32_e32 v1, v1, v13, vcc_lo
	v_cmp_eq_u32_e32 vcc_lo, 0, v0
	s_delay_alu instid0(VALU_DEP_2) | instskip(SKIP_1) | instid1(VALU_DEP_2)
	v_cndmask_b32_e64 v1, v1, v14, s1
	v_cndmask_b32_e32 v14, v2, v10, vcc_lo
	v_cndmask_b32_e64 v22, v1, v10, s6
	s_delay_alu instid0(VALU_DEP_2)
	v_mov_b32_e32 v2, v14
	v_dual_mov_b32 v3, v15 :: v_dual_mov_b32 v6, v18
	v_dual_mov_b32 v4, v16 :: v_dual_mov_b32 v5, v17
	;; [unrolled: 1-line block ×6, first 2 shown]
	v_mov_b32_e32 v15, v27
	v_mov_b32_e32 v16, v28
	;; [unrolled: 1-line block ×3, first 2 shown]
.LBB76_107:
	s_or_b32 exec_lo, exec_lo, s10
	v_dual_mov_b32 v0, s8 :: v_dual_mov_b32 v1, s9
	s_mov_b32 s10, exec_lo
	flat_load_b32 v0, v[0:1] offset:28
	s_waitcnt vmcnt(0) lgkmcnt(0)
	v_add_nc_u32_e32 v0, -1, v0
	s_delay_alu instid0(VALU_DEP_1)
	v_cmpx_ne_u32_e32 7, v0
	s_cbranch_execz .LBB76_109
; %bb.108:
	v_cmp_eq_u32_e32 vcc_lo, 1, v0
	v_cmp_eq_u32_e64 s2, 4, v0
	v_cmp_eq_u32_e64 s3, 5, v0
	v_cmp_eq_u32_e64 s4, 6, v0
	v_cmp_eq_u32_e64 s6, 8, v0
	v_cmp_eq_u32_e64 s7, 9, v0
	v_cmp_eq_u32_e64 s0, 2, v0
	v_cndmask_b32_e64 v18, v6, v9, s2
	v_cndmask_b32_e64 v19, v7, v9, s3
	;; [unrolled: 1-line block ×5, first 2 shown]
	v_cndmask_b32_e32 v1, v2, v3, vcc_lo
	v_cmp_eq_u32_e64 s1, 3, v0
	v_cmp_eq_u32_e64 s5, 7, v0
	v_cndmask_b32_e64 v16, v4, v9, s0
	v_cndmask_b32_e32 v15, v3, v9, vcc_lo
	v_cndmask_b32_e64 v1, v1, v4, s0
	v_cmp_eq_u32_e64 s0, 10, v0
	v_cndmask_b32_e64 v17, v5, v9, s1
	v_cmp_eq_u32_e32 vcc_lo, 11, v0
	s_delay_alu instid0(VALU_DEP_4) | instskip(SKIP_3) | instid1(VALU_DEP_4)
	v_cndmask_b32_e64 v1, v1, v5, s1
	v_cmp_eq_u32_e64 s1, 12, v0
	v_cndmask_b32_e64 v24, v12, v9, s0
	v_cndmask_b32_e32 v25, v13, v9, vcc_lo
	v_cndmask_b32_e64 v1, v1, v6, s2
	s_delay_alu instid0(VALU_DEP_4) | instskip(NEXT) | instid1(VALU_DEP_2)
	v_cndmask_b32_e64 v26, v14, v9, s1
	v_cndmask_b32_e64 v1, v1, v7, s3
	s_delay_alu instid0(VALU_DEP_1) | instskip(NEXT) | instid1(VALU_DEP_1)
	v_cndmask_b32_e64 v1, v1, v8, s4
	v_cndmask_b32_e64 v1, v1, v9, s5
	s_delay_alu instid0(VALU_DEP_1) | instskip(NEXT) | instid1(VALU_DEP_1)
	;; [unrolled: 3-line block ×3, first 2 shown]
	v_cndmask_b32_e64 v1, v1, v12, s0
	v_cndmask_b32_e32 v1, v1, v13, vcc_lo
	v_cmp_eq_u32_e32 vcc_lo, 0, v0
	s_delay_alu instid0(VALU_DEP_2) | instskip(SKIP_1) | instid1(VALU_DEP_2)
	v_cndmask_b32_e64 v1, v1, v14, s1
	v_cndmask_b32_e32 v14, v2, v9, vcc_lo
	v_cndmask_b32_e64 v21, v1, v9, s5
	s_delay_alu instid0(VALU_DEP_2)
	v_mov_b32_e32 v2, v14
	v_dual_mov_b32 v3, v15 :: v_dual_mov_b32 v6, v18
	v_dual_mov_b32 v4, v16 :: v_dual_mov_b32 v5, v17
	;; [unrolled: 1-line block ×6, first 2 shown]
	v_mov_b32_e32 v15, v27
	v_mov_b32_e32 v16, v28
	;; [unrolled: 1-line block ×3, first 2 shown]
.LBB76_109:
	s_or_b32 exec_lo, exec_lo, s10
	v_dual_mov_b32 v0, s8 :: v_dual_mov_b32 v1, s9
	s_mov_b32 s10, exec_lo
	flat_load_b32 v0, v[0:1] offset:24
	s_waitcnt vmcnt(0) lgkmcnt(0)
	v_add_nc_u32_e32 v0, -1, v0
	s_delay_alu instid0(VALU_DEP_1)
	v_cmpx_ne_u32_e32 6, v0
	s_cbranch_execz .LBB76_111
; %bb.110:
	v_cmp_eq_u32_e32 vcc_lo, 1, v0
	v_cmp_eq_u32_e64 s2, 4, v0
	v_cmp_eq_u32_e64 s3, 5, v0
	;; [unrolled: 1-line block ×6, first 2 shown]
	v_cndmask_b32_e64 v18, v6, v8, s2
	v_cndmask_b32_e64 v19, v7, v8, s3
	v_cndmask_b32_e64 v21, v9, v8, s5
	v_cndmask_b32_e64 v22, v10, v8, s6
	v_cndmask_b32_e64 v23, v11, v8, s7
	v_cndmask_b32_e32 v1, v2, v3, vcc_lo
	v_cmp_eq_u32_e64 s1, 3, v0
	v_cmp_eq_u32_e64 s4, 6, v0
	v_cndmask_b32_e64 v16, v4, v8, s0
	v_cndmask_b32_e32 v15, v3, v8, vcc_lo
	v_cndmask_b32_e64 v1, v1, v4, s0
	v_cmp_eq_u32_e64 s0, 10, v0
	v_cmp_eq_u32_e32 vcc_lo, 11, v0
	v_cndmask_b32_e64 v17, v5, v8, s1
	s_delay_alu instid0(VALU_DEP_4) | instskip(SKIP_3) | instid1(VALU_DEP_4)
	v_cndmask_b32_e64 v1, v1, v5, s1
	v_cmp_eq_u32_e64 s1, 12, v0
	v_cndmask_b32_e32 v25, v13, v8, vcc_lo
	v_cndmask_b32_e64 v24, v12, v8, s0
	v_cndmask_b32_e64 v1, v1, v6, s2
	s_delay_alu instid0(VALU_DEP_4) | instskip(NEXT) | instid1(VALU_DEP_2)
	v_cndmask_b32_e64 v26, v14, v8, s1
	v_cndmask_b32_e64 v1, v1, v7, s3
	s_delay_alu instid0(VALU_DEP_1) | instskip(NEXT) | instid1(VALU_DEP_1)
	v_cndmask_b32_e64 v1, v1, v8, s4
	v_cndmask_b32_e64 v1, v1, v9, s5
	s_delay_alu instid0(VALU_DEP_1) | instskip(NEXT) | instid1(VALU_DEP_1)
	;; [unrolled: 3-line block ×3, first 2 shown]
	v_cndmask_b32_e64 v1, v1, v12, s0
	v_cndmask_b32_e32 v1, v1, v13, vcc_lo
	v_cmp_eq_u32_e32 vcc_lo, 0, v0
	s_delay_alu instid0(VALU_DEP_2) | instskip(SKIP_1) | instid1(VALU_DEP_2)
	v_cndmask_b32_e64 v1, v1, v14, s1
	v_cndmask_b32_e32 v14, v2, v8, vcc_lo
	v_cndmask_b32_e64 v20, v1, v8, s4
	s_delay_alu instid0(VALU_DEP_2) | instskip(SKIP_2) | instid1(VALU_DEP_4)
	v_mov_b32_e32 v2, v14
	v_dual_mov_b32 v3, v15 :: v_dual_mov_b32 v6, v18
	v_dual_mov_b32 v4, v16 :: v_dual_mov_b32 v5, v17
	;; [unrolled: 1-line block ×6, first 2 shown]
	v_mov_b32_e32 v15, v27
	v_mov_b32_e32 v16, v28
	;; [unrolled: 1-line block ×3, first 2 shown]
.LBB76_111:
	s_or_b32 exec_lo, exec_lo, s10
	v_dual_mov_b32 v0, s8 :: v_dual_mov_b32 v1, s9
	s_mov_b32 s10, exec_lo
	flat_load_b32 v0, v[0:1] offset:20
	s_waitcnt vmcnt(0) lgkmcnt(0)
	v_add_nc_u32_e32 v0, -1, v0
	s_delay_alu instid0(VALU_DEP_1)
	v_cmpx_ne_u32_e32 5, v0
	s_cbranch_execz .LBB76_113
; %bb.112:
	v_cmp_eq_u32_e32 vcc_lo, 1, v0
	v_cmp_eq_u32_e64 s2, 4, v0
	v_cmp_eq_u32_e64 s4, 6, v0
	v_cmp_eq_u32_e64 s5, 7, v0
	v_cmp_eq_u32_e64 s6, 8, v0
	v_cmp_eq_u32_e64 s7, 9, v0
	v_cmp_eq_u32_e64 s0, 2, v0
	v_cndmask_b32_e64 v18, v6, v7, s2
	v_cndmask_b32_e64 v20, v8, v7, s4
	;; [unrolled: 1-line block ×5, first 2 shown]
	v_cndmask_b32_e32 v1, v2, v3, vcc_lo
	v_cmp_eq_u32_e64 s1, 3, v0
	v_cmp_eq_u32_e64 s3, 5, v0
	v_cndmask_b32_e64 v16, v4, v7, s0
	v_cndmask_b32_e32 v15, v3, v7, vcc_lo
	v_cndmask_b32_e64 v1, v1, v4, s0
	v_cmp_eq_u32_e64 s0, 10, v0
	v_cmp_eq_u32_e32 vcc_lo, 11, v0
	v_cndmask_b32_e64 v17, v5, v7, s1
	s_delay_alu instid0(VALU_DEP_4) | instskip(SKIP_3) | instid1(VALU_DEP_4)
	v_cndmask_b32_e64 v1, v1, v5, s1
	v_cmp_eq_u32_e64 s1, 12, v0
	v_cndmask_b32_e32 v25, v13, v7, vcc_lo
	v_cndmask_b32_e64 v24, v12, v7, s0
	v_cndmask_b32_e64 v1, v1, v6, s2
	s_delay_alu instid0(VALU_DEP_4) | instskip(NEXT) | instid1(VALU_DEP_2)
	v_cndmask_b32_e64 v26, v14, v7, s1
	v_cndmask_b32_e64 v1, v1, v7, s3
	s_delay_alu instid0(VALU_DEP_1) | instskip(NEXT) | instid1(VALU_DEP_1)
	v_cndmask_b32_e64 v1, v1, v8, s4
	v_cndmask_b32_e64 v1, v1, v9, s5
	s_delay_alu instid0(VALU_DEP_1) | instskip(NEXT) | instid1(VALU_DEP_1)
	;; [unrolled: 3-line block ×3, first 2 shown]
	v_cndmask_b32_e64 v1, v1, v12, s0
	v_cndmask_b32_e32 v1, v1, v13, vcc_lo
	v_cmp_eq_u32_e32 vcc_lo, 0, v0
	s_delay_alu instid0(VALU_DEP_2) | instskip(SKIP_1) | instid1(VALU_DEP_2)
	v_cndmask_b32_e64 v1, v1, v14, s1
	v_cndmask_b32_e32 v14, v2, v7, vcc_lo
	v_cndmask_b32_e64 v19, v1, v7, s3
	s_delay_alu instid0(VALU_DEP_2) | instskip(SKIP_2) | instid1(VALU_DEP_4)
	v_mov_b32_e32 v2, v14
	v_dual_mov_b32 v3, v15 :: v_dual_mov_b32 v6, v18
	v_dual_mov_b32 v4, v16 :: v_dual_mov_b32 v5, v17
	;; [unrolled: 1-line block ×6, first 2 shown]
	v_mov_b32_e32 v15, v27
	v_mov_b32_e32 v16, v28
	;; [unrolled: 1-line block ×3, first 2 shown]
.LBB76_113:
	s_or_b32 exec_lo, exec_lo, s10
	v_dual_mov_b32 v0, s8 :: v_dual_mov_b32 v1, s9
	s_mov_b32 s10, exec_lo
	flat_load_b32 v0, v[0:1] offset:16
	s_waitcnt vmcnt(0) lgkmcnt(0)
	v_add_nc_u32_e32 v0, -1, v0
	s_delay_alu instid0(VALU_DEP_1)
	v_cmpx_ne_u32_e32 4, v0
	s_cbranch_execz .LBB76_115
; %bb.114:
	v_cmp_eq_u32_e32 vcc_lo, 1, v0
	v_cmp_eq_u32_e64 s3, 5, v0
	v_cmp_eq_u32_e64 s4, 6, v0
	;; [unrolled: 1-line block ×6, first 2 shown]
	v_cndmask_b32_e64 v19, v7, v6, s3
	v_cndmask_b32_e64 v20, v8, v6, s4
	;; [unrolled: 1-line block ×5, first 2 shown]
	v_cndmask_b32_e32 v1, v2, v3, vcc_lo
	v_cmp_eq_u32_e64 s1, 3, v0
	v_cmp_eq_u32_e64 s2, 4, v0
	v_cndmask_b32_e64 v16, v4, v6, s0
	v_cndmask_b32_e32 v15, v3, v6, vcc_lo
	v_cndmask_b32_e64 v1, v1, v4, s0
	v_cmp_eq_u32_e64 s0, 10, v0
	v_cmp_eq_u32_e32 vcc_lo, 11, v0
	v_cndmask_b32_e64 v17, v5, v6, s1
	s_delay_alu instid0(VALU_DEP_4) | instskip(SKIP_3) | instid1(VALU_DEP_4)
	v_cndmask_b32_e64 v1, v1, v5, s1
	v_cmp_eq_u32_e64 s1, 12, v0
	v_cndmask_b32_e32 v25, v13, v6, vcc_lo
	v_cndmask_b32_e64 v24, v12, v6, s0
	v_cndmask_b32_e64 v1, v1, v6, s2
	s_delay_alu instid0(VALU_DEP_4) | instskip(NEXT) | instid1(VALU_DEP_2)
	v_cndmask_b32_e64 v26, v14, v6, s1
	v_cndmask_b32_e64 v1, v1, v7, s3
	s_delay_alu instid0(VALU_DEP_1) | instskip(NEXT) | instid1(VALU_DEP_1)
	v_cndmask_b32_e64 v1, v1, v8, s4
	v_cndmask_b32_e64 v1, v1, v9, s5
	s_delay_alu instid0(VALU_DEP_1) | instskip(NEXT) | instid1(VALU_DEP_1)
	;; [unrolled: 3-line block ×3, first 2 shown]
	v_cndmask_b32_e64 v1, v1, v12, s0
	v_cndmask_b32_e32 v1, v1, v13, vcc_lo
	v_cmp_eq_u32_e32 vcc_lo, 0, v0
	s_delay_alu instid0(VALU_DEP_2) | instskip(SKIP_1) | instid1(VALU_DEP_2)
	v_cndmask_b32_e64 v1, v1, v14, s1
	v_cndmask_b32_e32 v14, v2, v6, vcc_lo
	v_cndmask_b32_e64 v18, v1, v6, s2
	s_delay_alu instid0(VALU_DEP_2) | instskip(SKIP_2) | instid1(VALU_DEP_4)
	v_mov_b32_e32 v2, v14
	v_dual_mov_b32 v3, v15 :: v_dual_mov_b32 v4, v16
	v_dual_mov_b32 v5, v17 :: v_dual_mov_b32 v8, v20
	;; [unrolled: 1-line block ×6, first 2 shown]
	v_mov_b32_e32 v15, v27
	v_mov_b32_e32 v16, v28
	;; [unrolled: 1-line block ×3, first 2 shown]
.LBB76_115:
	s_or_b32 exec_lo, exec_lo, s10
	v_dual_mov_b32 v0, s8 :: v_dual_mov_b32 v1, s9
	s_mov_b32 s10, exec_lo
	flat_load_b32 v0, v[0:1] offset:12
	s_waitcnt vmcnt(0) lgkmcnt(0)
	v_add_nc_u32_e32 v0, -1, v0
	s_delay_alu instid0(VALU_DEP_1)
	v_cmpx_ne_u32_e32 3, v0
	s_cbranch_execz .LBB76_117
; %bb.116:
	v_cmp_eq_u32_e32 vcc_lo, 1, v0
	v_cmp_eq_u32_e64 s2, 4, v0
	v_cmp_eq_u32_e64 s3, 5, v0
	;; [unrolled: 1-line block ×7, first 2 shown]
	v_cndmask_b32_e64 v18, v6, v5, s2
	v_cndmask_b32_e64 v19, v7, v5, s3
	;; [unrolled: 1-line block ×6, first 2 shown]
	v_cndmask_b32_e32 v1, v2, v3, vcc_lo
	v_cmp_eq_u32_e64 s1, 3, v0
	v_cndmask_b32_e64 v16, v4, v5, s0
	v_cndmask_b32_e32 v15, v3, v5, vcc_lo
	v_cmp_eq_u32_e32 vcc_lo, 11, v0
	v_cndmask_b32_e64 v1, v1, v4, s0
	v_cmp_eq_u32_e64 s0, 10, v0
	v_cndmask_b32_e32 v25, v13, v5, vcc_lo
	s_delay_alu instid0(VALU_DEP_3) | instskip(NEXT) | instid1(VALU_DEP_3)
	v_cndmask_b32_e64 v1, v1, v5, s1
	v_cndmask_b32_e64 v24, v12, v5, s0
	s_delay_alu instid0(VALU_DEP_2) | instskip(SKIP_1) | instid1(VALU_DEP_2)
	v_cndmask_b32_e64 v1, v1, v6, s2
	v_cmp_eq_u32_e64 s2, 12, v0
	v_cndmask_b32_e64 v1, v1, v7, s3
	s_delay_alu instid0(VALU_DEP_2) | instskip(NEXT) | instid1(VALU_DEP_2)
	v_cndmask_b32_e64 v26, v14, v5, s2
	v_cndmask_b32_e64 v1, v1, v8, s4
	s_delay_alu instid0(VALU_DEP_1) | instskip(NEXT) | instid1(VALU_DEP_1)
	v_cndmask_b32_e64 v1, v1, v9, s5
	v_cndmask_b32_e64 v1, v1, v10, s6
	s_delay_alu instid0(VALU_DEP_1) | instskip(NEXT) | instid1(VALU_DEP_1)
	v_cndmask_b32_e64 v1, v1, v11, s7
	v_cndmask_b32_e64 v1, v1, v12, s0
	s_delay_alu instid0(VALU_DEP_1) | instskip(SKIP_1) | instid1(VALU_DEP_2)
	v_cndmask_b32_e32 v1, v1, v13, vcc_lo
	v_cmp_eq_u32_e32 vcc_lo, 0, v0
	v_cndmask_b32_e64 v1, v1, v14, s2
	v_cndmask_b32_e32 v14, v2, v5, vcc_lo
	s_delay_alu instid0(VALU_DEP_2) | instskip(NEXT) | instid1(VALU_DEP_2)
	v_cndmask_b32_e64 v17, v1, v5, s1
	v_mov_b32_e32 v2, v14
	v_dual_mov_b32 v3, v15 :: v_dual_mov_b32 v6, v18
	s_delay_alu instid0(VALU_DEP_3)
	v_dual_mov_b32 v4, v16 :: v_dual_mov_b32 v5, v17
	v_dual_mov_b32 v8, v20 :: v_dual_mov_b32 v7, v19
	;; [unrolled: 1-line block ×5, first 2 shown]
	v_mov_b32_e32 v15, v27
	v_mov_b32_e32 v16, v28
	;; [unrolled: 1-line block ×3, first 2 shown]
.LBB76_117:
	s_or_b32 exec_lo, exec_lo, s10
	v_dual_mov_b32 v0, s8 :: v_dual_mov_b32 v1, s9
	s_mov_b32 s10, exec_lo
	flat_load_b32 v0, v[0:1] offset:8
	s_waitcnt vmcnt(0) lgkmcnt(0)
	v_add_nc_u32_e32 v0, -1, v0
	s_delay_alu instid0(VALU_DEP_1)
	v_cmpx_ne_u32_e32 2, v0
	s_cbranch_execz .LBB76_119
; %bb.118:
	v_cmp_eq_u32_e32 vcc_lo, 1, v0
	v_cmp_eq_u32_e64 s0, 2, v0
	v_cmp_eq_u32_e64 s1, 3, v0
	;; [unrolled: 1-line block ×4, first 2 shown]
	v_cndmask_b32_e32 v1, v2, v3, vcc_lo
	v_cndmask_b32_e32 v15, v3, v4, vcc_lo
	v_cmp_eq_u32_e32 vcc_lo, 10, v0
	v_cmp_eq_u32_e64 s4, 6, v0
	v_cmp_eq_u32_e64 s5, 7, v0
	;; [unrolled: 1-line block ×4, first 2 shown]
	v_cndmask_b32_e32 v24, v12, v4, vcc_lo
	v_cndmask_b32_e64 v1, v1, v4, s0
	v_cndmask_b32_e64 v17, v5, v4, s1
	;; [unrolled: 1-line block ×6, first 2 shown]
	v_cmp_eq_u32_e64 s1, 11, v0
	v_cndmask_b32_e64 v21, v9, v4, s5
	v_cndmask_b32_e64 v22, v10, v4, s6
	;; [unrolled: 1-line block ×4, first 2 shown]
	v_cmp_eq_u32_e64 s2, 12, v0
	v_cndmask_b32_e64 v25, v13, v4, s1
	s_delay_alu instid0(VALU_DEP_3) | instskip(NEXT) | instid1(VALU_DEP_3)
	v_cndmask_b32_e64 v1, v1, v7, s3
	v_cndmask_b32_e64 v26, v14, v4, s2
	s_delay_alu instid0(VALU_DEP_2) | instskip(NEXT) | instid1(VALU_DEP_1)
	v_cndmask_b32_e64 v1, v1, v8, s4
	v_cndmask_b32_e64 v1, v1, v9, s5
	s_delay_alu instid0(VALU_DEP_1) | instskip(NEXT) | instid1(VALU_DEP_1)
	v_cndmask_b32_e64 v1, v1, v10, s6
	v_cndmask_b32_e64 v1, v1, v11, s7
	s_delay_alu instid0(VALU_DEP_1) | instskip(SKIP_1) | instid1(VALU_DEP_2)
	v_cndmask_b32_e32 v1, v1, v12, vcc_lo
	v_cmp_eq_u32_e32 vcc_lo, 0, v0
	v_cndmask_b32_e64 v1, v1, v13, s1
	s_delay_alu instid0(VALU_DEP_1) | instskip(SKIP_1) | instid1(VALU_DEP_2)
	v_cndmask_b32_e64 v1, v1, v14, s2
	v_cndmask_b32_e32 v14, v2, v4, vcc_lo
	v_cndmask_b32_e64 v16, v1, v4, s0
	s_delay_alu instid0(VALU_DEP_2) | instskip(NEXT) | instid1(VALU_DEP_2)
	v_mov_b32_e32 v2, v14
	v_dual_mov_b32 v3, v15 :: v_dual_mov_b32 v4, v16
	v_dual_mov_b32 v5, v17 :: v_dual_mov_b32 v6, v18
	;; [unrolled: 1-line block ×6, first 2 shown]
	v_mov_b32_e32 v15, v27
	v_mov_b32_e32 v16, v28
	;; [unrolled: 1-line block ×3, first 2 shown]
.LBB76_119:
	s_or_b32 exec_lo, exec_lo, s10
	v_dual_mov_b32 v0, s8 :: v_dual_mov_b32 v1, s9
	s_mov_b32 s10, exec_lo
	flat_load_b32 v0, v[0:1] offset:4
	s_waitcnt vmcnt(0) lgkmcnt(0)
	v_add_nc_u32_e32 v0, -1, v0
	s_delay_alu instid0(VALU_DEP_1)
	v_cmpx_ne_u32_e32 1, v0
	s_cbranch_execz .LBB76_121
; %bb.120:
	v_cmp_eq_u32_e32 vcc_lo, 1, v0
	v_cmp_eq_u32_e64 s0, 2, v0
	v_cmp_eq_u32_e64 s1, 3, v0
	;; [unrolled: 1-line block ×8, first 2 shown]
	v_cndmask_b32_e64 v15, v4, v3, s0
	v_cndmask_b32_e64 v16, v5, v3, s1
	v_cndmask_b32_e64 v17, v6, v3, s2
	v_cndmask_b32_e64 v18, v7, v3, s3
	v_cndmask_b32_e64 v19, v8, v3, s4
	v_cndmask_b32_e64 v20, v9, v3, s5
	v_cndmask_b32_e64 v21, v10, v3, s6
	v_cndmask_b32_e64 v22, v11, v3, s7
	v_cndmask_b32_e32 v1, v2, v3, vcc_lo
	s_delay_alu instid0(VALU_DEP_1) | instskip(SKIP_1) | instid1(VALU_DEP_2)
	v_cndmask_b32_e64 v1, v1, v4, s0
	v_cmp_eq_u32_e64 s0, 10, v0
	v_cndmask_b32_e64 v1, v1, v5, s1
	v_cmp_eq_u32_e64 s1, 11, v0
	s_delay_alu instid0(VALU_DEP_3) | instskip(NEXT) | instid1(VALU_DEP_3)
	v_cndmask_b32_e64 v23, v12, v3, s0
	v_cndmask_b32_e64 v1, v1, v6, s2
	v_cmp_eq_u32_e64 s2, 12, v0
	s_delay_alu instid0(VALU_DEP_4) | instskip(NEXT) | instid1(VALU_DEP_3)
	v_cndmask_b32_e64 v24, v13, v3, s1
	v_cndmask_b32_e64 v1, v1, v7, s3
	s_delay_alu instid0(VALU_DEP_3) | instskip(NEXT) | instid1(VALU_DEP_2)
	v_cndmask_b32_e64 v25, v14, v3, s2
	v_cndmask_b32_e64 v1, v1, v8, s4
	s_delay_alu instid0(VALU_DEP_1) | instskip(NEXT) | instid1(VALU_DEP_1)
	v_cndmask_b32_e64 v1, v1, v9, s5
	v_cndmask_b32_e64 v1, v1, v10, s6
	s_delay_alu instid0(VALU_DEP_1) | instskip(NEXT) | instid1(VALU_DEP_1)
	;; [unrolled: 3-line block ×3, first 2 shown]
	v_cndmask_b32_e64 v1, v1, v13, s1
	v_cndmask_b32_e64 v1, v1, v14, s2
	s_delay_alu instid0(VALU_DEP_1) | instskip(SKIP_2) | instid1(VALU_DEP_1)
	v_cndmask_b32_e32 v14, v1, v3, vcc_lo
	v_cmp_eq_u32_e32 vcc_lo, 0, v0
	v_cndmask_b32_e32 v13, v2, v3, vcc_lo
	v_mov_b32_e32 v2, v13
	s_delay_alu instid0(VALU_DEP_4)
	v_dual_mov_b32 v3, v14 :: v_dual_mov_b32 v4, v15
	v_dual_mov_b32 v5, v16 :: v_dual_mov_b32 v6, v17
	;; [unrolled: 1-line block ×5, first 2 shown]
	v_mov_b32_e32 v13, v24
	v_mov_b32_e32 v14, v25
	;; [unrolled: 1-line block ×5, first 2 shown]
.LBB76_121:
	s_or_b32 exec_lo, exec_lo, s10
	v_dual_mov_b32 v0, s8 :: v_dual_mov_b32 v1, s9
	s_mov_b32 s8, exec_lo
	flat_load_b32 v0, v[0:1]
	s_waitcnt vmcnt(0) lgkmcnt(0)
	v_add_nc_u32_e32 v0, -1, v0
	s_delay_alu instid0(VALU_DEP_1)
	v_cmpx_ne_u32_e32 0, v0
	s_cbranch_execz .LBB76_123
; %bb.122:
	v_cmp_eq_u32_e32 vcc_lo, 1, v0
	v_cmp_eq_u32_e64 s0, 2, v0
	v_cmp_eq_u32_e64 s1, 3, v0
	v_cmp_eq_u32_e64 s2, 4, v0
	v_cmp_eq_u32_e64 s3, 5, v0
	v_cndmask_b32_e32 v1, v2, v3, vcc_lo
	v_cmp_eq_u32_e64 s4, 6, v0
	v_cmp_eq_u32_e64 s5, 7, v0
	;; [unrolled: 1-line block ×4, first 2 shown]
	v_cndmask_b32_e64 v1, v1, v4, s0
	v_cndmask_b32_e64 v15, v4, v2, s0
	v_cmp_eq_u32_e64 s0, 10, v0
	v_cndmask_b32_e64 v16, v5, v2, s1
	v_cndmask_b32_e64 v17, v6, v2, s2
	;; [unrolled: 1-line block ×3, first 2 shown]
	v_cmp_eq_u32_e64 s1, 11, v0
	v_cndmask_b32_e64 v23, v12, v2, s0
	v_cndmask_b32_e64 v18, v7, v2, s3
	;; [unrolled: 1-line block ×4, first 2 shown]
	v_cmp_eq_u32_e64 s2, 12, v0
	v_cndmask_b32_e64 v24, v13, v2, s1
	v_cndmask_b32_e64 v20, v9, v2, s5
	;; [unrolled: 1-line block ×6, first 2 shown]
	s_delay_alu instid0(VALU_DEP_3) | instskip(NEXT) | instid1(VALU_DEP_1)
	v_cndmask_b32_e64 v1, v1, v8, s4
	v_cndmask_b32_e64 v1, v1, v9, s5
	s_delay_alu instid0(VALU_DEP_1) | instskip(NEXT) | instid1(VALU_DEP_1)
	v_cndmask_b32_e64 v1, v1, v10, s6
	v_cndmask_b32_e64 v1, v1, v11, s7
	s_delay_alu instid0(VALU_DEP_1) | instskip(SKIP_1) | instid1(VALU_DEP_2)
	v_cndmask_b32_e64 v1, v1, v12, s0
	v_cmp_eq_u32_e64 s0, 0, v0
	v_cndmask_b32_e64 v1, v1, v13, s1
	s_delay_alu instid0(VALU_DEP_1) | instskip(SKIP_1) | instid1(VALU_DEP_2)
	v_cndmask_b32_e64 v1, v1, v14, s2
	v_cndmask_b32_e32 v14, v3, v2, vcc_lo
	v_cndmask_b32_e64 v13, v1, v2, s0
	s_delay_alu instid0(VALU_DEP_1) | instskip(NEXT) | instid1(VALU_DEP_3)
	v_mov_b32_e32 v2, v13
	v_dual_mov_b32 v3, v14 :: v_dual_mov_b32 v4, v15
	v_dual_mov_b32 v5, v16 :: v_dual_mov_b32 v6, v17
	;; [unrolled: 1-line block ×5, first 2 shown]
	v_mov_b32_e32 v13, v24
	v_mov_b32_e32 v14, v25
	;; [unrolled: 1-line block ×5, first 2 shown]
.LBB76_123:
	s_or_b32 exec_lo, exec_lo, s8
.LBB76_124:
	s_clause 0xc
	global_store_b32 v[31:32], v2, off
	global_store_b32 v[33:34], v3, off
	;; [unrolled: 1-line block ×13, first 2 shown]
	s_nop 0
	s_sendmsg sendmsg(MSG_DEALLOC_VGPRS)
	s_endpgm
	.section	.rodata,"a",@progbits
	.p2align	6, 0x0
	.amdhsa_kernel _ZN9rocsolver6v33100L18getri_kernel_smallILi13EfPKPfEEvT1_iilPiilS6_bb
		.amdhsa_group_segment_fixed_size 116
		.amdhsa_private_segment_fixed_size 0
		.amdhsa_kernarg_size 60
		.amdhsa_user_sgpr_count 15
		.amdhsa_user_sgpr_dispatch_ptr 0
		.amdhsa_user_sgpr_queue_ptr 0
		.amdhsa_user_sgpr_kernarg_segment_ptr 1
		.amdhsa_user_sgpr_dispatch_id 0
		.amdhsa_user_sgpr_private_segment_size 0
		.amdhsa_wavefront_size32 1
		.amdhsa_uses_dynamic_stack 0
		.amdhsa_enable_private_segment 0
		.amdhsa_system_sgpr_workgroup_id_x 1
		.amdhsa_system_sgpr_workgroup_id_y 0
		.amdhsa_system_sgpr_workgroup_id_z 0
		.amdhsa_system_sgpr_workgroup_info 0
		.amdhsa_system_vgpr_workitem_id 0
		.amdhsa_next_free_vgpr 57
		.amdhsa_next_free_sgpr 17
		.amdhsa_reserve_vcc 1
		.amdhsa_float_round_mode_32 0
		.amdhsa_float_round_mode_16_64 0
		.amdhsa_float_denorm_mode_32 3
		.amdhsa_float_denorm_mode_16_64 3
		.amdhsa_dx10_clamp 1
		.amdhsa_ieee_mode 1
		.amdhsa_fp16_overflow 0
		.amdhsa_workgroup_processor_mode 1
		.amdhsa_memory_ordered 1
		.amdhsa_forward_progress 0
		.amdhsa_shared_vgpr_count 0
		.amdhsa_exception_fp_ieee_invalid_op 0
		.amdhsa_exception_fp_denorm_src 0
		.amdhsa_exception_fp_ieee_div_zero 0
		.amdhsa_exception_fp_ieee_overflow 0
		.amdhsa_exception_fp_ieee_underflow 0
		.amdhsa_exception_fp_ieee_inexact 0
		.amdhsa_exception_int_div_zero 0
	.end_amdhsa_kernel
	.section	.text._ZN9rocsolver6v33100L18getri_kernel_smallILi13EfPKPfEEvT1_iilPiilS6_bb,"axG",@progbits,_ZN9rocsolver6v33100L18getri_kernel_smallILi13EfPKPfEEvT1_iilPiilS6_bb,comdat
.Lfunc_end76:
	.size	_ZN9rocsolver6v33100L18getri_kernel_smallILi13EfPKPfEEvT1_iilPiilS6_bb, .Lfunc_end76-_ZN9rocsolver6v33100L18getri_kernel_smallILi13EfPKPfEEvT1_iilPiilS6_bb
                                        ; -- End function
	.section	.AMDGPU.csdata,"",@progbits
; Kernel info:
; codeLenInByte = 14712
; NumSgprs: 19
; NumVgprs: 57
; ScratchSize: 0
; MemoryBound: 0
; FloatMode: 240
; IeeeMode: 1
; LDSByteSize: 116 bytes/workgroup (compile time only)
; SGPRBlocks: 2
; VGPRBlocks: 7
; NumSGPRsForWavesPerEU: 19
; NumVGPRsForWavesPerEU: 57
; Occupancy: 16
; WaveLimiterHint : 1
; COMPUTE_PGM_RSRC2:SCRATCH_EN: 0
; COMPUTE_PGM_RSRC2:USER_SGPR: 15
; COMPUTE_PGM_RSRC2:TRAP_HANDLER: 0
; COMPUTE_PGM_RSRC2:TGID_X_EN: 1
; COMPUTE_PGM_RSRC2:TGID_Y_EN: 0
; COMPUTE_PGM_RSRC2:TGID_Z_EN: 0
; COMPUTE_PGM_RSRC2:TIDIG_COMP_CNT: 0
	.section	.text._ZN9rocsolver6v33100L18getri_kernel_smallILi14EfPKPfEEvT1_iilPiilS6_bb,"axG",@progbits,_ZN9rocsolver6v33100L18getri_kernel_smallILi14EfPKPfEEvT1_iilPiilS6_bb,comdat
	.globl	_ZN9rocsolver6v33100L18getri_kernel_smallILi14EfPKPfEEvT1_iilPiilS6_bb ; -- Begin function _ZN9rocsolver6v33100L18getri_kernel_smallILi14EfPKPfEEvT1_iilPiilS6_bb
	.p2align	8
	.type	_ZN9rocsolver6v33100L18getri_kernel_smallILi14EfPKPfEEvT1_iilPiilS6_bb,@function
_ZN9rocsolver6v33100L18getri_kernel_smallILi14EfPKPfEEvT1_iilPiilS6_bb: ; @_ZN9rocsolver6v33100L18getri_kernel_smallILi14EfPKPfEEvT1_iilPiilS6_bb
; %bb.0:
	s_mov_b32 s2, exec_lo
	v_cmpx_gt_u32_e32 14, v0
	s_cbranch_execz .LBB77_16
; %bb.1:
	s_clause 0x1
	s_load_b32 s13, s[0:1], 0x38
	s_load_b64 s[2:3], s[0:1], 0x0
	s_mov_b32 s8, s15
	s_load_b128 s[4:7], s[0:1], 0x28
	s_waitcnt lgkmcnt(0)
	s_bitcmp1_b32 s13, 8
	s_cselect_b32 s12, -1, 0
	s_ashr_i32 s9, s15, 31
	s_delay_alu instid0(SALU_CYCLE_1) | instskip(NEXT) | instid1(SALU_CYCLE_1)
	s_lshl_b64 s[10:11], s[8:9], 3
	s_add_u32 s2, s2, s10
	s_addc_u32 s3, s3, s11
	s_bfe_u32 s10, s13, 0x10008
	s_load_b64 s[2:3], s[2:3], 0x0
	s_cmp_eq_u32 s10, 0
                                        ; implicit-def: $sgpr10_sgpr11
	s_cbranch_scc1 .LBB77_3
; %bb.2:
	s_clause 0x1
	s_load_b32 s10, s[0:1], 0x20
	s_load_b64 s[14:15], s[0:1], 0x18
	s_mul_i32 s5, s8, s5
	s_mul_hi_u32 s11, s8, s4
	s_mul_i32 s16, s9, s4
	s_add_i32 s5, s11, s5
	s_mul_i32 s4, s8, s4
	s_add_i32 s5, s5, s16
	s_delay_alu instid0(SALU_CYCLE_1)
	s_lshl_b64 s[4:5], s[4:5], 2
	s_waitcnt lgkmcnt(0)
	s_ashr_i32 s11, s10, 31
	s_add_u32 s14, s14, s4
	s_addc_u32 s15, s15, s5
	s_lshl_b64 s[4:5], s[10:11], 2
	s_delay_alu instid0(SALU_CYCLE_1)
	s_add_u32 s10, s14, s4
	s_addc_u32 s11, s15, s5
.LBB77_3:
	s_load_b64 s[0:1], s[0:1], 0x8
	v_lshlrev_b32_e32 v16, 2, v0
	s_waitcnt lgkmcnt(0)
	v_add3_u32 v1, s1, s1, v0
	s_ashr_i32 s5, s0, 31
	s_mov_b32 s4, s0
	s_mov_b32 s14, s1
	s_lshl_b64 s[4:5], s[4:5], 2
	v_add_nc_u32_e32 v3, s1, v1
	v_ashrrev_i32_e32 v2, 31, v1
	s_add_u32 s2, s2, s4
	s_addc_u32 s3, s3, s5
	v_add_co_u32 v31, s0, s2, v16
	v_add_nc_u32_e32 v5, s1, v3
	s_ashr_i32 s15, s1, 31
	v_add_co_ci_u32_e64 v32, null, s3, 0, s0
	v_lshlrev_b64 v[1:2], 2, v[1:2]
	v_ashrrev_i32_e32 v4, 31, v3
	s_lshl_b64 s[4:5], s[14:15], 2
	v_ashrrev_i32_e32 v6, 31, v5
	v_add_co_u32 v33, vcc_lo, v31, s4
	v_add_nc_u32_e32 v7, s1, v5
	v_add_co_ci_u32_e32 v34, vcc_lo, s5, v32, vcc_lo
	v_lshlrev_b64 v[3:4], 2, v[3:4]
	v_add_co_u32 v35, vcc_lo, s2, v1
	v_add_co_ci_u32_e32 v36, vcc_lo, s3, v2, vcc_lo
	v_lshlrev_b64 v[1:2], 2, v[5:6]
	v_ashrrev_i32_e32 v8, 31, v7
	v_add_nc_u32_e32 v5, s1, v7
	v_add_co_u32 v37, vcc_lo, s2, v3
	v_add_co_ci_u32_e32 v38, vcc_lo, s3, v4, vcc_lo
	s_delay_alu instid0(VALU_DEP_4) | instskip(NEXT) | instid1(VALU_DEP_4)
	v_lshlrev_b64 v[3:4], 2, v[7:8]
	v_ashrrev_i32_e32 v6, 31, v5
	v_add_nc_u32_e32 v7, s1, v5
	v_add_co_u32 v39, vcc_lo, s2, v1
	v_add_co_ci_u32_e32 v40, vcc_lo, s3, v2, vcc_lo
	s_delay_alu instid0(VALU_DEP_4) | instskip(NEXT) | instid1(VALU_DEP_4)
	v_lshlrev_b64 v[1:2], 2, v[5:6]
	v_add_nc_u32_e32 v5, s1, v7
	v_ashrrev_i32_e32 v8, 31, v7
	v_add_co_u32 v41, vcc_lo, s2, v3
	v_add_co_ci_u32_e32 v42, vcc_lo, s3, v4, vcc_lo
	s_delay_alu instid0(VALU_DEP_4) | instskip(NEXT) | instid1(VALU_DEP_4)
	v_ashrrev_i32_e32 v6, 31, v5
	v_lshlrev_b64 v[3:4], 2, v[7:8]
	v_add_nc_u32_e32 v7, s1, v5
	v_add_co_u32 v43, vcc_lo, s2, v1
	v_add_co_ci_u32_e32 v44, vcc_lo, s3, v2, vcc_lo
	v_lshlrev_b64 v[1:2], 2, v[5:6]
	s_delay_alu instid0(VALU_DEP_4)
	v_add_nc_u32_e32 v11, s1, v7
	v_add_co_u32 v45, vcc_lo, s2, v3
	v_ashrrev_i32_e32 v8, 31, v7
	v_add_co_ci_u32_e32 v46, vcc_lo, s3, v4, vcc_lo
	v_add_co_u32 v47, vcc_lo, s2, v1
	v_add_nc_u32_e32 v13, s1, v11
	v_add_co_ci_u32_e32 v48, vcc_lo, s3, v2, vcc_lo
	v_lshlrev_b64 v[1:2], 2, v[7:8]
	v_ashrrev_i32_e32 v12, 31, v11
	s_delay_alu instid0(VALU_DEP_4)
	v_ashrrev_i32_e32 v14, 31, v13
	v_add_nc_u32_e32 v17, s1, v13
	s_clause 0x7
	global_load_b32 v3, v[33:34], off
	global_load_b32 v4, v[35:36], off
	;; [unrolled: 1-line block ×8, first 2 shown]
	s_bitcmp0_b32 s13, 0
	v_add_co_u32 v49, vcc_lo, s2, v1
	v_lshlrev_b64 v[11:12], 2, v[11:12]
	v_add_co_ci_u32_e32 v50, vcc_lo, s3, v2, vcc_lo
	v_lshlrev_b64 v[1:2], 2, v[13:14]
	v_add_nc_u32_e32 v13, s1, v17
	v_ashrrev_i32_e32 v18, 31, v17
	v_add_co_u32 v51, vcc_lo, s2, v11
	v_add_co_ci_u32_e32 v52, vcc_lo, s3, v12, vcc_lo
	s_delay_alu instid0(VALU_DEP_4) | instskip(NEXT) | instid1(VALU_DEP_4)
	v_ashrrev_i32_e32 v14, 31, v13
	v_lshlrev_b64 v[11:12], 2, v[17:18]
	v_add_co_u32 v53, vcc_lo, s2, v1
	v_add_co_ci_u32_e32 v54, vcc_lo, s3, v2, vcc_lo
	s_delay_alu instid0(VALU_DEP_4) | instskip(NEXT) | instid1(VALU_DEP_4)
	v_lshlrev_b64 v[1:2], 2, v[13:14]
	v_add_co_u32 v55, vcc_lo, s2, v11
	v_add_co_ci_u32_e32 v56, vcc_lo, s3, v12, vcc_lo
	s_mov_b32 s0, -1
	s_delay_alu instid0(VALU_DEP_3)
	v_add_co_u32 v57, vcc_lo, s2, v1
	v_mov_b32_e32 v1, 0
	v_add_co_ci_u32_e32 v58, vcc_lo, s3, v2, vcc_lo
	s_clause 0x5
	global_load_b32 v11, v[49:50], off
	global_load_b32 v12, v[51:52], off
	;; [unrolled: 1-line block ×4, first 2 shown]
	global_load_b32 v2, v16, s[2:3]
	global_load_b32 v15, v[57:58], off
	s_cbranch_scc1 .LBB77_14
; %bb.4:
	v_cmp_eq_u32_e64 s0, 0, v0
	s_delay_alu instid0(VALU_DEP_1)
	s_and_saveexec_b32 s1, s0
	s_cbranch_execz .LBB77_6
; %bb.5:
	v_mov_b32_e32 v17, 0
	ds_store_b32 v17, v17 offset:56
.LBB77_6:
	s_or_b32 exec_lo, exec_lo, s1
	v_cmp_eq_u32_e32 vcc_lo, 1, v0
	s_mov_b32 s2, exec_lo
	s_waitcnt vmcnt(0) lgkmcnt(0)
	s_barrier
	buffer_gl0_inv
	v_cndmask_b32_e32 v17, v2, v3, vcc_lo
	v_cmp_eq_u32_e32 vcc_lo, 2, v0
	s_delay_alu instid0(VALU_DEP_2) | instskip(SKIP_1) | instid1(VALU_DEP_2)
	v_cndmask_b32_e32 v17, v17, v4, vcc_lo
	v_cmp_eq_u32_e32 vcc_lo, 3, v0
	v_cndmask_b32_e32 v17, v17, v5, vcc_lo
	v_cmp_eq_u32_e32 vcc_lo, 4, v0
	s_delay_alu instid0(VALU_DEP_2) | instskip(SKIP_1) | instid1(VALU_DEP_2)
	v_cndmask_b32_e32 v17, v17, v6, vcc_lo
	v_cmp_eq_u32_e32 vcc_lo, 5, v0
	;; [unrolled: 5-line block ×6, first 2 shown]
	v_cndmask_b32_e32 v17, v17, v15, vcc_lo
	s_delay_alu instid0(VALU_DEP_1)
	v_cmpx_eq_f32_e32 0, v17
	s_cbranch_execz .LBB77_10
; %bb.7:
	v_mov_b32_e32 v18, 0
	ds_load_b32 v19, v18 offset:56
	s_waitcnt lgkmcnt(0)
	v_readfirstlane_b32 s1, v19
	v_add_nc_u32_e32 v19, 1, v0
	s_delay_alu instid0(VALU_DEP_2) | instskip(NEXT) | instid1(VALU_DEP_1)
	s_cmp_eq_u32 s1, 0
	v_cmp_gt_i32_e32 vcc_lo, s1, v19
	s_cselect_b32 s3, -1, 0
	s_delay_alu instid0(SALU_CYCLE_1) | instskip(NEXT) | instid1(SALU_CYCLE_1)
	s_or_b32 s3, s3, vcc_lo
	s_and_b32 exec_lo, exec_lo, s3
	s_cbranch_execz .LBB77_10
; %bb.8:
	v_mov_b32_e32 v20, s1
	s_mov_b32 s3, 0
.LBB77_9:                               ; =>This Inner Loop Header: Depth=1
	ds_cmpstore_rtn_b32 v20, v18, v19, v20 offset:56
	s_waitcnt lgkmcnt(0)
	v_cmp_ne_u32_e32 vcc_lo, 0, v20
	v_cmp_le_i32_e64 s1, v20, v19
	s_delay_alu instid0(VALU_DEP_1) | instskip(NEXT) | instid1(SALU_CYCLE_1)
	s_and_b32 s1, vcc_lo, s1
	s_and_b32 s1, exec_lo, s1
	s_delay_alu instid0(SALU_CYCLE_1) | instskip(NEXT) | instid1(SALU_CYCLE_1)
	s_or_b32 s3, s1, s3
	s_and_not1_b32 exec_lo, exec_lo, s3
	s_cbranch_execnz .LBB77_9
.LBB77_10:
	s_or_b32 exec_lo, exec_lo, s2
	v_mov_b32_e32 v18, 0
	s_barrier
	buffer_gl0_inv
	ds_load_b32 v19, v18 offset:56
	s_and_saveexec_b32 s1, s0
	s_cbranch_execz .LBB77_12
; %bb.11:
	s_lshl_b64 s[2:3], s[8:9], 2
	s_delay_alu instid0(SALU_CYCLE_1)
	s_add_u32 s2, s6, s2
	s_addc_u32 s3, s7, s3
	s_waitcnt lgkmcnt(0)
	global_store_b32 v18, v19, s[2:3]
.LBB77_12:
	s_or_b32 exec_lo, exec_lo, s1
	s_waitcnt lgkmcnt(0)
	v_cmp_ne_u32_e32 vcc_lo, 0, v19
	s_cbranch_vccz .LBB77_17
; %bb.13:
	s_mov_b32 s0, 0
                                        ; implicit-def: $vgpr2_vgpr3_vgpr4_vgpr5_vgpr6_vgpr7_vgpr8_vgpr9_vgpr10_vgpr11_vgpr12_vgpr13_vgpr14_vgpr15_vgpr16_vgpr17
.LBB77_14:
	s_delay_alu instid0(SALU_CYCLE_1)
	s_and_b32 vcc_lo, exec_lo, s0
	s_cbranch_vccz .LBB77_16
.LBB77_15:
	s_lshl_b64 s[0:1], s[8:9], 2
	v_mov_b32_e32 v1, 0
	s_add_u32 s0, s6, s0
	s_addc_u32 s1, s7, s1
	global_load_b32 v1, v1, s[0:1]
	s_waitcnt vmcnt(0)
	v_cmp_ne_u32_e32 vcc_lo, 0, v1
	s_cbranch_vccz .LBB77_78
.LBB77_16:
	s_nop 0
	s_sendmsg sendmsg(MSG_DEALLOC_VGPRS)
	s_endpgm
.LBB77_17:
	v_div_scale_f32 v18, null, v17, v17, 1.0
	v_div_scale_f32 v21, vcc_lo, 1.0, v17, 1.0
	s_delay_alu instid0(VALU_DEP_2) | instskip(SKIP_2) | instid1(VALU_DEP_1)
	v_rcp_f32_e32 v19, v18
	s_waitcnt_depctr 0xfff
	v_fma_f32 v20, -v18, v19, 1.0
	v_fmac_f32_e32 v19, v20, v19
	s_delay_alu instid0(VALU_DEP_1) | instskip(NEXT) | instid1(VALU_DEP_1)
	v_mul_f32_e32 v20, v21, v19
	v_fma_f32 v22, -v18, v20, v21
	s_delay_alu instid0(VALU_DEP_1) | instskip(NEXT) | instid1(VALU_DEP_1)
	v_fmac_f32_e32 v20, v22, v19
	v_fma_f32 v18, -v18, v20, v21
	s_delay_alu instid0(VALU_DEP_1) | instskip(SKIP_1) | instid1(VALU_DEP_2)
	v_div_fmas_f32 v18, v18, v19, v20
	v_cmp_eq_u32_e32 vcc_lo, 13, v0
	v_div_fixup_f32 v17, v18, v17, 1.0
	s_delay_alu instid0(VALU_DEP_1)
	v_dual_cndmask_b32 v15, v15, v17 :: v_dual_add_nc_u32 v18, 64, v16
	v_cmp_eq_u32_e32 vcc_lo, 12, v0
	v_xor_b32_e32 v19, 0x80000000, v17
	v_cndmask_b32_e32 v14, v14, v17, vcc_lo
	v_cmp_eq_u32_e32 vcc_lo, 11, v0
	v_cndmask_b32_e32 v13, v13, v17, vcc_lo
	v_cmp_eq_u32_e32 vcc_lo, 10, v0
	v_cndmask_b32_e32 v12, v12, v17, vcc_lo
	v_cmp_eq_u32_e32 vcc_lo, 9, v0
	v_cndmask_b32_e32 v11, v11, v17, vcc_lo
	v_cmp_eq_u32_e32 vcc_lo, 8, v0
	v_cndmask_b32_e32 v10, v10, v17, vcc_lo
	v_cmp_eq_u32_e32 vcc_lo, 7, v0
	v_cndmask_b32_e32 v9, v9, v17, vcc_lo
	v_cmp_eq_u32_e32 vcc_lo, 6, v0
	v_cndmask_b32_e32 v8, v8, v17, vcc_lo
	v_cmp_eq_u32_e32 vcc_lo, 5, v0
	v_cndmask_b32_e32 v7, v7, v17, vcc_lo
	v_cmp_eq_u32_e32 vcc_lo, 4, v0
	v_cndmask_b32_e32 v6, v6, v17, vcc_lo
	v_cmp_eq_u32_e32 vcc_lo, 3, v0
	v_cndmask_b32_e32 v5, v5, v17, vcc_lo
	v_cmp_eq_u32_e32 vcc_lo, 1, v0
	v_cndmask_b32_e32 v3, v3, v17, vcc_lo
	v_cmp_eq_u32_e32 vcc_lo, 2, v0
	ds_store_2addr_b32 v16, v19, v3 offset1:16
	v_cndmask_b32_e32 v4, v4, v17, vcc_lo
	v_cmp_eq_u32_e32 vcc_lo, 0, v0
	s_waitcnt lgkmcnt(0)
	s_waitcnt_vscnt null, 0x0
	s_barrier
	buffer_gl0_inv
	v_cndmask_b32_e32 v2, v2, v17, vcc_lo
	s_and_saveexec_b32 s1, s0
	s_cbranch_execz .LBB77_19
; %bb.18:
	v_mov_b32_e32 v3, 0
	ds_load_b32 v16, v18
	ds_load_b32 v3, v3 offset:4
	s_waitcnt lgkmcnt(1)
	v_fma_f32 v16, v17, v16, 0
	s_waitcnt lgkmcnt(0)
	s_delay_alu instid0(VALU_DEP_1)
	v_mul_f32_e32 v3, v16, v3
.LBB77_19:
	s_or_b32 exec_lo, exec_lo, s1
	v_cmp_gt_u32_e32 vcc_lo, 2, v0
	s_barrier
	buffer_gl0_inv
	ds_store_b32 v18, v4
	s_waitcnt lgkmcnt(0)
	s_barrier
	buffer_gl0_inv
	s_and_saveexec_b32 s2, vcc_lo
	s_cbranch_execz .LBB77_21
; %bb.20:
	v_cmp_eq_u32_e64 s1, 1, v0
	ds_load_b32 v19, v18
	v_cndmask_b32_e64 v16, v2, v3, s1
	v_cmp_eq_u32_e64 s1, 2, v0
	s_delay_alu instid0(VALU_DEP_1) | instskip(SKIP_2) | instid1(VALU_DEP_2)
	v_cndmask_b32_e64 v4, v16, v4, s1
	v_cmp_eq_u32_e64 s1, 3, v0
	v_mov_b32_e32 v16, 0
	v_cndmask_b32_e64 v4, v4, v5, s1
	v_cmp_eq_u32_e64 s1, 4, v0
	ds_load_2addr_b32 v[16:17], v16 offset0:2 offset1:17
	v_cndmask_b32_e64 v4, v4, v6, s1
	v_cmp_eq_u32_e64 s1, 5, v0
	s_delay_alu instid0(VALU_DEP_1) | instskip(SKIP_1) | instid1(VALU_DEP_1)
	v_cndmask_b32_e64 v4, v4, v7, s1
	v_cmp_eq_u32_e64 s1, 6, v0
	v_cndmask_b32_e64 v4, v4, v8, s1
	v_cmp_eq_u32_e64 s1, 7, v0
	s_delay_alu instid0(VALU_DEP_1) | instskip(SKIP_1) | instid1(VALU_DEP_1)
	v_cndmask_b32_e64 v4, v4, v9, s1
	v_cmp_eq_u32_e64 s1, 8, v0
	;; [unrolled: 5-line block ×4, first 2 shown]
	v_cndmask_b32_e64 v4, v4, v14, s1
	v_cmp_eq_u32_e64 s1, 13, v0
	s_delay_alu instid0(VALU_DEP_1) | instskip(SKIP_1) | instid1(VALU_DEP_1)
	v_cndmask_b32_e64 v4, v4, v15, s1
	s_waitcnt lgkmcnt(1)
	v_fma_f32 v4, v4, v19, 0
	s_waitcnt lgkmcnt(0)
	s_delay_alu instid0(VALU_DEP_1) | instskip(NEXT) | instid1(VALU_DEP_1)
	v_fma_f32 v17, v3, v17, v4
	v_cndmask_b32_e64 v4, v4, v17, s0
	s_delay_alu instid0(VALU_DEP_1)
	v_mul_f32_e32 v4, v4, v16
.LBB77_21:
	s_or_b32 exec_lo, exec_lo, s2
	s_delay_alu instid0(SALU_CYCLE_1)
	s_mov_b32 s3, exec_lo
	s_barrier
	buffer_gl0_inv
	ds_store_b32 v18, v5
	s_waitcnt lgkmcnt(0)
	s_barrier
	buffer_gl0_inv
	v_cmpx_gt_u32_e32 3, v0
	s_cbranch_execz .LBB77_25
; %bb.22:
	v_mov_b32_e32 v17, v1
	v_lshl_add_u32 v20, v0, 2, 64
	v_dual_mov_b32 v19, 0 :: v_dual_mov_b32 v16, v0
	s_mov_b32 s4, 0
.LBB77_23:                              ; =>This Inner Loop Header: Depth=1
	s_delay_alu instid0(VALU_DEP_1) | instskip(SKIP_3) | instid1(VALU_DEP_1)
	v_cmp_eq_u32_e64 s1, 1, v16
	ds_load_b32 v22, v20
	v_cndmask_b32_e64 v21, v2, v3, s1
	v_cmp_eq_u32_e64 s1, 2, v16
	v_cndmask_b32_e64 v21, v21, v4, s1
	v_cmp_eq_u32_e64 s1, 3, v16
	s_delay_alu instid0(VALU_DEP_1) | instskip(SKIP_1) | instid1(VALU_DEP_1)
	v_cndmask_b32_e64 v21, v21, v5, s1
	v_cmp_eq_u32_e64 s1, 4, v16
	v_cndmask_b32_e64 v21, v21, v6, s1
	v_cmp_eq_u32_e64 s1, 5, v16
	s_delay_alu instid0(VALU_DEP_1) | instskip(SKIP_1) | instid1(VALU_DEP_1)
	;; [unrolled: 5-line block ×5, first 2 shown]
	v_cndmask_b32_e64 v21, v21, v13, s1
	v_cmp_eq_u32_e64 s1, 12, v16
	v_cndmask_b32_e64 v21, v21, v14, s1
	v_cmp_eq_u32_e64 s1, 13, v16
	v_add_co_u32 v16, s2, v16, 1
	s_delay_alu instid0(VALU_DEP_1) | instskip(NEXT) | instid1(VALU_DEP_3)
	v_add_co_ci_u32_e64 v17, s2, 0, v17, s2
	v_cndmask_b32_e64 v21, v21, v15, s1
	s_delay_alu instid0(VALU_DEP_3) | instskip(SKIP_1) | instid1(VALU_DEP_2)
	v_add_nc_u32_e32 v23, -1, v16
	s_waitcnt lgkmcnt(0)
	v_dual_fmac_f32 v19, v21, v22 :: v_dual_add_nc_u32 v20, 4, v20
	s_delay_alu instid0(VALU_DEP_2) | instskip(NEXT) | instid1(VALU_DEP_1)
	v_cmp_lt_u32_e64 s1, 1, v23
	s_or_b32 s4, s1, s4
	s_delay_alu instid0(SALU_CYCLE_1)
	s_and_not1_b32 exec_lo, exec_lo, s4
	s_cbranch_execnz .LBB77_23
; %bb.24:
	s_or_b32 exec_lo, exec_lo, s4
	v_mov_b32_e32 v5, 0
	ds_load_b32 v5, v5 offset:12
	s_waitcnt lgkmcnt(0)
	v_mul_f32_e32 v5, v19, v5
.LBB77_25:
	s_or_b32 exec_lo, exec_lo, s3
	v_cmp_gt_u32_e64 s1, 4, v0
	s_barrier
	buffer_gl0_inv
	ds_store_b32 v18, v6
	s_waitcnt lgkmcnt(0)
	s_barrier
	buffer_gl0_inv
	s_and_saveexec_b32 s4, s1
	s_cbranch_execz .LBB77_29
; %bb.26:
	v_mov_b32_e32 v17, v1
	v_lshl_add_u32 v20, v0, 2, 64
	v_dual_mov_b32 v19, 0 :: v_dual_mov_b32 v16, v0
	s_mov_b32 s5, 0
.LBB77_27:                              ; =>This Inner Loop Header: Depth=1
	s_delay_alu instid0(VALU_DEP_1) | instskip(SKIP_3) | instid1(VALU_DEP_1)
	v_cmp_eq_u32_e64 s2, 1, v16
	ds_load_b32 v22, v20
	v_cndmask_b32_e64 v21, v2, v3, s2
	v_cmp_eq_u32_e64 s2, 2, v16
	v_cndmask_b32_e64 v21, v21, v4, s2
	v_cmp_eq_u32_e64 s2, 3, v16
	s_delay_alu instid0(VALU_DEP_1) | instskip(SKIP_1) | instid1(VALU_DEP_1)
	v_cndmask_b32_e64 v21, v21, v5, s2
	v_cmp_eq_u32_e64 s2, 4, v16
	v_cndmask_b32_e64 v21, v21, v6, s2
	v_cmp_eq_u32_e64 s2, 5, v16
	s_delay_alu instid0(VALU_DEP_1) | instskip(SKIP_1) | instid1(VALU_DEP_1)
	;; [unrolled: 5-line block ×5, first 2 shown]
	v_cndmask_b32_e64 v21, v21, v13, s2
	v_cmp_eq_u32_e64 s2, 12, v16
	v_cndmask_b32_e64 v21, v21, v14, s2
	v_cmp_eq_u32_e64 s2, 13, v16
	v_add_co_u32 v16, s3, v16, 1
	s_delay_alu instid0(VALU_DEP_1) | instskip(NEXT) | instid1(VALU_DEP_3)
	v_add_co_ci_u32_e64 v17, s3, 0, v17, s3
	v_cndmask_b32_e64 v21, v21, v15, s2
	s_delay_alu instid0(VALU_DEP_3) | instskip(SKIP_1) | instid1(VALU_DEP_2)
	v_add_nc_u32_e32 v23, -1, v16
	s_waitcnt lgkmcnt(0)
	v_dual_fmac_f32 v19, v21, v22 :: v_dual_add_nc_u32 v20, 4, v20
	s_delay_alu instid0(VALU_DEP_2) | instskip(NEXT) | instid1(VALU_DEP_1)
	v_cmp_lt_u32_e64 s2, 2, v23
	s_or_b32 s5, s2, s5
	s_delay_alu instid0(SALU_CYCLE_1)
	s_and_not1_b32 exec_lo, exec_lo, s5
	s_cbranch_execnz .LBB77_27
; %bb.28:
	s_or_b32 exec_lo, exec_lo, s5
	v_mov_b32_e32 v6, 0
	ds_load_b32 v6, v6 offset:16
	s_waitcnt lgkmcnt(0)
	v_mul_f32_e32 v6, v19, v6
.LBB77_29:
	s_or_b32 exec_lo, exec_lo, s4
	s_delay_alu instid0(SALU_CYCLE_1)
	s_mov_b32 s4, exec_lo
	s_barrier
	buffer_gl0_inv
	ds_store_b32 v18, v7
	s_waitcnt lgkmcnt(0)
	s_barrier
	buffer_gl0_inv
	v_cmpx_gt_u32_e32 5, v0
	s_cbranch_execz .LBB77_33
; %bb.30:
	v_mov_b32_e32 v17, v1
	v_lshl_add_u32 v20, v0, 2, 64
	v_dual_mov_b32 v19, 0 :: v_dual_mov_b32 v16, v0
	s_mov_b32 s5, 0
.LBB77_31:                              ; =>This Inner Loop Header: Depth=1
	s_delay_alu instid0(VALU_DEP_1) | instskip(SKIP_3) | instid1(VALU_DEP_1)
	v_cmp_eq_u32_e64 s2, 1, v16
	ds_load_b32 v22, v20
	v_cndmask_b32_e64 v21, v2, v3, s2
	v_cmp_eq_u32_e64 s2, 2, v16
	v_cndmask_b32_e64 v21, v21, v4, s2
	v_cmp_eq_u32_e64 s2, 3, v16
	s_delay_alu instid0(VALU_DEP_1) | instskip(SKIP_1) | instid1(VALU_DEP_1)
	v_cndmask_b32_e64 v21, v21, v5, s2
	v_cmp_eq_u32_e64 s2, 4, v16
	v_cndmask_b32_e64 v21, v21, v6, s2
	v_cmp_eq_u32_e64 s2, 5, v16
	s_delay_alu instid0(VALU_DEP_1) | instskip(SKIP_1) | instid1(VALU_DEP_1)
	v_cndmask_b32_e64 v21, v21, v7, s2
	v_cmp_eq_u32_e64 s2, 6, v16
	v_cndmask_b32_e64 v21, v21, v8, s2
	v_cmp_eq_u32_e64 s2, 7, v16
	s_delay_alu instid0(VALU_DEP_1) | instskip(SKIP_1) | instid1(VALU_DEP_1)
	v_cndmask_b32_e64 v21, v21, v9, s2
	v_cmp_eq_u32_e64 s2, 8, v16
	v_cndmask_b32_e64 v21, v21, v10, s2
	v_cmp_eq_u32_e64 s2, 9, v16
	s_delay_alu instid0(VALU_DEP_1) | instskip(SKIP_1) | instid1(VALU_DEP_1)
	v_cndmask_b32_e64 v21, v21, v11, s2
	v_cmp_eq_u32_e64 s2, 10, v16
	v_cndmask_b32_e64 v21, v21, v12, s2
	v_cmp_eq_u32_e64 s2, 11, v16
	s_delay_alu instid0(VALU_DEP_1) | instskip(SKIP_1) | instid1(VALU_DEP_1)
	v_cndmask_b32_e64 v21, v21, v13, s2
	v_cmp_eq_u32_e64 s2, 12, v16
	v_cndmask_b32_e64 v21, v21, v14, s2
	v_cmp_eq_u32_e64 s2, 13, v16
	v_add_co_u32 v16, s3, v16, 1
	s_delay_alu instid0(VALU_DEP_1) | instskip(NEXT) | instid1(VALU_DEP_3)
	v_add_co_ci_u32_e64 v17, s3, 0, v17, s3
	v_cndmask_b32_e64 v21, v21, v15, s2
	s_delay_alu instid0(VALU_DEP_3) | instskip(SKIP_1) | instid1(VALU_DEP_2)
	v_add_nc_u32_e32 v23, -1, v16
	s_waitcnt lgkmcnt(0)
	v_dual_fmac_f32 v19, v21, v22 :: v_dual_add_nc_u32 v20, 4, v20
	s_delay_alu instid0(VALU_DEP_2) | instskip(NEXT) | instid1(VALU_DEP_1)
	v_cmp_lt_u32_e64 s2, 3, v23
	s_or_b32 s5, s2, s5
	s_delay_alu instid0(SALU_CYCLE_1)
	s_and_not1_b32 exec_lo, exec_lo, s5
	s_cbranch_execnz .LBB77_31
; %bb.32:
	s_or_b32 exec_lo, exec_lo, s5
	v_mov_b32_e32 v7, 0
	ds_load_b32 v7, v7 offset:20
	s_waitcnt lgkmcnt(0)
	v_mul_f32_e32 v7, v19, v7
.LBB77_33:
	s_or_b32 exec_lo, exec_lo, s4
	v_cmp_gt_u32_e64 s2, 6, v0
	s_barrier
	buffer_gl0_inv
	ds_store_b32 v18, v8
	s_waitcnt lgkmcnt(0)
	s_barrier
	buffer_gl0_inv
	s_and_saveexec_b32 s5, s2
	s_cbranch_execz .LBB77_37
; %bb.34:
	v_mov_b32_e32 v17, v1
	v_lshl_add_u32 v20, v0, 2, 64
	v_dual_mov_b32 v19, 0 :: v_dual_mov_b32 v16, v0
	s_mov_b32 s13, 0
.LBB77_35:                              ; =>This Inner Loop Header: Depth=1
	s_delay_alu instid0(VALU_DEP_1) | instskip(SKIP_3) | instid1(VALU_DEP_1)
	v_cmp_eq_u32_e64 s3, 1, v16
	ds_load_b32 v22, v20
	v_cndmask_b32_e64 v21, v2, v3, s3
	v_cmp_eq_u32_e64 s3, 2, v16
	v_cndmask_b32_e64 v21, v21, v4, s3
	v_cmp_eq_u32_e64 s3, 3, v16
	s_delay_alu instid0(VALU_DEP_1) | instskip(SKIP_1) | instid1(VALU_DEP_1)
	v_cndmask_b32_e64 v21, v21, v5, s3
	v_cmp_eq_u32_e64 s3, 4, v16
	v_cndmask_b32_e64 v21, v21, v6, s3
	v_cmp_eq_u32_e64 s3, 5, v16
	s_delay_alu instid0(VALU_DEP_1) | instskip(SKIP_1) | instid1(VALU_DEP_1)
	v_cndmask_b32_e64 v21, v21, v7, s3
	v_cmp_eq_u32_e64 s3, 6, v16
	v_cndmask_b32_e64 v21, v21, v8, s3
	v_cmp_eq_u32_e64 s3, 7, v16
	s_delay_alu instid0(VALU_DEP_1) | instskip(SKIP_1) | instid1(VALU_DEP_1)
	v_cndmask_b32_e64 v21, v21, v9, s3
	v_cmp_eq_u32_e64 s3, 8, v16
	v_cndmask_b32_e64 v21, v21, v10, s3
	v_cmp_eq_u32_e64 s3, 9, v16
	s_delay_alu instid0(VALU_DEP_1) | instskip(SKIP_1) | instid1(VALU_DEP_1)
	v_cndmask_b32_e64 v21, v21, v11, s3
	v_cmp_eq_u32_e64 s3, 10, v16
	v_cndmask_b32_e64 v21, v21, v12, s3
	v_cmp_eq_u32_e64 s3, 11, v16
	s_delay_alu instid0(VALU_DEP_1) | instskip(SKIP_1) | instid1(VALU_DEP_1)
	v_cndmask_b32_e64 v21, v21, v13, s3
	v_cmp_eq_u32_e64 s3, 12, v16
	v_cndmask_b32_e64 v21, v21, v14, s3
	v_cmp_eq_u32_e64 s3, 13, v16
	v_add_co_u32 v16, s4, v16, 1
	s_delay_alu instid0(VALU_DEP_1) | instskip(NEXT) | instid1(VALU_DEP_3)
	v_add_co_ci_u32_e64 v17, s4, 0, v17, s4
	v_cndmask_b32_e64 v21, v21, v15, s3
	s_delay_alu instid0(VALU_DEP_3) | instskip(SKIP_1) | instid1(VALU_DEP_2)
	v_add_nc_u32_e32 v23, -1, v16
	s_waitcnt lgkmcnt(0)
	v_dual_fmac_f32 v19, v21, v22 :: v_dual_add_nc_u32 v20, 4, v20
	s_delay_alu instid0(VALU_DEP_2) | instskip(NEXT) | instid1(VALU_DEP_1)
	v_cmp_lt_u32_e64 s3, 4, v23
	s_or_b32 s13, s3, s13
	s_delay_alu instid0(SALU_CYCLE_1)
	s_and_not1_b32 exec_lo, exec_lo, s13
	s_cbranch_execnz .LBB77_35
; %bb.36:
	s_or_b32 exec_lo, exec_lo, s13
	v_mov_b32_e32 v8, 0
	ds_load_b32 v8, v8 offset:24
	s_waitcnt lgkmcnt(0)
	v_mul_f32_e32 v8, v19, v8
.LBB77_37:
	s_or_b32 exec_lo, exec_lo, s5
	s_delay_alu instid0(SALU_CYCLE_1)
	s_mov_b32 s5, exec_lo
	s_barrier
	buffer_gl0_inv
	ds_store_b32 v18, v9
	s_waitcnt lgkmcnt(0)
	s_barrier
	buffer_gl0_inv
	v_cmpx_gt_u32_e32 7, v0
	s_cbranch_execz .LBB77_41
; %bb.38:
	v_mov_b32_e32 v17, v1
	v_lshl_add_u32 v20, v0, 2, 64
	v_dual_mov_b32 v19, 0 :: v_dual_mov_b32 v16, v0
	s_mov_b32 s13, 0
.LBB77_39:                              ; =>This Inner Loop Header: Depth=1
	s_delay_alu instid0(VALU_DEP_1) | instskip(SKIP_3) | instid1(VALU_DEP_1)
	v_cmp_eq_u32_e64 s3, 1, v16
	ds_load_b32 v22, v20
	v_cndmask_b32_e64 v21, v2, v3, s3
	v_cmp_eq_u32_e64 s3, 2, v16
	v_cndmask_b32_e64 v21, v21, v4, s3
	v_cmp_eq_u32_e64 s3, 3, v16
	s_delay_alu instid0(VALU_DEP_1) | instskip(SKIP_1) | instid1(VALU_DEP_1)
	v_cndmask_b32_e64 v21, v21, v5, s3
	v_cmp_eq_u32_e64 s3, 4, v16
	v_cndmask_b32_e64 v21, v21, v6, s3
	v_cmp_eq_u32_e64 s3, 5, v16
	s_delay_alu instid0(VALU_DEP_1) | instskip(SKIP_1) | instid1(VALU_DEP_1)
	;; [unrolled: 5-line block ×5, first 2 shown]
	v_cndmask_b32_e64 v21, v21, v13, s3
	v_cmp_eq_u32_e64 s3, 12, v16
	v_cndmask_b32_e64 v21, v21, v14, s3
	v_cmp_eq_u32_e64 s3, 13, v16
	v_add_co_u32 v16, s4, v16, 1
	s_delay_alu instid0(VALU_DEP_1) | instskip(NEXT) | instid1(VALU_DEP_3)
	v_add_co_ci_u32_e64 v17, s4, 0, v17, s4
	v_cndmask_b32_e64 v21, v21, v15, s3
	s_delay_alu instid0(VALU_DEP_3) | instskip(SKIP_1) | instid1(VALU_DEP_2)
	v_add_nc_u32_e32 v23, -1, v16
	s_waitcnt lgkmcnt(0)
	v_dual_fmac_f32 v19, v21, v22 :: v_dual_add_nc_u32 v20, 4, v20
	s_delay_alu instid0(VALU_DEP_2) | instskip(NEXT) | instid1(VALU_DEP_1)
	v_cmp_lt_u32_e64 s3, 5, v23
	s_or_b32 s13, s3, s13
	s_delay_alu instid0(SALU_CYCLE_1)
	s_and_not1_b32 exec_lo, exec_lo, s13
	s_cbranch_execnz .LBB77_39
; %bb.40:
	s_or_b32 exec_lo, exec_lo, s13
	v_mov_b32_e32 v9, 0
	ds_load_b32 v9, v9 offset:28
	s_waitcnt lgkmcnt(0)
	v_mul_f32_e32 v9, v19, v9
.LBB77_41:
	s_or_b32 exec_lo, exec_lo, s5
	s_delay_alu instid0(SALU_CYCLE_1)
	s_mov_b32 s4, exec_lo
	s_barrier
	buffer_gl0_inv
	ds_store_b32 v18, v10
	s_waitcnt lgkmcnt(0)
	s_barrier
	buffer_gl0_inv
	v_cmpx_gt_u32_e32 8, v0
	s_cbranch_execz .LBB77_57
; %bb.42:
	v_cmp_eq_u32_e64 s3, 1, v0
	ds_load_b32 v17, v18
	s_mov_b32 s5, exec_lo
	v_cndmask_b32_e64 v16, v2, v3, s3
	v_cmp_eq_u32_e64 s3, 2, v0
	s_delay_alu instid0(VALU_DEP_1) | instskip(SKIP_1) | instid1(VALU_DEP_1)
	v_cndmask_b32_e64 v16, v16, v4, s3
	v_cmp_eq_u32_e64 s3, 3, v0
	v_cndmask_b32_e64 v16, v16, v5, s3
	v_cmp_eq_u32_e64 s3, 4, v0
	s_delay_alu instid0(VALU_DEP_1) | instskip(SKIP_1) | instid1(VALU_DEP_1)
	v_cndmask_b32_e64 v16, v16, v6, s3
	v_cmp_eq_u32_e64 s3, 5, v0
	;; [unrolled: 5-line block ×6, first 2 shown]
	v_cndmask_b32_e64 v19, v16, v15, s3
	v_mov_b32_e32 v16, 0
	s_waitcnt lgkmcnt(0)
	s_delay_alu instid0(VALU_DEP_2)
	v_fma_f32 v17, v19, v17, 0
	v_cmpx_ne_u32_e32 7, v0
	s_cbranch_execz .LBB77_56
; %bb.43:
	v_add_nc_u32_e32 v19, 1, v0
	ds_load_b32 v21, v18 offset:4
	v_cmp_eq_u32_e64 s3, 1, v19
	s_delay_alu instid0(VALU_DEP_1) | instskip(SKIP_1) | instid1(VALU_DEP_1)
	v_cndmask_b32_e64 v20, v2, v3, s3
	v_cmp_eq_u32_e64 s3, 2, v19
	v_cndmask_b32_e64 v20, v20, v4, s3
	v_cmp_eq_u32_e64 s3, 3, v19
	s_delay_alu instid0(VALU_DEP_1) | instskip(SKIP_1) | instid1(VALU_DEP_1)
	v_cndmask_b32_e64 v20, v20, v5, s3
	v_cmp_eq_u32_e64 s3, 4, v19
	v_cndmask_b32_e64 v20, v20, v6, s3
	;; [unrolled: 5-line block ×6, first 2 shown]
	v_cmp_eq_u32_e64 s3, 13, v19
	s_delay_alu instid0(VALU_DEP_1) | instskip(SKIP_1) | instid1(VALU_DEP_1)
	v_cndmask_b32_e64 v19, v20, v15, s3
	s_waitcnt lgkmcnt(0)
	v_fmac_f32_e32 v17, v19, v21
	s_and_saveexec_b32 s3, s2
	s_cbranch_execz .LBB77_55
; %bb.44:
	v_add_nc_u32_e32 v19, 2, v0
	ds_load_b32 v21, v18 offset:8
	s_mov_b32 s13, exec_lo
	v_cmp_eq_u32_e64 s2, 1, v19
	s_delay_alu instid0(VALU_DEP_1) | instskip(SKIP_1) | instid1(VALU_DEP_1)
	v_cndmask_b32_e64 v20, v2, v3, s2
	v_cmp_eq_u32_e64 s2, 2, v19
	v_cndmask_b32_e64 v20, v20, v4, s2
	v_cmp_eq_u32_e64 s2, 3, v19
	s_delay_alu instid0(VALU_DEP_1) | instskip(SKIP_1) | instid1(VALU_DEP_1)
	v_cndmask_b32_e64 v20, v20, v5, s2
	v_cmp_eq_u32_e64 s2, 4, v19
	v_cndmask_b32_e64 v20, v20, v6, s2
	;; [unrolled: 5-line block ×6, first 2 shown]
	v_cmp_eq_u32_e64 s2, 13, v19
	s_delay_alu instid0(VALU_DEP_1) | instskip(SKIP_1) | instid1(VALU_DEP_1)
	v_cndmask_b32_e64 v19, v20, v15, s2
	s_waitcnt lgkmcnt(0)
	v_fmac_f32_e32 v17, v19, v21
	v_cmpx_ne_u32_e32 5, v0
	s_cbranch_execz .LBB77_54
; %bb.45:
	v_add_nc_u32_e32 v19, 3, v0
	ds_load_b32 v21, v18 offset:12
	v_cmp_eq_u32_e64 s2, 1, v19
	s_delay_alu instid0(VALU_DEP_1) | instskip(SKIP_1) | instid1(VALU_DEP_1)
	v_cndmask_b32_e64 v20, v2, v3, s2
	v_cmp_eq_u32_e64 s2, 2, v19
	v_cndmask_b32_e64 v20, v20, v4, s2
	v_cmp_eq_u32_e64 s2, 3, v19
	s_delay_alu instid0(VALU_DEP_1) | instskip(SKIP_1) | instid1(VALU_DEP_1)
	v_cndmask_b32_e64 v20, v20, v5, s2
	v_cmp_eq_u32_e64 s2, 4, v19
	v_cndmask_b32_e64 v20, v20, v6, s2
	;; [unrolled: 5-line block ×6, first 2 shown]
	v_cmp_eq_u32_e64 s2, 13, v19
	s_delay_alu instid0(VALU_DEP_1) | instskip(SKIP_1) | instid1(VALU_DEP_1)
	v_cndmask_b32_e64 v19, v20, v15, s2
	s_waitcnt lgkmcnt(0)
	v_fmac_f32_e32 v17, v19, v21
	s_and_saveexec_b32 s2, s1
	s_cbranch_execz .LBB77_53
; %bb.46:
	v_or_b32_e32 v19, 4, v0
	ds_load_b32 v21, v18 offset:16
	s_mov_b32 s14, exec_lo
	v_cmp_eq_u32_e64 s1, 1, v19
	s_delay_alu instid0(VALU_DEP_1) | instskip(SKIP_1) | instid1(VALU_DEP_1)
	v_cndmask_b32_e64 v20, v2, v3, s1
	v_cmp_eq_u32_e64 s1, 2, v19
	v_cndmask_b32_e64 v20, v20, v4, s1
	v_cmp_eq_u32_e64 s1, 3, v19
	s_delay_alu instid0(VALU_DEP_1) | instskip(SKIP_1) | instid1(VALU_DEP_1)
	v_cndmask_b32_e64 v20, v20, v5, s1
	v_cmp_eq_u32_e64 s1, 4, v19
	v_cndmask_b32_e64 v20, v20, v6, s1
	;; [unrolled: 5-line block ×6, first 2 shown]
	v_cmp_eq_u32_e64 s1, 13, v19
	s_delay_alu instid0(VALU_DEP_1) | instskip(SKIP_1) | instid1(VALU_DEP_1)
	v_cndmask_b32_e64 v19, v20, v15, s1
	s_waitcnt lgkmcnt(0)
	v_fmac_f32_e32 v17, v19, v21
	v_cmpx_ne_u32_e32 3, v0
	s_cbranch_execz .LBB77_52
; %bb.47:
	v_add_nc_u32_e32 v19, 5, v0
	ds_load_b32 v21, v18 offset:20
	v_cmp_eq_u32_e64 s1, 1, v19
	s_delay_alu instid0(VALU_DEP_1) | instskip(SKIP_1) | instid1(VALU_DEP_1)
	v_cndmask_b32_e64 v20, v2, v3, s1
	v_cmp_eq_u32_e64 s1, 2, v19
	v_cndmask_b32_e64 v20, v20, v4, s1
	v_cmp_eq_u32_e64 s1, 3, v19
	s_delay_alu instid0(VALU_DEP_1) | instskip(SKIP_1) | instid1(VALU_DEP_1)
	v_cndmask_b32_e64 v20, v20, v5, s1
	v_cmp_eq_u32_e64 s1, 4, v19
	v_cndmask_b32_e64 v20, v20, v6, s1
	;; [unrolled: 5-line block ×6, first 2 shown]
	v_cmp_eq_u32_e64 s1, 13, v19
	s_delay_alu instid0(VALU_DEP_1) | instskip(SKIP_1) | instid1(VALU_DEP_1)
	v_cndmask_b32_e64 v19, v20, v15, s1
	s_waitcnt lgkmcnt(0)
	v_fmac_f32_e32 v17, v19, v21
	s_and_saveexec_b32 s1, vcc_lo
	s_cbranch_execz .LBB77_51
; %bb.48:
	v_or_b32_e32 v19, 6, v0
	s_delay_alu instid0(VALU_DEP_1) | instskip(SKIP_2) | instid1(VALU_DEP_2)
	v_cmp_eq_u32_e32 vcc_lo, 1, v19
	v_cndmask_b32_e32 v20, v2, v3, vcc_lo
	v_cmp_eq_u32_e32 vcc_lo, 2, v19
	v_cndmask_b32_e32 v20, v20, v4, vcc_lo
	v_cmp_eq_u32_e32 vcc_lo, 3, v19
	s_delay_alu instid0(VALU_DEP_2) | instskip(SKIP_1) | instid1(VALU_DEP_2)
	v_cndmask_b32_e32 v20, v20, v5, vcc_lo
	v_cmp_eq_u32_e32 vcc_lo, 4, v19
	v_cndmask_b32_e32 v20, v20, v6, vcc_lo
	v_cmp_eq_u32_e32 vcc_lo, 5, v19
	s_delay_alu instid0(VALU_DEP_2) | instskip(SKIP_1) | instid1(VALU_DEP_2)
	;; [unrolled: 5-line block ×3, first 2 shown]
	v_cndmask_b32_e32 v20, v20, v9, vcc_lo
	v_cmp_eq_u32_e32 vcc_lo, 8, v19
	v_cndmask_b32_e32 v10, v20, v10, vcc_lo
	v_cmp_eq_u32_e32 vcc_lo, 9, v19
	ds_load_b32 v20, v18 offset:24
	v_cndmask_b32_e32 v10, v10, v11, vcc_lo
	v_cmp_eq_u32_e32 vcc_lo, 10, v19
	s_delay_alu instid0(VALU_DEP_2) | instskip(SKIP_1) | instid1(VALU_DEP_2)
	v_cndmask_b32_e32 v10, v10, v12, vcc_lo
	v_cmp_eq_u32_e32 vcc_lo, 11, v19
	v_cndmask_b32_e32 v10, v10, v13, vcc_lo
	v_cmp_eq_u32_e32 vcc_lo, 12, v19
	s_delay_alu instid0(VALU_DEP_2) | instskip(SKIP_1) | instid1(VALU_DEP_2)
	v_cndmask_b32_e32 v10, v10, v14, vcc_lo
	v_cmp_eq_u32_e32 vcc_lo, 13, v19
	v_cndmask_b32_e32 v10, v10, v15, vcc_lo
	s_waitcnt lgkmcnt(0)
	s_delay_alu instid0(VALU_DEP_1)
	v_fmac_f32_e32 v17, v10, v20
	s_and_saveexec_b32 s15, s0
	s_cbranch_execz .LBB77_50
; %bb.49:
	ds_load_b32 v10, v18 offset:28
	s_waitcnt lgkmcnt(0)
	v_fmac_f32_e32 v17, v9, v10
.LBB77_50:
	s_or_b32 exec_lo, exec_lo, s15
.LBB77_51:
	s_delay_alu instid0(SALU_CYCLE_1)
	s_or_b32 exec_lo, exec_lo, s1
.LBB77_52:
	s_delay_alu instid0(SALU_CYCLE_1)
	s_or_b32 exec_lo, exec_lo, s14
.LBB77_53:
	s_delay_alu instid0(SALU_CYCLE_1)
	s_or_b32 exec_lo, exec_lo, s2
.LBB77_54:
	s_delay_alu instid0(SALU_CYCLE_1)
	s_or_b32 exec_lo, exec_lo, s13
.LBB77_55:
	s_delay_alu instid0(SALU_CYCLE_1)
	s_or_b32 exec_lo, exec_lo, s3
.LBB77_56:
	s_delay_alu instid0(SALU_CYCLE_1)
	s_or_b32 exec_lo, exec_lo, s5
	ds_load_b32 v10, v16 offset:32
	s_waitcnt lgkmcnt(0)
	v_mul_f32_e32 v10, v17, v10
.LBB77_57:
	s_or_b32 exec_lo, exec_lo, s4
	s_delay_alu instid0(SALU_CYCLE_1)
	s_mov_b32 s1, exec_lo
	s_barrier
	buffer_gl0_inv
	ds_store_b32 v18, v11
	s_waitcnt lgkmcnt(0)
	s_barrier
	buffer_gl0_inv
	v_cmpx_gt_u32_e32 9, v0
	s_cbranch_execz .LBB77_61
; %bb.58:
	v_mov_b32_e32 v17, v1
	v_lshl_add_u32 v20, v0, 2, 64
	v_dual_mov_b32 v19, 0 :: v_dual_mov_b32 v16, v0
	s_mov_b32 s2, 0
	s_set_inst_prefetch_distance 0x1
	.p2align	6
.LBB77_59:                              ; =>This Inner Loop Header: Depth=1
	s_delay_alu instid0(VALU_DEP_1) | instskip(SKIP_3) | instid1(VALU_DEP_2)
	v_cmp_eq_u32_e32 vcc_lo, 1, v16
	ds_load_b32 v22, v20
	v_dual_cndmask_b32 v21, v2, v3 :: v_dual_add_nc_u32 v20, 4, v20
	v_cmp_eq_u32_e32 vcc_lo, 2, v16
	v_cndmask_b32_e32 v21, v21, v4, vcc_lo
	v_cmp_eq_u32_e32 vcc_lo, 3, v16
	s_delay_alu instid0(VALU_DEP_2) | instskip(SKIP_1) | instid1(VALU_DEP_2)
	v_cndmask_b32_e32 v21, v21, v5, vcc_lo
	v_cmp_eq_u32_e32 vcc_lo, 4, v16
	v_cndmask_b32_e32 v21, v21, v6, vcc_lo
	v_cmp_eq_u32_e32 vcc_lo, 5, v16
	s_delay_alu instid0(VALU_DEP_2) | instskip(SKIP_1) | instid1(VALU_DEP_2)
	v_cndmask_b32_e32 v21, v21, v7, vcc_lo
	;; [unrolled: 5-line block ×5, first 2 shown]
	v_cmp_eq_u32_e32 vcc_lo, 12, v16
	v_cndmask_b32_e32 v21, v21, v14, vcc_lo
	v_cmp_eq_u32_e32 vcc_lo, 13, v16
	v_add_co_u32 v16, s0, v16, 1
	s_delay_alu instid0(VALU_DEP_1) | instskip(NEXT) | instid1(VALU_DEP_4)
	v_add_co_ci_u32_e64 v17, s0, 0, v17, s0
	v_cndmask_b32_e32 v21, v21, v15, vcc_lo
	s_delay_alu instid0(VALU_DEP_3) | instskip(SKIP_1) | instid1(VALU_DEP_2)
	v_add_nc_u32_e32 v23, -1, v16
	s_waitcnt lgkmcnt(0)
	v_fmac_f32_e32 v19, v21, v22
	s_delay_alu instid0(VALU_DEP_2) | instskip(SKIP_1) | instid1(SALU_CYCLE_1)
	v_cmp_lt_u32_e32 vcc_lo, 7, v23
	s_or_b32 s2, vcc_lo, s2
	s_and_not1_b32 exec_lo, exec_lo, s2
	s_cbranch_execnz .LBB77_59
; %bb.60:
	s_set_inst_prefetch_distance 0x2
	s_or_b32 exec_lo, exec_lo, s2
	v_mov_b32_e32 v11, 0
	ds_load_b32 v11, v11 offset:36
	s_waitcnt lgkmcnt(0)
	v_mul_f32_e32 v11, v19, v11
.LBB77_61:
	s_or_b32 exec_lo, exec_lo, s1
	s_delay_alu instid0(SALU_CYCLE_1)
	s_mov_b32 s1, exec_lo
	s_barrier
	buffer_gl0_inv
	ds_store_b32 v18, v12
	s_waitcnt lgkmcnt(0)
	s_barrier
	buffer_gl0_inv
	v_cmpx_gt_u32_e32 10, v0
	s_cbranch_execz .LBB77_65
; %bb.62:
	v_mov_b32_e32 v17, v1
	v_lshl_add_u32 v20, v0, 2, 64
	v_dual_mov_b32 v19, 0 :: v_dual_mov_b32 v16, v0
	s_mov_b32 s2, 0
	s_set_inst_prefetch_distance 0x1
	.p2align	6
.LBB77_63:                              ; =>This Inner Loop Header: Depth=1
	s_delay_alu instid0(VALU_DEP_1) | instskip(SKIP_3) | instid1(VALU_DEP_2)
	v_cmp_eq_u32_e32 vcc_lo, 1, v16
	ds_load_b32 v22, v20
	v_dual_cndmask_b32 v21, v2, v3 :: v_dual_add_nc_u32 v20, 4, v20
	v_cmp_eq_u32_e32 vcc_lo, 2, v16
	v_cndmask_b32_e32 v21, v21, v4, vcc_lo
	v_cmp_eq_u32_e32 vcc_lo, 3, v16
	s_delay_alu instid0(VALU_DEP_2) | instskip(SKIP_1) | instid1(VALU_DEP_2)
	v_cndmask_b32_e32 v21, v21, v5, vcc_lo
	v_cmp_eq_u32_e32 vcc_lo, 4, v16
	v_cndmask_b32_e32 v21, v21, v6, vcc_lo
	v_cmp_eq_u32_e32 vcc_lo, 5, v16
	s_delay_alu instid0(VALU_DEP_2) | instskip(SKIP_1) | instid1(VALU_DEP_2)
	v_cndmask_b32_e32 v21, v21, v7, vcc_lo
	;; [unrolled: 5-line block ×5, first 2 shown]
	v_cmp_eq_u32_e32 vcc_lo, 12, v16
	v_cndmask_b32_e32 v21, v21, v14, vcc_lo
	v_cmp_eq_u32_e32 vcc_lo, 13, v16
	v_add_co_u32 v16, s0, v16, 1
	s_delay_alu instid0(VALU_DEP_1) | instskip(NEXT) | instid1(VALU_DEP_4)
	v_add_co_ci_u32_e64 v17, s0, 0, v17, s0
	v_cndmask_b32_e32 v21, v21, v15, vcc_lo
	s_delay_alu instid0(VALU_DEP_3) | instskip(SKIP_1) | instid1(VALU_DEP_2)
	v_add_nc_u32_e32 v23, -1, v16
	s_waitcnt lgkmcnt(0)
	v_fmac_f32_e32 v19, v21, v22
	s_delay_alu instid0(VALU_DEP_2) | instskip(SKIP_1) | instid1(SALU_CYCLE_1)
	v_cmp_lt_u32_e32 vcc_lo, 8, v23
	s_or_b32 s2, vcc_lo, s2
	s_and_not1_b32 exec_lo, exec_lo, s2
	s_cbranch_execnz .LBB77_63
; %bb.64:
	s_set_inst_prefetch_distance 0x2
	s_or_b32 exec_lo, exec_lo, s2
	v_mov_b32_e32 v12, 0
	ds_load_b32 v12, v12 offset:40
	s_waitcnt lgkmcnt(0)
	v_mul_f32_e32 v12, v19, v12
.LBB77_65:
	s_or_b32 exec_lo, exec_lo, s1
	s_delay_alu instid0(SALU_CYCLE_1)
	s_mov_b32 s1, exec_lo
	s_barrier
	buffer_gl0_inv
	ds_store_b32 v18, v13
	s_waitcnt lgkmcnt(0)
	s_barrier
	buffer_gl0_inv
	v_cmpx_gt_u32_e32 11, v0
	s_cbranch_execz .LBB77_69
; %bb.66:
	v_mov_b32_e32 v17, v1
	v_lshl_add_u32 v20, v0, 2, 64
	v_dual_mov_b32 v19, 0 :: v_dual_mov_b32 v16, v0
	s_mov_b32 s2, 0
	s_set_inst_prefetch_distance 0x1
	.p2align	6
.LBB77_67:                              ; =>This Inner Loop Header: Depth=1
	s_delay_alu instid0(VALU_DEP_1) | instskip(SKIP_3) | instid1(VALU_DEP_2)
	v_cmp_eq_u32_e32 vcc_lo, 1, v16
	ds_load_b32 v22, v20
	v_dual_cndmask_b32 v21, v2, v3 :: v_dual_add_nc_u32 v20, 4, v20
	v_cmp_eq_u32_e32 vcc_lo, 2, v16
	v_cndmask_b32_e32 v21, v21, v4, vcc_lo
	v_cmp_eq_u32_e32 vcc_lo, 3, v16
	s_delay_alu instid0(VALU_DEP_2) | instskip(SKIP_1) | instid1(VALU_DEP_2)
	v_cndmask_b32_e32 v21, v21, v5, vcc_lo
	v_cmp_eq_u32_e32 vcc_lo, 4, v16
	v_cndmask_b32_e32 v21, v21, v6, vcc_lo
	v_cmp_eq_u32_e32 vcc_lo, 5, v16
	s_delay_alu instid0(VALU_DEP_2) | instskip(SKIP_1) | instid1(VALU_DEP_2)
	v_cndmask_b32_e32 v21, v21, v7, vcc_lo
	;; [unrolled: 5-line block ×5, first 2 shown]
	v_cmp_eq_u32_e32 vcc_lo, 12, v16
	v_cndmask_b32_e32 v21, v21, v14, vcc_lo
	v_cmp_eq_u32_e32 vcc_lo, 13, v16
	v_add_co_u32 v16, s0, v16, 1
	s_delay_alu instid0(VALU_DEP_1) | instskip(NEXT) | instid1(VALU_DEP_4)
	v_add_co_ci_u32_e64 v17, s0, 0, v17, s0
	v_cndmask_b32_e32 v21, v21, v15, vcc_lo
	s_delay_alu instid0(VALU_DEP_3) | instskip(SKIP_1) | instid1(VALU_DEP_2)
	v_add_nc_u32_e32 v23, -1, v16
	s_waitcnt lgkmcnt(0)
	v_fmac_f32_e32 v19, v21, v22
	s_delay_alu instid0(VALU_DEP_2) | instskip(SKIP_1) | instid1(SALU_CYCLE_1)
	v_cmp_lt_u32_e32 vcc_lo, 9, v23
	s_or_b32 s2, vcc_lo, s2
	s_and_not1_b32 exec_lo, exec_lo, s2
	s_cbranch_execnz .LBB77_67
; %bb.68:
	s_set_inst_prefetch_distance 0x2
	s_or_b32 exec_lo, exec_lo, s2
	v_mov_b32_e32 v13, 0
	ds_load_b32 v13, v13 offset:44
	s_waitcnt lgkmcnt(0)
	v_mul_f32_e32 v13, v19, v13
.LBB77_69:
	s_or_b32 exec_lo, exec_lo, s1
	s_delay_alu instid0(SALU_CYCLE_1)
	s_mov_b32 s1, exec_lo
	s_barrier
	buffer_gl0_inv
	ds_store_b32 v18, v14
	s_waitcnt lgkmcnt(0)
	s_barrier
	buffer_gl0_inv
	v_cmpx_gt_u32_e32 12, v0
	s_cbranch_execz .LBB77_73
; %bb.70:
	v_mov_b32_e32 v17, v1
	v_lshl_add_u32 v20, v0, 2, 64
	v_dual_mov_b32 v19, 0 :: v_dual_mov_b32 v16, v0
	s_mov_b32 s2, 0
	s_set_inst_prefetch_distance 0x1
	.p2align	6
.LBB77_71:                              ; =>This Inner Loop Header: Depth=1
	s_delay_alu instid0(VALU_DEP_1) | instskip(SKIP_3) | instid1(VALU_DEP_2)
	v_cmp_eq_u32_e32 vcc_lo, 1, v16
	ds_load_b32 v22, v20
	v_dual_cndmask_b32 v21, v2, v3 :: v_dual_add_nc_u32 v20, 4, v20
	v_cmp_eq_u32_e32 vcc_lo, 2, v16
	v_cndmask_b32_e32 v21, v21, v4, vcc_lo
	v_cmp_eq_u32_e32 vcc_lo, 3, v16
	s_delay_alu instid0(VALU_DEP_2) | instskip(SKIP_1) | instid1(VALU_DEP_2)
	v_cndmask_b32_e32 v21, v21, v5, vcc_lo
	v_cmp_eq_u32_e32 vcc_lo, 4, v16
	v_cndmask_b32_e32 v21, v21, v6, vcc_lo
	v_cmp_eq_u32_e32 vcc_lo, 5, v16
	s_delay_alu instid0(VALU_DEP_2) | instskip(SKIP_1) | instid1(VALU_DEP_2)
	v_cndmask_b32_e32 v21, v21, v7, vcc_lo
	;; [unrolled: 5-line block ×5, first 2 shown]
	v_cmp_eq_u32_e32 vcc_lo, 12, v16
	v_cndmask_b32_e32 v21, v21, v14, vcc_lo
	v_cmp_eq_u32_e32 vcc_lo, 13, v16
	v_add_co_u32 v16, s0, v16, 1
	s_delay_alu instid0(VALU_DEP_1) | instskip(NEXT) | instid1(VALU_DEP_4)
	v_add_co_ci_u32_e64 v17, s0, 0, v17, s0
	v_cndmask_b32_e32 v21, v21, v15, vcc_lo
	s_delay_alu instid0(VALU_DEP_3) | instskip(SKIP_1) | instid1(VALU_DEP_2)
	v_add_nc_u32_e32 v23, -1, v16
	s_waitcnt lgkmcnt(0)
	v_fmac_f32_e32 v19, v21, v22
	s_delay_alu instid0(VALU_DEP_2) | instskip(SKIP_1) | instid1(SALU_CYCLE_1)
	v_cmp_lt_u32_e32 vcc_lo, 10, v23
	s_or_b32 s2, vcc_lo, s2
	s_and_not1_b32 exec_lo, exec_lo, s2
	s_cbranch_execnz .LBB77_71
; %bb.72:
	s_set_inst_prefetch_distance 0x2
	s_or_b32 exec_lo, exec_lo, s2
	v_mov_b32_e32 v14, 0
	ds_load_b32 v14, v14 offset:48
	s_waitcnt lgkmcnt(0)
	v_mul_f32_e32 v14, v19, v14
.LBB77_73:
	s_or_b32 exec_lo, exec_lo, s1
	s_delay_alu instid0(SALU_CYCLE_1)
	s_mov_b32 s1, exec_lo
	s_barrier
	buffer_gl0_inv
	ds_store_b32 v18, v15
	s_waitcnt lgkmcnt(0)
	s_barrier
	buffer_gl0_inv
	v_cmpx_ne_u32_e32 13, v0
	s_cbranch_execz .LBB77_77
; %bb.74:
	v_dual_mov_b32 v18, 0 :: v_dual_mov_b32 v17, v1
	v_lshl_add_u32 v19, v0, 2, 64
	v_mov_b32_e32 v16, v0
	s_mov_b32 s2, 0
	s_set_inst_prefetch_distance 0x1
	.p2align	6
.LBB77_75:                              ; =>This Inner Loop Header: Depth=1
	s_delay_alu instid0(VALU_DEP_1) | instskip(SKIP_3) | instid1(VALU_DEP_2)
	v_cmp_eq_u32_e32 vcc_lo, 1, v16
	ds_load_b32 v20, v19
	v_cndmask_b32_e32 v1, v2, v3, vcc_lo
	v_cmp_eq_u32_e32 vcc_lo, 2, v16
	v_cndmask_b32_e32 v1, v1, v4, vcc_lo
	v_cmp_eq_u32_e32 vcc_lo, 3, v16
	s_delay_alu instid0(VALU_DEP_2) | instskip(SKIP_1) | instid1(VALU_DEP_2)
	v_cndmask_b32_e32 v1, v1, v5, vcc_lo
	v_cmp_eq_u32_e32 vcc_lo, 4, v16
	v_cndmask_b32_e32 v1, v1, v6, vcc_lo
	v_cmp_eq_u32_e32 vcc_lo, 5, v16
	s_delay_alu instid0(VALU_DEP_2) | instskip(SKIP_1) | instid1(VALU_DEP_2)
	;; [unrolled: 5-line block ×5, first 2 shown]
	v_cndmask_b32_e32 v1, v1, v13, vcc_lo
	v_cmp_eq_u32_e32 vcc_lo, 12, v16
	v_cndmask_b32_e32 v1, v1, v14, vcc_lo
	v_cmp_eq_u32_e32 vcc_lo, 13, v16
	v_add_co_u32 v16, s0, v16, 1
	s_delay_alu instid0(VALU_DEP_1) | instskip(NEXT) | instid1(VALU_DEP_4)
	v_add_co_ci_u32_e64 v17, s0, 0, v17, s0
	v_cndmask_b32_e32 v1, v1, v15, vcc_lo
	s_delay_alu instid0(VALU_DEP_3) | instskip(SKIP_1) | instid1(VALU_DEP_2)
	v_add_nc_u32_e32 v21, -1, v16
	s_waitcnt lgkmcnt(0)
	v_dual_fmac_f32 v18, v1, v20 :: v_dual_add_nc_u32 v19, 4, v19
	s_delay_alu instid0(VALU_DEP_2) | instskip(SKIP_1) | instid1(SALU_CYCLE_1)
	v_cmp_lt_u32_e32 vcc_lo, 11, v21
	s_or_b32 s2, vcc_lo, s2
	s_and_not1_b32 exec_lo, exec_lo, s2
	s_cbranch_execnz .LBB77_75
; %bb.76:
	s_set_inst_prefetch_distance 0x2
	s_or_b32 exec_lo, exec_lo, s2
	v_mov_b32_e32 v1, 0
	ds_load_b32 v1, v1 offset:52
	s_waitcnt lgkmcnt(0)
	v_mul_f32_e32 v15, v18, v1
.LBB77_77:
	s_or_b32 exec_lo, exec_lo, s1
	s_barrier
	buffer_gl0_inv
	s_cbranch_execnz .LBB77_15
	s_branch .LBB77_16
.LBB77_78:
	v_lshl_add_u32 v1, v0, 2, 64
	s_mov_b32 s0, exec_lo
	v_cmpx_eq_u32_e32 13, v0
	s_cbranch_execz .LBB77_80
; %bb.79:
	v_dual_mov_b32 v16, v2 :: v_dual_mov_b32 v19, v5
	v_dual_mov_b32 v28, 0 :: v_dual_mov_b32 v17, v3
	;; [unrolled: 1-line block ×7, first 2 shown]
	ds_store_b32 v1, v14
	v_mov_b32_e32 v2, v16
	v_dual_mov_b32 v3, v17 :: v_dual_mov_b32 v4, v18
	v_dual_mov_b32 v5, v19 :: v_dual_mov_b32 v6, v20
	;; [unrolled: 1-line block ×7, first 2 shown]
	v_mov_b32_e32 v17, v31
.LBB77_80:
	s_or_b32 exec_lo, exec_lo, s0
	v_mov_b32_e32 v27, 0
	s_waitcnt lgkmcnt(0)
	s_waitcnt_vscnt null, 0x0
	s_barrier
	buffer_gl0_inv
	s_mov_b32 s0, exec_lo
	ds_load_b32 v16, v27 offset:116
	s_waitcnt lgkmcnt(0)
	v_fma_f32 v16, v15, v16, 0
	s_delay_alu instid0(VALU_DEP_1)
	v_sub_f32_e32 v14, v14, v16
	v_cmpx_lt_u32_e32 11, v0
	s_cbranch_execz .LBB77_82
; %bb.81:
	v_dual_mov_b32 v16, v2 :: v_dual_mov_b32 v17, v3
	v_dual_mov_b32 v18, v4 :: v_dual_mov_b32 v19, v5
	;; [unrolled: 1-line block ×6, first 2 shown]
	v_mov_b32_e32 v28, v14
	ds_store_b32 v1, v13
	v_mov_b32_e32 v2, v16
	v_dual_mov_b32 v3, v17 :: v_dual_mov_b32 v4, v18
	v_dual_mov_b32 v5, v19 :: v_dual_mov_b32 v6, v20
	v_dual_mov_b32 v7, v21 :: v_dual_mov_b32 v8, v22
	v_dual_mov_b32 v9, v23 :: v_dual_mov_b32 v10, v24
	v_dual_mov_b32 v11, v25 :: v_dual_mov_b32 v12, v26
	v_dual_mov_b32 v13, v27 :: v_dual_mov_b32 v14, v28
	v_dual_mov_b32 v15, v29 :: v_dual_mov_b32 v16, v30
	v_mov_b32_e32 v17, v31
.LBB77_82:
	s_or_b32 exec_lo, exec_lo, s0
	s_waitcnt lgkmcnt(0)
	s_barrier
	buffer_gl0_inv
	ds_load_b64 v[16:17], v27 offset:112
	s_mov_b32 s0, exec_lo
	s_waitcnt lgkmcnt(0)
	v_fma_f32 v16, v14, v16, 0
	s_delay_alu instid0(VALU_DEP_1) | instskip(NEXT) | instid1(VALU_DEP_1)
	v_fmac_f32_e32 v16, v15, v17
	v_sub_f32_e32 v13, v13, v16
	v_cmpx_lt_u32_e32 10, v0
	s_cbranch_execz .LBB77_84
; %bb.83:
	v_dual_mov_b32 v16, v2 :: v_dual_mov_b32 v19, v5
	v_dual_mov_b32 v26, 0 :: v_dual_mov_b32 v17, v3
	;; [unrolled: 1-line block ×7, first 2 shown]
	ds_store_b32 v1, v12
	v_mov_b32_e32 v2, v16
	v_dual_mov_b32 v3, v17 :: v_dual_mov_b32 v4, v18
	v_dual_mov_b32 v5, v19 :: v_dual_mov_b32 v6, v20
	;; [unrolled: 1-line block ×7, first 2 shown]
	v_mov_b32_e32 v17, v31
.LBB77_84:
	s_or_b32 exec_lo, exec_lo, s0
	v_mov_b32_e32 v25, 0
	s_waitcnt lgkmcnt(0)
	s_barrier
	buffer_gl0_inv
	s_mov_b32 s0, exec_lo
	ds_load_2addr_b32 v[16:17], v25 offset0:27 offset1:28
	ds_load_b32 v18, v25 offset:116
	s_waitcnt lgkmcnt(1)
	v_fma_f32 v16, v13, v16, 0
	s_delay_alu instid0(VALU_DEP_1) | instskip(SKIP_1) | instid1(VALU_DEP_1)
	v_fmac_f32_e32 v16, v14, v17
	s_waitcnt lgkmcnt(0)
	v_fmac_f32_e32 v16, v15, v18
	s_delay_alu instid0(VALU_DEP_1)
	v_sub_f32_e32 v12, v12, v16
	v_cmpx_lt_u32_e32 9, v0
	s_cbranch_execz .LBB77_86
; %bb.85:
	v_dual_mov_b32 v16, v2 :: v_dual_mov_b32 v17, v3
	v_dual_mov_b32 v18, v4 :: v_dual_mov_b32 v19, v5
	;; [unrolled: 1-line block ×6, first 2 shown]
	v_mov_b32_e32 v28, v14
	ds_store_b32 v1, v11
	v_mov_b32_e32 v2, v16
	v_dual_mov_b32 v3, v17 :: v_dual_mov_b32 v4, v18
	v_dual_mov_b32 v5, v19 :: v_dual_mov_b32 v6, v20
	;; [unrolled: 1-line block ×7, first 2 shown]
	v_mov_b32_e32 v17, v31
.LBB77_86:
	s_or_b32 exec_lo, exec_lo, s0
	s_waitcnt lgkmcnt(0)
	s_barrier
	buffer_gl0_inv
	ds_load_2addr_b64 v[16:19], v25 offset0:13 offset1:14
	s_mov_b32 s0, exec_lo
	s_waitcnt lgkmcnt(0)
	v_fma_f32 v16, v12, v16, 0
	s_delay_alu instid0(VALU_DEP_1) | instskip(NEXT) | instid1(VALU_DEP_1)
	v_fmac_f32_e32 v16, v13, v17
	v_fmac_f32_e32 v16, v14, v18
	s_delay_alu instid0(VALU_DEP_1) | instskip(NEXT) | instid1(VALU_DEP_1)
	v_fmac_f32_e32 v16, v15, v19
	v_sub_f32_e32 v11, v11, v16
	v_cmpx_lt_u32_e32 8, v0
	s_cbranch_execz .LBB77_88
; %bb.87:
	v_dual_mov_b32 v16, v2 :: v_dual_mov_b32 v19, v5
	v_dual_mov_b32 v24, 0 :: v_dual_mov_b32 v17, v3
	;; [unrolled: 1-line block ×7, first 2 shown]
	ds_store_b32 v1, v10
	v_mov_b32_e32 v2, v16
	v_dual_mov_b32 v3, v17 :: v_dual_mov_b32 v4, v18
	v_dual_mov_b32 v5, v19 :: v_dual_mov_b32 v6, v20
	;; [unrolled: 1-line block ×7, first 2 shown]
	v_mov_b32_e32 v17, v31
.LBB77_88:
	s_or_b32 exec_lo, exec_lo, s0
	v_mov_b32_e32 v23, 0
	s_waitcnt lgkmcnt(0)
	s_barrier
	buffer_gl0_inv
	s_mov_b32 s0, exec_lo
	ds_load_2addr_b32 v[16:17], v23 offset0:25 offset1:26
	ds_load_2addr_b32 v[18:19], v23 offset0:27 offset1:28
	ds_load_b32 v20, v23 offset:116
	s_waitcnt lgkmcnt(2)
	v_fma_f32 v16, v11, v16, 0
	s_delay_alu instid0(VALU_DEP_1) | instskip(SKIP_1) | instid1(VALU_DEP_1)
	v_fmac_f32_e32 v16, v12, v17
	s_waitcnt lgkmcnt(1)
	v_fmac_f32_e32 v16, v13, v18
	s_delay_alu instid0(VALU_DEP_1) | instskip(SKIP_1) | instid1(VALU_DEP_1)
	v_fmac_f32_e32 v16, v14, v19
	s_waitcnt lgkmcnt(0)
	v_fmac_f32_e32 v16, v15, v20
	s_delay_alu instid0(VALU_DEP_1)
	v_sub_f32_e32 v10, v10, v16
	v_cmpx_lt_u32_e32 7, v0
	s_cbranch_execz .LBB77_90
; %bb.89:
	v_dual_mov_b32 v16, v2 :: v_dual_mov_b32 v17, v3
	v_dual_mov_b32 v18, v4 :: v_dual_mov_b32 v19, v5
	;; [unrolled: 1-line block ×6, first 2 shown]
	v_mov_b32_e32 v28, v14
	ds_store_b32 v1, v9
	v_mov_b32_e32 v2, v16
	v_dual_mov_b32 v3, v17 :: v_dual_mov_b32 v4, v18
	v_dual_mov_b32 v5, v19 :: v_dual_mov_b32 v6, v20
	;; [unrolled: 1-line block ×7, first 2 shown]
	v_mov_b32_e32 v17, v31
.LBB77_90:
	s_or_b32 exec_lo, exec_lo, s0
	s_waitcnt lgkmcnt(0)
	s_barrier
	buffer_gl0_inv
	ds_load_b128 v[16:19], v23 offset:96
	ds_load_b64 v[20:21], v23 offset:112
	s_mov_b32 s0, exec_lo
	s_waitcnt lgkmcnt(1)
	v_fma_f32 v16, v10, v16, 0
	s_delay_alu instid0(VALU_DEP_1) | instskip(NEXT) | instid1(VALU_DEP_1)
	v_fmac_f32_e32 v16, v11, v17
	v_fmac_f32_e32 v16, v12, v18
	s_delay_alu instid0(VALU_DEP_1) | instskip(SKIP_1) | instid1(VALU_DEP_1)
	v_fmac_f32_e32 v16, v13, v19
	s_waitcnt lgkmcnt(0)
	v_fmac_f32_e32 v16, v14, v20
	s_delay_alu instid0(VALU_DEP_1) | instskip(NEXT) | instid1(VALU_DEP_1)
	v_fmac_f32_e32 v16, v15, v21
	v_sub_f32_e32 v9, v9, v16
	v_cmpx_lt_u32_e32 6, v0
	s_cbranch_execz .LBB77_92
; %bb.91:
	v_dual_mov_b32 v16, v2 :: v_dual_mov_b32 v19, v5
	v_dual_mov_b32 v22, 0 :: v_dual_mov_b32 v17, v3
	;; [unrolled: 1-line block ×7, first 2 shown]
	ds_store_b32 v1, v8
	v_mov_b32_e32 v2, v16
	v_dual_mov_b32 v3, v17 :: v_dual_mov_b32 v4, v18
	v_dual_mov_b32 v5, v19 :: v_dual_mov_b32 v6, v20
	;; [unrolled: 1-line block ×7, first 2 shown]
	v_mov_b32_e32 v17, v31
.LBB77_92:
	s_or_b32 exec_lo, exec_lo, s0
	v_mov_b32_e32 v21, 0
	s_waitcnt lgkmcnt(0)
	s_barrier
	buffer_gl0_inv
	s_mov_b32 s0, exec_lo
	ds_load_2addr_b32 v[16:17], v21 offset0:23 offset1:24
	ds_load_2addr_b32 v[18:19], v21 offset0:25 offset1:26
	;; [unrolled: 1-line block ×3, first 2 shown]
	ds_load_b32 v20, v21 offset:116
	s_waitcnt lgkmcnt(3)
	v_fma_f32 v16, v9, v16, 0
	s_delay_alu instid0(VALU_DEP_1) | instskip(SKIP_1) | instid1(VALU_DEP_1)
	v_fmac_f32_e32 v16, v10, v17
	s_waitcnt lgkmcnt(2)
	v_fmac_f32_e32 v16, v11, v18
	s_delay_alu instid0(VALU_DEP_1) | instskip(SKIP_1) | instid1(VALU_DEP_1)
	v_fmac_f32_e32 v16, v12, v19
	s_waitcnt lgkmcnt(1)
	v_fmac_f32_e32 v16, v13, v22
	;; [unrolled: 4-line block ×3, first 2 shown]
	s_delay_alu instid0(VALU_DEP_1)
	v_sub_f32_e32 v8, v8, v16
	v_cmpx_lt_u32_e32 5, v0
	s_cbranch_execz .LBB77_94
; %bb.93:
	v_dual_mov_b32 v16, v2 :: v_dual_mov_b32 v17, v3
	v_dual_mov_b32 v18, v4 :: v_dual_mov_b32 v19, v5
	;; [unrolled: 1-line block ×6, first 2 shown]
	v_mov_b32_e32 v28, v14
	ds_store_b32 v1, v7
	v_mov_b32_e32 v2, v16
	v_dual_mov_b32 v3, v17 :: v_dual_mov_b32 v4, v18
	v_dual_mov_b32 v5, v19 :: v_dual_mov_b32 v6, v20
	;; [unrolled: 1-line block ×7, first 2 shown]
	v_mov_b32_e32 v17, v31
.LBB77_94:
	s_or_b32 exec_lo, exec_lo, s0
	s_waitcnt lgkmcnt(0)
	s_barrier
	buffer_gl0_inv
	ds_load_2addr_b64 v[16:19], v21 offset0:11 offset1:12
	ds_load_2addr_b64 v[20:23], v21 offset0:13 offset1:14
	s_mov_b32 s0, exec_lo
	s_waitcnt lgkmcnt(1)
	v_fma_f32 v16, v8, v16, 0
	s_delay_alu instid0(VALU_DEP_1) | instskip(NEXT) | instid1(VALU_DEP_1)
	v_fmac_f32_e32 v16, v9, v17
	v_fmac_f32_e32 v16, v10, v18
	s_delay_alu instid0(VALU_DEP_1) | instskip(SKIP_1) | instid1(VALU_DEP_1)
	v_fmac_f32_e32 v16, v11, v19
	s_waitcnt lgkmcnt(0)
	v_fmac_f32_e32 v16, v12, v20
	s_delay_alu instid0(VALU_DEP_1) | instskip(NEXT) | instid1(VALU_DEP_1)
	v_fmac_f32_e32 v16, v13, v21
	v_fmac_f32_e32 v16, v14, v22
	s_delay_alu instid0(VALU_DEP_1) | instskip(NEXT) | instid1(VALU_DEP_1)
	v_fmac_f32_e32 v16, v15, v23
	v_sub_f32_e32 v7, v7, v16
	v_cmpx_lt_u32_e32 4, v0
	s_cbranch_execz .LBB77_96
; %bb.95:
	v_dual_mov_b32 v16, v2 :: v_dual_mov_b32 v19, v5
	v_dual_mov_b32 v20, 0 :: v_dual_mov_b32 v17, v3
	;; [unrolled: 1-line block ×7, first 2 shown]
	ds_store_b32 v1, v6
	v_mov_b32_e32 v2, v16
	v_dual_mov_b32 v3, v17 :: v_dual_mov_b32 v4, v18
	v_dual_mov_b32 v5, v19 :: v_dual_mov_b32 v6, v20
	;; [unrolled: 1-line block ×7, first 2 shown]
	v_mov_b32_e32 v17, v31
.LBB77_96:
	s_or_b32 exec_lo, exec_lo, s0
	v_mov_b32_e32 v19, 0
	s_waitcnt lgkmcnt(0)
	s_barrier
	buffer_gl0_inv
	s_mov_b32 s0, exec_lo
	ds_load_2addr_b32 v[16:17], v19 offset0:21 offset1:22
	ds_load_2addr_b32 v[20:21], v19 offset0:23 offset1:24
	;; [unrolled: 1-line block ×4, first 2 shown]
	s_waitcnt lgkmcnt(3)
	v_fma_f32 v16, v7, v16, 0
	s_delay_alu instid0(VALU_DEP_1) | instskip(SKIP_3) | instid1(VALU_DEP_1)
	v_fmac_f32_e32 v16, v8, v17
	ds_load_b32 v17, v19 offset:116
	s_waitcnt lgkmcnt(3)
	v_fmac_f32_e32 v16, v9, v20
	v_fmac_f32_e32 v16, v10, v21
	s_waitcnt lgkmcnt(2)
	s_delay_alu instid0(VALU_DEP_1) | instskip(NEXT) | instid1(VALU_DEP_1)
	v_fmac_f32_e32 v16, v11, v22
	v_fmac_f32_e32 v16, v12, v23
	s_waitcnt lgkmcnt(1)
	s_delay_alu instid0(VALU_DEP_1) | instskip(NEXT) | instid1(VALU_DEP_1)
	;; [unrolled: 4-line block ×3, first 2 shown]
	v_fmac_f32_e32 v16, v15, v17
	v_sub_f32_e32 v6, v6, v16
	v_cmpx_lt_u32_e32 3, v0
	s_cbranch_execz .LBB77_98
; %bb.97:
	v_dual_mov_b32 v16, v2 :: v_dual_mov_b32 v17, v3
	v_dual_mov_b32 v18, v4 :: v_dual_mov_b32 v21, v7
	;; [unrolled: 1-line block ×6, first 2 shown]
	v_mov_b32_e32 v28, v14
	ds_store_b32 v1, v5
	v_mov_b32_e32 v2, v16
	v_dual_mov_b32 v3, v17 :: v_dual_mov_b32 v4, v18
	v_dual_mov_b32 v5, v19 :: v_dual_mov_b32 v6, v20
	;; [unrolled: 1-line block ×7, first 2 shown]
	v_mov_b32_e32 v17, v31
.LBB77_98:
	s_or_b32 exec_lo, exec_lo, s0
	s_waitcnt lgkmcnt(0)
	s_barrier
	buffer_gl0_inv
	ds_load_b128 v[20:23], v19 offset:80
	ds_load_b128 v[24:27], v19 offset:96
	ds_load_b64 v[16:17], v19 offset:112
	s_mov_b32 s0, exec_lo
	s_waitcnt lgkmcnt(2)
	v_fma_f32 v18, v6, v20, 0
	s_delay_alu instid0(VALU_DEP_1) | instskip(NEXT) | instid1(VALU_DEP_1)
	v_fmac_f32_e32 v18, v7, v21
	v_fmac_f32_e32 v18, v8, v22
	s_delay_alu instid0(VALU_DEP_1) | instskip(SKIP_1) | instid1(VALU_DEP_1)
	v_fmac_f32_e32 v18, v9, v23
	s_waitcnt lgkmcnt(1)
	v_fmac_f32_e32 v18, v10, v24
	s_delay_alu instid0(VALU_DEP_1) | instskip(NEXT) | instid1(VALU_DEP_1)
	v_fmac_f32_e32 v18, v11, v25
	v_fmac_f32_e32 v18, v12, v26
	s_delay_alu instid0(VALU_DEP_1) | instskip(SKIP_1) | instid1(VALU_DEP_1)
	v_fmac_f32_e32 v18, v13, v27
	s_waitcnt lgkmcnt(0)
	v_fmac_f32_e32 v18, v14, v16
	s_delay_alu instid0(VALU_DEP_1) | instskip(NEXT) | instid1(VALU_DEP_1)
	v_fmac_f32_e32 v18, v15, v17
	v_sub_f32_e32 v5, v5, v18
	v_cmpx_lt_u32_e32 2, v0
	s_cbranch_execz .LBB77_100
; %bb.99:
	s_delay_alu instid0(VALU_DEP_2)
	v_dual_mov_b32 v16, v2 :: v_dual_mov_b32 v19, v5
	v_dual_mov_b32 v18, 0 :: v_dual_mov_b32 v17, v3
	;; [unrolled: 1-line block ×7, first 2 shown]
	ds_store_b32 v1, v4
	v_mov_b32_e32 v2, v16
	v_dual_mov_b32 v3, v17 :: v_dual_mov_b32 v4, v18
	v_dual_mov_b32 v5, v19 :: v_dual_mov_b32 v6, v20
	;; [unrolled: 1-line block ×7, first 2 shown]
	v_mov_b32_e32 v17, v31
.LBB77_100:
	s_or_b32 exec_lo, exec_lo, s0
	v_mov_b32_e32 v18, 0
	s_waitcnt lgkmcnt(0)
	s_barrier
	buffer_gl0_inv
	s_mov_b32 s0, exec_lo
	ds_load_2addr_b32 v[16:17], v18 offset0:19 offset1:20
	ds_load_2addr_b32 v[19:20], v18 offset0:21 offset1:22
	;; [unrolled: 1-line block ×4, first 2 shown]
	s_waitcnt lgkmcnt(3)
	v_fma_f32 v25, v5, v16, 0
	s_delay_alu instid0(VALU_DEP_1)
	v_fmac_f32_e32 v25, v6, v17
	ds_load_2addr_b32 v[16:17], v18 offset0:27 offset1:28
	s_waitcnt lgkmcnt(3)
	v_fmac_f32_e32 v25, v7, v19
	ds_load_b32 v19, v18 offset:116
	v_fmac_f32_e32 v25, v8, v20
	s_waitcnt lgkmcnt(3)
	s_delay_alu instid0(VALU_DEP_1) | instskip(NEXT) | instid1(VALU_DEP_1)
	v_fmac_f32_e32 v25, v9, v21
	v_fmac_f32_e32 v25, v10, v22
	s_waitcnt lgkmcnt(2)
	s_delay_alu instid0(VALU_DEP_1) | instskip(NEXT) | instid1(VALU_DEP_1)
	v_fmac_f32_e32 v25, v11, v23
	;; [unrolled: 4-line block ×4, first 2 shown]
	v_sub_f32_e32 v4, v4, v25
	v_cmpx_lt_u32_e32 1, v0
	s_cbranch_execz .LBB77_102
; %bb.101:
	v_dual_mov_b32 v17, v2 :: v_dual_mov_b32 v20, v5
	s_delay_alu instid0(VALU_DEP_3)
	v_dual_mov_b32 v19, v4 :: v_dual_mov_b32 v22, v7
	v_dual_mov_b32 v21, v6 :: v_dual_mov_b32 v24, v9
	;; [unrolled: 1-line block ×5, first 2 shown]
	v_mov_b32_e32 v29, v14
	ds_store_b32 v1, v3
	v_mov_b32_e32 v2, v17
	v_dual_mov_b32 v3, v18 :: v_dual_mov_b32 v4, v19
	v_dual_mov_b32 v5, v20 :: v_dual_mov_b32 v6, v21
	;; [unrolled: 1-line block ×7, first 2 shown]
	v_mov_b32_e32 v17, v32
.LBB77_102:
	s_or_b32 exec_lo, exec_lo, s0
	s_waitcnt lgkmcnt(0)
	s_barrier
	buffer_gl0_inv
	ds_load_2addr_b64 v[19:22], v18 offset0:9 offset1:10
	ds_load_2addr_b64 v[23:26], v18 offset0:11 offset1:12
	s_mov_b32 s0, exec_lo
	s_waitcnt lgkmcnt(1)
	v_fma_f32 v27, v4, v19, 0
	ds_load_2addr_b64 v[16:19], v18 offset0:13 offset1:14
	v_fmac_f32_e32 v27, v5, v20
	s_delay_alu instid0(VALU_DEP_1) | instskip(NEXT) | instid1(VALU_DEP_1)
	v_fmac_f32_e32 v27, v6, v21
	v_fmac_f32_e32 v27, v7, v22
	s_waitcnt lgkmcnt(1)
	s_delay_alu instid0(VALU_DEP_1) | instskip(NEXT) | instid1(VALU_DEP_1)
	v_fmac_f32_e32 v27, v8, v23
	v_fmac_f32_e32 v27, v9, v24
	s_delay_alu instid0(VALU_DEP_1) | instskip(NEXT) | instid1(VALU_DEP_1)
	v_fmac_f32_e32 v27, v10, v25
	v_fmac_f32_e32 v27, v11, v26
	s_waitcnt lgkmcnt(0)
	s_delay_alu instid0(VALU_DEP_1) | instskip(NEXT) | instid1(VALU_DEP_1)
	v_fmac_f32_e32 v27, v12, v16
	v_fmac_f32_e32 v27, v13, v17
	s_delay_alu instid0(VALU_DEP_1) | instskip(NEXT) | instid1(VALU_DEP_1)
	v_fmac_f32_e32 v27, v14, v18
	v_fmac_f32_e32 v27, v15, v19
	s_delay_alu instid0(VALU_DEP_1)
	v_sub_f32_e32 v3, v3, v27
	v_cmpx_ne_u32_e32 0, v0
	s_cbranch_execz .LBB77_104
; %bb.103:
	s_delay_alu instid0(VALU_DEP_2)
	v_dual_mov_b32 v16, 0 :: v_dual_mov_b32 v17, v3
	v_dual_mov_b32 v18, v4 :: v_dual_mov_b32 v19, v5
	;; [unrolled: 1-line block ×7, first 2 shown]
	ds_store_b32 v1, v2
	v_mov_b32_e32 v2, v16
	v_dual_mov_b32 v3, v17 :: v_dual_mov_b32 v4, v18
	v_dual_mov_b32 v5, v19 :: v_dual_mov_b32 v6, v20
	;; [unrolled: 1-line block ×7, first 2 shown]
	v_mov_b32_e32 v17, v31
.LBB77_104:
	s_or_b32 exec_lo, exec_lo, s0
	v_mov_b32_e32 v22, 0
	s_waitcnt lgkmcnt(0)
	s_barrier
	buffer_gl0_inv
	s_and_b32 vcc_lo, exec_lo, s12
	ds_load_2addr_b32 v[0:1], v22 offset0:17 offset1:18
	ds_load_2addr_b32 v[16:17], v22 offset0:19 offset1:20
	ds_load_2addr_b32 v[18:19], v22 offset0:21 offset1:22
	ds_load_2addr_b32 v[20:21], v22 offset0:23 offset1:24
	s_waitcnt lgkmcnt(3)
	v_fma_f32 v23, v3, v0, 0
	s_delay_alu instid0(VALU_DEP_1) | instskip(SKIP_3) | instid1(VALU_DEP_1)
	v_fmac_f32_e32 v23, v4, v1
	ds_load_2addr_b32 v[0:1], v22 offset0:25 offset1:26
	s_waitcnt lgkmcnt(3)
	v_fmac_f32_e32 v23, v5, v16
	v_fmac_f32_e32 v23, v6, v17
	ds_load_2addr_b32 v[16:17], v22 offset0:27 offset1:28
	s_waitcnt lgkmcnt(3)
	v_fmac_f32_e32 v23, v7, v18
	ds_load_b32 v18, v22 offset:116
	v_fmac_f32_e32 v23, v8, v19
	s_waitcnt lgkmcnt(3)
	s_delay_alu instid0(VALU_DEP_1) | instskip(NEXT) | instid1(VALU_DEP_1)
	v_fmac_f32_e32 v23, v9, v20
	v_fmac_f32_e32 v23, v10, v21
	s_waitcnt lgkmcnt(2)
	s_delay_alu instid0(VALU_DEP_1) | instskip(NEXT) | instid1(VALU_DEP_1)
	v_fmac_f32_e32 v23, v11, v0
	;; [unrolled: 4-line block ×4, first 2 shown]
	v_sub_f32_e32 v2, v2, v23
	s_cbranch_vccz .LBB77_132
; %bb.105:
	v_dual_mov_b32 v0, s10 :: v_dual_mov_b32 v1, s11
	s_mov_b32 s9, exec_lo
	flat_load_b32 v0, v[0:1] offset:48
	s_waitcnt vmcnt(0) lgkmcnt(0)
	v_add_nc_u32_e32 v0, -1, v0
	s_delay_alu instid0(VALU_DEP_1)
	v_cmpx_ne_u32_e32 12, v0
	s_cbranch_execz .LBB77_107
; %bb.106:
	v_cmp_eq_u32_e32 vcc_lo, 1, v0
	v_cmp_eq_u32_e64 s0, 2, v0
	v_cmp_eq_u32_e64 s1, 3, v0
	;; [unrolled: 1-line block ×4, first 2 shown]
	v_dual_cndmask_b32 v1, v2, v3 :: v_dual_cndmask_b32 v16, v3, v14
	v_cmp_eq_u32_e64 s4, 6, v0
	v_cmp_eq_u32_e64 s5, 7, v0
	;; [unrolled: 1-line block ×3, first 2 shown]
	s_delay_alu instid0(VALU_DEP_4)
	v_cndmask_b32_e64 v1, v1, v4, s0
	v_cmp_eq_u32_e64 s7, 9, v0
	v_cmp_eq_u32_e64 s8, 10, v0
	v_cmp_eq_u32_e32 vcc_lo, 11, v0
	v_cndmask_b32_e64 v18, v5, v14, s1
	v_cndmask_b32_e64 v1, v1, v5, s1
	v_cmp_eq_u32_e64 s1, 13, v0
	v_cndmask_b32_e64 v17, v4, v14, s0
	v_cndmask_b32_e64 v19, v6, v14, s2
	v_cndmask_b32_e64 v20, v7, v14, s3
	v_cndmask_b32_e64 v1, v1, v6, s2
	v_cmp_eq_u32_e64 s0, 12, v0
	v_cndmask_b32_e64 v21, v8, v14, s4
	v_cndmask_b32_e64 v22, v9, v14, s5
	;; [unrolled: 1-line block ×6, first 2 shown]
	v_cndmask_b32_e32 v26, v13, v14, vcc_lo
	v_cndmask_b32_e64 v28, v15, v14, s1
	v_cndmask_b32_e64 v1, v1, v8, s4
	s_delay_alu instid0(VALU_DEP_1) | instskip(NEXT) | instid1(VALU_DEP_1)
	v_cndmask_b32_e64 v1, v1, v9, s5
	v_cndmask_b32_e64 v1, v1, v10, s6
	s_delay_alu instid0(VALU_DEP_1) | instskip(NEXT) | instid1(VALU_DEP_1)
	v_cndmask_b32_e64 v1, v1, v11, s7
	v_cndmask_b32_e64 v1, v1, v12, s8
	s_delay_alu instid0(VALU_DEP_1) | instskip(SKIP_1) | instid1(VALU_DEP_2)
	v_cndmask_b32_e32 v1, v1, v13, vcc_lo
	v_cmp_eq_u32_e32 vcc_lo, 0, v0
	v_cndmask_b32_e64 v1, v1, v14, s0
	s_delay_alu instid0(VALU_DEP_1) | instskip(SKIP_1) | instid1(VALU_DEP_2)
	v_cndmask_b32_e64 v1, v1, v15, s1
	v_cndmask_b32_e32 v15, v2, v14, vcc_lo
	v_cndmask_b32_e64 v27, v1, v14, s0
	s_delay_alu instid0(VALU_DEP_2)
	v_mov_b32_e32 v2, v15
	v_dual_mov_b32 v3, v16 :: v_dual_mov_b32 v4, v17
	v_dual_mov_b32 v5, v18 :: v_dual_mov_b32 v6, v19
	;; [unrolled: 1-line block ×6, first 2 shown]
	v_mov_b32_e32 v15, v28
	v_mov_b32_e32 v16, v29
	;; [unrolled: 1-line block ×3, first 2 shown]
.LBB77_107:
	s_or_b32 exec_lo, exec_lo, s9
	v_dual_mov_b32 v0, s10 :: v_dual_mov_b32 v1, s11
	s_mov_b32 s9, exec_lo
	flat_load_b32 v0, v[0:1] offset:44
	s_waitcnt vmcnt(0) lgkmcnt(0)
	v_add_nc_u32_e32 v0, -1, v0
	s_delay_alu instid0(VALU_DEP_1)
	v_cmpx_ne_u32_e32 11, v0
	s_cbranch_execz .LBB77_109
; %bb.108:
	v_cmp_eq_u32_e32 vcc_lo, 1, v0
	v_cmp_eq_u32_e64 s0, 2, v0
	v_cmp_eq_u32_e64 s1, 3, v0
	;; [unrolled: 1-line block ×4, first 2 shown]
	v_dual_cndmask_b32 v1, v2, v3 :: v_dual_cndmask_b32 v16, v3, v13
	v_cmp_eq_u32_e64 s4, 6, v0
	v_cmp_eq_u32_e64 s5, 7, v0
	;; [unrolled: 1-line block ×3, first 2 shown]
	s_delay_alu instid0(VALU_DEP_4)
	v_cndmask_b32_e64 v1, v1, v4, s0
	v_cmp_eq_u32_e64 s7, 9, v0
	v_cmp_eq_u32_e64 s8, 10, v0
	v_cndmask_b32_e64 v17, v4, v13, s0
	v_cmp_eq_u32_e32 vcc_lo, 11, v0
	v_cndmask_b32_e64 v1, v1, v5, s1
	v_cndmask_b32_e64 v18, v5, v13, s1
	v_cmp_eq_u32_e64 s0, 12, v0
	v_cmp_eq_u32_e64 s1, 13, v0
	v_cndmask_b32_e64 v19, v6, v13, s2
	v_cndmask_b32_e64 v1, v1, v6, s2
	;; [unrolled: 1-line block ×12, first 2 shown]
	s_delay_alu instid0(VALU_DEP_1) | instskip(NEXT) | instid1(VALU_DEP_1)
	v_cndmask_b32_e64 v1, v1, v9, s5
	v_cndmask_b32_e64 v1, v1, v10, s6
	s_delay_alu instid0(VALU_DEP_1) | instskip(NEXT) | instid1(VALU_DEP_1)
	v_cndmask_b32_e64 v1, v1, v11, s7
	v_cndmask_b32_e64 v1, v1, v12, s8
	s_delay_alu instid0(VALU_DEP_1) | instskip(NEXT) | instid1(VALU_DEP_1)
	v_cndmask_b32_e32 v1, v1, v13, vcc_lo
	v_cndmask_b32_e64 v1, v1, v14, s0
	s_delay_alu instid0(VALU_DEP_1) | instskip(NEXT) | instid1(VALU_DEP_1)
	v_cndmask_b32_e64 v1, v1, v15, s1
	v_cndmask_b32_e32 v26, v1, v13, vcc_lo
	v_cmp_eq_u32_e32 vcc_lo, 0, v0
	v_cndmask_b32_e32 v15, v2, v13, vcc_lo
	s_delay_alu instid0(VALU_DEP_1)
	v_mov_b32_e32 v2, v15
	v_dual_mov_b32 v3, v16 :: v_dual_mov_b32 v4, v17
	v_dual_mov_b32 v5, v18 :: v_dual_mov_b32 v6, v19
	;; [unrolled: 1-line block ×6, first 2 shown]
	v_mov_b32_e32 v15, v28
	v_mov_b32_e32 v16, v29
	;; [unrolled: 1-line block ×3, first 2 shown]
.LBB77_109:
	s_or_b32 exec_lo, exec_lo, s9
	v_dual_mov_b32 v0, s10 :: v_dual_mov_b32 v1, s11
	s_mov_b32 s9, exec_lo
	flat_load_b32 v0, v[0:1] offset:40
	s_waitcnt vmcnt(0) lgkmcnt(0)
	v_add_nc_u32_e32 v0, -1, v0
	s_delay_alu instid0(VALU_DEP_1)
	v_cmpx_ne_u32_e32 10, v0
	s_cbranch_execz .LBB77_111
; %bb.110:
	v_cmp_eq_u32_e32 vcc_lo, 1, v0
	v_cmp_eq_u32_e64 s0, 2, v0
	v_cmp_eq_u32_e64 s1, 3, v0
	;; [unrolled: 1-line block ×4, first 2 shown]
	v_dual_cndmask_b32 v1, v2, v3 :: v_dual_cndmask_b32 v16, v3, v12
	v_cmp_eq_u32_e64 s4, 6, v0
	v_cmp_eq_u32_e64 s5, 7, v0
	;; [unrolled: 1-line block ×3, first 2 shown]
	s_delay_alu instid0(VALU_DEP_4)
	v_cndmask_b32_e64 v1, v1, v4, s0
	v_cmp_eq_u32_e64 s7, 9, v0
	v_cmp_eq_u32_e64 s8, 10, v0
	v_cndmask_b32_e64 v17, v4, v12, s0
	v_cmp_eq_u32_e32 vcc_lo, 11, v0
	v_cndmask_b32_e64 v1, v1, v5, s1
	v_cndmask_b32_e64 v18, v5, v12, s1
	v_cmp_eq_u32_e64 s0, 12, v0
	v_cmp_eq_u32_e64 s1, 13, v0
	v_cndmask_b32_e64 v19, v6, v12, s2
	v_cndmask_b32_e64 v1, v1, v6, s2
	;; [unrolled: 1-line block ×8, first 2 shown]
	v_cndmask_b32_e32 v26, v13, v12, vcc_lo
	v_cndmask_b32_e64 v27, v14, v12, s0
	v_cndmask_b32_e64 v28, v15, v12, s1
	;; [unrolled: 1-line block ×3, first 2 shown]
	s_delay_alu instid0(VALU_DEP_1) | instskip(NEXT) | instid1(VALU_DEP_1)
	v_cndmask_b32_e64 v1, v1, v9, s5
	v_cndmask_b32_e64 v1, v1, v10, s6
	s_delay_alu instid0(VALU_DEP_1) | instskip(NEXT) | instid1(VALU_DEP_1)
	v_cndmask_b32_e64 v1, v1, v11, s7
	v_cndmask_b32_e64 v1, v1, v12, s8
	s_delay_alu instid0(VALU_DEP_1) | instskip(SKIP_1) | instid1(VALU_DEP_2)
	v_cndmask_b32_e32 v1, v1, v13, vcc_lo
	v_cmp_eq_u32_e32 vcc_lo, 0, v0
	v_cndmask_b32_e64 v1, v1, v14, s0
	s_delay_alu instid0(VALU_DEP_1) | instskip(SKIP_1) | instid1(VALU_DEP_2)
	v_cndmask_b32_e64 v1, v1, v15, s1
	v_cndmask_b32_e32 v15, v2, v12, vcc_lo
	v_cndmask_b32_e64 v25, v1, v12, s8
	s_delay_alu instid0(VALU_DEP_2)
	v_mov_b32_e32 v2, v15
	v_dual_mov_b32 v3, v16 :: v_dual_mov_b32 v4, v17
	v_dual_mov_b32 v5, v18 :: v_dual_mov_b32 v6, v19
	;; [unrolled: 1-line block ×6, first 2 shown]
	v_mov_b32_e32 v15, v28
	v_mov_b32_e32 v16, v29
	;; [unrolled: 1-line block ×3, first 2 shown]
.LBB77_111:
	s_or_b32 exec_lo, exec_lo, s9
	v_dual_mov_b32 v0, s10 :: v_dual_mov_b32 v1, s11
	s_mov_b32 s9, exec_lo
	flat_load_b32 v0, v[0:1] offset:36
	s_waitcnt vmcnt(0) lgkmcnt(0)
	v_add_nc_u32_e32 v0, -1, v0
	s_delay_alu instid0(VALU_DEP_1)
	v_cmpx_ne_u32_e32 9, v0
	s_cbranch_execz .LBB77_113
; %bb.112:
	v_cmp_eq_u32_e32 vcc_lo, 1, v0
	v_cmp_eq_u32_e64 s0, 2, v0
	v_cmp_eq_u32_e64 s1, 3, v0
	;; [unrolled: 1-line block ×8, first 2 shown]
	v_cndmask_b32_e64 v17, v4, v11, s0
	v_cndmask_b32_e32 v16, v3, v11, vcc_lo
	v_cndmask_b32_e64 v18, v5, v11, s1
	v_cndmask_b32_e64 v19, v6, v11, s2
	;; [unrolled: 1-line block ×7, first 2 shown]
	v_cndmask_b32_e32 v1, v2, v3, vcc_lo
	v_cmp_eq_u32_e64 s7, 9, v0
	v_cmp_eq_u32_e32 vcc_lo, 11, v0
	s_delay_alu instid0(VALU_DEP_3) | instskip(SKIP_2) | instid1(VALU_DEP_3)
	v_cndmask_b32_e64 v1, v1, v4, s0
	v_cmp_eq_u32_e64 s0, 12, v0
	v_cndmask_b32_e32 v26, v13, v11, vcc_lo
	v_cndmask_b32_e64 v1, v1, v5, s1
	v_cmp_eq_u32_e64 s1, 13, v0
	s_delay_alu instid0(VALU_DEP_4) | instskip(NEXT) | instid1(VALU_DEP_3)
	v_cndmask_b32_e64 v27, v14, v11, s0
	v_cndmask_b32_e64 v1, v1, v6, s2
	s_delay_alu instid0(VALU_DEP_3) | instskip(NEXT) | instid1(VALU_DEP_2)
	v_cndmask_b32_e64 v28, v15, v11, s1
	v_cndmask_b32_e64 v1, v1, v7, s3
	s_delay_alu instid0(VALU_DEP_1) | instskip(NEXT) | instid1(VALU_DEP_1)
	v_cndmask_b32_e64 v1, v1, v8, s4
	v_cndmask_b32_e64 v1, v1, v9, s5
	s_delay_alu instid0(VALU_DEP_1) | instskip(NEXT) | instid1(VALU_DEP_1)
	;; [unrolled: 3-line block ×3, first 2 shown]
	v_cndmask_b32_e64 v1, v1, v12, s8
	v_cndmask_b32_e32 v1, v1, v13, vcc_lo
	v_cmp_eq_u32_e32 vcc_lo, 0, v0
	s_delay_alu instid0(VALU_DEP_2) | instskip(NEXT) | instid1(VALU_DEP_1)
	v_cndmask_b32_e64 v1, v1, v14, s0
	v_cndmask_b32_e64 v1, v1, v15, s1
	v_cndmask_b32_e32 v15, v2, v11, vcc_lo
	s_delay_alu instid0(VALU_DEP_2) | instskip(NEXT) | instid1(VALU_DEP_2)
	v_cndmask_b32_e64 v24, v1, v11, s7
	v_mov_b32_e32 v2, v15
	v_dual_mov_b32 v3, v16 :: v_dual_mov_b32 v4, v17
	v_dual_mov_b32 v5, v18 :: v_dual_mov_b32 v6, v19
	;; [unrolled: 1-line block ×6, first 2 shown]
	v_mov_b32_e32 v15, v28
	v_mov_b32_e32 v16, v29
	;; [unrolled: 1-line block ×3, first 2 shown]
.LBB77_113:
	s_or_b32 exec_lo, exec_lo, s9
	v_dual_mov_b32 v0, s10 :: v_dual_mov_b32 v1, s11
	s_mov_b32 s9, exec_lo
	flat_load_b32 v0, v[0:1] offset:32
	s_waitcnt vmcnt(0) lgkmcnt(0)
	v_add_nc_u32_e32 v0, -1, v0
	s_delay_alu instid0(VALU_DEP_1)
	v_cmpx_ne_u32_e32 8, v0
	s_cbranch_execz .LBB77_115
; %bb.114:
	v_cmp_eq_u32_e32 vcc_lo, 1, v0
	v_cmp_eq_u32_e64 s0, 2, v0
	v_cmp_eq_u32_e64 s1, 3, v0
	;; [unrolled: 1-line block ×4, first 2 shown]
	v_dual_cndmask_b32 v1, v2, v3 :: v_dual_cndmask_b32 v16, v3, v10
	v_cmp_eq_u32_e64 s4, 6, v0
	v_cmp_eq_u32_e64 s5, 7, v0
	v_cmp_eq_u32_e64 s6, 8, v0
	s_delay_alu instid0(VALU_DEP_4)
	v_cndmask_b32_e64 v1, v1, v4, s0
	v_cmp_eq_u32_e64 s7, 9, v0
	v_cmp_eq_u32_e64 s8, 10, v0
	v_cndmask_b32_e64 v17, v4, v10, s0
	v_cmp_eq_u32_e32 vcc_lo, 11, v0
	v_cndmask_b32_e64 v1, v1, v5, s1
	v_cndmask_b32_e64 v18, v5, v10, s1
	v_cmp_eq_u32_e64 s0, 12, v0
	v_cmp_eq_u32_e64 s1, 13, v0
	v_cndmask_b32_e64 v19, v6, v10, s2
	v_cndmask_b32_e64 v1, v1, v6, s2
	;; [unrolled: 1-line block ×8, first 2 shown]
	v_cndmask_b32_e32 v26, v13, v10, vcc_lo
	v_cndmask_b32_e64 v27, v14, v10, s0
	v_cndmask_b32_e64 v28, v15, v10, s1
	;; [unrolled: 1-line block ×3, first 2 shown]
	s_delay_alu instid0(VALU_DEP_1) | instskip(NEXT) | instid1(VALU_DEP_1)
	v_cndmask_b32_e64 v1, v1, v9, s5
	v_cndmask_b32_e64 v1, v1, v10, s6
	s_delay_alu instid0(VALU_DEP_1) | instskip(NEXT) | instid1(VALU_DEP_1)
	v_cndmask_b32_e64 v1, v1, v11, s7
	v_cndmask_b32_e64 v1, v1, v12, s8
	s_delay_alu instid0(VALU_DEP_1) | instskip(SKIP_1) | instid1(VALU_DEP_2)
	v_cndmask_b32_e32 v1, v1, v13, vcc_lo
	v_cmp_eq_u32_e32 vcc_lo, 0, v0
	v_cndmask_b32_e64 v1, v1, v14, s0
	s_delay_alu instid0(VALU_DEP_1) | instskip(SKIP_1) | instid1(VALU_DEP_2)
	v_cndmask_b32_e64 v1, v1, v15, s1
	v_cndmask_b32_e32 v15, v2, v10, vcc_lo
	v_cndmask_b32_e64 v23, v1, v10, s6
	s_delay_alu instid0(VALU_DEP_2)
	v_mov_b32_e32 v2, v15
	v_dual_mov_b32 v3, v16 :: v_dual_mov_b32 v4, v17
	v_dual_mov_b32 v5, v18 :: v_dual_mov_b32 v6, v19
	;; [unrolled: 1-line block ×6, first 2 shown]
	v_mov_b32_e32 v15, v28
	v_mov_b32_e32 v16, v29
	;; [unrolled: 1-line block ×3, first 2 shown]
.LBB77_115:
	s_or_b32 exec_lo, exec_lo, s9
	v_dual_mov_b32 v0, s10 :: v_dual_mov_b32 v1, s11
	s_mov_b32 s9, exec_lo
	flat_load_b32 v0, v[0:1] offset:28
	s_waitcnt vmcnt(0) lgkmcnt(0)
	v_add_nc_u32_e32 v0, -1, v0
	s_delay_alu instid0(VALU_DEP_1)
	v_cmpx_ne_u32_e32 7, v0
	s_cbranch_execz .LBB77_117
; %bb.116:
	v_cmp_eq_u32_e32 vcc_lo, 1, v0
	v_cmp_eq_u32_e64 s0, 2, v0
	v_cmp_eq_u32_e64 s1, 3, v0
	;; [unrolled: 1-line block ×4, first 2 shown]
	v_dual_cndmask_b32 v1, v2, v3 :: v_dual_cndmask_b32 v16, v3, v9
	v_cmp_eq_u32_e64 s4, 6, v0
	v_cmp_eq_u32_e64 s5, 7, v0
	;; [unrolled: 1-line block ×3, first 2 shown]
	s_delay_alu instid0(VALU_DEP_4)
	v_cndmask_b32_e64 v1, v1, v4, s0
	v_cmp_eq_u32_e64 s7, 9, v0
	v_cmp_eq_u32_e64 s8, 10, v0
	v_cndmask_b32_e64 v17, v4, v9, s0
	v_cmp_eq_u32_e32 vcc_lo, 11, v0
	v_cndmask_b32_e64 v1, v1, v5, s1
	v_cndmask_b32_e64 v18, v5, v9, s1
	v_cmp_eq_u32_e64 s0, 12, v0
	v_cmp_eq_u32_e64 s1, 13, v0
	v_cndmask_b32_e64 v19, v6, v9, s2
	v_cndmask_b32_e64 v1, v1, v6, s2
	;; [unrolled: 1-line block ×8, first 2 shown]
	v_cndmask_b32_e32 v26, v13, v9, vcc_lo
	v_cndmask_b32_e64 v27, v14, v9, s0
	v_cndmask_b32_e64 v28, v15, v9, s1
	;; [unrolled: 1-line block ×3, first 2 shown]
	s_delay_alu instid0(VALU_DEP_1) | instskip(NEXT) | instid1(VALU_DEP_1)
	v_cndmask_b32_e64 v1, v1, v9, s5
	v_cndmask_b32_e64 v1, v1, v10, s6
	s_delay_alu instid0(VALU_DEP_1) | instskip(NEXT) | instid1(VALU_DEP_1)
	v_cndmask_b32_e64 v1, v1, v11, s7
	v_cndmask_b32_e64 v1, v1, v12, s8
	s_delay_alu instid0(VALU_DEP_1) | instskip(SKIP_1) | instid1(VALU_DEP_2)
	v_cndmask_b32_e32 v1, v1, v13, vcc_lo
	v_cmp_eq_u32_e32 vcc_lo, 0, v0
	v_cndmask_b32_e64 v1, v1, v14, s0
	s_delay_alu instid0(VALU_DEP_1) | instskip(SKIP_1) | instid1(VALU_DEP_2)
	v_cndmask_b32_e64 v1, v1, v15, s1
	v_cndmask_b32_e32 v15, v2, v9, vcc_lo
	v_cndmask_b32_e64 v22, v1, v9, s5
	s_delay_alu instid0(VALU_DEP_2)
	v_mov_b32_e32 v2, v15
	v_dual_mov_b32 v3, v16 :: v_dual_mov_b32 v4, v17
	v_dual_mov_b32 v5, v18 :: v_dual_mov_b32 v6, v19
	;; [unrolled: 1-line block ×6, first 2 shown]
	v_mov_b32_e32 v15, v28
	v_mov_b32_e32 v16, v29
	;; [unrolled: 1-line block ×3, first 2 shown]
.LBB77_117:
	s_or_b32 exec_lo, exec_lo, s9
	v_dual_mov_b32 v0, s10 :: v_dual_mov_b32 v1, s11
	s_mov_b32 s9, exec_lo
	flat_load_b32 v0, v[0:1] offset:24
	s_waitcnt vmcnt(0) lgkmcnt(0)
	v_add_nc_u32_e32 v0, -1, v0
	s_delay_alu instid0(VALU_DEP_1)
	v_cmpx_ne_u32_e32 6, v0
	s_cbranch_execz .LBB77_119
; %bb.118:
	v_cmp_eq_u32_e32 vcc_lo, 1, v0
	v_cmp_eq_u32_e64 s0, 2, v0
	v_cmp_eq_u32_e64 s1, 3, v0
	;; [unrolled: 1-line block ×4, first 2 shown]
	v_dual_cndmask_b32 v1, v2, v3 :: v_dual_cndmask_b32 v16, v3, v8
	v_cmp_eq_u32_e64 s4, 6, v0
	v_cmp_eq_u32_e64 s5, 7, v0
	;; [unrolled: 1-line block ×3, first 2 shown]
	s_delay_alu instid0(VALU_DEP_4)
	v_cndmask_b32_e64 v1, v1, v4, s0
	v_cmp_eq_u32_e64 s7, 9, v0
	v_cmp_eq_u32_e64 s8, 10, v0
	v_cndmask_b32_e64 v17, v4, v8, s0
	v_cmp_eq_u32_e32 vcc_lo, 11, v0
	v_cndmask_b32_e64 v1, v1, v5, s1
	v_cndmask_b32_e64 v18, v5, v8, s1
	v_cmp_eq_u32_e64 s0, 12, v0
	v_cmp_eq_u32_e64 s1, 13, v0
	v_cndmask_b32_e64 v19, v6, v8, s2
	v_cndmask_b32_e64 v1, v1, v6, s2
	;; [unrolled: 1-line block ×8, first 2 shown]
	v_cndmask_b32_e32 v26, v13, v8, vcc_lo
	v_cndmask_b32_e64 v27, v14, v8, s0
	v_cndmask_b32_e64 v28, v15, v8, s1
	;; [unrolled: 1-line block ×3, first 2 shown]
	s_delay_alu instid0(VALU_DEP_1) | instskip(NEXT) | instid1(VALU_DEP_1)
	v_cndmask_b32_e64 v1, v1, v9, s5
	v_cndmask_b32_e64 v1, v1, v10, s6
	s_delay_alu instid0(VALU_DEP_1) | instskip(NEXT) | instid1(VALU_DEP_1)
	v_cndmask_b32_e64 v1, v1, v11, s7
	v_cndmask_b32_e64 v1, v1, v12, s8
	s_delay_alu instid0(VALU_DEP_1) | instskip(SKIP_1) | instid1(VALU_DEP_2)
	v_cndmask_b32_e32 v1, v1, v13, vcc_lo
	v_cmp_eq_u32_e32 vcc_lo, 0, v0
	v_cndmask_b32_e64 v1, v1, v14, s0
	s_delay_alu instid0(VALU_DEP_1) | instskip(SKIP_1) | instid1(VALU_DEP_2)
	v_cndmask_b32_e64 v1, v1, v15, s1
	v_cndmask_b32_e32 v15, v2, v8, vcc_lo
	v_cndmask_b32_e64 v21, v1, v8, s4
	s_delay_alu instid0(VALU_DEP_2) | instskip(SKIP_2) | instid1(VALU_DEP_4)
	v_mov_b32_e32 v2, v15
	v_dual_mov_b32 v3, v16 :: v_dual_mov_b32 v4, v17
	v_dual_mov_b32 v5, v18 :: v_dual_mov_b32 v6, v19
	;; [unrolled: 1-line block ×6, first 2 shown]
	v_mov_b32_e32 v15, v28
	v_mov_b32_e32 v16, v29
	;; [unrolled: 1-line block ×3, first 2 shown]
.LBB77_119:
	s_or_b32 exec_lo, exec_lo, s9
	v_dual_mov_b32 v0, s10 :: v_dual_mov_b32 v1, s11
	s_mov_b32 s9, exec_lo
	flat_load_b32 v0, v[0:1] offset:20
	s_waitcnt vmcnt(0) lgkmcnt(0)
	v_add_nc_u32_e32 v0, -1, v0
	s_delay_alu instid0(VALU_DEP_1)
	v_cmpx_ne_u32_e32 5, v0
	s_cbranch_execz .LBB77_121
; %bb.120:
	v_cmp_eq_u32_e32 vcc_lo, 1, v0
	v_cmp_eq_u32_e64 s0, 2, v0
	v_cmp_eq_u32_e64 s1, 3, v0
	;; [unrolled: 1-line block ×8, first 2 shown]
	v_cndmask_b32_e64 v17, v4, v7, s0
	v_cndmask_b32_e32 v16, v3, v7, vcc_lo
	v_cndmask_b32_e64 v18, v5, v7, s1
	v_cndmask_b32_e64 v19, v6, v7, s2
	;; [unrolled: 1-line block ×7, first 2 shown]
	v_cndmask_b32_e32 v1, v2, v3, vcc_lo
	v_cmp_eq_u32_e64 s3, 5, v0
	v_cmp_eq_u32_e32 vcc_lo, 11, v0
	s_delay_alu instid0(VALU_DEP_3) | instskip(SKIP_2) | instid1(VALU_DEP_3)
	v_cndmask_b32_e64 v1, v1, v4, s0
	v_cmp_eq_u32_e64 s0, 12, v0
	v_cndmask_b32_e32 v26, v13, v7, vcc_lo
	v_cndmask_b32_e64 v1, v1, v5, s1
	v_cmp_eq_u32_e64 s1, 13, v0
	s_delay_alu instid0(VALU_DEP_4) | instskip(NEXT) | instid1(VALU_DEP_3)
	v_cndmask_b32_e64 v27, v14, v7, s0
	v_cndmask_b32_e64 v1, v1, v6, s2
	s_delay_alu instid0(VALU_DEP_3) | instskip(NEXT) | instid1(VALU_DEP_2)
	v_cndmask_b32_e64 v28, v15, v7, s1
	v_cndmask_b32_e64 v1, v1, v7, s3
	s_delay_alu instid0(VALU_DEP_1) | instskip(NEXT) | instid1(VALU_DEP_1)
	v_cndmask_b32_e64 v1, v1, v8, s4
	v_cndmask_b32_e64 v1, v1, v9, s5
	s_delay_alu instid0(VALU_DEP_1) | instskip(NEXT) | instid1(VALU_DEP_1)
	;; [unrolled: 3-line block ×3, first 2 shown]
	v_cndmask_b32_e64 v1, v1, v12, s8
	v_cndmask_b32_e32 v1, v1, v13, vcc_lo
	v_cmp_eq_u32_e32 vcc_lo, 0, v0
	s_delay_alu instid0(VALU_DEP_2) | instskip(NEXT) | instid1(VALU_DEP_1)
	v_cndmask_b32_e64 v1, v1, v14, s0
	v_cndmask_b32_e64 v1, v1, v15, s1
	v_cndmask_b32_e32 v15, v2, v7, vcc_lo
	s_delay_alu instid0(VALU_DEP_2) | instskip(NEXT) | instid1(VALU_DEP_2)
	v_cndmask_b32_e64 v20, v1, v7, s3
	v_mov_b32_e32 v2, v15
	v_dual_mov_b32 v3, v16 :: v_dual_mov_b32 v4, v17
	v_dual_mov_b32 v5, v18 :: v_dual_mov_b32 v6, v19
	s_delay_alu instid0(VALU_DEP_4)
	v_dual_mov_b32 v7, v20 :: v_dual_mov_b32 v8, v21
	v_dual_mov_b32 v9, v22 :: v_dual_mov_b32 v10, v23
	v_dual_mov_b32 v11, v24 :: v_dual_mov_b32 v12, v25
	v_dual_mov_b32 v13, v26 :: v_dual_mov_b32 v14, v27
	v_mov_b32_e32 v15, v28
	v_mov_b32_e32 v16, v29
	;; [unrolled: 1-line block ×3, first 2 shown]
.LBB77_121:
	s_or_b32 exec_lo, exec_lo, s9
	v_dual_mov_b32 v0, s10 :: v_dual_mov_b32 v1, s11
	s_mov_b32 s9, exec_lo
	flat_load_b32 v0, v[0:1] offset:16
	s_waitcnt vmcnt(0) lgkmcnt(0)
	v_add_nc_u32_e32 v0, -1, v0
	s_delay_alu instid0(VALU_DEP_1)
	v_cmpx_ne_u32_e32 4, v0
	s_cbranch_execz .LBB77_123
; %bb.122:
	v_cmp_eq_u32_e32 vcc_lo, 1, v0
	v_cmp_eq_u32_e64 s0, 2, v0
	v_cmp_eq_u32_e64 s1, 3, v0
	;; [unrolled: 1-line block ×4, first 2 shown]
	v_dual_cndmask_b32 v1, v2, v3 :: v_dual_cndmask_b32 v16, v3, v6
	v_cmp_eq_u32_e64 s4, 6, v0
	v_cmp_eq_u32_e64 s5, 7, v0
	;; [unrolled: 1-line block ×3, first 2 shown]
	s_delay_alu instid0(VALU_DEP_4)
	v_cndmask_b32_e64 v1, v1, v4, s0
	v_cmp_eq_u32_e64 s7, 9, v0
	v_cmp_eq_u32_e64 s8, 10, v0
	v_cndmask_b32_e64 v17, v4, v6, s0
	v_cmp_eq_u32_e32 vcc_lo, 11, v0
	v_cndmask_b32_e64 v1, v1, v5, s1
	v_cndmask_b32_e64 v18, v5, v6, s1
	v_cmp_eq_u32_e64 s0, 12, v0
	v_cmp_eq_u32_e64 s1, 13, v0
	v_cndmask_b32_e64 v20, v7, v6, s3
	v_cndmask_b32_e64 v1, v1, v6, s2
	;; [unrolled: 1-line block ×8, first 2 shown]
	v_cndmask_b32_e32 v26, v13, v6, vcc_lo
	v_cndmask_b32_e64 v27, v14, v6, s0
	v_cndmask_b32_e64 v28, v15, v6, s1
	;; [unrolled: 1-line block ×3, first 2 shown]
	s_delay_alu instid0(VALU_DEP_1) | instskip(NEXT) | instid1(VALU_DEP_1)
	v_cndmask_b32_e64 v1, v1, v9, s5
	v_cndmask_b32_e64 v1, v1, v10, s6
	s_delay_alu instid0(VALU_DEP_1) | instskip(NEXT) | instid1(VALU_DEP_1)
	v_cndmask_b32_e64 v1, v1, v11, s7
	v_cndmask_b32_e64 v1, v1, v12, s8
	s_delay_alu instid0(VALU_DEP_1) | instskip(SKIP_1) | instid1(VALU_DEP_2)
	v_cndmask_b32_e32 v1, v1, v13, vcc_lo
	v_cmp_eq_u32_e32 vcc_lo, 0, v0
	v_cndmask_b32_e64 v1, v1, v14, s0
	s_delay_alu instid0(VALU_DEP_1) | instskip(SKIP_1) | instid1(VALU_DEP_2)
	v_cndmask_b32_e64 v1, v1, v15, s1
	v_cndmask_b32_e32 v15, v2, v6, vcc_lo
	v_cndmask_b32_e64 v19, v1, v6, s2
	s_delay_alu instid0(VALU_DEP_2) | instskip(SKIP_1) | instid1(VALU_DEP_3)
	v_mov_b32_e32 v2, v15
	v_dual_mov_b32 v3, v16 :: v_dual_mov_b32 v4, v17
	v_dual_mov_b32 v5, v18 :: v_dual_mov_b32 v6, v19
	;; [unrolled: 1-line block ×6, first 2 shown]
	v_mov_b32_e32 v15, v28
	v_mov_b32_e32 v16, v29
	v_mov_b32_e32 v17, v30
.LBB77_123:
	s_or_b32 exec_lo, exec_lo, s9
	v_dual_mov_b32 v0, s10 :: v_dual_mov_b32 v1, s11
	s_mov_b32 s9, exec_lo
	flat_load_b32 v0, v[0:1] offset:12
	s_waitcnt vmcnt(0) lgkmcnt(0)
	v_add_nc_u32_e32 v0, -1, v0
	s_delay_alu instid0(VALU_DEP_1)
	v_cmpx_ne_u32_e32 3, v0
	s_cbranch_execz .LBB77_125
; %bb.124:
	v_cmp_eq_u32_e32 vcc_lo, 1, v0
	v_cmp_eq_u32_e64 s0, 2, v0
	v_cmp_eq_u32_e64 s1, 3, v0
	;; [unrolled: 1-line block ×4, first 2 shown]
	v_dual_cndmask_b32 v1, v2, v3 :: v_dual_cndmask_b32 v16, v3, v5
	v_cmp_eq_u32_e64 s4, 6, v0
	v_cmp_eq_u32_e64 s5, 7, v0
	;; [unrolled: 1-line block ×3, first 2 shown]
	s_delay_alu instid0(VALU_DEP_4)
	v_cndmask_b32_e64 v1, v1, v4, s0
	v_cmp_eq_u32_e64 s7, 9, v0
	v_cmp_eq_u32_e64 s8, 10, v0
	v_cndmask_b32_e64 v17, v4, v5, s0
	v_cmp_eq_u32_e32 vcc_lo, 11, v0
	v_cndmask_b32_e64 v1, v1, v5, s1
	v_cndmask_b32_e64 v19, v6, v5, s2
	v_cmp_eq_u32_e64 s0, 12, v0
	v_cndmask_b32_e64 v20, v7, v5, s3
	v_cndmask_b32_e64 v21, v8, v5, s4
	;; [unrolled: 1-line block ×3, first 2 shown]
	v_cmp_eq_u32_e64 s2, 13, v0
	v_cndmask_b32_e64 v22, v9, v5, s5
	v_cndmask_b32_e64 v23, v10, v5, s6
	;; [unrolled: 1-line block ×5, first 2 shown]
	v_cndmask_b32_e32 v26, v13, v5, vcc_lo
	v_cndmask_b32_e64 v27, v14, v5, s0
	v_cndmask_b32_e64 v28, v15, v5, s2
	;; [unrolled: 1-line block ×3, first 2 shown]
	s_delay_alu instid0(VALU_DEP_1) | instskip(NEXT) | instid1(VALU_DEP_1)
	v_cndmask_b32_e64 v1, v1, v9, s5
	v_cndmask_b32_e64 v1, v1, v10, s6
	s_delay_alu instid0(VALU_DEP_1) | instskip(NEXT) | instid1(VALU_DEP_1)
	v_cndmask_b32_e64 v1, v1, v11, s7
	v_cndmask_b32_e64 v1, v1, v12, s8
	s_delay_alu instid0(VALU_DEP_1) | instskip(SKIP_1) | instid1(VALU_DEP_2)
	v_cndmask_b32_e32 v1, v1, v13, vcc_lo
	v_cmp_eq_u32_e32 vcc_lo, 0, v0
	v_cndmask_b32_e64 v1, v1, v14, s0
	s_delay_alu instid0(VALU_DEP_1) | instskip(SKIP_1) | instid1(VALU_DEP_2)
	v_cndmask_b32_e64 v1, v1, v15, s2
	v_cndmask_b32_e32 v15, v2, v5, vcc_lo
	v_cndmask_b32_e64 v18, v1, v5, s1
	s_delay_alu instid0(VALU_DEP_2) | instskip(SKIP_2) | instid1(VALU_DEP_4)
	v_mov_b32_e32 v2, v15
	v_dual_mov_b32 v3, v16 :: v_dual_mov_b32 v4, v17
	v_dual_mov_b32 v7, v20 :: v_dual_mov_b32 v8, v21
	;; [unrolled: 1-line block ×6, first 2 shown]
	v_mov_b32_e32 v15, v28
	v_mov_b32_e32 v16, v29
	;; [unrolled: 1-line block ×3, first 2 shown]
.LBB77_125:
	s_or_b32 exec_lo, exec_lo, s9
	v_dual_mov_b32 v0, s10 :: v_dual_mov_b32 v1, s11
	s_mov_b32 s9, exec_lo
	flat_load_b32 v0, v[0:1] offset:8
	s_waitcnt vmcnt(0) lgkmcnt(0)
	v_add_nc_u32_e32 v0, -1, v0
	s_delay_alu instid0(VALU_DEP_1)
	v_cmpx_ne_u32_e32 2, v0
	s_cbranch_execz .LBB77_127
; %bb.126:
	v_cmp_eq_u32_e32 vcc_lo, 1, v0
	v_cmp_eq_u32_e64 s0, 2, v0
	v_cmp_eq_u32_e64 s1, 3, v0
	;; [unrolled: 1-line block ×4, first 2 shown]
	v_dual_cndmask_b32 v1, v2, v3 :: v_dual_cndmask_b32 v16, v3, v4
	v_cmp_eq_u32_e64 s4, 6, v0
	v_cmp_eq_u32_e64 s5, 7, v0
	;; [unrolled: 1-line block ×3, first 2 shown]
	s_delay_alu instid0(VALU_DEP_4)
	v_cndmask_b32_e64 v1, v1, v4, s0
	v_cmp_eq_u32_e64 s7, 9, v0
	v_cmp_eq_u32_e64 s8, 10, v0
	v_cndmask_b32_e64 v18, v5, v4, s1
	v_cmp_eq_u32_e32 vcc_lo, 11, v0
	v_cndmask_b32_e64 v1, v1, v5, s1
	v_cndmask_b32_e64 v19, v6, v4, s2
	v_cmp_eq_u32_e64 s1, 12, v0
	v_cndmask_b32_e64 v20, v7, v4, s3
	v_cndmask_b32_e64 v21, v8, v4, s4
	;; [unrolled: 1-line block ×3, first 2 shown]
	v_cmp_eq_u32_e64 s2, 13, v0
	v_cndmask_b32_e64 v22, v9, v4, s5
	v_cndmask_b32_e64 v23, v10, v4, s6
	;; [unrolled: 1-line block ×5, first 2 shown]
	v_cndmask_b32_e32 v26, v13, v4, vcc_lo
	v_cndmask_b32_e64 v27, v14, v4, s1
	v_cndmask_b32_e64 v28, v15, v4, s2
	;; [unrolled: 1-line block ×3, first 2 shown]
	s_delay_alu instid0(VALU_DEP_1) | instskip(NEXT) | instid1(VALU_DEP_1)
	v_cndmask_b32_e64 v1, v1, v9, s5
	v_cndmask_b32_e64 v1, v1, v10, s6
	s_delay_alu instid0(VALU_DEP_1) | instskip(NEXT) | instid1(VALU_DEP_1)
	v_cndmask_b32_e64 v1, v1, v11, s7
	v_cndmask_b32_e64 v1, v1, v12, s8
	s_delay_alu instid0(VALU_DEP_1) | instskip(SKIP_1) | instid1(VALU_DEP_2)
	v_cndmask_b32_e32 v1, v1, v13, vcc_lo
	v_cmp_eq_u32_e32 vcc_lo, 0, v0
	v_cndmask_b32_e64 v1, v1, v14, s1
	s_delay_alu instid0(VALU_DEP_1) | instskip(SKIP_1) | instid1(VALU_DEP_2)
	v_cndmask_b32_e64 v1, v1, v15, s2
	v_cndmask_b32_e32 v15, v2, v4, vcc_lo
	v_cndmask_b32_e64 v17, v1, v4, s0
	s_delay_alu instid0(VALU_DEP_2) | instskip(NEXT) | instid1(VALU_DEP_2)
	v_mov_b32_e32 v2, v15
	v_dual_mov_b32 v3, v16 :: v_dual_mov_b32 v4, v17
	v_dual_mov_b32 v5, v18 :: v_dual_mov_b32 v6, v19
	;; [unrolled: 1-line block ×6, first 2 shown]
	v_mov_b32_e32 v15, v28
	v_mov_b32_e32 v16, v29
	;; [unrolled: 1-line block ×3, first 2 shown]
.LBB77_127:
	s_or_b32 exec_lo, exec_lo, s9
	v_dual_mov_b32 v0, s10 :: v_dual_mov_b32 v1, s11
	s_mov_b32 s9, exec_lo
	flat_load_b32 v0, v[0:1] offset:4
	s_waitcnt vmcnt(0) lgkmcnt(0)
	v_add_nc_u32_e32 v0, -1, v0
	s_delay_alu instid0(VALU_DEP_1)
	v_cmpx_ne_u32_e32 1, v0
	s_cbranch_execz .LBB77_129
; %bb.128:
	v_cmp_eq_u32_e32 vcc_lo, 1, v0
	v_cmp_eq_u32_e64 s2, 4, v0
	v_cmp_eq_u32_e64 s3, 5, v0
	;; [unrolled: 1-line block ×8, first 2 shown]
	v_cndmask_b32_e64 v18, v6, v3, s2
	v_cndmask_b32_e64 v19, v7, v3, s3
	v_cndmask_b32_e64 v20, v8, v3, s4
	v_cndmask_b32_e64 v21, v9, v3, s5
	v_cndmask_b32_e64 v22, v10, v3, s6
	v_cndmask_b32_e64 v23, v11, v3, s7
	v_cndmask_b32_e64 v24, v12, v3, s8
	v_cndmask_b32_e32 v1, v2, v3, vcc_lo
	v_cmp_eq_u32_e64 s1, 3, v0
	v_cndmask_b32_e64 v16, v4, v3, s0
	s_delay_alu instid0(VALU_DEP_3) | instskip(SKIP_1) | instid1(VALU_DEP_4)
	v_cndmask_b32_e64 v1, v1, v4, s0
	v_cmp_eq_u32_e64 s0, 11, v0
	v_cndmask_b32_e64 v17, v5, v3, s1
	s_delay_alu instid0(VALU_DEP_3) | instskip(SKIP_1) | instid1(VALU_DEP_4)
	v_cndmask_b32_e64 v1, v1, v5, s1
	;; [unrolled: 4-line block ×3, first 2 shown]
	v_cmp_eq_u32_e64 s2, 13, v0
	v_cndmask_b32_e64 v26, v14, v3, s1
	s_delay_alu instid0(VALU_DEP_3) | instskip(NEXT) | instid1(VALU_DEP_3)
	v_cndmask_b32_e64 v1, v1, v7, s3
	v_cndmask_b32_e64 v27, v15, v3, s2
	s_delay_alu instid0(VALU_DEP_2) | instskip(NEXT) | instid1(VALU_DEP_1)
	v_cndmask_b32_e64 v1, v1, v8, s4
	v_cndmask_b32_e64 v1, v1, v9, s5
	s_delay_alu instid0(VALU_DEP_1) | instskip(NEXT) | instid1(VALU_DEP_1)
	v_cndmask_b32_e64 v1, v1, v10, s6
	v_cndmask_b32_e64 v1, v1, v11, s7
	s_delay_alu instid0(VALU_DEP_1) | instskip(NEXT) | instid1(VALU_DEP_1)
	;; [unrolled: 3-line block ×3, first 2 shown]
	v_cndmask_b32_e64 v1, v1, v14, s1
	v_cndmask_b32_e64 v1, v1, v15, s2
	s_delay_alu instid0(VALU_DEP_1) | instskip(SKIP_2) | instid1(VALU_DEP_1)
	v_cndmask_b32_e32 v15, v1, v3, vcc_lo
	v_cmp_eq_u32_e32 vcc_lo, 0, v0
	v_cndmask_b32_e32 v14, v2, v3, vcc_lo
	v_mov_b32_e32 v2, v14
	s_delay_alu instid0(VALU_DEP_4)
	v_dual_mov_b32 v4, v16 :: v_dual_mov_b32 v3, v15
	v_dual_mov_b32 v6, v18 :: v_dual_mov_b32 v5, v17
	;; [unrolled: 1-line block ×6, first 2 shown]
	v_mov_b32_e32 v15, v27
	v_mov_b32_e32 v16, v28
	;; [unrolled: 1-line block ×3, first 2 shown]
.LBB77_129:
	s_or_b32 exec_lo, exec_lo, s9
	v_dual_mov_b32 v0, s10 :: v_dual_mov_b32 v1, s11
	s_mov_b32 s9, exec_lo
	flat_load_b32 v0, v[0:1]
	s_waitcnt vmcnt(0) lgkmcnt(0)
	v_add_nc_u32_e32 v0, -1, v0
	s_delay_alu instid0(VALU_DEP_1)
	v_cmpx_ne_u32_e32 0, v0
	s_cbranch_execz .LBB77_131
; %bb.130:
	v_cmp_eq_u32_e32 vcc_lo, 1, v0
	v_cmp_eq_u32_e64 s2, 4, v0
	v_cmp_eq_u32_e64 s3, 5, v0
	;; [unrolled: 1-line block ×8, first 2 shown]
	v_cndmask_b32_e64 v18, v6, v2, s2
	v_cndmask_b32_e64 v19, v7, v2, s3
	;; [unrolled: 1-line block ×7, first 2 shown]
	v_cndmask_b32_e32 v1, v2, v3, vcc_lo
	v_cmp_eq_u32_e64 s1, 3, v0
	v_cndmask_b32_e64 v16, v4, v2, s0
	s_delay_alu instid0(VALU_DEP_3) | instskip(SKIP_1) | instid1(VALU_DEP_4)
	v_cndmask_b32_e64 v1, v1, v4, s0
	v_cmp_eq_u32_e64 s0, 11, v0
	v_cndmask_b32_e64 v17, v5, v2, s1
	s_delay_alu instid0(VALU_DEP_3) | instskip(SKIP_1) | instid1(VALU_DEP_4)
	v_cndmask_b32_e64 v1, v1, v5, s1
	;; [unrolled: 4-line block ×3, first 2 shown]
	v_cmp_eq_u32_e64 s2, 13, v0
	v_cndmask_b32_e64 v26, v14, v2, s1
	s_delay_alu instid0(VALU_DEP_3) | instskip(NEXT) | instid1(VALU_DEP_3)
	v_cndmask_b32_e64 v1, v1, v7, s3
	v_cndmask_b32_e64 v27, v15, v2, s2
	s_delay_alu instid0(VALU_DEP_2) | instskip(NEXT) | instid1(VALU_DEP_1)
	v_cndmask_b32_e64 v1, v1, v8, s4
	v_cndmask_b32_e64 v1, v1, v9, s5
	s_delay_alu instid0(VALU_DEP_1) | instskip(NEXT) | instid1(VALU_DEP_1)
	v_cndmask_b32_e64 v1, v1, v10, s6
	v_cndmask_b32_e64 v1, v1, v11, s7
	s_delay_alu instid0(VALU_DEP_1) | instskip(NEXT) | instid1(VALU_DEP_1)
	v_cndmask_b32_e64 v1, v1, v12, s8
	v_cndmask_b32_e64 v1, v1, v13, s0
	v_cmp_eq_u32_e64 s0, 0, v0
	s_delay_alu instid0(VALU_DEP_2) | instskip(NEXT) | instid1(VALU_DEP_1)
	v_cndmask_b32_e64 v1, v1, v14, s1
	v_cndmask_b32_e64 v1, v1, v15, s2
	v_cndmask_b32_e32 v15, v3, v2, vcc_lo
	s_delay_alu instid0(VALU_DEP_2) | instskip(NEXT) | instid1(VALU_DEP_1)
	v_cndmask_b32_e64 v14, v1, v2, s0
	v_mov_b32_e32 v2, v14
	s_delay_alu instid0(VALU_DEP_3)
	v_dual_mov_b32 v4, v16 :: v_dual_mov_b32 v3, v15
	v_dual_mov_b32 v6, v18 :: v_dual_mov_b32 v5, v17
	;; [unrolled: 1-line block ×6, first 2 shown]
	v_mov_b32_e32 v15, v27
	v_mov_b32_e32 v16, v28
	;; [unrolled: 1-line block ×3, first 2 shown]
.LBB77_131:
	s_or_b32 exec_lo, exec_lo, s9
.LBB77_132:
	s_clause 0xd
	global_store_b32 v[31:32], v2, off
	global_store_b32 v[33:34], v3, off
	global_store_b32 v[35:36], v4, off
	global_store_b32 v[37:38], v5, off
	global_store_b32 v[39:40], v6, off
	global_store_b32 v[41:42], v7, off
	global_store_b32 v[43:44], v8, off
	global_store_b32 v[45:46], v9, off
	global_store_b32 v[47:48], v10, off
	global_store_b32 v[49:50], v11, off
	global_store_b32 v[51:52], v12, off
	global_store_b32 v[53:54], v13, off
	global_store_b32 v[55:56], v14, off
	global_store_b32 v[57:58], v15, off
	s_nop 0
	s_sendmsg sendmsg(MSG_DEALLOC_VGPRS)
	s_endpgm
	.section	.rodata,"a",@progbits
	.p2align	6, 0x0
	.amdhsa_kernel _ZN9rocsolver6v33100L18getri_kernel_smallILi14EfPKPfEEvT1_iilPiilS6_bb
		.amdhsa_group_segment_fixed_size 120
		.amdhsa_private_segment_fixed_size 0
		.amdhsa_kernarg_size 60
		.amdhsa_user_sgpr_count 15
		.amdhsa_user_sgpr_dispatch_ptr 0
		.amdhsa_user_sgpr_queue_ptr 0
		.amdhsa_user_sgpr_kernarg_segment_ptr 1
		.amdhsa_user_sgpr_dispatch_id 0
		.amdhsa_user_sgpr_private_segment_size 0
		.amdhsa_wavefront_size32 1
		.amdhsa_uses_dynamic_stack 0
		.amdhsa_enable_private_segment 0
		.amdhsa_system_sgpr_workgroup_id_x 1
		.amdhsa_system_sgpr_workgroup_id_y 0
		.amdhsa_system_sgpr_workgroup_id_z 0
		.amdhsa_system_sgpr_workgroup_info 0
		.amdhsa_system_vgpr_workitem_id 0
		.amdhsa_next_free_vgpr 59
		.amdhsa_next_free_sgpr 17
		.amdhsa_reserve_vcc 1
		.amdhsa_float_round_mode_32 0
		.amdhsa_float_round_mode_16_64 0
		.amdhsa_float_denorm_mode_32 3
		.amdhsa_float_denorm_mode_16_64 3
		.amdhsa_dx10_clamp 1
		.amdhsa_ieee_mode 1
		.amdhsa_fp16_overflow 0
		.amdhsa_workgroup_processor_mode 1
		.amdhsa_memory_ordered 1
		.amdhsa_forward_progress 0
		.amdhsa_shared_vgpr_count 0
		.amdhsa_exception_fp_ieee_invalid_op 0
		.amdhsa_exception_fp_denorm_src 0
		.amdhsa_exception_fp_ieee_div_zero 0
		.amdhsa_exception_fp_ieee_overflow 0
		.amdhsa_exception_fp_ieee_underflow 0
		.amdhsa_exception_fp_ieee_inexact 0
		.amdhsa_exception_int_div_zero 0
	.end_amdhsa_kernel
	.section	.text._ZN9rocsolver6v33100L18getri_kernel_smallILi14EfPKPfEEvT1_iilPiilS6_bb,"axG",@progbits,_ZN9rocsolver6v33100L18getri_kernel_smallILi14EfPKPfEEvT1_iilPiilS6_bb,comdat
.Lfunc_end77:
	.size	_ZN9rocsolver6v33100L18getri_kernel_smallILi14EfPKPfEEvT1_iilPiilS6_bb, .Lfunc_end77-_ZN9rocsolver6v33100L18getri_kernel_smallILi14EfPKPfEEvT1_iilPiilS6_bb
                                        ; -- End function
	.section	.AMDGPU.csdata,"",@progbits
; Kernel info:
; codeLenInByte = 16416
; NumSgprs: 19
; NumVgprs: 59
; ScratchSize: 0
; MemoryBound: 0
; FloatMode: 240
; IeeeMode: 1
; LDSByteSize: 120 bytes/workgroup (compile time only)
; SGPRBlocks: 2
; VGPRBlocks: 7
; NumSGPRsForWavesPerEU: 19
; NumVGPRsForWavesPerEU: 59
; Occupancy: 16
; WaveLimiterHint : 1
; COMPUTE_PGM_RSRC2:SCRATCH_EN: 0
; COMPUTE_PGM_RSRC2:USER_SGPR: 15
; COMPUTE_PGM_RSRC2:TRAP_HANDLER: 0
; COMPUTE_PGM_RSRC2:TGID_X_EN: 1
; COMPUTE_PGM_RSRC2:TGID_Y_EN: 0
; COMPUTE_PGM_RSRC2:TGID_Z_EN: 0
; COMPUTE_PGM_RSRC2:TIDIG_COMP_CNT: 0
	.section	.text._ZN9rocsolver6v33100L18getri_kernel_smallILi15EfPKPfEEvT1_iilPiilS6_bb,"axG",@progbits,_ZN9rocsolver6v33100L18getri_kernel_smallILi15EfPKPfEEvT1_iilPiilS6_bb,comdat
	.globl	_ZN9rocsolver6v33100L18getri_kernel_smallILi15EfPKPfEEvT1_iilPiilS6_bb ; -- Begin function _ZN9rocsolver6v33100L18getri_kernel_smallILi15EfPKPfEEvT1_iilPiilS6_bb
	.p2align	8
	.type	_ZN9rocsolver6v33100L18getri_kernel_smallILi15EfPKPfEEvT1_iilPiilS6_bb,@function
_ZN9rocsolver6v33100L18getri_kernel_smallILi15EfPKPfEEvT1_iilPiilS6_bb: ; @_ZN9rocsolver6v33100L18getri_kernel_smallILi15EfPKPfEEvT1_iilPiilS6_bb
; %bb.0:
	s_mov_b32 s2, exec_lo
	v_cmpx_gt_u32_e32 15, v0
	s_cbranch_execz .LBB78_16
; %bb.1:
	s_clause 0x1
	s_load_b32 s13, s[0:1], 0x38
	s_load_b64 s[2:3], s[0:1], 0x0
	s_mov_b32 s8, s15
	s_load_b128 s[4:7], s[0:1], 0x28
	s_waitcnt lgkmcnt(0)
	s_bitcmp1_b32 s13, 8
	s_cselect_b32 s12, -1, 0
	s_ashr_i32 s9, s15, 31
	s_delay_alu instid0(SALU_CYCLE_1) | instskip(NEXT) | instid1(SALU_CYCLE_1)
	s_lshl_b64 s[10:11], s[8:9], 3
	s_add_u32 s2, s2, s10
	s_addc_u32 s3, s3, s11
	s_bfe_u32 s10, s13, 0x10008
	s_load_b64 s[2:3], s[2:3], 0x0
	s_cmp_eq_u32 s10, 0
                                        ; implicit-def: $sgpr10_sgpr11
	s_cbranch_scc1 .LBB78_3
; %bb.2:
	s_clause 0x1
	s_load_b32 s10, s[0:1], 0x20
	s_load_b64 s[14:15], s[0:1], 0x18
	s_mul_i32 s5, s8, s5
	s_mul_hi_u32 s11, s8, s4
	s_mul_i32 s16, s9, s4
	s_add_i32 s5, s11, s5
	s_mul_i32 s4, s8, s4
	s_add_i32 s5, s5, s16
	s_delay_alu instid0(SALU_CYCLE_1)
	s_lshl_b64 s[4:5], s[4:5], 2
	s_waitcnt lgkmcnt(0)
	s_ashr_i32 s11, s10, 31
	s_add_u32 s14, s14, s4
	s_addc_u32 s15, s15, s5
	s_lshl_b64 s[4:5], s[10:11], 2
	s_delay_alu instid0(SALU_CYCLE_1)
	s_add_u32 s10, s14, s4
	s_addc_u32 s11, s15, s5
.LBB78_3:
	s_load_b64 s[0:1], s[0:1], 0x8
	v_lshlrev_b32_e32 v17, 2, v0
	s_waitcnt lgkmcnt(0)
	v_add3_u32 v1, s1, s1, v0
	s_ashr_i32 s5, s0, 31
	s_mov_b32 s4, s0
	s_mov_b32 s14, s1
	s_lshl_b64 s[4:5], s[4:5], 2
	v_add_nc_u32_e32 v3, s1, v1
	v_ashrrev_i32_e32 v2, 31, v1
	s_add_u32 s2, s2, s4
	s_addc_u32 s3, s3, s5
	v_add_co_u32 v33, s0, s2, v17
	v_add_nc_u32_e32 v5, s1, v3
	s_ashr_i32 s15, s1, 31
	v_add_co_ci_u32_e64 v34, null, s3, 0, s0
	v_lshlrev_b64 v[1:2], 2, v[1:2]
	v_ashrrev_i32_e32 v4, 31, v3
	s_lshl_b64 s[4:5], s[14:15], 2
	v_ashrrev_i32_e32 v6, 31, v5
	v_add_co_u32 v35, vcc_lo, v33, s4
	v_add_nc_u32_e32 v7, s1, v5
	v_add_co_ci_u32_e32 v36, vcc_lo, s5, v34, vcc_lo
	v_lshlrev_b64 v[3:4], 2, v[3:4]
	v_add_co_u32 v37, vcc_lo, s2, v1
	v_add_co_ci_u32_e32 v38, vcc_lo, s3, v2, vcc_lo
	v_lshlrev_b64 v[1:2], 2, v[5:6]
	v_ashrrev_i32_e32 v8, 31, v7
	v_add_nc_u32_e32 v5, s1, v7
	v_add_co_u32 v39, vcc_lo, s2, v3
	v_add_co_ci_u32_e32 v40, vcc_lo, s3, v4, vcc_lo
	s_delay_alu instid0(VALU_DEP_4) | instskip(NEXT) | instid1(VALU_DEP_4)
	v_lshlrev_b64 v[3:4], 2, v[7:8]
	v_ashrrev_i32_e32 v6, 31, v5
	v_add_nc_u32_e32 v7, s1, v5
	v_add_co_u32 v41, vcc_lo, s2, v1
	v_add_co_ci_u32_e32 v42, vcc_lo, s3, v2, vcc_lo
	s_delay_alu instid0(VALU_DEP_4) | instskip(NEXT) | instid1(VALU_DEP_4)
	v_lshlrev_b64 v[1:2], 2, v[5:6]
	v_add_nc_u32_e32 v5, s1, v7
	v_ashrrev_i32_e32 v8, 31, v7
	v_add_co_u32 v43, vcc_lo, s2, v3
	v_add_co_ci_u32_e32 v44, vcc_lo, s3, v4, vcc_lo
	s_delay_alu instid0(VALU_DEP_4) | instskip(NEXT) | instid1(VALU_DEP_4)
	v_ashrrev_i32_e32 v6, 31, v5
	v_lshlrev_b64 v[3:4], 2, v[7:8]
	v_add_nc_u32_e32 v7, s1, v5
	v_add_co_u32 v45, vcc_lo, s2, v1
	v_add_co_ci_u32_e32 v46, vcc_lo, s3, v2, vcc_lo
	v_lshlrev_b64 v[1:2], 2, v[5:6]
	s_delay_alu instid0(VALU_DEP_4)
	v_add_nc_u32_e32 v11, s1, v7
	v_add_co_u32 v47, vcc_lo, s2, v3
	v_ashrrev_i32_e32 v8, 31, v7
	v_add_co_ci_u32_e32 v48, vcc_lo, s3, v4, vcc_lo
	v_add_co_u32 v49, vcc_lo, s2, v1
	v_add_nc_u32_e32 v13, s1, v11
	v_add_co_ci_u32_e32 v50, vcc_lo, s3, v2, vcc_lo
	v_lshlrev_b64 v[1:2], 2, v[7:8]
	v_ashrrev_i32_e32 v12, 31, v11
	s_delay_alu instid0(VALU_DEP_4)
	v_ashrrev_i32_e32 v14, 31, v13
	v_add_nc_u32_e32 v15, s1, v13
	s_clause 0x7
	global_load_b32 v3, v[35:36], off
	global_load_b32 v4, v[37:38], off
	global_load_b32 v5, v[39:40], off
	global_load_b32 v6, v[41:42], off
	global_load_b32 v7, v[43:44], off
	global_load_b32 v8, v[45:46], off
	global_load_b32 v9, v[47:48], off
	global_load_b32 v10, v[49:50], off
	s_bitcmp0_b32 s13, 0
	v_lshlrev_b64 v[11:12], 2, v[11:12]
	v_add_co_u32 v51, vcc_lo, s2, v1
	v_add_co_ci_u32_e32 v52, vcc_lo, s3, v2, vcc_lo
	v_lshlrev_b64 v[1:2], 2, v[13:14]
	v_ashrrev_i32_e32 v16, 31, v15
	v_add_nc_u32_e32 v13, s1, v15
	v_add_co_u32 v53, vcc_lo, s2, v11
	v_add_co_ci_u32_e32 v54, vcc_lo, s3, v12, vcc_lo
	s_delay_alu instid0(VALU_DEP_4) | instskip(NEXT) | instid1(VALU_DEP_4)
	v_lshlrev_b64 v[11:12], 2, v[15:16]
	v_add_nc_u32_e32 v15, s1, v13
	v_ashrrev_i32_e32 v14, 31, v13
	v_add_co_u32 v55, vcc_lo, s2, v1
	v_add_co_ci_u32_e32 v56, vcc_lo, s3, v2, vcc_lo
	s_delay_alu instid0(VALU_DEP_4) | instskip(NEXT) | instid1(VALU_DEP_4)
	v_ashrrev_i32_e32 v16, 31, v15
	v_lshlrev_b64 v[1:2], 2, v[13:14]
	v_add_co_u32 v57, vcc_lo, s2, v11
	v_add_co_ci_u32_e32 v58, vcc_lo, s3, v12, vcc_lo
	s_delay_alu instid0(VALU_DEP_4) | instskip(NEXT) | instid1(VALU_DEP_4)
	v_lshlrev_b64 v[11:12], 2, v[15:16]
	v_add_co_u32 v59, vcc_lo, s2, v1
	v_add_co_ci_u32_e32 v60, vcc_lo, s3, v2, vcc_lo
	v_mov_b32_e32 v1, 0
	s_delay_alu instid0(VALU_DEP_4)
	v_add_co_u32 v61, vcc_lo, s2, v11
	v_add_co_ci_u32_e32 v62, vcc_lo, s3, v12, vcc_lo
	s_clause 0x6
	global_load_b32 v11, v[51:52], off
	global_load_b32 v12, v[53:54], off
	;; [unrolled: 1-line block ×5, first 2 shown]
	global_load_b32 v2, v17, s[2:3]
	global_load_b32 v16, v[61:62], off
	s_mov_b32 s0, -1
	s_cbranch_scc1 .LBB78_14
; %bb.4:
	v_cmp_eq_u32_e64 s0, 0, v0
	s_delay_alu instid0(VALU_DEP_1)
	s_and_saveexec_b32 s1, s0
	s_cbranch_execz .LBB78_6
; %bb.5:
	v_mov_b32_e32 v18, 0
	ds_store_b32 v18, v18 offset:60
.LBB78_6:
	s_or_b32 exec_lo, exec_lo, s1
	v_cmp_eq_u32_e32 vcc_lo, 1, v0
	s_mov_b32 s2, exec_lo
	s_waitcnt vmcnt(0) lgkmcnt(0)
	s_barrier
	buffer_gl0_inv
	v_cndmask_b32_e32 v18, v2, v3, vcc_lo
	v_cmp_eq_u32_e32 vcc_lo, 2, v0
	s_delay_alu instid0(VALU_DEP_2) | instskip(SKIP_1) | instid1(VALU_DEP_2)
	v_cndmask_b32_e32 v18, v18, v4, vcc_lo
	v_cmp_eq_u32_e32 vcc_lo, 3, v0
	v_cndmask_b32_e32 v18, v18, v5, vcc_lo
	v_cmp_eq_u32_e32 vcc_lo, 4, v0
	s_delay_alu instid0(VALU_DEP_2) | instskip(SKIP_1) | instid1(VALU_DEP_2)
	v_cndmask_b32_e32 v18, v18, v6, vcc_lo
	v_cmp_eq_u32_e32 vcc_lo, 5, v0
	v_cndmask_b32_e32 v18, v18, v7, vcc_lo
	v_cmp_eq_u32_e32 vcc_lo, 6, v0
	s_delay_alu instid0(VALU_DEP_2) | instskip(SKIP_1) | instid1(VALU_DEP_2)
	v_cndmask_b32_e32 v18, v18, v8, vcc_lo
	v_cmp_eq_u32_e32 vcc_lo, 7, v0
	v_cndmask_b32_e32 v18, v18, v9, vcc_lo
	v_cmp_eq_u32_e32 vcc_lo, 8, v0
	s_delay_alu instid0(VALU_DEP_2) | instskip(SKIP_1) | instid1(VALU_DEP_2)
	v_cndmask_b32_e32 v18, v18, v10, vcc_lo
	v_cmp_eq_u32_e32 vcc_lo, 9, v0
	v_cndmask_b32_e32 v18, v18, v11, vcc_lo
	v_cmp_eq_u32_e32 vcc_lo, 10, v0
	s_delay_alu instid0(VALU_DEP_2) | instskip(SKIP_1) | instid1(VALU_DEP_2)
	v_cndmask_b32_e32 v18, v18, v12, vcc_lo
	v_cmp_eq_u32_e32 vcc_lo, 11, v0
	v_cndmask_b32_e32 v18, v18, v13, vcc_lo
	v_cmp_eq_u32_e32 vcc_lo, 12, v0
	s_delay_alu instid0(VALU_DEP_2) | instskip(SKIP_1) | instid1(VALU_DEP_2)
	v_cndmask_b32_e32 v18, v18, v14, vcc_lo
	v_cmp_eq_u32_e32 vcc_lo, 13, v0
	v_cndmask_b32_e32 v18, v18, v15, vcc_lo
	v_cmp_eq_u32_e32 vcc_lo, 14, v0
	s_delay_alu instid0(VALU_DEP_2) | instskip(NEXT) | instid1(VALU_DEP_1)
	v_cndmask_b32_e32 v18, v18, v16, vcc_lo
	v_cmpx_eq_f32_e32 0, v18
	s_cbranch_execz .LBB78_10
; %bb.7:
	v_mov_b32_e32 v19, 0
	ds_load_b32 v20, v19 offset:60
	s_waitcnt lgkmcnt(0)
	v_readfirstlane_b32 s1, v20
	v_add_nc_u32_e32 v20, 1, v0
	s_delay_alu instid0(VALU_DEP_2) | instskip(NEXT) | instid1(VALU_DEP_1)
	s_cmp_eq_u32 s1, 0
	v_cmp_gt_i32_e32 vcc_lo, s1, v20
	s_cselect_b32 s3, -1, 0
	s_delay_alu instid0(SALU_CYCLE_1) | instskip(NEXT) | instid1(SALU_CYCLE_1)
	s_or_b32 s3, s3, vcc_lo
	s_and_b32 exec_lo, exec_lo, s3
	s_cbranch_execz .LBB78_10
; %bb.8:
	v_mov_b32_e32 v21, s1
	s_mov_b32 s3, 0
.LBB78_9:                               ; =>This Inner Loop Header: Depth=1
	ds_cmpstore_rtn_b32 v21, v19, v20, v21 offset:60
	s_waitcnt lgkmcnt(0)
	v_cmp_ne_u32_e32 vcc_lo, 0, v21
	v_cmp_le_i32_e64 s1, v21, v20
	s_delay_alu instid0(VALU_DEP_1) | instskip(NEXT) | instid1(SALU_CYCLE_1)
	s_and_b32 s1, vcc_lo, s1
	s_and_b32 s1, exec_lo, s1
	s_delay_alu instid0(SALU_CYCLE_1) | instskip(NEXT) | instid1(SALU_CYCLE_1)
	s_or_b32 s3, s1, s3
	s_and_not1_b32 exec_lo, exec_lo, s3
	s_cbranch_execnz .LBB78_9
.LBB78_10:
	s_or_b32 exec_lo, exec_lo, s2
	v_mov_b32_e32 v19, 0
	s_barrier
	buffer_gl0_inv
	ds_load_b32 v20, v19 offset:60
	s_and_saveexec_b32 s1, s0
	s_cbranch_execz .LBB78_12
; %bb.11:
	s_lshl_b64 s[2:3], s[8:9], 2
	s_delay_alu instid0(SALU_CYCLE_1)
	s_add_u32 s2, s6, s2
	s_addc_u32 s3, s7, s3
	s_waitcnt lgkmcnt(0)
	global_store_b32 v19, v20, s[2:3]
.LBB78_12:
	s_or_b32 exec_lo, exec_lo, s1
	s_waitcnt lgkmcnt(0)
	v_cmp_ne_u32_e32 vcc_lo, 0, v20
	s_cbranch_vccz .LBB78_17
; %bb.13:
	s_mov_b32 s0, 0
                                        ; implicit-def: $vgpr2_vgpr3_vgpr4_vgpr5_vgpr6_vgpr7_vgpr8_vgpr9_vgpr10_vgpr11_vgpr12_vgpr13_vgpr14_vgpr15_vgpr16_vgpr17
.LBB78_14:
	s_delay_alu instid0(SALU_CYCLE_1)
	s_and_b32 vcc_lo, exec_lo, s0
	s_cbranch_vccz .LBB78_16
.LBB78_15:
	s_lshl_b64 s[0:1], s[8:9], 2
	v_mov_b32_e32 v1, 0
	s_add_u32 s0, s6, s0
	s_addc_u32 s1, s7, s1
	global_load_b32 v1, v1, s[0:1]
	s_waitcnt vmcnt(0)
	v_cmp_ne_u32_e32 vcc_lo, 0, v1
	s_cbranch_vccz .LBB78_82
.LBB78_16:
	s_nop 0
	s_sendmsg sendmsg(MSG_DEALLOC_VGPRS)
	s_endpgm
.LBB78_17:
	v_div_scale_f32 v19, null, v18, v18, 1.0
	v_div_scale_f32 v22, vcc_lo, 1.0, v18, 1.0
	s_delay_alu instid0(VALU_DEP_2) | instskip(SKIP_2) | instid1(VALU_DEP_1)
	v_rcp_f32_e32 v20, v19
	s_waitcnt_depctr 0xfff
	v_fma_f32 v21, -v19, v20, 1.0
	v_fmac_f32_e32 v20, v21, v20
	s_delay_alu instid0(VALU_DEP_1) | instskip(NEXT) | instid1(VALU_DEP_1)
	v_mul_f32_e32 v21, v22, v20
	v_fma_f32 v23, -v19, v21, v22
	s_delay_alu instid0(VALU_DEP_1) | instskip(NEXT) | instid1(VALU_DEP_1)
	v_fmac_f32_e32 v21, v23, v20
	v_fma_f32 v19, -v19, v21, v22
	s_delay_alu instid0(VALU_DEP_1) | instskip(SKIP_1) | instid1(VALU_DEP_2)
	v_div_fmas_f32 v19, v19, v20, v21
	v_cmp_eq_u32_e32 vcc_lo, 14, v0
	v_div_fixup_f32 v18, v19, v18, 1.0
	s_delay_alu instid0(VALU_DEP_1)
	v_dual_cndmask_b32 v16, v16, v18 :: v_dual_add_nc_u32 v19, 64, v17
	v_cmp_eq_u32_e32 vcc_lo, 13, v0
	v_xor_b32_e32 v20, 0x80000000, v18
	v_cndmask_b32_e32 v15, v15, v18, vcc_lo
	v_cmp_eq_u32_e32 vcc_lo, 12, v0
	v_cndmask_b32_e32 v14, v14, v18, vcc_lo
	v_cmp_eq_u32_e32 vcc_lo, 11, v0
	;; [unrolled: 2-line block ×12, first 2 shown]
	ds_store_2addr_b32 v17, v20, v3 offset1:16
	v_cndmask_b32_e32 v4, v4, v18, vcc_lo
	v_cmp_eq_u32_e32 vcc_lo, 0, v0
	s_waitcnt lgkmcnt(0)
	s_waitcnt_vscnt null, 0x0
	s_barrier
	buffer_gl0_inv
	v_cndmask_b32_e32 v2, v2, v18, vcc_lo
	s_and_saveexec_b32 s1, s0
	s_cbranch_execz .LBB78_19
; %bb.18:
	v_mov_b32_e32 v3, 0
	ds_load_b32 v17, v19
	ds_load_b32 v3, v3 offset:4
	s_waitcnt lgkmcnt(1)
	v_fma_f32 v17, v18, v17, 0
	s_waitcnt lgkmcnt(0)
	s_delay_alu instid0(VALU_DEP_1)
	v_mul_f32_e32 v3, v17, v3
.LBB78_19:
	s_or_b32 exec_lo, exec_lo, s1
	v_cmp_gt_u32_e32 vcc_lo, 2, v0
	s_barrier
	buffer_gl0_inv
	ds_store_b32 v19, v4
	s_waitcnt lgkmcnt(0)
	s_barrier
	buffer_gl0_inv
	s_and_saveexec_b32 s2, vcc_lo
	s_cbranch_execz .LBB78_21
; %bb.20:
	v_cmp_eq_u32_e64 s1, 1, v0
	ds_load_b32 v20, v19
	v_cndmask_b32_e64 v17, v2, v3, s1
	v_cmp_eq_u32_e64 s1, 2, v0
	s_delay_alu instid0(VALU_DEP_1) | instskip(SKIP_2) | instid1(VALU_DEP_2)
	v_cndmask_b32_e64 v4, v17, v4, s1
	v_cmp_eq_u32_e64 s1, 3, v0
	v_mov_b32_e32 v17, 0
	v_cndmask_b32_e64 v4, v4, v5, s1
	v_cmp_eq_u32_e64 s1, 4, v0
	ds_load_2addr_b32 v[17:18], v17 offset0:2 offset1:17
	v_cndmask_b32_e64 v4, v4, v6, s1
	v_cmp_eq_u32_e64 s1, 5, v0
	s_delay_alu instid0(VALU_DEP_1) | instskip(SKIP_1) | instid1(VALU_DEP_1)
	v_cndmask_b32_e64 v4, v4, v7, s1
	v_cmp_eq_u32_e64 s1, 6, v0
	v_cndmask_b32_e64 v4, v4, v8, s1
	v_cmp_eq_u32_e64 s1, 7, v0
	s_delay_alu instid0(VALU_DEP_1) | instskip(SKIP_1) | instid1(VALU_DEP_1)
	v_cndmask_b32_e64 v4, v4, v9, s1
	v_cmp_eq_u32_e64 s1, 8, v0
	;; [unrolled: 5-line block ×5, first 2 shown]
	v_cndmask_b32_e64 v4, v4, v16, s1
	s_waitcnt lgkmcnt(1)
	s_delay_alu instid0(VALU_DEP_1) | instskip(SKIP_1) | instid1(VALU_DEP_1)
	v_fma_f32 v4, v4, v20, 0
	s_waitcnt lgkmcnt(0)
	v_fma_f32 v18, v3, v18, v4
	s_delay_alu instid0(VALU_DEP_1) | instskip(NEXT) | instid1(VALU_DEP_1)
	v_cndmask_b32_e64 v4, v4, v18, s0
	v_mul_f32_e32 v4, v4, v17
.LBB78_21:
	s_or_b32 exec_lo, exec_lo, s2
	s_delay_alu instid0(SALU_CYCLE_1)
	s_mov_b32 s3, exec_lo
	s_barrier
	buffer_gl0_inv
	ds_store_b32 v19, v5
	s_waitcnt lgkmcnt(0)
	s_barrier
	buffer_gl0_inv
	v_cmpx_gt_u32_e32 3, v0
	s_cbranch_execz .LBB78_25
; %bb.22:
	v_mov_b32_e32 v18, v1
	v_lshl_add_u32 v21, v0, 2, 64
	v_dual_mov_b32 v20, 0 :: v_dual_mov_b32 v17, v0
	s_mov_b32 s4, 0
.LBB78_23:                              ; =>This Inner Loop Header: Depth=1
	s_delay_alu instid0(VALU_DEP_1) | instskip(SKIP_3) | instid1(VALU_DEP_1)
	v_cmp_eq_u32_e64 s1, 1, v17
	ds_load_b32 v23, v21
	v_cndmask_b32_e64 v22, v2, v3, s1
	v_cmp_eq_u32_e64 s1, 2, v17
	v_cndmask_b32_e64 v22, v22, v4, s1
	v_cmp_eq_u32_e64 s1, 3, v17
	s_delay_alu instid0(VALU_DEP_1) | instskip(SKIP_1) | instid1(VALU_DEP_1)
	v_cndmask_b32_e64 v22, v22, v5, s1
	v_cmp_eq_u32_e64 s1, 4, v17
	v_cndmask_b32_e64 v22, v22, v6, s1
	v_cmp_eq_u32_e64 s1, 5, v17
	s_delay_alu instid0(VALU_DEP_1) | instskip(SKIP_1) | instid1(VALU_DEP_1)
	;; [unrolled: 5-line block ×5, first 2 shown]
	v_cndmask_b32_e64 v22, v22, v13, s1
	v_cmp_eq_u32_e64 s1, 12, v17
	v_cndmask_b32_e64 v22, v22, v14, s1
	v_cmp_eq_u32_e64 s1, 13, v17
	s_delay_alu instid0(VALU_DEP_1) | instskip(SKIP_2) | instid1(VALU_DEP_1)
	v_cndmask_b32_e64 v22, v22, v15, s1
	v_cmp_eq_u32_e64 s1, 14, v17
	v_add_co_u32 v17, s2, v17, 1
	v_add_co_ci_u32_e64 v18, s2, 0, v18, s2
	s_delay_alu instid0(VALU_DEP_3) | instskip(NEXT) | instid1(VALU_DEP_3)
	v_cndmask_b32_e64 v22, v22, v16, s1
	v_add_nc_u32_e32 v24, -1, v17
	s_waitcnt lgkmcnt(0)
	s_delay_alu instid0(VALU_DEP_2) | instskip(NEXT) | instid1(VALU_DEP_2)
	v_dual_fmac_f32 v20, v22, v23 :: v_dual_add_nc_u32 v21, 4, v21
	v_cmp_lt_u32_e64 s1, 1, v24
	s_delay_alu instid0(VALU_DEP_1) | instskip(NEXT) | instid1(SALU_CYCLE_1)
	s_or_b32 s4, s1, s4
	s_and_not1_b32 exec_lo, exec_lo, s4
	s_cbranch_execnz .LBB78_23
; %bb.24:
	s_or_b32 exec_lo, exec_lo, s4
	v_mov_b32_e32 v5, 0
	ds_load_b32 v5, v5 offset:12
	s_waitcnt lgkmcnt(0)
	v_mul_f32_e32 v5, v20, v5
.LBB78_25:
	s_or_b32 exec_lo, exec_lo, s3
	v_cmp_gt_u32_e64 s1, 4, v0
	s_barrier
	buffer_gl0_inv
	ds_store_b32 v19, v6
	s_waitcnt lgkmcnt(0)
	s_barrier
	buffer_gl0_inv
	s_and_saveexec_b32 s4, s1
	s_cbranch_execz .LBB78_29
; %bb.26:
	v_mov_b32_e32 v18, v1
	v_lshl_add_u32 v21, v0, 2, 64
	v_dual_mov_b32 v20, 0 :: v_dual_mov_b32 v17, v0
	s_mov_b32 s5, 0
.LBB78_27:                              ; =>This Inner Loop Header: Depth=1
	s_delay_alu instid0(VALU_DEP_1) | instskip(SKIP_3) | instid1(VALU_DEP_1)
	v_cmp_eq_u32_e64 s2, 1, v17
	ds_load_b32 v23, v21
	v_cndmask_b32_e64 v22, v2, v3, s2
	v_cmp_eq_u32_e64 s2, 2, v17
	v_cndmask_b32_e64 v22, v22, v4, s2
	v_cmp_eq_u32_e64 s2, 3, v17
	s_delay_alu instid0(VALU_DEP_1) | instskip(SKIP_1) | instid1(VALU_DEP_1)
	v_cndmask_b32_e64 v22, v22, v5, s2
	v_cmp_eq_u32_e64 s2, 4, v17
	v_cndmask_b32_e64 v22, v22, v6, s2
	v_cmp_eq_u32_e64 s2, 5, v17
	s_delay_alu instid0(VALU_DEP_1) | instskip(SKIP_1) | instid1(VALU_DEP_1)
	;; [unrolled: 5-line block ×5, first 2 shown]
	v_cndmask_b32_e64 v22, v22, v13, s2
	v_cmp_eq_u32_e64 s2, 12, v17
	v_cndmask_b32_e64 v22, v22, v14, s2
	v_cmp_eq_u32_e64 s2, 13, v17
	s_delay_alu instid0(VALU_DEP_1) | instskip(SKIP_2) | instid1(VALU_DEP_1)
	v_cndmask_b32_e64 v22, v22, v15, s2
	v_cmp_eq_u32_e64 s2, 14, v17
	v_add_co_u32 v17, s3, v17, 1
	v_add_co_ci_u32_e64 v18, s3, 0, v18, s3
	s_delay_alu instid0(VALU_DEP_3) | instskip(NEXT) | instid1(VALU_DEP_3)
	v_cndmask_b32_e64 v22, v22, v16, s2
	v_add_nc_u32_e32 v24, -1, v17
	s_waitcnt lgkmcnt(0)
	s_delay_alu instid0(VALU_DEP_2) | instskip(NEXT) | instid1(VALU_DEP_2)
	v_dual_fmac_f32 v20, v22, v23 :: v_dual_add_nc_u32 v21, 4, v21
	v_cmp_lt_u32_e64 s2, 2, v24
	s_delay_alu instid0(VALU_DEP_1) | instskip(NEXT) | instid1(SALU_CYCLE_1)
	s_or_b32 s5, s2, s5
	s_and_not1_b32 exec_lo, exec_lo, s5
	s_cbranch_execnz .LBB78_27
; %bb.28:
	s_or_b32 exec_lo, exec_lo, s5
	v_mov_b32_e32 v6, 0
	ds_load_b32 v6, v6 offset:16
	s_waitcnt lgkmcnt(0)
	v_mul_f32_e32 v6, v20, v6
.LBB78_29:
	s_or_b32 exec_lo, exec_lo, s4
	s_delay_alu instid0(SALU_CYCLE_1)
	s_mov_b32 s4, exec_lo
	s_barrier
	buffer_gl0_inv
	ds_store_b32 v19, v7
	s_waitcnt lgkmcnt(0)
	s_barrier
	buffer_gl0_inv
	v_cmpx_gt_u32_e32 5, v0
	s_cbranch_execz .LBB78_33
; %bb.30:
	v_mov_b32_e32 v18, v1
	v_lshl_add_u32 v21, v0, 2, 64
	v_dual_mov_b32 v20, 0 :: v_dual_mov_b32 v17, v0
	s_mov_b32 s5, 0
.LBB78_31:                              ; =>This Inner Loop Header: Depth=1
	s_delay_alu instid0(VALU_DEP_1) | instskip(SKIP_3) | instid1(VALU_DEP_1)
	v_cmp_eq_u32_e64 s2, 1, v17
	ds_load_b32 v23, v21
	v_cndmask_b32_e64 v22, v2, v3, s2
	v_cmp_eq_u32_e64 s2, 2, v17
	v_cndmask_b32_e64 v22, v22, v4, s2
	v_cmp_eq_u32_e64 s2, 3, v17
	s_delay_alu instid0(VALU_DEP_1) | instskip(SKIP_1) | instid1(VALU_DEP_1)
	v_cndmask_b32_e64 v22, v22, v5, s2
	v_cmp_eq_u32_e64 s2, 4, v17
	v_cndmask_b32_e64 v22, v22, v6, s2
	v_cmp_eq_u32_e64 s2, 5, v17
	s_delay_alu instid0(VALU_DEP_1) | instskip(SKIP_1) | instid1(VALU_DEP_1)
	;; [unrolled: 5-line block ×5, first 2 shown]
	v_cndmask_b32_e64 v22, v22, v13, s2
	v_cmp_eq_u32_e64 s2, 12, v17
	v_cndmask_b32_e64 v22, v22, v14, s2
	v_cmp_eq_u32_e64 s2, 13, v17
	s_delay_alu instid0(VALU_DEP_1) | instskip(SKIP_2) | instid1(VALU_DEP_1)
	v_cndmask_b32_e64 v22, v22, v15, s2
	v_cmp_eq_u32_e64 s2, 14, v17
	v_add_co_u32 v17, s3, v17, 1
	v_add_co_ci_u32_e64 v18, s3, 0, v18, s3
	s_delay_alu instid0(VALU_DEP_3) | instskip(NEXT) | instid1(VALU_DEP_3)
	v_cndmask_b32_e64 v22, v22, v16, s2
	v_add_nc_u32_e32 v24, -1, v17
	s_waitcnt lgkmcnt(0)
	s_delay_alu instid0(VALU_DEP_2) | instskip(NEXT) | instid1(VALU_DEP_2)
	v_dual_fmac_f32 v20, v22, v23 :: v_dual_add_nc_u32 v21, 4, v21
	v_cmp_lt_u32_e64 s2, 3, v24
	s_delay_alu instid0(VALU_DEP_1) | instskip(NEXT) | instid1(SALU_CYCLE_1)
	s_or_b32 s5, s2, s5
	s_and_not1_b32 exec_lo, exec_lo, s5
	s_cbranch_execnz .LBB78_31
; %bb.32:
	s_or_b32 exec_lo, exec_lo, s5
	v_mov_b32_e32 v7, 0
	ds_load_b32 v7, v7 offset:20
	s_waitcnt lgkmcnt(0)
	v_mul_f32_e32 v7, v20, v7
.LBB78_33:
	s_or_b32 exec_lo, exec_lo, s4
	v_cmp_gt_u32_e64 s2, 6, v0
	s_barrier
	buffer_gl0_inv
	ds_store_b32 v19, v8
	s_waitcnt lgkmcnt(0)
	s_barrier
	buffer_gl0_inv
	s_and_saveexec_b32 s5, s2
	s_cbranch_execz .LBB78_37
; %bb.34:
	v_mov_b32_e32 v18, v1
	v_lshl_add_u32 v21, v0, 2, 64
	v_dual_mov_b32 v20, 0 :: v_dual_mov_b32 v17, v0
	s_mov_b32 s13, 0
.LBB78_35:                              ; =>This Inner Loop Header: Depth=1
	s_delay_alu instid0(VALU_DEP_1) | instskip(SKIP_3) | instid1(VALU_DEP_1)
	v_cmp_eq_u32_e64 s3, 1, v17
	ds_load_b32 v23, v21
	v_cndmask_b32_e64 v22, v2, v3, s3
	v_cmp_eq_u32_e64 s3, 2, v17
	v_cndmask_b32_e64 v22, v22, v4, s3
	v_cmp_eq_u32_e64 s3, 3, v17
	s_delay_alu instid0(VALU_DEP_1) | instskip(SKIP_1) | instid1(VALU_DEP_1)
	v_cndmask_b32_e64 v22, v22, v5, s3
	v_cmp_eq_u32_e64 s3, 4, v17
	v_cndmask_b32_e64 v22, v22, v6, s3
	v_cmp_eq_u32_e64 s3, 5, v17
	s_delay_alu instid0(VALU_DEP_1) | instskip(SKIP_1) | instid1(VALU_DEP_1)
	;; [unrolled: 5-line block ×5, first 2 shown]
	v_cndmask_b32_e64 v22, v22, v13, s3
	v_cmp_eq_u32_e64 s3, 12, v17
	v_cndmask_b32_e64 v22, v22, v14, s3
	v_cmp_eq_u32_e64 s3, 13, v17
	s_delay_alu instid0(VALU_DEP_1) | instskip(SKIP_2) | instid1(VALU_DEP_1)
	v_cndmask_b32_e64 v22, v22, v15, s3
	v_cmp_eq_u32_e64 s3, 14, v17
	v_add_co_u32 v17, s4, v17, 1
	v_add_co_ci_u32_e64 v18, s4, 0, v18, s4
	s_delay_alu instid0(VALU_DEP_3) | instskip(NEXT) | instid1(VALU_DEP_3)
	v_cndmask_b32_e64 v22, v22, v16, s3
	v_add_nc_u32_e32 v24, -1, v17
	s_waitcnt lgkmcnt(0)
	s_delay_alu instid0(VALU_DEP_2) | instskip(NEXT) | instid1(VALU_DEP_2)
	v_dual_fmac_f32 v20, v22, v23 :: v_dual_add_nc_u32 v21, 4, v21
	v_cmp_lt_u32_e64 s3, 4, v24
	s_delay_alu instid0(VALU_DEP_1) | instskip(NEXT) | instid1(SALU_CYCLE_1)
	s_or_b32 s13, s3, s13
	s_and_not1_b32 exec_lo, exec_lo, s13
	s_cbranch_execnz .LBB78_35
; %bb.36:
	s_or_b32 exec_lo, exec_lo, s13
	v_mov_b32_e32 v8, 0
	ds_load_b32 v8, v8 offset:24
	s_waitcnt lgkmcnt(0)
	v_mul_f32_e32 v8, v20, v8
.LBB78_37:
	s_or_b32 exec_lo, exec_lo, s5
	s_delay_alu instid0(SALU_CYCLE_1)
	s_mov_b32 s5, exec_lo
	s_barrier
	buffer_gl0_inv
	ds_store_b32 v19, v9
	s_waitcnt lgkmcnt(0)
	s_barrier
	buffer_gl0_inv
	v_cmpx_gt_u32_e32 7, v0
	s_cbranch_execz .LBB78_41
; %bb.38:
	v_mov_b32_e32 v18, v1
	v_lshl_add_u32 v21, v0, 2, 64
	v_dual_mov_b32 v20, 0 :: v_dual_mov_b32 v17, v0
	s_mov_b32 s13, 0
.LBB78_39:                              ; =>This Inner Loop Header: Depth=1
	s_delay_alu instid0(VALU_DEP_1) | instskip(SKIP_3) | instid1(VALU_DEP_1)
	v_cmp_eq_u32_e64 s3, 1, v17
	ds_load_b32 v23, v21
	v_cndmask_b32_e64 v22, v2, v3, s3
	v_cmp_eq_u32_e64 s3, 2, v17
	v_cndmask_b32_e64 v22, v22, v4, s3
	v_cmp_eq_u32_e64 s3, 3, v17
	s_delay_alu instid0(VALU_DEP_1) | instskip(SKIP_1) | instid1(VALU_DEP_1)
	v_cndmask_b32_e64 v22, v22, v5, s3
	v_cmp_eq_u32_e64 s3, 4, v17
	v_cndmask_b32_e64 v22, v22, v6, s3
	v_cmp_eq_u32_e64 s3, 5, v17
	s_delay_alu instid0(VALU_DEP_1) | instskip(SKIP_1) | instid1(VALU_DEP_1)
	;; [unrolled: 5-line block ×5, first 2 shown]
	v_cndmask_b32_e64 v22, v22, v13, s3
	v_cmp_eq_u32_e64 s3, 12, v17
	v_cndmask_b32_e64 v22, v22, v14, s3
	v_cmp_eq_u32_e64 s3, 13, v17
	s_delay_alu instid0(VALU_DEP_1) | instskip(SKIP_2) | instid1(VALU_DEP_1)
	v_cndmask_b32_e64 v22, v22, v15, s3
	v_cmp_eq_u32_e64 s3, 14, v17
	v_add_co_u32 v17, s4, v17, 1
	v_add_co_ci_u32_e64 v18, s4, 0, v18, s4
	s_delay_alu instid0(VALU_DEP_3) | instskip(NEXT) | instid1(VALU_DEP_3)
	v_cndmask_b32_e64 v22, v22, v16, s3
	v_add_nc_u32_e32 v24, -1, v17
	s_waitcnt lgkmcnt(0)
	s_delay_alu instid0(VALU_DEP_2) | instskip(NEXT) | instid1(VALU_DEP_2)
	v_dual_fmac_f32 v20, v22, v23 :: v_dual_add_nc_u32 v21, 4, v21
	v_cmp_lt_u32_e64 s3, 5, v24
	s_delay_alu instid0(VALU_DEP_1) | instskip(NEXT) | instid1(SALU_CYCLE_1)
	s_or_b32 s13, s3, s13
	s_and_not1_b32 exec_lo, exec_lo, s13
	s_cbranch_execnz .LBB78_39
; %bb.40:
	s_or_b32 exec_lo, exec_lo, s13
	v_mov_b32_e32 v9, 0
	ds_load_b32 v9, v9 offset:28
	s_waitcnt lgkmcnt(0)
	v_mul_f32_e32 v9, v20, v9
.LBB78_41:
	s_or_b32 exec_lo, exec_lo, s5
	s_delay_alu instid0(SALU_CYCLE_1)
	s_mov_b32 s4, exec_lo
	s_barrier
	buffer_gl0_inv
	ds_store_b32 v19, v10
	s_waitcnt lgkmcnt(0)
	s_barrier
	buffer_gl0_inv
	v_cmpx_gt_u32_e32 8, v0
	s_cbranch_execz .LBB78_57
; %bb.42:
	v_cmp_eq_u32_e64 s3, 1, v0
	ds_load_b32 v18, v19
	s_mov_b32 s5, exec_lo
	v_cndmask_b32_e64 v17, v2, v3, s3
	v_cmp_eq_u32_e64 s3, 2, v0
	s_delay_alu instid0(VALU_DEP_1) | instskip(SKIP_1) | instid1(VALU_DEP_1)
	v_cndmask_b32_e64 v17, v17, v4, s3
	v_cmp_eq_u32_e64 s3, 3, v0
	v_cndmask_b32_e64 v17, v17, v5, s3
	v_cmp_eq_u32_e64 s3, 4, v0
	s_delay_alu instid0(VALU_DEP_1) | instskip(SKIP_1) | instid1(VALU_DEP_1)
	v_cndmask_b32_e64 v17, v17, v6, s3
	v_cmp_eq_u32_e64 s3, 5, v0
	;; [unrolled: 5-line block ×6, first 2 shown]
	v_cndmask_b32_e64 v17, v17, v15, s3
	v_cmp_eq_u32_e64 s3, 14, v0
	s_delay_alu instid0(VALU_DEP_1) | instskip(SKIP_2) | instid1(VALU_DEP_2)
	v_cndmask_b32_e64 v20, v17, v16, s3
	v_mov_b32_e32 v17, 0
	s_waitcnt lgkmcnt(0)
	v_fma_f32 v18, v20, v18, 0
	v_cmpx_ne_u32_e32 7, v0
	s_cbranch_execz .LBB78_56
; %bb.43:
	v_add_nc_u32_e32 v20, 1, v0
	ds_load_b32 v22, v19 offset:4
	v_cmp_eq_u32_e64 s3, 1, v20
	s_delay_alu instid0(VALU_DEP_1) | instskip(SKIP_1) | instid1(VALU_DEP_1)
	v_cndmask_b32_e64 v21, v2, v3, s3
	v_cmp_eq_u32_e64 s3, 2, v20
	v_cndmask_b32_e64 v21, v21, v4, s3
	v_cmp_eq_u32_e64 s3, 3, v20
	s_delay_alu instid0(VALU_DEP_1) | instskip(SKIP_1) | instid1(VALU_DEP_1)
	v_cndmask_b32_e64 v21, v21, v5, s3
	v_cmp_eq_u32_e64 s3, 4, v20
	v_cndmask_b32_e64 v21, v21, v6, s3
	;; [unrolled: 5-line block ×7, first 2 shown]
	s_waitcnt lgkmcnt(0)
	s_delay_alu instid0(VALU_DEP_1)
	v_fmac_f32_e32 v18, v20, v22
	s_and_saveexec_b32 s3, s2
	s_cbranch_execz .LBB78_55
; %bb.44:
	v_add_nc_u32_e32 v20, 2, v0
	ds_load_b32 v22, v19 offset:8
	s_mov_b32 s13, exec_lo
	v_cmp_eq_u32_e64 s2, 1, v20
	s_delay_alu instid0(VALU_DEP_1) | instskip(SKIP_1) | instid1(VALU_DEP_1)
	v_cndmask_b32_e64 v21, v2, v3, s2
	v_cmp_eq_u32_e64 s2, 2, v20
	v_cndmask_b32_e64 v21, v21, v4, s2
	v_cmp_eq_u32_e64 s2, 3, v20
	s_delay_alu instid0(VALU_DEP_1) | instskip(SKIP_1) | instid1(VALU_DEP_1)
	v_cndmask_b32_e64 v21, v21, v5, s2
	v_cmp_eq_u32_e64 s2, 4, v20
	v_cndmask_b32_e64 v21, v21, v6, s2
	v_cmp_eq_u32_e64 s2, 5, v20
	s_delay_alu instid0(VALU_DEP_1) | instskip(SKIP_1) | instid1(VALU_DEP_1)
	v_cndmask_b32_e64 v21, v21, v7, s2
	v_cmp_eq_u32_e64 s2, 6, v20
	v_cndmask_b32_e64 v21, v21, v8, s2
	v_cmp_eq_u32_e64 s2, 7, v20
	s_delay_alu instid0(VALU_DEP_1) | instskip(SKIP_1) | instid1(VALU_DEP_1)
	v_cndmask_b32_e64 v21, v21, v9, s2
	v_cmp_eq_u32_e64 s2, 8, v20
	v_cndmask_b32_e64 v21, v21, v10, s2
	v_cmp_eq_u32_e64 s2, 9, v20
	s_delay_alu instid0(VALU_DEP_1) | instskip(SKIP_1) | instid1(VALU_DEP_1)
	v_cndmask_b32_e64 v21, v21, v11, s2
	v_cmp_eq_u32_e64 s2, 10, v20
	v_cndmask_b32_e64 v21, v21, v12, s2
	v_cmp_eq_u32_e64 s2, 11, v20
	s_delay_alu instid0(VALU_DEP_1) | instskip(SKIP_1) | instid1(VALU_DEP_1)
	v_cndmask_b32_e64 v21, v21, v13, s2
	v_cmp_eq_u32_e64 s2, 12, v20
	v_cndmask_b32_e64 v21, v21, v14, s2
	v_cmp_eq_u32_e64 s2, 13, v20
	s_delay_alu instid0(VALU_DEP_1) | instskip(SKIP_1) | instid1(VALU_DEP_1)
	v_cndmask_b32_e64 v21, v21, v15, s2
	v_cmp_eq_u32_e64 s2, 14, v20
	v_cndmask_b32_e64 v20, v21, v16, s2
	s_waitcnt lgkmcnt(0)
	s_delay_alu instid0(VALU_DEP_1)
	v_fmac_f32_e32 v18, v20, v22
	v_cmpx_ne_u32_e32 5, v0
	s_cbranch_execz .LBB78_54
; %bb.45:
	v_add_nc_u32_e32 v20, 3, v0
	ds_load_b32 v22, v19 offset:12
	v_cmp_eq_u32_e64 s2, 1, v20
	s_delay_alu instid0(VALU_DEP_1) | instskip(SKIP_1) | instid1(VALU_DEP_1)
	v_cndmask_b32_e64 v21, v2, v3, s2
	v_cmp_eq_u32_e64 s2, 2, v20
	v_cndmask_b32_e64 v21, v21, v4, s2
	v_cmp_eq_u32_e64 s2, 3, v20
	s_delay_alu instid0(VALU_DEP_1) | instskip(SKIP_1) | instid1(VALU_DEP_1)
	v_cndmask_b32_e64 v21, v21, v5, s2
	v_cmp_eq_u32_e64 s2, 4, v20
	v_cndmask_b32_e64 v21, v21, v6, s2
	;; [unrolled: 5-line block ×7, first 2 shown]
	s_waitcnt lgkmcnt(0)
	s_delay_alu instid0(VALU_DEP_1)
	v_fmac_f32_e32 v18, v20, v22
	s_and_saveexec_b32 s2, s1
	s_cbranch_execz .LBB78_53
; %bb.46:
	v_or_b32_e32 v20, 4, v0
	ds_load_b32 v22, v19 offset:16
	s_mov_b32 s14, exec_lo
	v_cmp_eq_u32_e64 s1, 1, v20
	s_delay_alu instid0(VALU_DEP_1) | instskip(SKIP_1) | instid1(VALU_DEP_1)
	v_cndmask_b32_e64 v21, v2, v3, s1
	v_cmp_eq_u32_e64 s1, 2, v20
	v_cndmask_b32_e64 v21, v21, v4, s1
	v_cmp_eq_u32_e64 s1, 3, v20
	s_delay_alu instid0(VALU_DEP_1) | instskip(SKIP_1) | instid1(VALU_DEP_1)
	v_cndmask_b32_e64 v21, v21, v5, s1
	v_cmp_eq_u32_e64 s1, 4, v20
	v_cndmask_b32_e64 v21, v21, v6, s1
	v_cmp_eq_u32_e64 s1, 5, v20
	s_delay_alu instid0(VALU_DEP_1) | instskip(SKIP_1) | instid1(VALU_DEP_1)
	v_cndmask_b32_e64 v21, v21, v7, s1
	v_cmp_eq_u32_e64 s1, 6, v20
	v_cndmask_b32_e64 v21, v21, v8, s1
	v_cmp_eq_u32_e64 s1, 7, v20
	s_delay_alu instid0(VALU_DEP_1) | instskip(SKIP_1) | instid1(VALU_DEP_1)
	v_cndmask_b32_e64 v21, v21, v9, s1
	v_cmp_eq_u32_e64 s1, 8, v20
	v_cndmask_b32_e64 v21, v21, v10, s1
	v_cmp_eq_u32_e64 s1, 9, v20
	s_delay_alu instid0(VALU_DEP_1) | instskip(SKIP_1) | instid1(VALU_DEP_1)
	v_cndmask_b32_e64 v21, v21, v11, s1
	v_cmp_eq_u32_e64 s1, 10, v20
	v_cndmask_b32_e64 v21, v21, v12, s1
	v_cmp_eq_u32_e64 s1, 11, v20
	s_delay_alu instid0(VALU_DEP_1) | instskip(SKIP_1) | instid1(VALU_DEP_1)
	v_cndmask_b32_e64 v21, v21, v13, s1
	v_cmp_eq_u32_e64 s1, 12, v20
	v_cndmask_b32_e64 v21, v21, v14, s1
	v_cmp_eq_u32_e64 s1, 13, v20
	s_delay_alu instid0(VALU_DEP_1) | instskip(SKIP_1) | instid1(VALU_DEP_1)
	v_cndmask_b32_e64 v21, v21, v15, s1
	v_cmp_eq_u32_e64 s1, 14, v20
	v_cndmask_b32_e64 v20, v21, v16, s1
	s_waitcnt lgkmcnt(0)
	s_delay_alu instid0(VALU_DEP_1)
	v_fmac_f32_e32 v18, v20, v22
	v_cmpx_ne_u32_e32 3, v0
	s_cbranch_execz .LBB78_52
; %bb.47:
	v_add_nc_u32_e32 v20, 5, v0
	ds_load_b32 v22, v19 offset:20
	v_cmp_eq_u32_e64 s1, 1, v20
	s_delay_alu instid0(VALU_DEP_1) | instskip(SKIP_1) | instid1(VALU_DEP_1)
	v_cndmask_b32_e64 v21, v2, v3, s1
	v_cmp_eq_u32_e64 s1, 2, v20
	v_cndmask_b32_e64 v21, v21, v4, s1
	v_cmp_eq_u32_e64 s1, 3, v20
	s_delay_alu instid0(VALU_DEP_1) | instskip(SKIP_1) | instid1(VALU_DEP_1)
	v_cndmask_b32_e64 v21, v21, v5, s1
	v_cmp_eq_u32_e64 s1, 4, v20
	v_cndmask_b32_e64 v21, v21, v6, s1
	;; [unrolled: 5-line block ×7, first 2 shown]
	s_waitcnt lgkmcnt(0)
	s_delay_alu instid0(VALU_DEP_1)
	v_fmac_f32_e32 v18, v20, v22
	s_and_saveexec_b32 s1, vcc_lo
	s_cbranch_execz .LBB78_51
; %bb.48:
	v_or_b32_e32 v20, 6, v0
	s_delay_alu instid0(VALU_DEP_1) | instskip(SKIP_2) | instid1(VALU_DEP_2)
	v_cmp_eq_u32_e32 vcc_lo, 1, v20
	v_cndmask_b32_e32 v21, v2, v3, vcc_lo
	v_cmp_eq_u32_e32 vcc_lo, 2, v20
	v_cndmask_b32_e32 v21, v21, v4, vcc_lo
	v_cmp_eq_u32_e32 vcc_lo, 3, v20
	s_delay_alu instid0(VALU_DEP_2) | instskip(SKIP_1) | instid1(VALU_DEP_2)
	v_cndmask_b32_e32 v21, v21, v5, vcc_lo
	v_cmp_eq_u32_e32 vcc_lo, 4, v20
	v_cndmask_b32_e32 v21, v21, v6, vcc_lo
	v_cmp_eq_u32_e32 vcc_lo, 5, v20
	s_delay_alu instid0(VALU_DEP_2) | instskip(SKIP_1) | instid1(VALU_DEP_2)
	;; [unrolled: 5-line block ×3, first 2 shown]
	v_cndmask_b32_e32 v21, v21, v9, vcc_lo
	v_cmp_eq_u32_e32 vcc_lo, 8, v20
	v_cndmask_b32_e32 v10, v21, v10, vcc_lo
	v_cmp_eq_u32_e32 vcc_lo, 9, v20
	ds_load_b32 v21, v19 offset:24
	v_cndmask_b32_e32 v10, v10, v11, vcc_lo
	v_cmp_eq_u32_e32 vcc_lo, 10, v20
	s_delay_alu instid0(VALU_DEP_2) | instskip(SKIP_1) | instid1(VALU_DEP_2)
	v_cndmask_b32_e32 v10, v10, v12, vcc_lo
	v_cmp_eq_u32_e32 vcc_lo, 11, v20
	v_cndmask_b32_e32 v10, v10, v13, vcc_lo
	v_cmp_eq_u32_e32 vcc_lo, 12, v20
	s_delay_alu instid0(VALU_DEP_2) | instskip(SKIP_1) | instid1(VALU_DEP_2)
	v_cndmask_b32_e32 v10, v10, v14, vcc_lo
	v_cmp_eq_u32_e32 vcc_lo, 13, v20
	v_cndmask_b32_e32 v10, v10, v15, vcc_lo
	v_cmp_eq_u32_e32 vcc_lo, 14, v20
	s_delay_alu instid0(VALU_DEP_2) | instskip(SKIP_1) | instid1(VALU_DEP_1)
	v_cndmask_b32_e32 v10, v10, v16, vcc_lo
	s_waitcnt lgkmcnt(0)
	v_fmac_f32_e32 v18, v10, v21
	s_and_saveexec_b32 s15, s0
	s_cbranch_execz .LBB78_50
; %bb.49:
	ds_load_b32 v10, v19 offset:28
	s_waitcnt lgkmcnt(0)
	v_fmac_f32_e32 v18, v9, v10
.LBB78_50:
	s_or_b32 exec_lo, exec_lo, s15
.LBB78_51:
	s_delay_alu instid0(SALU_CYCLE_1)
	s_or_b32 exec_lo, exec_lo, s1
.LBB78_52:
	s_delay_alu instid0(SALU_CYCLE_1)
	s_or_b32 exec_lo, exec_lo, s14
.LBB78_53:
	s_delay_alu instid0(SALU_CYCLE_1)
	s_or_b32 exec_lo, exec_lo, s2
.LBB78_54:
	s_delay_alu instid0(SALU_CYCLE_1)
	s_or_b32 exec_lo, exec_lo, s13
.LBB78_55:
	s_delay_alu instid0(SALU_CYCLE_1)
	s_or_b32 exec_lo, exec_lo, s3
.LBB78_56:
	s_delay_alu instid0(SALU_CYCLE_1)
	s_or_b32 exec_lo, exec_lo, s5
	ds_load_b32 v10, v17 offset:32
	s_waitcnt lgkmcnt(0)
	v_mul_f32_e32 v10, v18, v10
.LBB78_57:
	s_or_b32 exec_lo, exec_lo, s4
	s_delay_alu instid0(SALU_CYCLE_1)
	s_mov_b32 s1, exec_lo
	s_barrier
	buffer_gl0_inv
	ds_store_b32 v19, v11
	s_waitcnt lgkmcnt(0)
	s_barrier
	buffer_gl0_inv
	v_cmpx_gt_u32_e32 9, v0
	s_cbranch_execz .LBB78_61
; %bb.58:
	v_mov_b32_e32 v18, v1
	v_lshl_add_u32 v21, v0, 2, 64
	v_dual_mov_b32 v20, 0 :: v_dual_mov_b32 v17, v0
	s_mov_b32 s2, 0
	s_set_inst_prefetch_distance 0x1
	.p2align	6
.LBB78_59:                              ; =>This Inner Loop Header: Depth=1
	s_delay_alu instid0(VALU_DEP_1) | instskip(SKIP_3) | instid1(VALU_DEP_2)
	v_cmp_eq_u32_e32 vcc_lo, 1, v17
	ds_load_b32 v23, v21
	v_dual_cndmask_b32 v22, v2, v3 :: v_dual_add_nc_u32 v21, 4, v21
	v_cmp_eq_u32_e32 vcc_lo, 2, v17
	v_cndmask_b32_e32 v22, v22, v4, vcc_lo
	v_cmp_eq_u32_e32 vcc_lo, 3, v17
	s_delay_alu instid0(VALU_DEP_2) | instskip(SKIP_1) | instid1(VALU_DEP_2)
	v_cndmask_b32_e32 v22, v22, v5, vcc_lo
	v_cmp_eq_u32_e32 vcc_lo, 4, v17
	v_cndmask_b32_e32 v22, v22, v6, vcc_lo
	v_cmp_eq_u32_e32 vcc_lo, 5, v17
	s_delay_alu instid0(VALU_DEP_2) | instskip(SKIP_1) | instid1(VALU_DEP_2)
	v_cndmask_b32_e32 v22, v22, v7, vcc_lo
	;; [unrolled: 5-line block ×5, first 2 shown]
	v_cmp_eq_u32_e32 vcc_lo, 12, v17
	v_cndmask_b32_e32 v22, v22, v14, vcc_lo
	v_cmp_eq_u32_e32 vcc_lo, 13, v17
	s_delay_alu instid0(VALU_DEP_2) | instskip(SKIP_2) | instid1(VALU_DEP_1)
	v_cndmask_b32_e32 v22, v22, v15, vcc_lo
	v_cmp_eq_u32_e32 vcc_lo, 14, v17
	v_add_co_u32 v17, s0, v17, 1
	v_add_co_ci_u32_e64 v18, s0, 0, v18, s0
	s_delay_alu instid0(VALU_DEP_4) | instskip(NEXT) | instid1(VALU_DEP_3)
	v_cndmask_b32_e32 v22, v22, v16, vcc_lo
	v_add_nc_u32_e32 v24, -1, v17
	s_waitcnt lgkmcnt(0)
	s_delay_alu instid0(VALU_DEP_2) | instskip(NEXT) | instid1(VALU_DEP_2)
	v_fmac_f32_e32 v20, v22, v23
	v_cmp_lt_u32_e32 vcc_lo, 7, v24
	s_or_b32 s2, vcc_lo, s2
	s_delay_alu instid0(SALU_CYCLE_1)
	s_and_not1_b32 exec_lo, exec_lo, s2
	s_cbranch_execnz .LBB78_59
; %bb.60:
	s_set_inst_prefetch_distance 0x2
	s_or_b32 exec_lo, exec_lo, s2
	v_mov_b32_e32 v11, 0
	ds_load_b32 v11, v11 offset:36
	s_waitcnt lgkmcnt(0)
	v_mul_f32_e32 v11, v20, v11
.LBB78_61:
	s_or_b32 exec_lo, exec_lo, s1
	s_delay_alu instid0(SALU_CYCLE_1)
	s_mov_b32 s1, exec_lo
	s_barrier
	buffer_gl0_inv
	ds_store_b32 v19, v12
	s_waitcnt lgkmcnt(0)
	s_barrier
	buffer_gl0_inv
	v_cmpx_gt_u32_e32 10, v0
	s_cbranch_execz .LBB78_65
; %bb.62:
	v_mov_b32_e32 v18, v1
	v_lshl_add_u32 v21, v0, 2, 64
	v_dual_mov_b32 v20, 0 :: v_dual_mov_b32 v17, v0
	s_mov_b32 s2, 0
	s_set_inst_prefetch_distance 0x1
	.p2align	6
.LBB78_63:                              ; =>This Inner Loop Header: Depth=1
	s_delay_alu instid0(VALU_DEP_1) | instskip(SKIP_3) | instid1(VALU_DEP_2)
	v_cmp_eq_u32_e32 vcc_lo, 1, v17
	ds_load_b32 v23, v21
	v_dual_cndmask_b32 v22, v2, v3 :: v_dual_add_nc_u32 v21, 4, v21
	v_cmp_eq_u32_e32 vcc_lo, 2, v17
	v_cndmask_b32_e32 v22, v22, v4, vcc_lo
	v_cmp_eq_u32_e32 vcc_lo, 3, v17
	s_delay_alu instid0(VALU_DEP_2) | instskip(SKIP_1) | instid1(VALU_DEP_2)
	v_cndmask_b32_e32 v22, v22, v5, vcc_lo
	v_cmp_eq_u32_e32 vcc_lo, 4, v17
	v_cndmask_b32_e32 v22, v22, v6, vcc_lo
	v_cmp_eq_u32_e32 vcc_lo, 5, v17
	s_delay_alu instid0(VALU_DEP_2) | instskip(SKIP_1) | instid1(VALU_DEP_2)
	v_cndmask_b32_e32 v22, v22, v7, vcc_lo
	;; [unrolled: 5-line block ×5, first 2 shown]
	v_cmp_eq_u32_e32 vcc_lo, 12, v17
	v_cndmask_b32_e32 v22, v22, v14, vcc_lo
	v_cmp_eq_u32_e32 vcc_lo, 13, v17
	s_delay_alu instid0(VALU_DEP_2) | instskip(SKIP_2) | instid1(VALU_DEP_1)
	v_cndmask_b32_e32 v22, v22, v15, vcc_lo
	v_cmp_eq_u32_e32 vcc_lo, 14, v17
	v_add_co_u32 v17, s0, v17, 1
	v_add_co_ci_u32_e64 v18, s0, 0, v18, s0
	s_delay_alu instid0(VALU_DEP_4) | instskip(NEXT) | instid1(VALU_DEP_3)
	v_cndmask_b32_e32 v22, v22, v16, vcc_lo
	v_add_nc_u32_e32 v24, -1, v17
	s_waitcnt lgkmcnt(0)
	s_delay_alu instid0(VALU_DEP_2) | instskip(NEXT) | instid1(VALU_DEP_2)
	v_fmac_f32_e32 v20, v22, v23
	v_cmp_lt_u32_e32 vcc_lo, 8, v24
	s_or_b32 s2, vcc_lo, s2
	s_delay_alu instid0(SALU_CYCLE_1)
	s_and_not1_b32 exec_lo, exec_lo, s2
	s_cbranch_execnz .LBB78_63
; %bb.64:
	s_set_inst_prefetch_distance 0x2
	s_or_b32 exec_lo, exec_lo, s2
	v_mov_b32_e32 v12, 0
	ds_load_b32 v12, v12 offset:40
	s_waitcnt lgkmcnt(0)
	v_mul_f32_e32 v12, v20, v12
.LBB78_65:
	s_or_b32 exec_lo, exec_lo, s1
	s_delay_alu instid0(SALU_CYCLE_1)
	s_mov_b32 s1, exec_lo
	s_barrier
	buffer_gl0_inv
	ds_store_b32 v19, v13
	s_waitcnt lgkmcnt(0)
	s_barrier
	buffer_gl0_inv
	v_cmpx_gt_u32_e32 11, v0
	s_cbranch_execz .LBB78_69
; %bb.66:
	v_mov_b32_e32 v18, v1
	v_lshl_add_u32 v21, v0, 2, 64
	v_dual_mov_b32 v20, 0 :: v_dual_mov_b32 v17, v0
	s_mov_b32 s2, 0
	s_set_inst_prefetch_distance 0x1
	.p2align	6
.LBB78_67:                              ; =>This Inner Loop Header: Depth=1
	s_delay_alu instid0(VALU_DEP_1) | instskip(SKIP_3) | instid1(VALU_DEP_2)
	v_cmp_eq_u32_e32 vcc_lo, 1, v17
	ds_load_b32 v23, v21
	v_dual_cndmask_b32 v22, v2, v3 :: v_dual_add_nc_u32 v21, 4, v21
	v_cmp_eq_u32_e32 vcc_lo, 2, v17
	v_cndmask_b32_e32 v22, v22, v4, vcc_lo
	v_cmp_eq_u32_e32 vcc_lo, 3, v17
	s_delay_alu instid0(VALU_DEP_2) | instskip(SKIP_1) | instid1(VALU_DEP_2)
	v_cndmask_b32_e32 v22, v22, v5, vcc_lo
	v_cmp_eq_u32_e32 vcc_lo, 4, v17
	v_cndmask_b32_e32 v22, v22, v6, vcc_lo
	v_cmp_eq_u32_e32 vcc_lo, 5, v17
	s_delay_alu instid0(VALU_DEP_2) | instskip(SKIP_1) | instid1(VALU_DEP_2)
	v_cndmask_b32_e32 v22, v22, v7, vcc_lo
	;; [unrolled: 5-line block ×5, first 2 shown]
	v_cmp_eq_u32_e32 vcc_lo, 12, v17
	v_cndmask_b32_e32 v22, v22, v14, vcc_lo
	v_cmp_eq_u32_e32 vcc_lo, 13, v17
	s_delay_alu instid0(VALU_DEP_2) | instskip(SKIP_2) | instid1(VALU_DEP_1)
	v_cndmask_b32_e32 v22, v22, v15, vcc_lo
	v_cmp_eq_u32_e32 vcc_lo, 14, v17
	v_add_co_u32 v17, s0, v17, 1
	v_add_co_ci_u32_e64 v18, s0, 0, v18, s0
	s_delay_alu instid0(VALU_DEP_4) | instskip(NEXT) | instid1(VALU_DEP_3)
	v_cndmask_b32_e32 v22, v22, v16, vcc_lo
	v_add_nc_u32_e32 v24, -1, v17
	s_waitcnt lgkmcnt(0)
	s_delay_alu instid0(VALU_DEP_2) | instskip(NEXT) | instid1(VALU_DEP_2)
	v_fmac_f32_e32 v20, v22, v23
	v_cmp_lt_u32_e32 vcc_lo, 9, v24
	s_or_b32 s2, vcc_lo, s2
	s_delay_alu instid0(SALU_CYCLE_1)
	s_and_not1_b32 exec_lo, exec_lo, s2
	s_cbranch_execnz .LBB78_67
; %bb.68:
	s_set_inst_prefetch_distance 0x2
	s_or_b32 exec_lo, exec_lo, s2
	v_mov_b32_e32 v13, 0
	ds_load_b32 v13, v13 offset:44
	s_waitcnt lgkmcnt(0)
	v_mul_f32_e32 v13, v20, v13
.LBB78_69:
	s_or_b32 exec_lo, exec_lo, s1
	s_delay_alu instid0(SALU_CYCLE_1)
	s_mov_b32 s1, exec_lo
	s_barrier
	buffer_gl0_inv
	ds_store_b32 v19, v14
	s_waitcnt lgkmcnt(0)
	s_barrier
	buffer_gl0_inv
	v_cmpx_gt_u32_e32 12, v0
	s_cbranch_execz .LBB78_73
; %bb.70:
	v_mov_b32_e32 v18, v1
	v_lshl_add_u32 v21, v0, 2, 64
	v_dual_mov_b32 v20, 0 :: v_dual_mov_b32 v17, v0
	s_mov_b32 s2, 0
	s_set_inst_prefetch_distance 0x1
	.p2align	6
.LBB78_71:                              ; =>This Inner Loop Header: Depth=1
	s_delay_alu instid0(VALU_DEP_1) | instskip(SKIP_3) | instid1(VALU_DEP_2)
	v_cmp_eq_u32_e32 vcc_lo, 1, v17
	ds_load_b32 v23, v21
	v_dual_cndmask_b32 v22, v2, v3 :: v_dual_add_nc_u32 v21, 4, v21
	v_cmp_eq_u32_e32 vcc_lo, 2, v17
	v_cndmask_b32_e32 v22, v22, v4, vcc_lo
	v_cmp_eq_u32_e32 vcc_lo, 3, v17
	s_delay_alu instid0(VALU_DEP_2) | instskip(SKIP_1) | instid1(VALU_DEP_2)
	v_cndmask_b32_e32 v22, v22, v5, vcc_lo
	v_cmp_eq_u32_e32 vcc_lo, 4, v17
	v_cndmask_b32_e32 v22, v22, v6, vcc_lo
	v_cmp_eq_u32_e32 vcc_lo, 5, v17
	s_delay_alu instid0(VALU_DEP_2) | instskip(SKIP_1) | instid1(VALU_DEP_2)
	v_cndmask_b32_e32 v22, v22, v7, vcc_lo
	;; [unrolled: 5-line block ×5, first 2 shown]
	v_cmp_eq_u32_e32 vcc_lo, 12, v17
	v_cndmask_b32_e32 v22, v22, v14, vcc_lo
	v_cmp_eq_u32_e32 vcc_lo, 13, v17
	s_delay_alu instid0(VALU_DEP_2) | instskip(SKIP_2) | instid1(VALU_DEP_1)
	v_cndmask_b32_e32 v22, v22, v15, vcc_lo
	v_cmp_eq_u32_e32 vcc_lo, 14, v17
	v_add_co_u32 v17, s0, v17, 1
	v_add_co_ci_u32_e64 v18, s0, 0, v18, s0
	s_delay_alu instid0(VALU_DEP_4) | instskip(NEXT) | instid1(VALU_DEP_3)
	v_cndmask_b32_e32 v22, v22, v16, vcc_lo
	v_add_nc_u32_e32 v24, -1, v17
	s_waitcnt lgkmcnt(0)
	s_delay_alu instid0(VALU_DEP_2) | instskip(NEXT) | instid1(VALU_DEP_2)
	v_fmac_f32_e32 v20, v22, v23
	v_cmp_lt_u32_e32 vcc_lo, 10, v24
	s_or_b32 s2, vcc_lo, s2
	s_delay_alu instid0(SALU_CYCLE_1)
	s_and_not1_b32 exec_lo, exec_lo, s2
	s_cbranch_execnz .LBB78_71
; %bb.72:
	s_set_inst_prefetch_distance 0x2
	s_or_b32 exec_lo, exec_lo, s2
	v_mov_b32_e32 v14, 0
	ds_load_b32 v14, v14 offset:48
	s_waitcnt lgkmcnt(0)
	v_mul_f32_e32 v14, v20, v14
.LBB78_73:
	s_or_b32 exec_lo, exec_lo, s1
	s_delay_alu instid0(SALU_CYCLE_1)
	s_mov_b32 s1, exec_lo
	s_barrier
	buffer_gl0_inv
	ds_store_b32 v19, v15
	s_waitcnt lgkmcnt(0)
	s_barrier
	buffer_gl0_inv
	v_cmpx_gt_u32_e32 13, v0
	s_cbranch_execz .LBB78_77
; %bb.74:
	v_mov_b32_e32 v18, v1
	v_lshl_add_u32 v21, v0, 2, 64
	v_dual_mov_b32 v20, 0 :: v_dual_mov_b32 v17, v0
	s_mov_b32 s2, 0
	s_set_inst_prefetch_distance 0x1
	.p2align	6
.LBB78_75:                              ; =>This Inner Loop Header: Depth=1
	s_delay_alu instid0(VALU_DEP_1) | instskip(SKIP_3) | instid1(VALU_DEP_2)
	v_cmp_eq_u32_e32 vcc_lo, 1, v17
	ds_load_b32 v23, v21
	v_dual_cndmask_b32 v22, v2, v3 :: v_dual_add_nc_u32 v21, 4, v21
	v_cmp_eq_u32_e32 vcc_lo, 2, v17
	v_cndmask_b32_e32 v22, v22, v4, vcc_lo
	v_cmp_eq_u32_e32 vcc_lo, 3, v17
	s_delay_alu instid0(VALU_DEP_2) | instskip(SKIP_1) | instid1(VALU_DEP_2)
	v_cndmask_b32_e32 v22, v22, v5, vcc_lo
	v_cmp_eq_u32_e32 vcc_lo, 4, v17
	v_cndmask_b32_e32 v22, v22, v6, vcc_lo
	v_cmp_eq_u32_e32 vcc_lo, 5, v17
	s_delay_alu instid0(VALU_DEP_2) | instskip(SKIP_1) | instid1(VALU_DEP_2)
	v_cndmask_b32_e32 v22, v22, v7, vcc_lo
	;; [unrolled: 5-line block ×5, first 2 shown]
	v_cmp_eq_u32_e32 vcc_lo, 12, v17
	v_cndmask_b32_e32 v22, v22, v14, vcc_lo
	v_cmp_eq_u32_e32 vcc_lo, 13, v17
	s_delay_alu instid0(VALU_DEP_2) | instskip(SKIP_2) | instid1(VALU_DEP_1)
	v_cndmask_b32_e32 v22, v22, v15, vcc_lo
	v_cmp_eq_u32_e32 vcc_lo, 14, v17
	v_add_co_u32 v17, s0, v17, 1
	v_add_co_ci_u32_e64 v18, s0, 0, v18, s0
	s_delay_alu instid0(VALU_DEP_4) | instskip(NEXT) | instid1(VALU_DEP_3)
	v_cndmask_b32_e32 v22, v22, v16, vcc_lo
	v_add_nc_u32_e32 v24, -1, v17
	s_waitcnt lgkmcnt(0)
	s_delay_alu instid0(VALU_DEP_2) | instskip(NEXT) | instid1(VALU_DEP_2)
	v_fmac_f32_e32 v20, v22, v23
	v_cmp_lt_u32_e32 vcc_lo, 11, v24
	s_or_b32 s2, vcc_lo, s2
	s_delay_alu instid0(SALU_CYCLE_1)
	s_and_not1_b32 exec_lo, exec_lo, s2
	s_cbranch_execnz .LBB78_75
; %bb.76:
	s_set_inst_prefetch_distance 0x2
	s_or_b32 exec_lo, exec_lo, s2
	v_mov_b32_e32 v15, 0
	ds_load_b32 v15, v15 offset:52
	s_waitcnt lgkmcnt(0)
	v_mul_f32_e32 v15, v20, v15
.LBB78_77:
	s_or_b32 exec_lo, exec_lo, s1
	s_delay_alu instid0(SALU_CYCLE_1)
	s_mov_b32 s1, exec_lo
	s_barrier
	buffer_gl0_inv
	ds_store_b32 v19, v16
	s_waitcnt lgkmcnt(0)
	s_barrier
	buffer_gl0_inv
	v_cmpx_ne_u32_e32 14, v0
	s_cbranch_execz .LBB78_81
; %bb.78:
	v_dual_mov_b32 v19, 0 :: v_dual_mov_b32 v18, v1
	v_lshl_add_u32 v20, v0, 2, 64
	v_mov_b32_e32 v17, v0
	s_mov_b32 s2, 0
	s_set_inst_prefetch_distance 0x1
	.p2align	6
.LBB78_79:                              ; =>This Inner Loop Header: Depth=1
	s_delay_alu instid0(VALU_DEP_1) | instskip(SKIP_3) | instid1(VALU_DEP_2)
	v_cmp_eq_u32_e32 vcc_lo, 1, v17
	ds_load_b32 v21, v20
	v_dual_cndmask_b32 v1, v2, v3 :: v_dual_add_nc_u32 v20, 4, v20
	v_cmp_eq_u32_e32 vcc_lo, 2, v17
	v_cndmask_b32_e32 v1, v1, v4, vcc_lo
	v_cmp_eq_u32_e32 vcc_lo, 3, v17
	s_delay_alu instid0(VALU_DEP_2) | instskip(SKIP_1) | instid1(VALU_DEP_2)
	v_cndmask_b32_e32 v1, v1, v5, vcc_lo
	v_cmp_eq_u32_e32 vcc_lo, 4, v17
	v_cndmask_b32_e32 v1, v1, v6, vcc_lo
	v_cmp_eq_u32_e32 vcc_lo, 5, v17
	s_delay_alu instid0(VALU_DEP_2) | instskip(SKIP_1) | instid1(VALU_DEP_2)
	v_cndmask_b32_e32 v1, v1, v7, vcc_lo
	;; [unrolled: 5-line block ×5, first 2 shown]
	v_cmp_eq_u32_e32 vcc_lo, 12, v17
	v_cndmask_b32_e32 v1, v1, v14, vcc_lo
	v_cmp_eq_u32_e32 vcc_lo, 13, v17
	s_delay_alu instid0(VALU_DEP_2) | instskip(SKIP_2) | instid1(VALU_DEP_1)
	v_cndmask_b32_e32 v1, v1, v15, vcc_lo
	v_cmp_eq_u32_e32 vcc_lo, 14, v17
	v_add_co_u32 v17, s0, v17, 1
	v_add_co_ci_u32_e64 v18, s0, 0, v18, s0
	s_delay_alu instid0(VALU_DEP_2) | instskip(SKIP_1) | instid1(VALU_DEP_1)
	v_dual_cndmask_b32 v1, v1, v16 :: v_dual_add_nc_u32 v22, -1, v17
	s_waitcnt lgkmcnt(0)
	v_fmac_f32_e32 v19, v1, v21
	s_delay_alu instid0(VALU_DEP_2) | instskip(SKIP_1) | instid1(SALU_CYCLE_1)
	v_cmp_lt_u32_e32 vcc_lo, 12, v22
	s_or_b32 s2, vcc_lo, s2
	s_and_not1_b32 exec_lo, exec_lo, s2
	s_cbranch_execnz .LBB78_79
; %bb.80:
	s_set_inst_prefetch_distance 0x2
	s_or_b32 exec_lo, exec_lo, s2
	v_mov_b32_e32 v1, 0
	ds_load_b32 v1, v1 offset:56
	s_waitcnt lgkmcnt(0)
	v_mul_f32_e32 v16, v19, v1
.LBB78_81:
	s_or_b32 exec_lo, exec_lo, s1
	s_barrier
	buffer_gl0_inv
	s_cbranch_execnz .LBB78_15
	s_branch .LBB78_16
.LBB78_82:
	v_lshl_add_u32 v1, v0, 2, 64
	s_mov_b32 s0, exec_lo
	v_cmpx_eq_u32_e32 14, v0
	s_cbranch_execz .LBB78_84
; %bb.83:
	v_dual_mov_b32 v30, 0 :: v_dual_mov_b32 v17, v2
	v_dual_mov_b32 v18, v3 :: v_dual_mov_b32 v19, v4
	;; [unrolled: 1-line block ×7, first 2 shown]
	v_mov_b32_e32 v31, v16
	ds_store_b32 v1, v15
	v_mov_b32_e32 v2, v17
	v_dual_mov_b32 v3, v18 :: v_dual_mov_b32 v4, v19
	v_dual_mov_b32 v5, v20 :: v_dual_mov_b32 v6, v21
	;; [unrolled: 1-line block ×7, first 2 shown]
	v_mov_b32_e32 v17, v32
.LBB78_84:
	s_or_b32 exec_lo, exec_lo, s0
	v_mov_b32_e32 v29, 0
	s_waitcnt lgkmcnt(0)
	s_waitcnt_vscnt null, 0x0
	s_barrier
	buffer_gl0_inv
	s_mov_b32 s0, exec_lo
	ds_load_b32 v17, v29 offset:120
	s_waitcnt lgkmcnt(0)
	v_fma_f32 v17, v16, v17, 0
	s_delay_alu instid0(VALU_DEP_1)
	v_sub_f32_e32 v15, v15, v17
	v_cmpx_lt_u32_e32 12, v0
	s_cbranch_execz .LBB78_86
; %bb.85:
	v_dual_mov_b32 v17, v2 :: v_dual_mov_b32 v18, v3
	v_dual_mov_b32 v19, v4 :: v_dual_mov_b32 v20, v5
	v_dual_mov_b32 v21, v6 :: v_dual_mov_b32 v22, v7
	v_dual_mov_b32 v23, v8 :: v_dual_mov_b32 v24, v9
	v_dual_mov_b32 v25, v10 :: v_dual_mov_b32 v26, v11
	v_dual_mov_b32 v27, v12 :: v_dual_mov_b32 v28, v13
	v_dual_mov_b32 v30, v15 :: v_dual_mov_b32 v31, v16
	ds_store_b32 v1, v14
	v_mov_b32_e32 v2, v17
	v_dual_mov_b32 v3, v18 :: v_dual_mov_b32 v4, v19
	v_dual_mov_b32 v5, v20 :: v_dual_mov_b32 v6, v21
	;; [unrolled: 1-line block ×7, first 2 shown]
	v_mov_b32_e32 v17, v32
.LBB78_86:
	s_or_b32 exec_lo, exec_lo, s0
	s_waitcnt lgkmcnt(0)
	s_barrier
	buffer_gl0_inv
	ds_load_2addr_b32 v[17:18], v29 offset0:29 offset1:30
	s_mov_b32 s0, exec_lo
	s_waitcnt lgkmcnt(0)
	v_fma_f32 v17, v15, v17, 0
	s_delay_alu instid0(VALU_DEP_1) | instskip(NEXT) | instid1(VALU_DEP_1)
	v_fmac_f32_e32 v17, v16, v18
	v_sub_f32_e32 v14, v14, v17
	v_cmpx_lt_u32_e32 11, v0
	s_cbranch_execz .LBB78_88
; %bb.87:
	v_dual_mov_b32 v28, 0 :: v_dual_mov_b32 v17, v2
	v_dual_mov_b32 v18, v3 :: v_dual_mov_b32 v19, v4
	;; [unrolled: 1-line block ×7, first 2 shown]
	v_mov_b32_e32 v31, v16
	ds_store_b32 v1, v13
	v_mov_b32_e32 v2, v17
	v_dual_mov_b32 v3, v18 :: v_dual_mov_b32 v4, v19
	v_dual_mov_b32 v5, v20 :: v_dual_mov_b32 v6, v21
	v_dual_mov_b32 v7, v22 :: v_dual_mov_b32 v8, v23
	v_dual_mov_b32 v9, v24 :: v_dual_mov_b32 v10, v25
	v_dual_mov_b32 v11, v26 :: v_dual_mov_b32 v12, v27
	v_dual_mov_b32 v13, v28 :: v_dual_mov_b32 v14, v29
	v_dual_mov_b32 v15, v30 :: v_dual_mov_b32 v16, v31
	v_mov_b32_e32 v17, v32
.LBB78_88:
	s_or_b32 exec_lo, exec_lo, s0
	v_mov_b32_e32 v27, 0
	s_waitcnt lgkmcnt(0)
	s_barrier
	buffer_gl0_inv
	s_mov_b32 s0, exec_lo
	ds_load_b96 v[17:19], v27 offset:112
	s_waitcnt lgkmcnt(0)
	v_fma_f32 v17, v14, v17, 0
	s_delay_alu instid0(VALU_DEP_1) | instskip(NEXT) | instid1(VALU_DEP_1)
	v_fmac_f32_e32 v17, v15, v18
	v_fmac_f32_e32 v17, v16, v19
	s_delay_alu instid0(VALU_DEP_1)
	v_sub_f32_e32 v13, v13, v17
	v_cmpx_lt_u32_e32 10, v0
	s_cbranch_execz .LBB78_90
; %bb.89:
	v_dual_mov_b32 v17, v2 :: v_dual_mov_b32 v18, v3
	v_dual_mov_b32 v19, v4 :: v_dual_mov_b32 v20, v5
	;; [unrolled: 1-line block ×7, first 2 shown]
	ds_store_b32 v1, v12
	v_mov_b32_e32 v2, v17
	v_dual_mov_b32 v3, v18 :: v_dual_mov_b32 v4, v19
	v_dual_mov_b32 v5, v20 :: v_dual_mov_b32 v6, v21
	;; [unrolled: 1-line block ×7, first 2 shown]
	v_mov_b32_e32 v17, v32
.LBB78_90:
	s_or_b32 exec_lo, exec_lo, s0
	s_waitcnt lgkmcnt(0)
	s_barrier
	buffer_gl0_inv
	ds_load_2addr_b32 v[17:18], v27 offset0:27 offset1:28
	ds_load_2addr_b32 v[19:20], v27 offset0:29 offset1:30
	s_mov_b32 s0, exec_lo
	s_waitcnt lgkmcnt(1)
	v_fma_f32 v17, v13, v17, 0
	s_delay_alu instid0(VALU_DEP_1) | instskip(SKIP_1) | instid1(VALU_DEP_1)
	v_fmac_f32_e32 v17, v14, v18
	s_waitcnt lgkmcnt(0)
	v_fmac_f32_e32 v17, v15, v19
	s_delay_alu instid0(VALU_DEP_1) | instskip(NEXT) | instid1(VALU_DEP_1)
	v_fmac_f32_e32 v17, v16, v20
	v_sub_f32_e32 v12, v12, v17
	v_cmpx_lt_u32_e32 9, v0
	s_cbranch_execz .LBB78_92
; %bb.91:
	v_dual_mov_b32 v26, 0 :: v_dual_mov_b32 v17, v2
	v_dual_mov_b32 v18, v3 :: v_dual_mov_b32 v19, v4
	;; [unrolled: 1-line block ×7, first 2 shown]
	v_mov_b32_e32 v31, v16
	ds_store_b32 v1, v11
	v_mov_b32_e32 v2, v17
	v_dual_mov_b32 v3, v18 :: v_dual_mov_b32 v4, v19
	v_dual_mov_b32 v5, v20 :: v_dual_mov_b32 v6, v21
	;; [unrolled: 1-line block ×7, first 2 shown]
	v_mov_b32_e32 v17, v32
.LBB78_92:
	s_or_b32 exec_lo, exec_lo, s0
	v_mov_b32_e32 v25, 0
	s_waitcnt lgkmcnt(0)
	s_barrier
	buffer_gl0_inv
	s_mov_b32 s0, exec_lo
	ds_load_2addr_b64 v[17:20], v25 offset0:13 offset1:14
	ds_load_b32 v21, v25 offset:120
	s_waitcnt lgkmcnt(1)
	v_fma_f32 v17, v12, v17, 0
	s_delay_alu instid0(VALU_DEP_1) | instskip(NEXT) | instid1(VALU_DEP_1)
	v_fmac_f32_e32 v17, v13, v18
	v_fmac_f32_e32 v17, v14, v19
	s_delay_alu instid0(VALU_DEP_1) | instskip(SKIP_1) | instid1(VALU_DEP_1)
	v_fmac_f32_e32 v17, v15, v20
	s_waitcnt lgkmcnt(0)
	v_fmac_f32_e32 v17, v16, v21
	s_delay_alu instid0(VALU_DEP_1)
	v_sub_f32_e32 v11, v11, v17
	v_cmpx_lt_u32_e32 8, v0
	s_cbranch_execz .LBB78_94
; %bb.93:
	v_dual_mov_b32 v17, v2 :: v_dual_mov_b32 v18, v3
	v_dual_mov_b32 v19, v4 :: v_dual_mov_b32 v20, v5
	;; [unrolled: 1-line block ×7, first 2 shown]
	ds_store_b32 v1, v10
	v_mov_b32_e32 v2, v17
	v_dual_mov_b32 v3, v18 :: v_dual_mov_b32 v4, v19
	v_dual_mov_b32 v5, v20 :: v_dual_mov_b32 v6, v21
	v_dual_mov_b32 v7, v22 :: v_dual_mov_b32 v8, v23
	v_dual_mov_b32 v9, v24 :: v_dual_mov_b32 v10, v25
	v_dual_mov_b32 v11, v26 :: v_dual_mov_b32 v12, v27
	v_dual_mov_b32 v13, v28 :: v_dual_mov_b32 v14, v29
	v_dual_mov_b32 v15, v30 :: v_dual_mov_b32 v16, v31
	v_mov_b32_e32 v17, v32
.LBB78_94:
	s_or_b32 exec_lo, exec_lo, s0
	s_waitcnt lgkmcnt(0)
	s_barrier
	buffer_gl0_inv
	ds_load_2addr_b32 v[17:18], v25 offset0:25 offset1:26
	ds_load_2addr_b32 v[19:20], v25 offset0:27 offset1:28
	;; [unrolled: 1-line block ×3, first 2 shown]
	s_mov_b32 s0, exec_lo
	s_waitcnt lgkmcnt(2)
	v_fma_f32 v17, v11, v17, 0
	s_delay_alu instid0(VALU_DEP_1) | instskip(SKIP_1) | instid1(VALU_DEP_1)
	v_fmac_f32_e32 v17, v12, v18
	s_waitcnt lgkmcnt(1)
	v_fmac_f32_e32 v17, v13, v19
	s_delay_alu instid0(VALU_DEP_1) | instskip(SKIP_1) | instid1(VALU_DEP_1)
	v_fmac_f32_e32 v17, v14, v20
	s_waitcnt lgkmcnt(0)
	v_fmac_f32_e32 v17, v15, v21
	s_delay_alu instid0(VALU_DEP_1) | instskip(NEXT) | instid1(VALU_DEP_1)
	v_fmac_f32_e32 v17, v16, v22
	v_sub_f32_e32 v10, v10, v17
	v_cmpx_lt_u32_e32 7, v0
	s_cbranch_execz .LBB78_96
; %bb.95:
	v_dual_mov_b32 v24, 0 :: v_dual_mov_b32 v17, v2
	v_dual_mov_b32 v18, v3 :: v_dual_mov_b32 v19, v4
	;; [unrolled: 1-line block ×7, first 2 shown]
	v_mov_b32_e32 v31, v16
	ds_store_b32 v1, v9
	v_mov_b32_e32 v2, v17
	v_dual_mov_b32 v3, v18 :: v_dual_mov_b32 v4, v19
	v_dual_mov_b32 v5, v20 :: v_dual_mov_b32 v6, v21
	;; [unrolled: 1-line block ×7, first 2 shown]
	v_mov_b32_e32 v17, v32
.LBB78_96:
	s_or_b32 exec_lo, exec_lo, s0
	v_mov_b32_e32 v23, 0
	s_waitcnt lgkmcnt(0)
	s_barrier
	buffer_gl0_inv
	s_mov_b32 s0, exec_lo
	ds_load_b128 v[17:20], v23 offset:96
	ds_load_b96 v[24:26], v23 offset:112
	s_waitcnt lgkmcnt(1)
	v_fma_f32 v17, v10, v17, 0
	s_delay_alu instid0(VALU_DEP_1) | instskip(NEXT) | instid1(VALU_DEP_1)
	v_fmac_f32_e32 v17, v11, v18
	v_fmac_f32_e32 v17, v12, v19
	s_delay_alu instid0(VALU_DEP_1) | instskip(SKIP_1) | instid1(VALU_DEP_1)
	v_fmac_f32_e32 v17, v13, v20
	s_waitcnt lgkmcnt(0)
	v_fmac_f32_e32 v17, v14, v24
	s_delay_alu instid0(VALU_DEP_1) | instskip(NEXT) | instid1(VALU_DEP_1)
	v_fmac_f32_e32 v17, v15, v25
	v_fmac_f32_e32 v17, v16, v26
	s_delay_alu instid0(VALU_DEP_1)
	v_sub_f32_e32 v9, v9, v17
	v_cmpx_lt_u32_e32 6, v0
	s_cbranch_execz .LBB78_98
; %bb.97:
	v_dual_mov_b32 v17, v2 :: v_dual_mov_b32 v18, v3
	v_dual_mov_b32 v19, v4 :: v_dual_mov_b32 v20, v5
	;; [unrolled: 1-line block ×7, first 2 shown]
	ds_store_b32 v1, v8
	v_mov_b32_e32 v2, v17
	v_dual_mov_b32 v3, v18 :: v_dual_mov_b32 v4, v19
	v_dual_mov_b32 v5, v20 :: v_dual_mov_b32 v6, v21
	;; [unrolled: 1-line block ×7, first 2 shown]
	v_mov_b32_e32 v17, v32
.LBB78_98:
	s_or_b32 exec_lo, exec_lo, s0
	s_waitcnt lgkmcnt(0)
	s_barrier
	buffer_gl0_inv
	ds_load_2addr_b32 v[17:18], v23 offset0:23 offset1:24
	ds_load_2addr_b32 v[19:20], v23 offset0:25 offset1:26
	;; [unrolled: 1-line block ×4, first 2 shown]
	s_mov_b32 s0, exec_lo
	s_waitcnt lgkmcnt(3)
	v_fma_f32 v17, v9, v17, 0
	s_delay_alu instid0(VALU_DEP_1) | instskip(SKIP_1) | instid1(VALU_DEP_1)
	v_fmac_f32_e32 v17, v10, v18
	s_waitcnt lgkmcnt(2)
	v_fmac_f32_e32 v17, v11, v19
	s_delay_alu instid0(VALU_DEP_1) | instskip(SKIP_1) | instid1(VALU_DEP_1)
	v_fmac_f32_e32 v17, v12, v20
	s_waitcnt lgkmcnt(1)
	v_fmac_f32_e32 v17, v13, v21
	;; [unrolled: 4-line block ×3, first 2 shown]
	s_delay_alu instid0(VALU_DEP_1) | instskip(NEXT) | instid1(VALU_DEP_1)
	v_fmac_f32_e32 v17, v16, v24
	v_sub_f32_e32 v8, v8, v17
	v_cmpx_lt_u32_e32 5, v0
	s_cbranch_execz .LBB78_100
; %bb.99:
	v_dual_mov_b32 v22, 0 :: v_dual_mov_b32 v17, v2
	v_dual_mov_b32 v18, v3 :: v_dual_mov_b32 v19, v4
	;; [unrolled: 1-line block ×7, first 2 shown]
	v_mov_b32_e32 v31, v16
	ds_store_b32 v1, v7
	v_mov_b32_e32 v2, v17
	v_dual_mov_b32 v3, v18 :: v_dual_mov_b32 v4, v19
	v_dual_mov_b32 v5, v20 :: v_dual_mov_b32 v6, v21
	;; [unrolled: 1-line block ×7, first 2 shown]
	v_mov_b32_e32 v17, v32
.LBB78_100:
	s_or_b32 exec_lo, exec_lo, s0
	v_mov_b32_e32 v21, 0
	s_waitcnt lgkmcnt(0)
	s_barrier
	buffer_gl0_inv
	s_mov_b32 s0, exec_lo
	ds_load_2addr_b64 v[17:20], v21 offset0:11 offset1:12
	ds_load_2addr_b64 v[22:25], v21 offset0:13 offset1:14
	s_waitcnt lgkmcnt(1)
	v_fma_f32 v17, v8, v17, 0
	s_delay_alu instid0(VALU_DEP_1) | instskip(SKIP_2) | instid1(VALU_DEP_1)
	v_fmac_f32_e32 v17, v9, v18
	ds_load_b32 v18, v21 offset:120
	v_fmac_f32_e32 v17, v10, v19
	v_fmac_f32_e32 v17, v11, v20
	s_waitcnt lgkmcnt(1)
	s_delay_alu instid0(VALU_DEP_1) | instskip(NEXT) | instid1(VALU_DEP_1)
	v_fmac_f32_e32 v17, v12, v22
	v_fmac_f32_e32 v17, v13, v23
	s_delay_alu instid0(VALU_DEP_1) | instskip(NEXT) | instid1(VALU_DEP_1)
	v_fmac_f32_e32 v17, v14, v24
	v_fmac_f32_e32 v17, v15, v25
	s_waitcnt lgkmcnt(0)
	s_delay_alu instid0(VALU_DEP_1) | instskip(NEXT) | instid1(VALU_DEP_1)
	v_fmac_f32_e32 v17, v16, v18
	v_sub_f32_e32 v7, v7, v17
	v_cmpx_lt_u32_e32 4, v0
	s_cbranch_execz .LBB78_102
; %bb.101:
	v_dual_mov_b32 v17, v2 :: v_dual_mov_b32 v18, v3
	v_dual_mov_b32 v19, v4 :: v_dual_mov_b32 v20, v5
	;; [unrolled: 1-line block ×7, first 2 shown]
	ds_store_b32 v1, v6
	v_mov_b32_e32 v2, v17
	v_dual_mov_b32 v3, v18 :: v_dual_mov_b32 v4, v19
	v_dual_mov_b32 v5, v20 :: v_dual_mov_b32 v6, v21
	;; [unrolled: 1-line block ×7, first 2 shown]
	v_mov_b32_e32 v17, v32
.LBB78_102:
	s_or_b32 exec_lo, exec_lo, s0
	s_waitcnt lgkmcnt(0)
	s_barrier
	buffer_gl0_inv
	ds_load_2addr_b32 v[17:18], v21 offset0:21 offset1:22
	ds_load_2addr_b32 v[19:20], v21 offset0:23 offset1:24
	;; [unrolled: 1-line block ×4, first 2 shown]
	s_mov_b32 s0, exec_lo
	s_waitcnt lgkmcnt(3)
	v_fma_f32 v26, v7, v17, 0
	s_delay_alu instid0(VALU_DEP_1) | instskip(SKIP_3) | instid1(VALU_DEP_1)
	v_fmac_f32_e32 v26, v8, v18
	ds_load_2addr_b32 v[17:18], v21 offset0:29 offset1:30
	s_waitcnt lgkmcnt(3)
	v_fmac_f32_e32 v26, v9, v19
	v_fmac_f32_e32 v26, v10, v20
	s_waitcnt lgkmcnt(2)
	s_delay_alu instid0(VALU_DEP_1) | instskip(NEXT) | instid1(VALU_DEP_1)
	v_fmac_f32_e32 v26, v11, v22
	v_fmac_f32_e32 v26, v12, v23
	s_waitcnt lgkmcnt(1)
	s_delay_alu instid0(VALU_DEP_1) | instskip(NEXT) | instid1(VALU_DEP_1)
	;; [unrolled: 4-line block ×3, first 2 shown]
	v_fmac_f32_e32 v26, v15, v17
	v_fmac_f32_e32 v26, v16, v18
	s_delay_alu instid0(VALU_DEP_1)
	v_sub_f32_e32 v6, v6, v26
	v_cmpx_lt_u32_e32 3, v0
	s_cbranch_execz .LBB78_104
; %bb.103:
	v_dual_mov_b32 v20, 0 :: v_dual_mov_b32 v17, v2
	v_dual_mov_b32 v18, v3 :: v_dual_mov_b32 v19, v4
	v_dual_mov_b32 v21, v6 :: v_dual_mov_b32 v22, v7
	v_dual_mov_b32 v23, v8 :: v_dual_mov_b32 v24, v9
	v_dual_mov_b32 v25, v10 :: v_dual_mov_b32 v26, v11
	v_dual_mov_b32 v27, v12 :: v_dual_mov_b32 v28, v13
	v_dual_mov_b32 v29, v14 :: v_dual_mov_b32 v30, v15
	v_mov_b32_e32 v31, v16
	ds_store_b32 v1, v5
	v_mov_b32_e32 v2, v17
	v_dual_mov_b32 v3, v18 :: v_dual_mov_b32 v4, v19
	v_dual_mov_b32 v5, v20 :: v_dual_mov_b32 v6, v21
	;; [unrolled: 1-line block ×7, first 2 shown]
	v_mov_b32_e32 v17, v32
.LBB78_104:
	s_or_b32 exec_lo, exec_lo, s0
	v_mov_b32_e32 v19, 0
	s_waitcnt lgkmcnt(0)
	s_barrier
	buffer_gl0_inv
	s_mov_b32 s0, exec_lo
	ds_load_b128 v[20:23], v19 offset:80
	ds_load_b128 v[24:27], v19 offset:96
	s_waitcnt lgkmcnt(1)
	v_fma_f32 v17, v6, v20, 0
	s_delay_alu instid0(VALU_DEP_1) | instskip(NEXT) | instid1(VALU_DEP_1)
	v_fmac_f32_e32 v17, v7, v21
	v_fmac_f32_e32 v17, v8, v22
	ds_load_b96 v[20:22], v19 offset:112
	v_fmac_f32_e32 v17, v9, v23
	s_waitcnt lgkmcnt(1)
	s_delay_alu instid0(VALU_DEP_1) | instskip(NEXT) | instid1(VALU_DEP_1)
	v_fmac_f32_e32 v17, v10, v24
	v_fmac_f32_e32 v17, v11, v25
	s_delay_alu instid0(VALU_DEP_1) | instskip(NEXT) | instid1(VALU_DEP_1)
	v_fmac_f32_e32 v17, v12, v26
	v_fmac_f32_e32 v17, v13, v27
	s_waitcnt lgkmcnt(0)
	s_delay_alu instid0(VALU_DEP_1) | instskip(NEXT) | instid1(VALU_DEP_1)
	v_fmac_f32_e32 v17, v14, v20
	v_fmac_f32_e32 v17, v15, v21
	s_delay_alu instid0(VALU_DEP_1) | instskip(NEXT) | instid1(VALU_DEP_1)
	v_fmac_f32_e32 v17, v16, v22
	v_sub_f32_e32 v5, v5, v17
	v_cmpx_lt_u32_e32 2, v0
	s_cbranch_execz .LBB78_106
; %bb.105:
	v_dual_mov_b32 v17, v2 :: v_dual_mov_b32 v18, v3
	s_delay_alu instid0(VALU_DEP_3)
	v_dual_mov_b32 v20, v5 :: v_dual_mov_b32 v21, v6
	v_dual_mov_b32 v22, v7 :: v_dual_mov_b32 v23, v8
	;; [unrolled: 1-line block ×6, first 2 shown]
	ds_store_b32 v1, v4
	v_mov_b32_e32 v2, v17
	v_dual_mov_b32 v3, v18 :: v_dual_mov_b32 v4, v19
	v_dual_mov_b32 v5, v20 :: v_dual_mov_b32 v6, v21
	;; [unrolled: 1-line block ×7, first 2 shown]
	v_mov_b32_e32 v17, v32
.LBB78_106:
	s_or_b32 exec_lo, exec_lo, s0
	s_waitcnt lgkmcnt(0)
	s_barrier
	buffer_gl0_inv
	ds_load_2addr_b32 v[17:18], v19 offset0:19 offset1:20
	ds_load_2addr_b32 v[20:21], v19 offset0:21 offset1:22
	;; [unrolled: 1-line block ×4, first 2 shown]
	s_mov_b32 s0, exec_lo
	s_waitcnt lgkmcnt(3)
	v_fma_f32 v26, v5, v17, 0
	s_delay_alu instid0(VALU_DEP_1)
	v_fmac_f32_e32 v26, v6, v18
	ds_load_2addr_b32 v[17:18], v19 offset0:27 offset1:28
	s_waitcnt lgkmcnt(3)
	v_fmac_f32_e32 v26, v7, v20
	ds_load_2addr_b32 v[19:20], v19 offset0:29 offset1:30
	v_fmac_f32_e32 v26, v8, v21
	s_waitcnt lgkmcnt(3)
	s_delay_alu instid0(VALU_DEP_1) | instskip(NEXT) | instid1(VALU_DEP_1)
	v_fmac_f32_e32 v26, v9, v22
	v_fmac_f32_e32 v26, v10, v23
	s_waitcnt lgkmcnt(2)
	s_delay_alu instid0(VALU_DEP_1) | instskip(NEXT) | instid1(VALU_DEP_1)
	v_fmac_f32_e32 v26, v11, v24
	;; [unrolled: 4-line block ×4, first 2 shown]
	v_fmac_f32_e32 v26, v16, v20
	s_delay_alu instid0(VALU_DEP_1)
	v_sub_f32_e32 v4, v4, v26
	v_cmpx_lt_u32_e32 1, v0
	s_cbranch_execz .LBB78_108
; %bb.107:
	v_dual_mov_b32 v18, 0 :: v_dual_mov_b32 v17, v2
	s_delay_alu instid0(VALU_DEP_3)
	v_dual_mov_b32 v19, v4 :: v_dual_mov_b32 v20, v5
	v_dual_mov_b32 v21, v6 :: v_dual_mov_b32 v22, v7
	;; [unrolled: 1-line block ×6, first 2 shown]
	v_mov_b32_e32 v31, v16
	ds_store_b32 v1, v3
	v_mov_b32_e32 v2, v17
	v_dual_mov_b32 v3, v18 :: v_dual_mov_b32 v4, v19
	v_dual_mov_b32 v5, v20 :: v_dual_mov_b32 v6, v21
	;; [unrolled: 1-line block ×7, first 2 shown]
	v_mov_b32_e32 v17, v32
.LBB78_108:
	s_or_b32 exec_lo, exec_lo, s0
	v_mov_b32_e32 v18, 0
	s_waitcnt lgkmcnt(0)
	s_barrier
	buffer_gl0_inv
	s_mov_b32 s0, exec_lo
	ds_load_2addr_b64 v[19:22], v18 offset0:9 offset1:10
	ds_load_2addr_b64 v[23:26], v18 offset0:11 offset1:12
	s_waitcnt lgkmcnt(1)
	v_fma_f32 v17, v4, v19, 0
	s_delay_alu instid0(VALU_DEP_1) | instskip(NEXT) | instid1(VALU_DEP_1)
	v_fmac_f32_e32 v17, v5, v20
	v_fmac_f32_e32 v17, v6, v21
	s_delay_alu instid0(VALU_DEP_1)
	v_fmac_f32_e32 v17, v7, v22
	ds_load_2addr_b64 v[19:22], v18 offset0:13 offset1:14
	s_waitcnt lgkmcnt(1)
	v_fmac_f32_e32 v17, v8, v23
	ds_load_b32 v23, v18 offset:120
	v_fmac_f32_e32 v17, v9, v24
	s_delay_alu instid0(VALU_DEP_1) | instskip(NEXT) | instid1(VALU_DEP_1)
	v_fmac_f32_e32 v17, v10, v25
	v_fmac_f32_e32 v17, v11, v26
	s_waitcnt lgkmcnt(1)
	s_delay_alu instid0(VALU_DEP_1) | instskip(NEXT) | instid1(VALU_DEP_1)
	v_fmac_f32_e32 v17, v12, v19
	v_fmac_f32_e32 v17, v13, v20
	s_delay_alu instid0(VALU_DEP_1) | instskip(NEXT) | instid1(VALU_DEP_1)
	v_fmac_f32_e32 v17, v14, v21
	v_fmac_f32_e32 v17, v15, v22
	s_waitcnt lgkmcnt(0)
	s_delay_alu instid0(VALU_DEP_1) | instskip(NEXT) | instid1(VALU_DEP_1)
	v_fmac_f32_e32 v17, v16, v23
	v_sub_f32_e32 v3, v3, v17
	v_cmpx_ne_u32_e32 0, v0
	s_cbranch_execz .LBB78_110
; %bb.109:
	s_delay_alu instid0(VALU_DEP_2)
	v_dual_mov_b32 v19, v3 :: v_dual_mov_b32 v20, v4
	v_dual_mov_b32 v21, v5 :: v_dual_mov_b32 v22, v6
	;; [unrolled: 1-line block ×7, first 2 shown]
	ds_store_b32 v1, v2
	v_dual_mov_b32 v2, v18 :: v_dual_mov_b32 v3, v19
	v_dual_mov_b32 v4, v20 :: v_dual_mov_b32 v5, v21
	;; [unrolled: 1-line block ×8, first 2 shown]
.LBB78_110:
	s_or_b32 exec_lo, exec_lo, s0
	s_waitcnt lgkmcnt(0)
	s_barrier
	buffer_gl0_inv
	ds_load_2addr_b32 v[0:1], v18 offset0:17 offset1:18
	ds_load_2addr_b32 v[19:20], v18 offset0:19 offset1:20
	;; [unrolled: 1-line block ×4, first 2 shown]
	s_and_b32 vcc_lo, exec_lo, s12
	s_waitcnt lgkmcnt(3)
	v_fma_f32 v25, v3, v0, 0
	s_delay_alu instid0(VALU_DEP_1) | instskip(SKIP_3) | instid1(VALU_DEP_1)
	v_fmac_f32_e32 v25, v4, v1
	ds_load_2addr_b32 v[0:1], v18 offset0:25 offset1:26
	s_waitcnt lgkmcnt(3)
	v_fmac_f32_e32 v25, v5, v19
	v_fmac_f32_e32 v25, v6, v20
	ds_load_2addr_b32 v[19:20], v18 offset0:27 offset1:28
	ds_load_2addr_b32 v[17:18], v18 offset0:29 offset1:30
	s_waitcnt lgkmcnt(4)
	v_fmac_f32_e32 v25, v7, v21
	s_delay_alu instid0(VALU_DEP_1) | instskip(SKIP_1) | instid1(VALU_DEP_1)
	v_fmac_f32_e32 v25, v8, v22
	s_waitcnt lgkmcnt(3)
	v_fmac_f32_e32 v25, v9, v23
	s_delay_alu instid0(VALU_DEP_1) | instskip(SKIP_1) | instid1(VALU_DEP_1)
	v_fmac_f32_e32 v25, v10, v24
	;; [unrolled: 4-line block ×4, first 2 shown]
	s_waitcnt lgkmcnt(0)
	v_fmac_f32_e32 v25, v15, v17
	s_delay_alu instid0(VALU_DEP_1) | instskip(NEXT) | instid1(VALU_DEP_1)
	v_fmac_f32_e32 v25, v16, v18
	v_sub_f32_e32 v2, v2, v25
	s_cbranch_vccz .LBB78_140
; %bb.111:
	v_dual_mov_b32 v0, s10 :: v_dual_mov_b32 v1, s11
	s_mov_b32 s12, exec_lo
	flat_load_b32 v0, v[0:1] offset:52
	s_waitcnt vmcnt(0) lgkmcnt(0)
	v_add_nc_u32_e32 v0, -1, v0
	s_delay_alu instid0(VALU_DEP_1)
	v_cmpx_ne_u32_e32 13, v0
	s_cbranch_execz .LBB78_113
; %bb.112:
	v_cmp_eq_u32_e32 vcc_lo, 1, v0
	v_cmp_eq_u32_e64 s0, 2, v0
	v_cmp_eq_u32_e64 s1, 3, v0
	;; [unrolled: 1-line block ×10, first 2 shown]
	v_cndmask_b32_e64 v18, v4, v15, s0
	v_cndmask_b32_e32 v17, v3, v15, vcc_lo
	v_cndmask_b32_e64 v19, v5, v15, s1
	v_cndmask_b32_e64 v20, v6, v15, s2
	;; [unrolled: 1-line block ×9, first 2 shown]
	v_cndmask_b32_e32 v1, v2, v3, vcc_lo
	v_cmp_eq_u32_e32 vcc_lo, 12, v0
	s_delay_alu instid0(VALU_DEP_2) | instskip(SKIP_2) | instid1(VALU_DEP_3)
	v_cndmask_b32_e64 v1, v1, v4, s0
	v_cmp_eq_u32_e64 s0, 13, v0
	v_cndmask_b32_e32 v28, v14, v15, vcc_lo
	v_cndmask_b32_e64 v1, v1, v5, s1
	v_cmp_eq_u32_e64 s1, 14, v0
	s_delay_alu instid0(VALU_DEP_2) | instskip(NEXT) | instid1(VALU_DEP_2)
	v_cndmask_b32_e64 v1, v1, v6, s2
	v_cndmask_b32_e64 v30, v16, v15, s1
	s_delay_alu instid0(VALU_DEP_2) | instskip(NEXT) | instid1(VALU_DEP_1)
	v_cndmask_b32_e64 v1, v1, v7, s3
	v_cndmask_b32_e64 v1, v1, v8, s4
	s_delay_alu instid0(VALU_DEP_1) | instskip(NEXT) | instid1(VALU_DEP_1)
	v_cndmask_b32_e64 v1, v1, v9, s5
	v_cndmask_b32_e64 v1, v1, v10, s6
	s_delay_alu instid0(VALU_DEP_1) | instskip(NEXT) | instid1(VALU_DEP_1)
	;; [unrolled: 3-line block ×3, first 2 shown]
	v_cndmask_b32_e64 v1, v1, v13, s9
	v_cndmask_b32_e32 v1, v1, v14, vcc_lo
	v_cmp_eq_u32_e32 vcc_lo, 0, v0
	s_delay_alu instid0(VALU_DEP_2) | instskip(NEXT) | instid1(VALU_DEP_1)
	v_cndmask_b32_e64 v1, v1, v15, s0
	v_cndmask_b32_e64 v1, v1, v16, s1
	v_cndmask_b32_e32 v16, v2, v15, vcc_lo
	s_delay_alu instid0(VALU_DEP_2) | instskip(NEXT) | instid1(VALU_DEP_2)
	v_cndmask_b32_e64 v29, v1, v15, s0
	v_mov_b32_e32 v2, v16
	v_dual_mov_b32 v3, v17 :: v_dual_mov_b32 v4, v18
	v_dual_mov_b32 v5, v19 :: v_dual_mov_b32 v6, v20
	;; [unrolled: 1-line block ×7, first 2 shown]
	v_mov_b32_e32 v17, v31
.LBB78_113:
	s_or_b32 exec_lo, exec_lo, s12
	v_dual_mov_b32 v0, s10 :: v_dual_mov_b32 v1, s11
	s_mov_b32 s12, exec_lo
	flat_load_b32 v0, v[0:1] offset:48
	s_waitcnt vmcnt(0) lgkmcnt(0)
	v_add_nc_u32_e32 v0, -1, v0
	s_delay_alu instid0(VALU_DEP_1)
	v_cmpx_ne_u32_e32 12, v0
	s_cbranch_execz .LBB78_115
; %bb.114:
	v_cmp_eq_u32_e32 vcc_lo, 1, v0
	v_cmp_eq_u32_e64 s0, 2, v0
	v_cmp_eq_u32_e64 s1, 3, v0
	;; [unrolled: 1-line block ×10, first 2 shown]
	v_cndmask_b32_e64 v18, v4, v14, s0
	v_cndmask_b32_e32 v17, v3, v14, vcc_lo
	v_cndmask_b32_e64 v19, v5, v14, s1
	v_cndmask_b32_e64 v20, v6, v14, s2
	;; [unrolled: 1-line block ×9, first 2 shown]
	v_cndmask_b32_e32 v1, v2, v3, vcc_lo
	v_cmp_eq_u32_e32 vcc_lo, 12, v0
	s_delay_alu instid0(VALU_DEP_2) | instskip(SKIP_1) | instid1(VALU_DEP_2)
	v_cndmask_b32_e64 v1, v1, v4, s0
	v_cmp_eq_u32_e64 s0, 13, v0
	v_cndmask_b32_e64 v1, v1, v5, s1
	v_cmp_eq_u32_e64 s1, 14, v0
	s_delay_alu instid0(VALU_DEP_3) | instskip(NEXT) | instid1(VALU_DEP_3)
	v_cndmask_b32_e64 v29, v15, v14, s0
	v_cndmask_b32_e64 v1, v1, v6, s2
	s_delay_alu instid0(VALU_DEP_3) | instskip(NEXT) | instid1(VALU_DEP_2)
	v_cndmask_b32_e64 v30, v16, v14, s1
	v_cndmask_b32_e64 v1, v1, v7, s3
	s_delay_alu instid0(VALU_DEP_1) | instskip(NEXT) | instid1(VALU_DEP_1)
	v_cndmask_b32_e64 v1, v1, v8, s4
	v_cndmask_b32_e64 v1, v1, v9, s5
	s_delay_alu instid0(VALU_DEP_1) | instskip(NEXT) | instid1(VALU_DEP_1)
	;; [unrolled: 3-line block ×4, first 2 shown]
	v_cndmask_b32_e32 v1, v1, v14, vcc_lo
	v_cndmask_b32_e64 v1, v1, v15, s0
	s_delay_alu instid0(VALU_DEP_1) | instskip(NEXT) | instid1(VALU_DEP_1)
	v_cndmask_b32_e64 v1, v1, v16, s1
	v_cndmask_b32_e32 v28, v1, v14, vcc_lo
	v_cmp_eq_u32_e32 vcc_lo, 0, v0
	v_cndmask_b32_e32 v16, v2, v14, vcc_lo
	s_delay_alu instid0(VALU_DEP_1)
	v_mov_b32_e32 v2, v16
	v_dual_mov_b32 v4, v18 :: v_dual_mov_b32 v3, v17
	v_dual_mov_b32 v6, v20 :: v_dual_mov_b32 v5, v19
	;; [unrolled: 1-line block ×7, first 2 shown]
	v_mov_b32_e32 v17, v31
.LBB78_115:
	s_or_b32 exec_lo, exec_lo, s12
	v_dual_mov_b32 v0, s10 :: v_dual_mov_b32 v1, s11
	s_mov_b32 s12, exec_lo
	flat_load_b32 v0, v[0:1] offset:44
	s_waitcnt vmcnt(0) lgkmcnt(0)
	v_add_nc_u32_e32 v0, -1, v0
	s_delay_alu instid0(VALU_DEP_1)
	v_cmpx_ne_u32_e32 11, v0
	s_cbranch_execz .LBB78_117
; %bb.116:
	v_cmp_eq_u32_e32 vcc_lo, 1, v0
	v_cmp_eq_u32_e64 s0, 2, v0
	v_cmp_eq_u32_e64 s1, 3, v0
	;; [unrolled: 1-line block ×9, first 2 shown]
	v_cndmask_b32_e64 v18, v4, v13, s0
	v_cndmask_b32_e32 v17, v3, v13, vcc_lo
	v_cndmask_b32_e64 v19, v5, v13, s1
	v_cndmask_b32_e64 v20, v6, v13, s2
	;; [unrolled: 1-line block ×8, first 2 shown]
	v_cndmask_b32_e32 v1, v2, v3, vcc_lo
	v_cmp_eq_u32_e64 s9, 11, v0
	v_cmp_eq_u32_e32 vcc_lo, 12, v0
	s_delay_alu instid0(VALU_DEP_3) | instskip(SKIP_2) | instid1(VALU_DEP_3)
	v_cndmask_b32_e64 v1, v1, v4, s0
	v_cmp_eq_u32_e64 s0, 13, v0
	v_cndmask_b32_e32 v28, v14, v13, vcc_lo
	v_cndmask_b32_e64 v1, v1, v5, s1
	v_cmp_eq_u32_e64 s1, 14, v0
	s_delay_alu instid0(VALU_DEP_4) | instskip(NEXT) | instid1(VALU_DEP_3)
	v_cndmask_b32_e64 v29, v15, v13, s0
	v_cndmask_b32_e64 v1, v1, v6, s2
	s_delay_alu instid0(VALU_DEP_3) | instskip(NEXT) | instid1(VALU_DEP_2)
	v_cndmask_b32_e64 v30, v16, v13, s1
	v_cndmask_b32_e64 v1, v1, v7, s3
	s_delay_alu instid0(VALU_DEP_1) | instskip(NEXT) | instid1(VALU_DEP_1)
	v_cndmask_b32_e64 v1, v1, v8, s4
	v_cndmask_b32_e64 v1, v1, v9, s5
	s_delay_alu instid0(VALU_DEP_1) | instskip(NEXT) | instid1(VALU_DEP_1)
	;; [unrolled: 3-line block ×3, first 2 shown]
	v_cndmask_b32_e64 v1, v1, v12, s8
	v_cndmask_b32_e64 v1, v1, v13, s9
	s_delay_alu instid0(VALU_DEP_1) | instskip(SKIP_1) | instid1(VALU_DEP_2)
	v_cndmask_b32_e32 v1, v1, v14, vcc_lo
	v_cmp_eq_u32_e32 vcc_lo, 0, v0
	v_cndmask_b32_e64 v1, v1, v15, s0
	s_delay_alu instid0(VALU_DEP_1) | instskip(SKIP_1) | instid1(VALU_DEP_2)
	v_cndmask_b32_e64 v1, v1, v16, s1
	v_cndmask_b32_e32 v16, v2, v13, vcc_lo
	v_cndmask_b32_e64 v27, v1, v13, s9
	s_delay_alu instid0(VALU_DEP_2)
	v_mov_b32_e32 v2, v16
	v_dual_mov_b32 v3, v17 :: v_dual_mov_b32 v4, v18
	v_dual_mov_b32 v5, v19 :: v_dual_mov_b32 v6, v20
	;; [unrolled: 1-line block ×7, first 2 shown]
	v_mov_b32_e32 v17, v31
.LBB78_117:
	s_or_b32 exec_lo, exec_lo, s12
	v_dual_mov_b32 v0, s10 :: v_dual_mov_b32 v1, s11
	s_mov_b32 s12, exec_lo
	flat_load_b32 v0, v[0:1] offset:40
	s_waitcnt vmcnt(0) lgkmcnt(0)
	v_add_nc_u32_e32 v0, -1, v0
	s_delay_alu instid0(VALU_DEP_1)
	v_cmpx_ne_u32_e32 10, v0
	s_cbranch_execz .LBB78_119
; %bb.118:
	v_cmp_eq_u32_e32 vcc_lo, 1, v0
	v_cmp_eq_u32_e64 s0, 2, v0
	v_cmp_eq_u32_e64 s1, 3, v0
	;; [unrolled: 1-line block ×9, first 2 shown]
	v_cndmask_b32_e64 v18, v4, v12, s0
	v_cndmask_b32_e32 v17, v3, v12, vcc_lo
	v_cndmask_b32_e64 v19, v5, v12, s1
	v_cndmask_b32_e64 v20, v6, v12, s2
	;; [unrolled: 1-line block ×8, first 2 shown]
	v_cndmask_b32_e32 v1, v2, v3, vcc_lo
	v_cmp_eq_u32_e64 s8, 10, v0
	v_cmp_eq_u32_e32 vcc_lo, 12, v0
	s_delay_alu instid0(VALU_DEP_3) | instskip(SKIP_2) | instid1(VALU_DEP_3)
	v_cndmask_b32_e64 v1, v1, v4, s0
	v_cmp_eq_u32_e64 s0, 13, v0
	v_cndmask_b32_e32 v28, v14, v12, vcc_lo
	v_cndmask_b32_e64 v1, v1, v5, s1
	v_cmp_eq_u32_e64 s1, 14, v0
	s_delay_alu instid0(VALU_DEP_4) | instskip(NEXT) | instid1(VALU_DEP_3)
	v_cndmask_b32_e64 v29, v15, v12, s0
	v_cndmask_b32_e64 v1, v1, v6, s2
	s_delay_alu instid0(VALU_DEP_3) | instskip(NEXT) | instid1(VALU_DEP_2)
	v_cndmask_b32_e64 v30, v16, v12, s1
	v_cndmask_b32_e64 v1, v1, v7, s3
	s_delay_alu instid0(VALU_DEP_1) | instskip(NEXT) | instid1(VALU_DEP_1)
	v_cndmask_b32_e64 v1, v1, v8, s4
	v_cndmask_b32_e64 v1, v1, v9, s5
	s_delay_alu instid0(VALU_DEP_1) | instskip(NEXT) | instid1(VALU_DEP_1)
	v_cndmask_b32_e64 v1, v1, v10, s6
	v_cndmask_b32_e64 v1, v1, v11, s7
	s_delay_alu instid0(VALU_DEP_1) | instskip(NEXT) | instid1(VALU_DEP_1)
	v_cndmask_b32_e64 v1, v1, v12, s8
	v_cndmask_b32_e64 v1, v1, v13, s9
	s_delay_alu instid0(VALU_DEP_1) | instskip(SKIP_1) | instid1(VALU_DEP_2)
	v_cndmask_b32_e32 v1, v1, v14, vcc_lo
	v_cmp_eq_u32_e32 vcc_lo, 0, v0
	v_cndmask_b32_e64 v1, v1, v15, s0
	s_delay_alu instid0(VALU_DEP_1) | instskip(SKIP_1) | instid1(VALU_DEP_2)
	v_cndmask_b32_e64 v1, v1, v16, s1
	v_cndmask_b32_e32 v16, v2, v12, vcc_lo
	v_cndmask_b32_e64 v26, v1, v12, s8
	s_delay_alu instid0(VALU_DEP_2)
	v_mov_b32_e32 v2, v16
	v_dual_mov_b32 v3, v17 :: v_dual_mov_b32 v4, v18
	v_dual_mov_b32 v5, v19 :: v_dual_mov_b32 v6, v20
	;; [unrolled: 1-line block ×7, first 2 shown]
	v_mov_b32_e32 v17, v31
.LBB78_119:
	s_or_b32 exec_lo, exec_lo, s12
	v_dual_mov_b32 v0, s10 :: v_dual_mov_b32 v1, s11
	s_mov_b32 s12, exec_lo
	flat_load_b32 v0, v[0:1] offset:36
	s_waitcnt vmcnt(0) lgkmcnt(0)
	v_add_nc_u32_e32 v0, -1, v0
	s_delay_alu instid0(VALU_DEP_1)
	v_cmpx_ne_u32_e32 9, v0
	s_cbranch_execz .LBB78_121
; %bb.120:
	v_cmp_eq_u32_e32 vcc_lo, 1, v0
	v_cmp_eq_u32_e64 s0, 2, v0
	v_cmp_eq_u32_e64 s1, 3, v0
	;; [unrolled: 1-line block ×9, first 2 shown]
	v_cndmask_b32_e64 v18, v4, v11, s0
	v_cndmask_b32_e32 v17, v3, v11, vcc_lo
	v_cndmask_b32_e64 v19, v5, v11, s1
	v_cndmask_b32_e64 v20, v6, v11, s2
	v_cndmask_b32_e64 v21, v7, v11, s3
	v_cndmask_b32_e64 v22, v8, v11, s4
	v_cndmask_b32_e64 v23, v9, v11, s5
	v_cndmask_b32_e64 v24, v10, v11, s6
	v_cndmask_b32_e64 v26, v12, v11, s8
	v_cndmask_b32_e64 v27, v13, v11, s9
	v_cndmask_b32_e32 v1, v2, v3, vcc_lo
	v_cmp_eq_u32_e64 s7, 9, v0
	v_cmp_eq_u32_e32 vcc_lo, 12, v0
	s_delay_alu instid0(VALU_DEP_3) | instskip(SKIP_2) | instid1(VALU_DEP_3)
	v_cndmask_b32_e64 v1, v1, v4, s0
	v_cmp_eq_u32_e64 s0, 13, v0
	v_cndmask_b32_e32 v28, v14, v11, vcc_lo
	v_cndmask_b32_e64 v1, v1, v5, s1
	v_cmp_eq_u32_e64 s1, 14, v0
	s_delay_alu instid0(VALU_DEP_4) | instskip(NEXT) | instid1(VALU_DEP_3)
	v_cndmask_b32_e64 v29, v15, v11, s0
	v_cndmask_b32_e64 v1, v1, v6, s2
	s_delay_alu instid0(VALU_DEP_3) | instskip(NEXT) | instid1(VALU_DEP_2)
	v_cndmask_b32_e64 v30, v16, v11, s1
	v_cndmask_b32_e64 v1, v1, v7, s3
	s_delay_alu instid0(VALU_DEP_1) | instskip(NEXT) | instid1(VALU_DEP_1)
	v_cndmask_b32_e64 v1, v1, v8, s4
	v_cndmask_b32_e64 v1, v1, v9, s5
	s_delay_alu instid0(VALU_DEP_1) | instskip(NEXT) | instid1(VALU_DEP_1)
	;; [unrolled: 3-line block ×3, first 2 shown]
	v_cndmask_b32_e64 v1, v1, v12, s8
	v_cndmask_b32_e64 v1, v1, v13, s9
	s_delay_alu instid0(VALU_DEP_1) | instskip(SKIP_1) | instid1(VALU_DEP_2)
	v_cndmask_b32_e32 v1, v1, v14, vcc_lo
	v_cmp_eq_u32_e32 vcc_lo, 0, v0
	v_cndmask_b32_e64 v1, v1, v15, s0
	s_delay_alu instid0(VALU_DEP_1) | instskip(SKIP_1) | instid1(VALU_DEP_2)
	v_cndmask_b32_e64 v1, v1, v16, s1
	v_cndmask_b32_e32 v16, v2, v11, vcc_lo
	v_cndmask_b32_e64 v25, v1, v11, s7
	s_delay_alu instid0(VALU_DEP_2)
	v_mov_b32_e32 v2, v16
	v_dual_mov_b32 v3, v17 :: v_dual_mov_b32 v4, v18
	v_dual_mov_b32 v5, v19 :: v_dual_mov_b32 v6, v20
	;; [unrolled: 1-line block ×7, first 2 shown]
	v_mov_b32_e32 v17, v31
.LBB78_121:
	s_or_b32 exec_lo, exec_lo, s12
	v_dual_mov_b32 v0, s10 :: v_dual_mov_b32 v1, s11
	s_mov_b32 s12, exec_lo
	flat_load_b32 v0, v[0:1] offset:32
	s_waitcnt vmcnt(0) lgkmcnt(0)
	v_add_nc_u32_e32 v0, -1, v0
	s_delay_alu instid0(VALU_DEP_1)
	v_cmpx_ne_u32_e32 8, v0
	s_cbranch_execz .LBB78_123
; %bb.122:
	v_cmp_eq_u32_e32 vcc_lo, 1, v0
	v_cmp_eq_u32_e64 s0, 2, v0
	v_cmp_eq_u32_e64 s1, 3, v0
	;; [unrolled: 1-line block ×9, first 2 shown]
	v_cndmask_b32_e64 v18, v4, v10, s0
	v_cndmask_b32_e32 v17, v3, v10, vcc_lo
	v_cndmask_b32_e64 v19, v5, v10, s1
	v_cndmask_b32_e64 v20, v6, v10, s2
	;; [unrolled: 1-line block ×8, first 2 shown]
	v_cndmask_b32_e32 v1, v2, v3, vcc_lo
	v_cmp_eq_u32_e64 s6, 8, v0
	v_cmp_eq_u32_e32 vcc_lo, 12, v0
	s_delay_alu instid0(VALU_DEP_3) | instskip(SKIP_2) | instid1(VALU_DEP_3)
	v_cndmask_b32_e64 v1, v1, v4, s0
	v_cmp_eq_u32_e64 s0, 13, v0
	v_cndmask_b32_e32 v28, v14, v10, vcc_lo
	v_cndmask_b32_e64 v1, v1, v5, s1
	v_cmp_eq_u32_e64 s1, 14, v0
	s_delay_alu instid0(VALU_DEP_4) | instskip(NEXT) | instid1(VALU_DEP_3)
	v_cndmask_b32_e64 v29, v15, v10, s0
	v_cndmask_b32_e64 v1, v1, v6, s2
	s_delay_alu instid0(VALU_DEP_3) | instskip(NEXT) | instid1(VALU_DEP_2)
	v_cndmask_b32_e64 v30, v16, v10, s1
	v_cndmask_b32_e64 v1, v1, v7, s3
	s_delay_alu instid0(VALU_DEP_1) | instskip(NEXT) | instid1(VALU_DEP_1)
	v_cndmask_b32_e64 v1, v1, v8, s4
	v_cndmask_b32_e64 v1, v1, v9, s5
	s_delay_alu instid0(VALU_DEP_1) | instskip(NEXT) | instid1(VALU_DEP_1)
	;; [unrolled: 3-line block ×3, first 2 shown]
	v_cndmask_b32_e64 v1, v1, v12, s8
	v_cndmask_b32_e64 v1, v1, v13, s9
	s_delay_alu instid0(VALU_DEP_1) | instskip(SKIP_1) | instid1(VALU_DEP_2)
	v_cndmask_b32_e32 v1, v1, v14, vcc_lo
	v_cmp_eq_u32_e32 vcc_lo, 0, v0
	v_cndmask_b32_e64 v1, v1, v15, s0
	s_delay_alu instid0(VALU_DEP_1) | instskip(SKIP_1) | instid1(VALU_DEP_2)
	v_cndmask_b32_e64 v1, v1, v16, s1
	v_cndmask_b32_e32 v16, v2, v10, vcc_lo
	v_cndmask_b32_e64 v24, v1, v10, s6
	s_delay_alu instid0(VALU_DEP_2)
	v_mov_b32_e32 v2, v16
	v_dual_mov_b32 v4, v18 :: v_dual_mov_b32 v3, v17
	v_dual_mov_b32 v6, v20 :: v_dual_mov_b32 v5, v19
	;; [unrolled: 1-line block ×7, first 2 shown]
	v_mov_b32_e32 v17, v31
.LBB78_123:
	s_or_b32 exec_lo, exec_lo, s12
	v_dual_mov_b32 v0, s10 :: v_dual_mov_b32 v1, s11
	s_mov_b32 s12, exec_lo
	flat_load_b32 v0, v[0:1] offset:28
	s_waitcnt vmcnt(0) lgkmcnt(0)
	v_add_nc_u32_e32 v0, -1, v0
	s_delay_alu instid0(VALU_DEP_1)
	v_cmpx_ne_u32_e32 7, v0
	s_cbranch_execz .LBB78_125
; %bb.124:
	v_cmp_eq_u32_e32 vcc_lo, 1, v0
	v_cmp_eq_u32_e64 s0, 2, v0
	v_cmp_eq_u32_e64 s1, 3, v0
	;; [unrolled: 1-line block ×9, first 2 shown]
	v_cndmask_b32_e64 v18, v4, v9, s0
	v_cndmask_b32_e32 v17, v3, v9, vcc_lo
	v_cndmask_b32_e64 v19, v5, v9, s1
	v_cndmask_b32_e64 v20, v6, v9, s2
	v_cndmask_b32_e64 v21, v7, v9, s3
	v_cndmask_b32_e64 v22, v8, v9, s4
	v_cndmask_b32_e64 v24, v10, v9, s6
	v_cndmask_b32_e64 v25, v11, v9, s7
	v_cndmask_b32_e64 v26, v12, v9, s8
	v_cndmask_b32_e64 v27, v13, v9, s9
	v_cndmask_b32_e32 v1, v2, v3, vcc_lo
	v_cmp_eq_u32_e64 s5, 7, v0
	v_cmp_eq_u32_e32 vcc_lo, 12, v0
	s_delay_alu instid0(VALU_DEP_3) | instskip(SKIP_2) | instid1(VALU_DEP_3)
	v_cndmask_b32_e64 v1, v1, v4, s0
	v_cmp_eq_u32_e64 s0, 13, v0
	v_cndmask_b32_e32 v28, v14, v9, vcc_lo
	v_cndmask_b32_e64 v1, v1, v5, s1
	v_cmp_eq_u32_e64 s1, 14, v0
	s_delay_alu instid0(VALU_DEP_4) | instskip(NEXT) | instid1(VALU_DEP_3)
	v_cndmask_b32_e64 v29, v15, v9, s0
	v_cndmask_b32_e64 v1, v1, v6, s2
	s_delay_alu instid0(VALU_DEP_3) | instskip(NEXT) | instid1(VALU_DEP_2)
	v_cndmask_b32_e64 v30, v16, v9, s1
	v_cndmask_b32_e64 v1, v1, v7, s3
	s_delay_alu instid0(VALU_DEP_1) | instskip(NEXT) | instid1(VALU_DEP_1)
	v_cndmask_b32_e64 v1, v1, v8, s4
	v_cndmask_b32_e64 v1, v1, v9, s5
	s_delay_alu instid0(VALU_DEP_1) | instskip(NEXT) | instid1(VALU_DEP_1)
	;; [unrolled: 3-line block ×3, first 2 shown]
	v_cndmask_b32_e64 v1, v1, v12, s8
	v_cndmask_b32_e64 v1, v1, v13, s9
	s_delay_alu instid0(VALU_DEP_1) | instskip(SKIP_1) | instid1(VALU_DEP_2)
	v_cndmask_b32_e32 v1, v1, v14, vcc_lo
	v_cmp_eq_u32_e32 vcc_lo, 0, v0
	v_cndmask_b32_e64 v1, v1, v15, s0
	s_delay_alu instid0(VALU_DEP_1) | instskip(SKIP_1) | instid1(VALU_DEP_2)
	v_cndmask_b32_e64 v1, v1, v16, s1
	v_cndmask_b32_e32 v16, v2, v9, vcc_lo
	v_cndmask_b32_e64 v23, v1, v9, s5
	s_delay_alu instid0(VALU_DEP_2)
	v_mov_b32_e32 v2, v16
	v_dual_mov_b32 v3, v17 :: v_dual_mov_b32 v4, v18
	v_dual_mov_b32 v5, v19 :: v_dual_mov_b32 v6, v20
	;; [unrolled: 1-line block ×7, first 2 shown]
	v_mov_b32_e32 v17, v31
.LBB78_125:
	s_or_b32 exec_lo, exec_lo, s12
	v_dual_mov_b32 v0, s10 :: v_dual_mov_b32 v1, s11
	s_mov_b32 s12, exec_lo
	flat_load_b32 v0, v[0:1] offset:24
	s_waitcnt vmcnt(0) lgkmcnt(0)
	v_add_nc_u32_e32 v0, -1, v0
	s_delay_alu instid0(VALU_DEP_1)
	v_cmpx_ne_u32_e32 6, v0
	s_cbranch_execz .LBB78_127
; %bb.126:
	v_cmp_eq_u32_e32 vcc_lo, 1, v0
	v_cmp_eq_u32_e64 s0, 2, v0
	v_cmp_eq_u32_e64 s1, 3, v0
	;; [unrolled: 1-line block ×9, first 2 shown]
	v_cndmask_b32_e64 v18, v4, v8, s0
	v_cndmask_b32_e32 v17, v3, v8, vcc_lo
	v_cndmask_b32_e64 v19, v5, v8, s1
	v_cndmask_b32_e64 v20, v6, v8, s2
	v_cndmask_b32_e64 v21, v7, v8, s3
	v_cndmask_b32_e64 v23, v9, v8, s5
	v_cndmask_b32_e64 v24, v10, v8, s6
	v_cndmask_b32_e64 v25, v11, v8, s7
	v_cndmask_b32_e64 v26, v12, v8, s8
	v_cndmask_b32_e64 v27, v13, v8, s9
	v_cndmask_b32_e32 v1, v2, v3, vcc_lo
	v_cmp_eq_u32_e64 s4, 6, v0
	v_cmp_eq_u32_e32 vcc_lo, 12, v0
	s_delay_alu instid0(VALU_DEP_3) | instskip(SKIP_2) | instid1(VALU_DEP_3)
	v_cndmask_b32_e64 v1, v1, v4, s0
	v_cmp_eq_u32_e64 s0, 13, v0
	v_cndmask_b32_e32 v28, v14, v8, vcc_lo
	v_cndmask_b32_e64 v1, v1, v5, s1
	v_cmp_eq_u32_e64 s1, 14, v0
	s_delay_alu instid0(VALU_DEP_4) | instskip(NEXT) | instid1(VALU_DEP_3)
	v_cndmask_b32_e64 v29, v15, v8, s0
	v_cndmask_b32_e64 v1, v1, v6, s2
	s_delay_alu instid0(VALU_DEP_3) | instskip(NEXT) | instid1(VALU_DEP_2)
	v_cndmask_b32_e64 v30, v16, v8, s1
	v_cndmask_b32_e64 v1, v1, v7, s3
	s_delay_alu instid0(VALU_DEP_1) | instskip(NEXT) | instid1(VALU_DEP_1)
	v_cndmask_b32_e64 v1, v1, v8, s4
	v_cndmask_b32_e64 v1, v1, v9, s5
	s_delay_alu instid0(VALU_DEP_1) | instskip(NEXT) | instid1(VALU_DEP_1)
	v_cndmask_b32_e64 v1, v1, v10, s6
	v_cndmask_b32_e64 v1, v1, v11, s7
	s_delay_alu instid0(VALU_DEP_1) | instskip(NEXT) | instid1(VALU_DEP_1)
	v_cndmask_b32_e64 v1, v1, v12, s8
	v_cndmask_b32_e64 v1, v1, v13, s9
	s_delay_alu instid0(VALU_DEP_1) | instskip(SKIP_1) | instid1(VALU_DEP_2)
	v_cndmask_b32_e32 v1, v1, v14, vcc_lo
	v_cmp_eq_u32_e32 vcc_lo, 0, v0
	v_cndmask_b32_e64 v1, v1, v15, s0
	s_delay_alu instid0(VALU_DEP_1) | instskip(SKIP_1) | instid1(VALU_DEP_2)
	v_cndmask_b32_e64 v1, v1, v16, s1
	v_cndmask_b32_e32 v16, v2, v8, vcc_lo
	v_cndmask_b32_e64 v22, v1, v8, s4
	s_delay_alu instid0(VALU_DEP_2) | instskip(SKIP_2) | instid1(VALU_DEP_4)
	v_mov_b32_e32 v2, v16
	v_dual_mov_b32 v3, v17 :: v_dual_mov_b32 v4, v18
	v_dual_mov_b32 v5, v19 :: v_dual_mov_b32 v6, v20
	;; [unrolled: 1-line block ×7, first 2 shown]
	v_mov_b32_e32 v17, v31
.LBB78_127:
	s_or_b32 exec_lo, exec_lo, s12
	v_dual_mov_b32 v0, s10 :: v_dual_mov_b32 v1, s11
	s_mov_b32 s12, exec_lo
	flat_load_b32 v0, v[0:1] offset:20
	s_waitcnt vmcnt(0) lgkmcnt(0)
	v_add_nc_u32_e32 v0, -1, v0
	s_delay_alu instid0(VALU_DEP_1)
	v_cmpx_ne_u32_e32 5, v0
	s_cbranch_execz .LBB78_129
; %bb.128:
	v_cmp_eq_u32_e32 vcc_lo, 1, v0
	v_cmp_eq_u32_e64 s0, 2, v0
	v_cmp_eq_u32_e64 s1, 3, v0
	;; [unrolled: 1-line block ×9, first 2 shown]
	v_cndmask_b32_e64 v18, v4, v7, s0
	v_cndmask_b32_e32 v17, v3, v7, vcc_lo
	v_cndmask_b32_e64 v19, v5, v7, s1
	v_cndmask_b32_e64 v20, v6, v7, s2
	;; [unrolled: 1-line block ×8, first 2 shown]
	v_cndmask_b32_e32 v1, v2, v3, vcc_lo
	v_cmp_eq_u32_e64 s3, 5, v0
	v_cmp_eq_u32_e32 vcc_lo, 12, v0
	s_delay_alu instid0(VALU_DEP_3) | instskip(SKIP_2) | instid1(VALU_DEP_3)
	v_cndmask_b32_e64 v1, v1, v4, s0
	v_cmp_eq_u32_e64 s0, 13, v0
	v_cndmask_b32_e32 v28, v14, v7, vcc_lo
	v_cndmask_b32_e64 v1, v1, v5, s1
	v_cmp_eq_u32_e64 s1, 14, v0
	s_delay_alu instid0(VALU_DEP_4) | instskip(NEXT) | instid1(VALU_DEP_3)
	v_cndmask_b32_e64 v29, v15, v7, s0
	v_cndmask_b32_e64 v1, v1, v6, s2
	s_delay_alu instid0(VALU_DEP_3) | instskip(NEXT) | instid1(VALU_DEP_2)
	v_cndmask_b32_e64 v30, v16, v7, s1
	v_cndmask_b32_e64 v1, v1, v7, s3
	s_delay_alu instid0(VALU_DEP_1) | instskip(NEXT) | instid1(VALU_DEP_1)
	v_cndmask_b32_e64 v1, v1, v8, s4
	v_cndmask_b32_e64 v1, v1, v9, s5
	s_delay_alu instid0(VALU_DEP_1) | instskip(NEXT) | instid1(VALU_DEP_1)
	;; [unrolled: 3-line block ×3, first 2 shown]
	v_cndmask_b32_e64 v1, v1, v12, s8
	v_cndmask_b32_e64 v1, v1, v13, s9
	s_delay_alu instid0(VALU_DEP_1) | instskip(SKIP_1) | instid1(VALU_DEP_2)
	v_cndmask_b32_e32 v1, v1, v14, vcc_lo
	v_cmp_eq_u32_e32 vcc_lo, 0, v0
	v_cndmask_b32_e64 v1, v1, v15, s0
	s_delay_alu instid0(VALU_DEP_1) | instskip(SKIP_1) | instid1(VALU_DEP_2)
	v_cndmask_b32_e64 v1, v1, v16, s1
	v_cndmask_b32_e32 v16, v2, v7, vcc_lo
	v_cndmask_b32_e64 v21, v1, v7, s3
	s_delay_alu instid0(VALU_DEP_2) | instskip(SKIP_2) | instid1(VALU_DEP_4)
	v_mov_b32_e32 v2, v16
	v_dual_mov_b32 v3, v17 :: v_dual_mov_b32 v4, v18
	v_dual_mov_b32 v5, v19 :: v_dual_mov_b32 v6, v20
	;; [unrolled: 1-line block ×7, first 2 shown]
	v_mov_b32_e32 v17, v31
.LBB78_129:
	s_or_b32 exec_lo, exec_lo, s12
	v_dual_mov_b32 v0, s10 :: v_dual_mov_b32 v1, s11
	s_mov_b32 s12, exec_lo
	flat_load_b32 v0, v[0:1] offset:16
	s_waitcnt vmcnt(0) lgkmcnt(0)
	v_add_nc_u32_e32 v0, -1, v0
	s_delay_alu instid0(VALU_DEP_1)
	v_cmpx_ne_u32_e32 4, v0
	s_cbranch_execz .LBB78_131
; %bb.130:
	v_cmp_eq_u32_e32 vcc_lo, 1, v0
	v_cmp_eq_u32_e64 s0, 2, v0
	v_cmp_eq_u32_e64 s1, 3, v0
	;; [unrolled: 1-line block ×9, first 2 shown]
	v_cndmask_b32_e64 v18, v4, v6, s0
	v_cndmask_b32_e32 v17, v3, v6, vcc_lo
	v_cndmask_b32_e64 v19, v5, v6, s1
	v_cndmask_b32_e64 v21, v7, v6, s3
	;; [unrolled: 1-line block ×8, first 2 shown]
	v_cndmask_b32_e32 v1, v2, v3, vcc_lo
	v_cmp_eq_u32_e64 s2, 4, v0
	v_cmp_eq_u32_e32 vcc_lo, 12, v0
	s_delay_alu instid0(VALU_DEP_3) | instskip(SKIP_2) | instid1(VALU_DEP_3)
	v_cndmask_b32_e64 v1, v1, v4, s0
	v_cmp_eq_u32_e64 s0, 13, v0
	v_cndmask_b32_e32 v28, v14, v6, vcc_lo
	v_cndmask_b32_e64 v1, v1, v5, s1
	v_cmp_eq_u32_e64 s1, 14, v0
	s_delay_alu instid0(VALU_DEP_4) | instskip(NEXT) | instid1(VALU_DEP_3)
	v_cndmask_b32_e64 v29, v15, v6, s0
	v_cndmask_b32_e64 v1, v1, v6, s2
	s_delay_alu instid0(VALU_DEP_3) | instskip(NEXT) | instid1(VALU_DEP_2)
	v_cndmask_b32_e64 v30, v16, v6, s1
	v_cndmask_b32_e64 v1, v1, v7, s3
	s_delay_alu instid0(VALU_DEP_1) | instskip(NEXT) | instid1(VALU_DEP_1)
	v_cndmask_b32_e64 v1, v1, v8, s4
	v_cndmask_b32_e64 v1, v1, v9, s5
	s_delay_alu instid0(VALU_DEP_1) | instskip(NEXT) | instid1(VALU_DEP_1)
	;; [unrolled: 3-line block ×3, first 2 shown]
	v_cndmask_b32_e64 v1, v1, v12, s8
	v_cndmask_b32_e64 v1, v1, v13, s9
	s_delay_alu instid0(VALU_DEP_1) | instskip(SKIP_1) | instid1(VALU_DEP_2)
	v_cndmask_b32_e32 v1, v1, v14, vcc_lo
	v_cmp_eq_u32_e32 vcc_lo, 0, v0
	v_cndmask_b32_e64 v1, v1, v15, s0
	s_delay_alu instid0(VALU_DEP_1) | instskip(SKIP_1) | instid1(VALU_DEP_2)
	v_cndmask_b32_e64 v1, v1, v16, s1
	v_cndmask_b32_e32 v16, v2, v6, vcc_lo
	v_cndmask_b32_e64 v20, v1, v6, s2
	s_delay_alu instid0(VALU_DEP_2) | instskip(SKIP_2) | instid1(VALU_DEP_4)
	v_mov_b32_e32 v2, v16
	v_dual_mov_b32 v4, v18 :: v_dual_mov_b32 v3, v17
	v_dual_mov_b32 v5, v19 :: v_dual_mov_b32 v8, v22
	;; [unrolled: 1-line block ×7, first 2 shown]
	v_mov_b32_e32 v17, v31
.LBB78_131:
	s_or_b32 exec_lo, exec_lo, s12
	v_dual_mov_b32 v0, s10 :: v_dual_mov_b32 v1, s11
	s_mov_b32 s12, exec_lo
	flat_load_b32 v0, v[0:1] offset:12
	s_waitcnt vmcnt(0) lgkmcnt(0)
	v_add_nc_u32_e32 v0, -1, v0
	s_delay_alu instid0(VALU_DEP_1)
	v_cmpx_ne_u32_e32 3, v0
	s_cbranch_execz .LBB78_133
; %bb.132:
	v_cmp_eq_u32_e32 vcc_lo, 1, v0
	v_cmp_eq_u32_e64 s0, 2, v0
	v_cmp_eq_u32_e64 s2, 4, v0
	v_cmp_eq_u32_e64 s3, 5, v0
	v_cmp_eq_u32_e64 s4, 6, v0
	v_cmp_eq_u32_e64 s5, 7, v0
	v_cmp_eq_u32_e64 s6, 8, v0
	v_cmp_eq_u32_e64 s7, 9, v0
	v_cmp_eq_u32_e64 s8, 10, v0
	v_cmp_eq_u32_e64 s9, 11, v0
	v_cndmask_b32_e64 v18, v4, v5, s0
	v_cndmask_b32_e32 v17, v3, v5, vcc_lo
	v_cndmask_b32_e64 v20, v6, v5, s2
	v_cndmask_b32_e64 v21, v7, v5, s3
	;; [unrolled: 1-line block ×8, first 2 shown]
	v_cndmask_b32_e32 v1, v2, v3, vcc_lo
	v_cmp_eq_u32_e64 s1, 3, v0
	v_cmp_eq_u32_e32 vcc_lo, 12, v0
	s_delay_alu instid0(VALU_DEP_3) | instskip(SKIP_2) | instid1(VALU_DEP_3)
	v_cndmask_b32_e64 v1, v1, v4, s0
	v_cmp_eq_u32_e64 s0, 13, v0
	v_cndmask_b32_e32 v28, v14, v5, vcc_lo
	v_cndmask_b32_e64 v1, v1, v5, s1
	s_delay_alu instid0(VALU_DEP_3) | instskip(NEXT) | instid1(VALU_DEP_2)
	v_cndmask_b32_e64 v29, v15, v5, s0
	v_cndmask_b32_e64 v1, v1, v6, s2
	v_cmp_eq_u32_e64 s2, 14, v0
	s_delay_alu instid0(VALU_DEP_2) | instskip(NEXT) | instid1(VALU_DEP_2)
	v_cndmask_b32_e64 v1, v1, v7, s3
	v_cndmask_b32_e64 v30, v16, v5, s2
	s_delay_alu instid0(VALU_DEP_2) | instskip(NEXT) | instid1(VALU_DEP_1)
	v_cndmask_b32_e64 v1, v1, v8, s4
	v_cndmask_b32_e64 v1, v1, v9, s5
	s_delay_alu instid0(VALU_DEP_1) | instskip(NEXT) | instid1(VALU_DEP_1)
	v_cndmask_b32_e64 v1, v1, v10, s6
	v_cndmask_b32_e64 v1, v1, v11, s7
	s_delay_alu instid0(VALU_DEP_1) | instskip(NEXT) | instid1(VALU_DEP_1)
	v_cndmask_b32_e64 v1, v1, v12, s8
	v_cndmask_b32_e64 v1, v1, v13, s9
	s_delay_alu instid0(VALU_DEP_1) | instskip(SKIP_1) | instid1(VALU_DEP_2)
	v_cndmask_b32_e32 v1, v1, v14, vcc_lo
	v_cmp_eq_u32_e32 vcc_lo, 0, v0
	v_cndmask_b32_e64 v1, v1, v15, s0
	s_delay_alu instid0(VALU_DEP_1) | instskip(SKIP_1) | instid1(VALU_DEP_2)
	v_cndmask_b32_e64 v1, v1, v16, s2
	v_cndmask_b32_e32 v16, v2, v5, vcc_lo
	v_cndmask_b32_e64 v19, v1, v5, s1
	s_delay_alu instid0(VALU_DEP_2) | instskip(SKIP_1) | instid1(VALU_DEP_3)
	v_mov_b32_e32 v2, v16
	v_dual_mov_b32 v3, v17 :: v_dual_mov_b32 v4, v18
	v_dual_mov_b32 v6, v20 :: v_dual_mov_b32 v5, v19
	;; [unrolled: 1-line block ×7, first 2 shown]
	v_mov_b32_e32 v17, v31
.LBB78_133:
	s_or_b32 exec_lo, exec_lo, s12
	v_dual_mov_b32 v0, s10 :: v_dual_mov_b32 v1, s11
	s_mov_b32 s12, exec_lo
	flat_load_b32 v0, v[0:1] offset:8
	s_waitcnt vmcnt(0) lgkmcnt(0)
	v_add_nc_u32_e32 v0, -1, v0
	s_delay_alu instid0(VALU_DEP_1)
	v_cmpx_ne_u32_e32 2, v0
	s_cbranch_execz .LBB78_135
; %bb.134:
	v_cmp_eq_u32_e32 vcc_lo, 1, v0
	v_cmp_eq_u32_e64 s1, 3, v0
	v_cmp_eq_u32_e64 s2, 4, v0
	;; [unrolled: 1-line block ×10, first 2 shown]
	v_cndmask_b32_e32 v17, v3, v4, vcc_lo
	v_cndmask_b32_e64 v19, v5, v4, s1
	v_cndmask_b32_e64 v20, v6, v4, s2
	;; [unrolled: 1-line block ×9, first 2 shown]
	v_cndmask_b32_e32 v1, v2, v3, vcc_lo
	v_cmp_eq_u32_e32 vcc_lo, 12, v0
	s_delay_alu instid0(VALU_DEP_2) | instskip(SKIP_1) | instid1(VALU_DEP_2)
	v_cndmask_b32_e64 v1, v1, v4, s0
	v_cndmask_b32_e32 v28, v14, v4, vcc_lo
	v_cndmask_b32_e64 v1, v1, v5, s1
	v_cmp_eq_u32_e64 s1, 13, v0
	s_delay_alu instid0(VALU_DEP_2) | instskip(SKIP_1) | instid1(VALU_DEP_3)
	v_cndmask_b32_e64 v1, v1, v6, s2
	v_cmp_eq_u32_e64 s2, 14, v0
	v_cndmask_b32_e64 v29, v15, v4, s1
	s_delay_alu instid0(VALU_DEP_3) | instskip(NEXT) | instid1(VALU_DEP_3)
	v_cndmask_b32_e64 v1, v1, v7, s3
	v_cndmask_b32_e64 v30, v16, v4, s2
	s_delay_alu instid0(VALU_DEP_2) | instskip(NEXT) | instid1(VALU_DEP_1)
	v_cndmask_b32_e64 v1, v1, v8, s4
	v_cndmask_b32_e64 v1, v1, v9, s5
	s_delay_alu instid0(VALU_DEP_1) | instskip(NEXT) | instid1(VALU_DEP_1)
	v_cndmask_b32_e64 v1, v1, v10, s6
	v_cndmask_b32_e64 v1, v1, v11, s7
	s_delay_alu instid0(VALU_DEP_1) | instskip(NEXT) | instid1(VALU_DEP_1)
	v_cndmask_b32_e64 v1, v1, v12, s8
	v_cndmask_b32_e64 v1, v1, v13, s9
	s_delay_alu instid0(VALU_DEP_1) | instskip(SKIP_1) | instid1(VALU_DEP_2)
	v_cndmask_b32_e32 v1, v1, v14, vcc_lo
	v_cmp_eq_u32_e32 vcc_lo, 0, v0
	v_cndmask_b32_e64 v1, v1, v15, s1
	s_delay_alu instid0(VALU_DEP_1) | instskip(SKIP_1) | instid1(VALU_DEP_2)
	v_cndmask_b32_e64 v1, v1, v16, s2
	v_cndmask_b32_e32 v16, v2, v4, vcc_lo
	v_cndmask_b32_e64 v18, v1, v4, s0
	s_delay_alu instid0(VALU_DEP_2) | instskip(SKIP_2) | instid1(VALU_DEP_4)
	v_mov_b32_e32 v2, v16
	v_mov_b32_e32 v3, v17
	v_dual_mov_b32 v5, v19 :: v_dual_mov_b32 v6, v20
	v_dual_mov_b32 v4, v18 :: v_dual_mov_b32 v7, v21
	v_dual_mov_b32 v8, v22 :: v_dual_mov_b32 v9, v23
	v_dual_mov_b32 v10, v24 :: v_dual_mov_b32 v11, v25
	v_dual_mov_b32 v12, v26 :: v_dual_mov_b32 v13, v27
	v_dual_mov_b32 v14, v28 :: v_dual_mov_b32 v15, v29
	v_mov_b32_e32 v16, v30
	v_mov_b32_e32 v17, v31
.LBB78_135:
	s_or_b32 exec_lo, exec_lo, s12
	v_dual_mov_b32 v0, s10 :: v_dual_mov_b32 v1, s11
	s_mov_b32 s12, exec_lo
	flat_load_b32 v0, v[0:1] offset:4
	s_waitcnt vmcnt(0) lgkmcnt(0)
	v_add_nc_u32_e32 v0, -1, v0
	s_delay_alu instid0(VALU_DEP_1)
	v_cmpx_ne_u32_e32 1, v0
	s_cbranch_execz .LBB78_137
; %bb.136:
	v_cmp_eq_u32_e32 vcc_lo, 1, v0
	v_cmp_eq_u32_e64 s0, 2, v0
	v_cmp_eq_u32_e64 s1, 3, v0
	;; [unrolled: 1-line block ×10, first 2 shown]
	v_cndmask_b32_e64 v17, v4, v3, s0
	v_cndmask_b32_e64 v18, v5, v3, s1
	;; [unrolled: 1-line block ×10, first 2 shown]
	v_cndmask_b32_e32 v1, v2, v3, vcc_lo
	s_delay_alu instid0(VALU_DEP_1) | instskip(SKIP_1) | instid1(VALU_DEP_2)
	v_cndmask_b32_e64 v1, v1, v4, s0
	v_cmp_eq_u32_e64 s0, 12, v0
	v_cndmask_b32_e64 v1, v1, v5, s1
	v_cmp_eq_u32_e64 s1, 13, v0
	s_delay_alu instid0(VALU_DEP_3) | instskip(NEXT) | instid1(VALU_DEP_3)
	v_cndmask_b32_e64 v27, v14, v3, s0
	v_cndmask_b32_e64 v1, v1, v6, s2
	v_cmp_eq_u32_e64 s2, 14, v0
	s_delay_alu instid0(VALU_DEP_4) | instskip(NEXT) | instid1(VALU_DEP_3)
	v_cndmask_b32_e64 v28, v15, v3, s1
	v_cndmask_b32_e64 v1, v1, v7, s3
	s_delay_alu instid0(VALU_DEP_3) | instskip(NEXT) | instid1(VALU_DEP_2)
	v_cndmask_b32_e64 v29, v16, v3, s2
	v_cndmask_b32_e64 v1, v1, v8, s4
	s_delay_alu instid0(VALU_DEP_1) | instskip(NEXT) | instid1(VALU_DEP_1)
	v_cndmask_b32_e64 v1, v1, v9, s5
	v_cndmask_b32_e64 v1, v1, v10, s6
	s_delay_alu instid0(VALU_DEP_1) | instskip(NEXT) | instid1(VALU_DEP_1)
	;; [unrolled: 3-line block ×4, first 2 shown]
	v_cndmask_b32_e64 v1, v1, v15, s1
	v_cndmask_b32_e64 v1, v1, v16, s2
	s_delay_alu instid0(VALU_DEP_1) | instskip(SKIP_2) | instid1(VALU_DEP_1)
	v_cndmask_b32_e32 v16, v1, v3, vcc_lo
	v_cmp_eq_u32_e32 vcc_lo, 0, v0
	v_cndmask_b32_e32 v15, v2, v3, vcc_lo
	v_mov_b32_e32 v2, v15
	s_delay_alu instid0(VALU_DEP_4)
	v_dual_mov_b32 v3, v16 :: v_dual_mov_b32 v4, v17
	v_dual_mov_b32 v5, v18 :: v_dual_mov_b32 v6, v19
	;; [unrolled: 1-line block ×6, first 2 shown]
	v_mov_b32_e32 v15, v28
	v_mov_b32_e32 v16, v29
	;; [unrolled: 1-line block ×3, first 2 shown]
.LBB78_137:
	s_or_b32 exec_lo, exec_lo, s12
	v_dual_mov_b32 v0, s10 :: v_dual_mov_b32 v1, s11
	s_mov_b32 s9, exec_lo
	flat_load_b32 v0, v[0:1]
	s_waitcnt vmcnt(0) lgkmcnt(0)
	v_add_nc_u32_e32 v0, -1, v0
	s_delay_alu instid0(VALU_DEP_1)
	v_cmpx_ne_u32_e32 0, v0
	s_cbranch_execz .LBB78_139
; %bb.138:
	v_cmp_eq_u32_e32 vcc_lo, 1, v0
	v_cmp_eq_u32_e64 s0, 2, v0
	v_cmp_eq_u32_e64 s1, 3, v0
	;; [unrolled: 1-line block ×4, first 2 shown]
	v_cndmask_b32_e32 v1, v2, v3, vcc_lo
	v_cmp_eq_u32_e64 s4, 6, v0
	v_cmp_eq_u32_e64 s5, 7, v0
	;; [unrolled: 1-line block ×4, first 2 shown]
	v_cndmask_b32_e64 v1, v1, v4, s0
	v_cmp_eq_u32_e64 s8, 10, v0
	v_cndmask_b32_e64 v17, v4, v2, s0
	v_cmp_eq_u32_e64 s0, 11, v0
	v_cndmask_b32_e64 v18, v5, v2, s1
	v_cndmask_b32_e64 v1, v1, v5, s1
	v_cmp_eq_u32_e64 s1, 12, v0
	v_cndmask_b32_e64 v19, v6, v2, s2
	v_cndmask_b32_e64 v20, v7, v2, s3
	v_cndmask_b32_e64 v26, v13, v2, s0
	v_cndmask_b32_e64 v1, v1, v6, s2
	v_cmp_eq_u32_e64 s2, 13, v0
	v_cndmask_b32_e64 v21, v8, v2, s4
	v_cndmask_b32_e64 v22, v9, v2, s5
	;; [unrolled: 5-line block ×3, first 2 shown]
	v_cndmask_b32_e64 v25, v12, v2, s8
	v_cndmask_b32_e64 v1, v1, v8, s4
	;; [unrolled: 1-line block ×4, first 2 shown]
	s_delay_alu instid0(VALU_DEP_3) | instskip(NEXT) | instid1(VALU_DEP_1)
	v_cndmask_b32_e64 v1, v1, v9, s5
	v_cndmask_b32_e64 v1, v1, v10, s6
	s_delay_alu instid0(VALU_DEP_1) | instskip(NEXT) | instid1(VALU_DEP_1)
	v_cndmask_b32_e64 v1, v1, v11, s7
	v_cndmask_b32_e64 v1, v1, v12, s8
	s_delay_alu instid0(VALU_DEP_1) | instskip(SKIP_1) | instid1(VALU_DEP_2)
	v_cndmask_b32_e64 v1, v1, v13, s0
	v_cmp_eq_u32_e64 s0, 0, v0
	v_cndmask_b32_e64 v1, v1, v14, s1
	s_delay_alu instid0(VALU_DEP_1) | instskip(NEXT) | instid1(VALU_DEP_1)
	v_cndmask_b32_e64 v1, v1, v15, s2
	v_cndmask_b32_e64 v1, v1, v16, s3
	v_cndmask_b32_e32 v16, v3, v2, vcc_lo
	s_delay_alu instid0(VALU_DEP_2) | instskip(NEXT) | instid1(VALU_DEP_1)
	v_cndmask_b32_e64 v15, v1, v2, s0
	v_mov_b32_e32 v2, v15
	s_delay_alu instid0(VALU_DEP_3)
	v_dual_mov_b32 v3, v16 :: v_dual_mov_b32 v4, v17
	v_dual_mov_b32 v5, v18 :: v_dual_mov_b32 v6, v19
	;; [unrolled: 1-line block ×6, first 2 shown]
	v_mov_b32_e32 v15, v28
	v_mov_b32_e32 v16, v29
	v_mov_b32_e32 v17, v30
.LBB78_139:
	s_or_b32 exec_lo, exec_lo, s9
.LBB78_140:
	s_clause 0xe
	global_store_b32 v[33:34], v2, off
	global_store_b32 v[35:36], v3, off
	;; [unrolled: 1-line block ×15, first 2 shown]
	s_nop 0
	s_sendmsg sendmsg(MSG_DEALLOC_VGPRS)
	s_endpgm
	.section	.rodata,"a",@progbits
	.p2align	6, 0x0
	.amdhsa_kernel _ZN9rocsolver6v33100L18getri_kernel_smallILi15EfPKPfEEvT1_iilPiilS6_bb
		.amdhsa_group_segment_fixed_size 124
		.amdhsa_private_segment_fixed_size 0
		.amdhsa_kernarg_size 60
		.amdhsa_user_sgpr_count 15
		.amdhsa_user_sgpr_dispatch_ptr 0
		.amdhsa_user_sgpr_queue_ptr 0
		.amdhsa_user_sgpr_kernarg_segment_ptr 1
		.amdhsa_user_sgpr_dispatch_id 0
		.amdhsa_user_sgpr_private_segment_size 0
		.amdhsa_wavefront_size32 1
		.amdhsa_uses_dynamic_stack 0
		.amdhsa_enable_private_segment 0
		.amdhsa_system_sgpr_workgroup_id_x 1
		.amdhsa_system_sgpr_workgroup_id_y 0
		.amdhsa_system_sgpr_workgroup_id_z 0
		.amdhsa_system_sgpr_workgroup_info 0
		.amdhsa_system_vgpr_workitem_id 0
		.amdhsa_next_free_vgpr 63
		.amdhsa_next_free_sgpr 17
		.amdhsa_reserve_vcc 1
		.amdhsa_float_round_mode_32 0
		.amdhsa_float_round_mode_16_64 0
		.amdhsa_float_denorm_mode_32 3
		.amdhsa_float_denorm_mode_16_64 3
		.amdhsa_dx10_clamp 1
		.amdhsa_ieee_mode 1
		.amdhsa_fp16_overflow 0
		.amdhsa_workgroup_processor_mode 1
		.amdhsa_memory_ordered 1
		.amdhsa_forward_progress 0
		.amdhsa_shared_vgpr_count 0
		.amdhsa_exception_fp_ieee_invalid_op 0
		.amdhsa_exception_fp_denorm_src 0
		.amdhsa_exception_fp_ieee_div_zero 0
		.amdhsa_exception_fp_ieee_overflow 0
		.amdhsa_exception_fp_ieee_underflow 0
		.amdhsa_exception_fp_ieee_inexact 0
		.amdhsa_exception_int_div_zero 0
	.end_amdhsa_kernel
	.section	.text._ZN9rocsolver6v33100L18getri_kernel_smallILi15EfPKPfEEvT1_iilPiilS6_bb,"axG",@progbits,_ZN9rocsolver6v33100L18getri_kernel_smallILi15EfPKPfEEvT1_iilPiilS6_bb,comdat
.Lfunc_end78:
	.size	_ZN9rocsolver6v33100L18getri_kernel_smallILi15EfPKPfEEvT1_iilPiilS6_bb, .Lfunc_end78-_ZN9rocsolver6v33100L18getri_kernel_smallILi15EfPKPfEEvT1_iilPiilS6_bb
                                        ; -- End function
	.section	.AMDGPU.csdata,"",@progbits
; Kernel info:
; codeLenInByte = 18296
; NumSgprs: 19
; NumVgprs: 63
; ScratchSize: 0
; MemoryBound: 0
; FloatMode: 240
; IeeeMode: 1
; LDSByteSize: 124 bytes/workgroup (compile time only)
; SGPRBlocks: 2
; VGPRBlocks: 7
; NumSGPRsForWavesPerEU: 19
; NumVGPRsForWavesPerEU: 63
; Occupancy: 16
; WaveLimiterHint : 1
; COMPUTE_PGM_RSRC2:SCRATCH_EN: 0
; COMPUTE_PGM_RSRC2:USER_SGPR: 15
; COMPUTE_PGM_RSRC2:TRAP_HANDLER: 0
; COMPUTE_PGM_RSRC2:TGID_X_EN: 1
; COMPUTE_PGM_RSRC2:TGID_Y_EN: 0
; COMPUTE_PGM_RSRC2:TGID_Z_EN: 0
; COMPUTE_PGM_RSRC2:TIDIG_COMP_CNT: 0
	.section	.text._ZN9rocsolver6v33100L18getri_kernel_smallILi16EfPKPfEEvT1_iilPiilS6_bb,"axG",@progbits,_ZN9rocsolver6v33100L18getri_kernel_smallILi16EfPKPfEEvT1_iilPiilS6_bb,comdat
	.globl	_ZN9rocsolver6v33100L18getri_kernel_smallILi16EfPKPfEEvT1_iilPiilS6_bb ; -- Begin function _ZN9rocsolver6v33100L18getri_kernel_smallILi16EfPKPfEEvT1_iilPiilS6_bb
	.p2align	8
	.type	_ZN9rocsolver6v33100L18getri_kernel_smallILi16EfPKPfEEvT1_iilPiilS6_bb,@function
_ZN9rocsolver6v33100L18getri_kernel_smallILi16EfPKPfEEvT1_iilPiilS6_bb: ; @_ZN9rocsolver6v33100L18getri_kernel_smallILi16EfPKPfEEvT1_iilPiilS6_bb
; %bb.0:
	s_mov_b32 s2, exec_lo
	v_cmpx_gt_u32_e32 16, v0
	s_cbranch_execz .LBB79_16
; %bb.1:
	s_clause 0x1
	s_load_b32 s13, s[0:1], 0x38
	s_load_b64 s[2:3], s[0:1], 0x0
	s_mov_b32 s8, s15
	s_load_b128 s[4:7], s[0:1], 0x28
	s_waitcnt lgkmcnt(0)
	s_bitcmp1_b32 s13, 8
	s_cselect_b32 s12, -1, 0
	s_ashr_i32 s9, s15, 31
	s_delay_alu instid0(SALU_CYCLE_1) | instskip(NEXT) | instid1(SALU_CYCLE_1)
	s_lshl_b64 s[10:11], s[8:9], 3
	s_add_u32 s2, s2, s10
	s_addc_u32 s3, s3, s11
	s_bfe_u32 s10, s13, 0x10008
	s_load_b64 s[2:3], s[2:3], 0x0
	s_cmp_eq_u32 s10, 0
                                        ; implicit-def: $sgpr10_sgpr11
	s_cbranch_scc1 .LBB79_3
; %bb.2:
	s_clause 0x1
	s_load_b32 s10, s[0:1], 0x20
	s_load_b64 s[14:15], s[0:1], 0x18
	s_mul_i32 s5, s8, s5
	s_mul_hi_u32 s11, s8, s4
	s_mul_i32 s16, s9, s4
	s_add_i32 s5, s11, s5
	s_mul_i32 s4, s8, s4
	s_add_i32 s5, s5, s16
	s_delay_alu instid0(SALU_CYCLE_1)
	s_lshl_b64 s[4:5], s[4:5], 2
	s_waitcnt lgkmcnt(0)
	s_ashr_i32 s11, s10, 31
	s_add_u32 s14, s14, s4
	s_addc_u32 s15, s15, s5
	s_lshl_b64 s[4:5], s[10:11], 2
	s_delay_alu instid0(SALU_CYCLE_1)
	s_add_u32 s10, s14, s4
	s_addc_u32 s11, s15, s5
.LBB79_3:
	s_load_b64 s[0:1], s[0:1], 0x8
	v_lshlrev_b32_e32 v18, 2, v0
	s_waitcnt lgkmcnt(0)
	v_add3_u32 v1, s1, s1, v0
	s_ashr_i32 s5, s0, 31
	s_mov_b32 s4, s0
	s_mov_b32 s14, s1
	s_lshl_b64 s[4:5], s[4:5], 2
	v_add_nc_u32_e32 v3, s1, v1
	v_ashrrev_i32_e32 v2, 31, v1
	s_add_u32 s2, s2, s4
	s_addc_u32 s3, s3, s5
	v_add_co_u32 v33, s0, s2, v18
	v_add_nc_u32_e32 v5, s1, v3
	s_ashr_i32 s15, s1, 31
	v_add_co_ci_u32_e64 v34, null, s3, 0, s0
	v_lshlrev_b64 v[1:2], 2, v[1:2]
	v_ashrrev_i32_e32 v4, 31, v3
	s_lshl_b64 s[4:5], s[14:15], 2
	v_ashrrev_i32_e32 v6, 31, v5
	v_add_co_u32 v35, vcc_lo, v33, s4
	v_add_nc_u32_e32 v7, s1, v5
	v_add_co_ci_u32_e32 v36, vcc_lo, s5, v34, vcc_lo
	v_lshlrev_b64 v[3:4], 2, v[3:4]
	v_add_co_u32 v37, vcc_lo, s2, v1
	v_add_co_ci_u32_e32 v38, vcc_lo, s3, v2, vcc_lo
	v_lshlrev_b64 v[1:2], 2, v[5:6]
	v_ashrrev_i32_e32 v8, 31, v7
	v_add_nc_u32_e32 v5, s1, v7
	v_add_co_u32 v39, vcc_lo, s2, v3
	v_add_co_ci_u32_e32 v40, vcc_lo, s3, v4, vcc_lo
	s_delay_alu instid0(VALU_DEP_4) | instskip(NEXT) | instid1(VALU_DEP_4)
	v_lshlrev_b64 v[3:4], 2, v[7:8]
	v_ashrrev_i32_e32 v6, 31, v5
	v_add_nc_u32_e32 v7, s1, v5
	v_add_co_u32 v41, vcc_lo, s2, v1
	v_add_co_ci_u32_e32 v42, vcc_lo, s3, v2, vcc_lo
	s_delay_alu instid0(VALU_DEP_4) | instskip(NEXT) | instid1(VALU_DEP_4)
	v_lshlrev_b64 v[1:2], 2, v[5:6]
	v_add_nc_u32_e32 v5, s1, v7
	v_ashrrev_i32_e32 v8, 31, v7
	v_add_co_u32 v43, vcc_lo, s2, v3
	v_add_co_ci_u32_e32 v44, vcc_lo, s3, v4, vcc_lo
	s_delay_alu instid0(VALU_DEP_4) | instskip(NEXT) | instid1(VALU_DEP_4)
	v_ashrrev_i32_e32 v6, 31, v5
	v_lshlrev_b64 v[3:4], 2, v[7:8]
	v_add_nc_u32_e32 v7, s1, v5
	v_add_co_u32 v45, vcc_lo, s2, v1
	v_add_co_ci_u32_e32 v46, vcc_lo, s3, v2, vcc_lo
	v_lshlrev_b64 v[1:2], 2, v[5:6]
	s_delay_alu instid0(VALU_DEP_4)
	v_add_nc_u32_e32 v11, s1, v7
	v_add_co_u32 v47, vcc_lo, s2, v3
	v_ashrrev_i32_e32 v8, 31, v7
	v_add_co_ci_u32_e32 v48, vcc_lo, s3, v4, vcc_lo
	v_add_co_u32 v49, vcc_lo, s2, v1
	v_add_nc_u32_e32 v13, s1, v11
	v_add_co_ci_u32_e32 v50, vcc_lo, s3, v2, vcc_lo
	v_lshlrev_b64 v[1:2], 2, v[7:8]
	v_ashrrev_i32_e32 v12, 31, v11
	s_delay_alu instid0(VALU_DEP_4)
	v_ashrrev_i32_e32 v14, 31, v13
	v_add_nc_u32_e32 v15, s1, v13
	s_clause 0x7
	global_load_b32 v3, v[35:36], off
	global_load_b32 v4, v[37:38], off
	;; [unrolled: 1-line block ×8, first 2 shown]
	s_bitcmp0_b32 s13, 0
	v_lshlrev_b64 v[11:12], 2, v[11:12]
	v_add_co_u32 v51, vcc_lo, s2, v1
	v_add_co_ci_u32_e32 v52, vcc_lo, s3, v2, vcc_lo
	v_lshlrev_b64 v[1:2], 2, v[13:14]
	v_ashrrev_i32_e32 v16, 31, v15
	v_add_nc_u32_e32 v13, s1, v15
	v_add_co_u32 v53, vcc_lo, s2, v11
	v_add_co_ci_u32_e32 v54, vcc_lo, s3, v12, vcc_lo
	s_delay_alu instid0(VALU_DEP_4) | instskip(NEXT) | instid1(VALU_DEP_4)
	v_lshlrev_b64 v[11:12], 2, v[15:16]
	v_ashrrev_i32_e32 v14, 31, v13
	v_add_nc_u32_e32 v15, s1, v13
	v_add_co_u32 v55, vcc_lo, s2, v1
	v_add_co_ci_u32_e32 v56, vcc_lo, s3, v2, vcc_lo
	s_delay_alu instid0(VALU_DEP_4) | instskip(NEXT) | instid1(VALU_DEP_4)
	v_lshlrev_b64 v[1:2], 2, v[13:14]
	v_add_nc_u32_e32 v13, s1, v15
	v_ashrrev_i32_e32 v16, 31, v15
	v_add_co_u32 v57, vcc_lo, s2, v11
	v_add_co_ci_u32_e32 v58, vcc_lo, s3, v12, vcc_lo
	s_delay_alu instid0(VALU_DEP_4) | instskip(NEXT) | instid1(VALU_DEP_4)
	v_ashrrev_i32_e32 v14, 31, v13
	v_lshlrev_b64 v[11:12], 2, v[15:16]
	v_add_co_u32 v59, vcc_lo, s2, v1
	v_add_co_ci_u32_e32 v60, vcc_lo, s3, v2, vcc_lo
	s_delay_alu instid0(VALU_DEP_4) | instskip(NEXT) | instid1(VALU_DEP_4)
	v_lshlrev_b64 v[1:2], 2, v[13:14]
	v_add_co_u32 v61, vcc_lo, s2, v11
	v_add_co_ci_u32_e32 v62, vcc_lo, s3, v12, vcc_lo
	s_mov_b32 s0, -1
	s_delay_alu instid0(VALU_DEP_3)
	v_add_co_u32 v63, vcc_lo, s2, v1
	v_mov_b32_e32 v1, 0
	v_add_co_ci_u32_e32 v64, vcc_lo, s3, v2, vcc_lo
	s_clause 0x7
	global_load_b32 v11, v[51:52], off
	global_load_b32 v12, v[53:54], off
	;; [unrolled: 1-line block ×6, first 2 shown]
	global_load_b32 v2, v18, s[2:3]
	global_load_b32 v17, v[63:64], off
	s_cbranch_scc1 .LBB79_14
; %bb.4:
	v_cmp_eq_u32_e64 s0, 0, v0
	s_delay_alu instid0(VALU_DEP_1)
	s_and_saveexec_b32 s1, s0
	s_cbranch_execz .LBB79_6
; %bb.5:
	v_mov_b32_e32 v19, 0
	ds_store_b32 v19, v19 offset:128
.LBB79_6:
	s_or_b32 exec_lo, exec_lo, s1
	v_cmp_eq_u32_e32 vcc_lo, 1, v0
	s_mov_b32 s2, exec_lo
	s_waitcnt vmcnt(0) lgkmcnt(0)
	s_barrier
	buffer_gl0_inv
	v_cndmask_b32_e32 v19, v2, v3, vcc_lo
	v_cmp_eq_u32_e32 vcc_lo, 2, v0
	s_delay_alu instid0(VALU_DEP_2) | instskip(SKIP_1) | instid1(VALU_DEP_2)
	v_cndmask_b32_e32 v19, v19, v4, vcc_lo
	v_cmp_eq_u32_e32 vcc_lo, 3, v0
	v_cndmask_b32_e32 v19, v19, v5, vcc_lo
	v_cmp_eq_u32_e32 vcc_lo, 4, v0
	s_delay_alu instid0(VALU_DEP_2) | instskip(SKIP_1) | instid1(VALU_DEP_2)
	v_cndmask_b32_e32 v19, v19, v6, vcc_lo
	v_cmp_eq_u32_e32 vcc_lo, 5, v0
	;; [unrolled: 5-line block ×7, first 2 shown]
	v_cndmask_b32_e32 v19, v19, v17, vcc_lo
	s_delay_alu instid0(VALU_DEP_1)
	v_cmpx_eq_f32_e32 0, v19
	s_cbranch_execz .LBB79_10
; %bb.7:
	v_mov_b32_e32 v20, 0
	ds_load_b32 v21, v20 offset:128
	s_waitcnt lgkmcnt(0)
	v_readfirstlane_b32 s1, v21
	v_add_nc_u32_e32 v21, 1, v0
	s_delay_alu instid0(VALU_DEP_2) | instskip(NEXT) | instid1(VALU_DEP_1)
	s_cmp_eq_u32 s1, 0
	v_cmp_gt_i32_e32 vcc_lo, s1, v21
	s_cselect_b32 s3, -1, 0
	s_delay_alu instid0(SALU_CYCLE_1) | instskip(NEXT) | instid1(SALU_CYCLE_1)
	s_or_b32 s3, s3, vcc_lo
	s_and_b32 exec_lo, exec_lo, s3
	s_cbranch_execz .LBB79_10
; %bb.8:
	v_mov_b32_e32 v22, s1
	s_mov_b32 s3, 0
.LBB79_9:                               ; =>This Inner Loop Header: Depth=1
	ds_cmpstore_rtn_b32 v22, v20, v21, v22 offset:128
	s_waitcnt lgkmcnt(0)
	v_cmp_ne_u32_e32 vcc_lo, 0, v22
	v_cmp_le_i32_e64 s1, v22, v21
	s_delay_alu instid0(VALU_DEP_1) | instskip(NEXT) | instid1(SALU_CYCLE_1)
	s_and_b32 s1, vcc_lo, s1
	s_and_b32 s1, exec_lo, s1
	s_delay_alu instid0(SALU_CYCLE_1) | instskip(NEXT) | instid1(SALU_CYCLE_1)
	s_or_b32 s3, s1, s3
	s_and_not1_b32 exec_lo, exec_lo, s3
	s_cbranch_execnz .LBB79_9
.LBB79_10:
	s_or_b32 exec_lo, exec_lo, s2
	v_mov_b32_e32 v20, 0
	s_barrier
	buffer_gl0_inv
	ds_load_b32 v21, v20 offset:128
	s_and_saveexec_b32 s1, s0
	s_cbranch_execz .LBB79_12
; %bb.11:
	s_lshl_b64 s[2:3], s[8:9], 2
	s_delay_alu instid0(SALU_CYCLE_1)
	s_add_u32 s2, s6, s2
	s_addc_u32 s3, s7, s3
	s_waitcnt lgkmcnt(0)
	global_store_b32 v20, v21, s[2:3]
.LBB79_12:
	s_or_b32 exec_lo, exec_lo, s1
	s_waitcnt lgkmcnt(0)
	v_cmp_ne_u32_e32 vcc_lo, 0, v21
	s_cbranch_vccz .LBB79_17
; %bb.13:
	s_mov_b32 s0, 0
                                        ; implicit-def: $vgpr2_vgpr3_vgpr4_vgpr5_vgpr6_vgpr7_vgpr8_vgpr9_vgpr10_vgpr11_vgpr12_vgpr13_vgpr14_vgpr15_vgpr16_vgpr17
.LBB79_14:
	s_delay_alu instid0(SALU_CYCLE_1)
	s_and_b32 vcc_lo, exec_lo, s0
	s_cbranch_vccz .LBB79_16
.LBB79_15:
	s_lshl_b64 s[0:1], s[8:9], 2
	v_mov_b32_e32 v1, 0
	s_add_u32 s0, s6, s0
	s_addc_u32 s1, s7, s1
	global_load_b32 v1, v1, s[0:1]
	s_waitcnt vmcnt(0)
	v_cmp_ne_u32_e32 vcc_lo, 0, v1
	s_cbranch_vccz .LBB79_86
.LBB79_16:
	s_nop 0
	s_sendmsg sendmsg(MSG_DEALLOC_VGPRS)
	s_endpgm
.LBB79_17:
	v_div_scale_f32 v20, null, v19, v19, 1.0
	v_div_scale_f32 v23, vcc_lo, 1.0, v19, 1.0
	s_delay_alu instid0(VALU_DEP_2) | instskip(SKIP_2) | instid1(VALU_DEP_1)
	v_rcp_f32_e32 v21, v20
	s_waitcnt_depctr 0xfff
	v_fma_f32 v22, -v20, v21, 1.0
	v_fmac_f32_e32 v21, v22, v21
	s_delay_alu instid0(VALU_DEP_1) | instskip(NEXT) | instid1(VALU_DEP_1)
	v_mul_f32_e32 v22, v23, v21
	v_fma_f32 v24, -v20, v22, v23
	s_delay_alu instid0(VALU_DEP_1) | instskip(NEXT) | instid1(VALU_DEP_1)
	v_fmac_f32_e32 v22, v24, v21
	v_fma_f32 v20, -v20, v22, v23
	s_delay_alu instid0(VALU_DEP_1) | instskip(SKIP_1) | instid1(VALU_DEP_2)
	v_div_fmas_f32 v20, v20, v21, v22
	v_cmp_eq_u32_e32 vcc_lo, 15, v0
	v_div_fixup_f32 v19, v20, v19, 1.0
	s_delay_alu instid0(VALU_DEP_1)
	v_dual_cndmask_b32 v17, v17, v19 :: v_dual_add_nc_u32 v20, 64, v18
	v_cmp_eq_u32_e32 vcc_lo, 14, v0
	v_xor_b32_e32 v21, 0x80000000, v19
	v_cndmask_b32_e32 v16, v16, v19, vcc_lo
	v_cmp_eq_u32_e32 vcc_lo, 13, v0
	v_cndmask_b32_e32 v15, v15, v19, vcc_lo
	v_cmp_eq_u32_e32 vcc_lo, 12, v0
	;; [unrolled: 2-line block ×13, first 2 shown]
	ds_store_2addr_b32 v18, v21, v3 offset1:16
	v_cndmask_b32_e32 v4, v4, v19, vcc_lo
	v_cmp_eq_u32_e32 vcc_lo, 0, v0
	s_waitcnt lgkmcnt(0)
	s_waitcnt_vscnt null, 0x0
	s_barrier
	buffer_gl0_inv
	v_cndmask_b32_e32 v2, v2, v19, vcc_lo
	s_and_saveexec_b32 s1, s0
	s_cbranch_execz .LBB79_19
; %bb.18:
	v_mov_b32_e32 v3, 0
	ds_load_b32 v18, v20
	ds_load_b32 v3, v3 offset:4
	s_waitcnt lgkmcnt(1)
	v_fma_f32 v18, v19, v18, 0
	s_waitcnt lgkmcnt(0)
	s_delay_alu instid0(VALU_DEP_1)
	v_mul_f32_e32 v3, v18, v3
.LBB79_19:
	s_or_b32 exec_lo, exec_lo, s1
	v_cmp_gt_u32_e32 vcc_lo, 2, v0
	s_barrier
	buffer_gl0_inv
	ds_store_b32 v20, v4
	s_waitcnt lgkmcnt(0)
	s_barrier
	buffer_gl0_inv
	s_and_saveexec_b32 s2, vcc_lo
	s_cbranch_execz .LBB79_21
; %bb.20:
	v_cmp_eq_u32_e64 s1, 1, v0
	ds_load_b32 v21, v20
	v_cndmask_b32_e64 v18, v2, v3, s1
	v_cmp_eq_u32_e64 s1, 2, v0
	s_delay_alu instid0(VALU_DEP_1) | instskip(SKIP_2) | instid1(VALU_DEP_2)
	v_cndmask_b32_e64 v4, v18, v4, s1
	v_cmp_eq_u32_e64 s1, 3, v0
	v_mov_b32_e32 v18, 0
	v_cndmask_b32_e64 v4, v4, v5, s1
	v_cmp_eq_u32_e64 s1, 4, v0
	ds_load_2addr_b32 v[18:19], v18 offset0:2 offset1:17
	v_cndmask_b32_e64 v4, v4, v6, s1
	v_cmp_eq_u32_e64 s1, 5, v0
	s_delay_alu instid0(VALU_DEP_1) | instskip(SKIP_1) | instid1(VALU_DEP_1)
	v_cndmask_b32_e64 v4, v4, v7, s1
	v_cmp_eq_u32_e64 s1, 6, v0
	v_cndmask_b32_e64 v4, v4, v8, s1
	v_cmp_eq_u32_e64 s1, 7, v0
	s_delay_alu instid0(VALU_DEP_1) | instskip(SKIP_1) | instid1(VALU_DEP_1)
	v_cndmask_b32_e64 v4, v4, v9, s1
	v_cmp_eq_u32_e64 s1, 8, v0
	;; [unrolled: 5-line block ×5, first 2 shown]
	v_cndmask_b32_e64 v4, v4, v16, s1
	v_cmp_eq_u32_e64 s1, 15, v0
	s_delay_alu instid0(VALU_DEP_1) | instskip(SKIP_1) | instid1(VALU_DEP_1)
	v_cndmask_b32_e64 v4, v4, v17, s1
	s_waitcnt lgkmcnt(1)
	v_fma_f32 v4, v4, v21, 0
	s_waitcnt lgkmcnt(0)
	s_delay_alu instid0(VALU_DEP_1) | instskip(NEXT) | instid1(VALU_DEP_1)
	v_fma_f32 v19, v3, v19, v4
	v_cndmask_b32_e64 v4, v4, v19, s0
	s_delay_alu instid0(VALU_DEP_1)
	v_mul_f32_e32 v4, v4, v18
.LBB79_21:
	s_or_b32 exec_lo, exec_lo, s2
	s_delay_alu instid0(SALU_CYCLE_1)
	s_mov_b32 s3, exec_lo
	s_barrier
	buffer_gl0_inv
	ds_store_b32 v20, v5
	s_waitcnt lgkmcnt(0)
	s_barrier
	buffer_gl0_inv
	v_cmpx_gt_u32_e32 3, v0
	s_cbranch_execz .LBB79_25
; %bb.22:
	v_mov_b32_e32 v19, v1
	v_lshl_add_u32 v22, v0, 2, 64
	v_dual_mov_b32 v21, 0 :: v_dual_mov_b32 v18, v0
	s_mov_b32 s4, 0
.LBB79_23:                              ; =>This Inner Loop Header: Depth=1
	s_delay_alu instid0(VALU_DEP_1) | instskip(SKIP_3) | instid1(VALU_DEP_1)
	v_cmp_eq_u32_e64 s1, 1, v18
	ds_load_b32 v24, v22
	v_cndmask_b32_e64 v23, v2, v3, s1
	v_cmp_eq_u32_e64 s1, 2, v18
	v_cndmask_b32_e64 v23, v23, v4, s1
	v_cmp_eq_u32_e64 s1, 3, v18
	s_delay_alu instid0(VALU_DEP_1) | instskip(SKIP_1) | instid1(VALU_DEP_1)
	v_cndmask_b32_e64 v23, v23, v5, s1
	v_cmp_eq_u32_e64 s1, 4, v18
	v_cndmask_b32_e64 v23, v23, v6, s1
	v_cmp_eq_u32_e64 s1, 5, v18
	s_delay_alu instid0(VALU_DEP_1) | instskip(SKIP_1) | instid1(VALU_DEP_1)
	;; [unrolled: 5-line block ×6, first 2 shown]
	v_cndmask_b32_e64 v23, v23, v15, s1
	v_cmp_eq_u32_e64 s1, 14, v18
	v_cndmask_b32_e64 v23, v23, v16, s1
	v_cmp_eq_u32_e64 s1, 15, v18
	v_add_co_u32 v18, s2, v18, 1
	s_delay_alu instid0(VALU_DEP_1) | instskip(NEXT) | instid1(VALU_DEP_3)
	v_add_co_ci_u32_e64 v19, s2, 0, v19, s2
	v_cndmask_b32_e64 v23, v23, v17, s1
	s_delay_alu instid0(VALU_DEP_3) | instskip(SKIP_1) | instid1(VALU_DEP_2)
	v_add_nc_u32_e32 v25, -1, v18
	s_waitcnt lgkmcnt(0)
	v_dual_fmac_f32 v21, v23, v24 :: v_dual_add_nc_u32 v22, 4, v22
	s_delay_alu instid0(VALU_DEP_2) | instskip(NEXT) | instid1(VALU_DEP_1)
	v_cmp_lt_u32_e64 s1, 1, v25
	s_or_b32 s4, s1, s4
	s_delay_alu instid0(SALU_CYCLE_1)
	s_and_not1_b32 exec_lo, exec_lo, s4
	s_cbranch_execnz .LBB79_23
; %bb.24:
	s_or_b32 exec_lo, exec_lo, s4
	v_mov_b32_e32 v5, 0
	ds_load_b32 v5, v5 offset:12
	s_waitcnt lgkmcnt(0)
	v_mul_f32_e32 v5, v21, v5
.LBB79_25:
	s_or_b32 exec_lo, exec_lo, s3
	v_cmp_gt_u32_e64 s1, 4, v0
	s_barrier
	buffer_gl0_inv
	ds_store_b32 v20, v6
	s_waitcnt lgkmcnt(0)
	s_barrier
	buffer_gl0_inv
	s_and_saveexec_b32 s4, s1
	s_cbranch_execz .LBB79_29
; %bb.26:
	v_mov_b32_e32 v19, v1
	v_lshl_add_u32 v22, v0, 2, 64
	v_dual_mov_b32 v21, 0 :: v_dual_mov_b32 v18, v0
	s_mov_b32 s5, 0
.LBB79_27:                              ; =>This Inner Loop Header: Depth=1
	s_delay_alu instid0(VALU_DEP_1) | instskip(SKIP_3) | instid1(VALU_DEP_1)
	v_cmp_eq_u32_e64 s2, 1, v18
	ds_load_b32 v24, v22
	v_cndmask_b32_e64 v23, v2, v3, s2
	v_cmp_eq_u32_e64 s2, 2, v18
	v_cndmask_b32_e64 v23, v23, v4, s2
	v_cmp_eq_u32_e64 s2, 3, v18
	s_delay_alu instid0(VALU_DEP_1) | instskip(SKIP_1) | instid1(VALU_DEP_1)
	v_cndmask_b32_e64 v23, v23, v5, s2
	v_cmp_eq_u32_e64 s2, 4, v18
	v_cndmask_b32_e64 v23, v23, v6, s2
	v_cmp_eq_u32_e64 s2, 5, v18
	s_delay_alu instid0(VALU_DEP_1) | instskip(SKIP_1) | instid1(VALU_DEP_1)
	;; [unrolled: 5-line block ×6, first 2 shown]
	v_cndmask_b32_e64 v23, v23, v15, s2
	v_cmp_eq_u32_e64 s2, 14, v18
	v_cndmask_b32_e64 v23, v23, v16, s2
	v_cmp_eq_u32_e64 s2, 15, v18
	v_add_co_u32 v18, s3, v18, 1
	s_delay_alu instid0(VALU_DEP_1) | instskip(NEXT) | instid1(VALU_DEP_3)
	v_add_co_ci_u32_e64 v19, s3, 0, v19, s3
	v_cndmask_b32_e64 v23, v23, v17, s2
	s_delay_alu instid0(VALU_DEP_3) | instskip(SKIP_1) | instid1(VALU_DEP_2)
	v_add_nc_u32_e32 v25, -1, v18
	s_waitcnt lgkmcnt(0)
	v_dual_fmac_f32 v21, v23, v24 :: v_dual_add_nc_u32 v22, 4, v22
	s_delay_alu instid0(VALU_DEP_2) | instskip(NEXT) | instid1(VALU_DEP_1)
	v_cmp_lt_u32_e64 s2, 2, v25
	s_or_b32 s5, s2, s5
	s_delay_alu instid0(SALU_CYCLE_1)
	s_and_not1_b32 exec_lo, exec_lo, s5
	s_cbranch_execnz .LBB79_27
; %bb.28:
	s_or_b32 exec_lo, exec_lo, s5
	v_mov_b32_e32 v6, 0
	ds_load_b32 v6, v6 offset:16
	s_waitcnt lgkmcnt(0)
	v_mul_f32_e32 v6, v21, v6
.LBB79_29:
	s_or_b32 exec_lo, exec_lo, s4
	s_delay_alu instid0(SALU_CYCLE_1)
	s_mov_b32 s4, exec_lo
	s_barrier
	buffer_gl0_inv
	ds_store_b32 v20, v7
	s_waitcnt lgkmcnt(0)
	s_barrier
	buffer_gl0_inv
	v_cmpx_gt_u32_e32 5, v0
	s_cbranch_execz .LBB79_33
; %bb.30:
	v_mov_b32_e32 v19, v1
	v_lshl_add_u32 v22, v0, 2, 64
	v_dual_mov_b32 v21, 0 :: v_dual_mov_b32 v18, v0
	s_mov_b32 s5, 0
.LBB79_31:                              ; =>This Inner Loop Header: Depth=1
	s_delay_alu instid0(VALU_DEP_1) | instskip(SKIP_3) | instid1(VALU_DEP_1)
	v_cmp_eq_u32_e64 s2, 1, v18
	ds_load_b32 v24, v22
	v_cndmask_b32_e64 v23, v2, v3, s2
	v_cmp_eq_u32_e64 s2, 2, v18
	v_cndmask_b32_e64 v23, v23, v4, s2
	v_cmp_eq_u32_e64 s2, 3, v18
	s_delay_alu instid0(VALU_DEP_1) | instskip(SKIP_1) | instid1(VALU_DEP_1)
	v_cndmask_b32_e64 v23, v23, v5, s2
	v_cmp_eq_u32_e64 s2, 4, v18
	v_cndmask_b32_e64 v23, v23, v6, s2
	v_cmp_eq_u32_e64 s2, 5, v18
	s_delay_alu instid0(VALU_DEP_1) | instskip(SKIP_1) | instid1(VALU_DEP_1)
	;; [unrolled: 5-line block ×6, first 2 shown]
	v_cndmask_b32_e64 v23, v23, v15, s2
	v_cmp_eq_u32_e64 s2, 14, v18
	v_cndmask_b32_e64 v23, v23, v16, s2
	v_cmp_eq_u32_e64 s2, 15, v18
	v_add_co_u32 v18, s3, v18, 1
	s_delay_alu instid0(VALU_DEP_1) | instskip(NEXT) | instid1(VALU_DEP_3)
	v_add_co_ci_u32_e64 v19, s3, 0, v19, s3
	v_cndmask_b32_e64 v23, v23, v17, s2
	s_delay_alu instid0(VALU_DEP_3) | instskip(SKIP_1) | instid1(VALU_DEP_2)
	v_add_nc_u32_e32 v25, -1, v18
	s_waitcnt lgkmcnt(0)
	v_dual_fmac_f32 v21, v23, v24 :: v_dual_add_nc_u32 v22, 4, v22
	s_delay_alu instid0(VALU_DEP_2) | instskip(NEXT) | instid1(VALU_DEP_1)
	v_cmp_lt_u32_e64 s2, 3, v25
	s_or_b32 s5, s2, s5
	s_delay_alu instid0(SALU_CYCLE_1)
	s_and_not1_b32 exec_lo, exec_lo, s5
	s_cbranch_execnz .LBB79_31
; %bb.32:
	s_or_b32 exec_lo, exec_lo, s5
	v_mov_b32_e32 v7, 0
	ds_load_b32 v7, v7 offset:20
	s_waitcnt lgkmcnt(0)
	v_mul_f32_e32 v7, v21, v7
.LBB79_33:
	s_or_b32 exec_lo, exec_lo, s4
	v_cmp_gt_u32_e64 s2, 6, v0
	s_barrier
	buffer_gl0_inv
	ds_store_b32 v20, v8
	s_waitcnt lgkmcnt(0)
	s_barrier
	buffer_gl0_inv
	s_and_saveexec_b32 s5, s2
	s_cbranch_execz .LBB79_37
; %bb.34:
	v_mov_b32_e32 v19, v1
	v_lshl_add_u32 v22, v0, 2, 64
	v_dual_mov_b32 v21, 0 :: v_dual_mov_b32 v18, v0
	s_mov_b32 s13, 0
.LBB79_35:                              ; =>This Inner Loop Header: Depth=1
	s_delay_alu instid0(VALU_DEP_1) | instskip(SKIP_3) | instid1(VALU_DEP_1)
	v_cmp_eq_u32_e64 s3, 1, v18
	ds_load_b32 v24, v22
	v_cndmask_b32_e64 v23, v2, v3, s3
	v_cmp_eq_u32_e64 s3, 2, v18
	v_cndmask_b32_e64 v23, v23, v4, s3
	v_cmp_eq_u32_e64 s3, 3, v18
	s_delay_alu instid0(VALU_DEP_1) | instskip(SKIP_1) | instid1(VALU_DEP_1)
	v_cndmask_b32_e64 v23, v23, v5, s3
	v_cmp_eq_u32_e64 s3, 4, v18
	v_cndmask_b32_e64 v23, v23, v6, s3
	v_cmp_eq_u32_e64 s3, 5, v18
	s_delay_alu instid0(VALU_DEP_1) | instskip(SKIP_1) | instid1(VALU_DEP_1)
	;; [unrolled: 5-line block ×6, first 2 shown]
	v_cndmask_b32_e64 v23, v23, v15, s3
	v_cmp_eq_u32_e64 s3, 14, v18
	v_cndmask_b32_e64 v23, v23, v16, s3
	v_cmp_eq_u32_e64 s3, 15, v18
	v_add_co_u32 v18, s4, v18, 1
	s_delay_alu instid0(VALU_DEP_1) | instskip(NEXT) | instid1(VALU_DEP_3)
	v_add_co_ci_u32_e64 v19, s4, 0, v19, s4
	v_cndmask_b32_e64 v23, v23, v17, s3
	s_delay_alu instid0(VALU_DEP_3) | instskip(SKIP_1) | instid1(VALU_DEP_2)
	v_add_nc_u32_e32 v25, -1, v18
	s_waitcnt lgkmcnt(0)
	v_dual_fmac_f32 v21, v23, v24 :: v_dual_add_nc_u32 v22, 4, v22
	s_delay_alu instid0(VALU_DEP_2) | instskip(NEXT) | instid1(VALU_DEP_1)
	v_cmp_lt_u32_e64 s3, 4, v25
	s_or_b32 s13, s3, s13
	s_delay_alu instid0(SALU_CYCLE_1)
	s_and_not1_b32 exec_lo, exec_lo, s13
	s_cbranch_execnz .LBB79_35
; %bb.36:
	s_or_b32 exec_lo, exec_lo, s13
	v_mov_b32_e32 v8, 0
	ds_load_b32 v8, v8 offset:24
	s_waitcnt lgkmcnt(0)
	v_mul_f32_e32 v8, v21, v8
.LBB79_37:
	s_or_b32 exec_lo, exec_lo, s5
	s_delay_alu instid0(SALU_CYCLE_1)
	s_mov_b32 s5, exec_lo
	s_barrier
	buffer_gl0_inv
	ds_store_b32 v20, v9
	s_waitcnt lgkmcnt(0)
	s_barrier
	buffer_gl0_inv
	v_cmpx_gt_u32_e32 7, v0
	s_cbranch_execz .LBB79_41
; %bb.38:
	v_mov_b32_e32 v19, v1
	v_lshl_add_u32 v22, v0, 2, 64
	v_dual_mov_b32 v21, 0 :: v_dual_mov_b32 v18, v0
	s_mov_b32 s13, 0
.LBB79_39:                              ; =>This Inner Loop Header: Depth=1
	s_delay_alu instid0(VALU_DEP_1) | instskip(SKIP_3) | instid1(VALU_DEP_1)
	v_cmp_eq_u32_e64 s3, 1, v18
	ds_load_b32 v24, v22
	v_cndmask_b32_e64 v23, v2, v3, s3
	v_cmp_eq_u32_e64 s3, 2, v18
	v_cndmask_b32_e64 v23, v23, v4, s3
	v_cmp_eq_u32_e64 s3, 3, v18
	s_delay_alu instid0(VALU_DEP_1) | instskip(SKIP_1) | instid1(VALU_DEP_1)
	v_cndmask_b32_e64 v23, v23, v5, s3
	v_cmp_eq_u32_e64 s3, 4, v18
	v_cndmask_b32_e64 v23, v23, v6, s3
	v_cmp_eq_u32_e64 s3, 5, v18
	s_delay_alu instid0(VALU_DEP_1) | instskip(SKIP_1) | instid1(VALU_DEP_1)
	;; [unrolled: 5-line block ×6, first 2 shown]
	v_cndmask_b32_e64 v23, v23, v15, s3
	v_cmp_eq_u32_e64 s3, 14, v18
	v_cndmask_b32_e64 v23, v23, v16, s3
	v_cmp_eq_u32_e64 s3, 15, v18
	v_add_co_u32 v18, s4, v18, 1
	s_delay_alu instid0(VALU_DEP_1) | instskip(NEXT) | instid1(VALU_DEP_3)
	v_add_co_ci_u32_e64 v19, s4, 0, v19, s4
	v_cndmask_b32_e64 v23, v23, v17, s3
	s_delay_alu instid0(VALU_DEP_3) | instskip(SKIP_1) | instid1(VALU_DEP_2)
	v_add_nc_u32_e32 v25, -1, v18
	s_waitcnt lgkmcnt(0)
	v_dual_fmac_f32 v21, v23, v24 :: v_dual_add_nc_u32 v22, 4, v22
	s_delay_alu instid0(VALU_DEP_2) | instskip(NEXT) | instid1(VALU_DEP_1)
	v_cmp_lt_u32_e64 s3, 5, v25
	s_or_b32 s13, s3, s13
	s_delay_alu instid0(SALU_CYCLE_1)
	s_and_not1_b32 exec_lo, exec_lo, s13
	s_cbranch_execnz .LBB79_39
; %bb.40:
	s_or_b32 exec_lo, exec_lo, s13
	v_mov_b32_e32 v9, 0
	ds_load_b32 v9, v9 offset:28
	s_waitcnt lgkmcnt(0)
	v_mul_f32_e32 v9, v21, v9
.LBB79_41:
	s_or_b32 exec_lo, exec_lo, s5
	s_delay_alu instid0(SALU_CYCLE_1)
	s_mov_b32 s4, exec_lo
	s_barrier
	buffer_gl0_inv
	ds_store_b32 v20, v10
	s_waitcnt lgkmcnt(0)
	s_barrier
	buffer_gl0_inv
	v_cmpx_gt_u32_e32 8, v0
	s_cbranch_execz .LBB79_57
; %bb.42:
	v_cmp_eq_u32_e64 s3, 1, v0
	ds_load_b32 v19, v20
	s_mov_b32 s5, exec_lo
	v_cndmask_b32_e64 v18, v2, v3, s3
	v_cmp_eq_u32_e64 s3, 2, v0
	s_delay_alu instid0(VALU_DEP_1) | instskip(SKIP_1) | instid1(VALU_DEP_1)
	v_cndmask_b32_e64 v18, v18, v4, s3
	v_cmp_eq_u32_e64 s3, 3, v0
	v_cndmask_b32_e64 v18, v18, v5, s3
	v_cmp_eq_u32_e64 s3, 4, v0
	s_delay_alu instid0(VALU_DEP_1) | instskip(SKIP_1) | instid1(VALU_DEP_1)
	v_cndmask_b32_e64 v18, v18, v6, s3
	v_cmp_eq_u32_e64 s3, 5, v0
	;; [unrolled: 5-line block ×7, first 2 shown]
	v_cndmask_b32_e64 v21, v18, v17, s3
	v_mov_b32_e32 v18, 0
	s_waitcnt lgkmcnt(0)
	s_delay_alu instid0(VALU_DEP_2)
	v_fma_f32 v19, v21, v19, 0
	v_cmpx_ne_u32_e32 7, v0
	s_cbranch_execz .LBB79_56
; %bb.43:
	v_add_nc_u32_e32 v21, 1, v0
	ds_load_b32 v23, v20 offset:4
	v_cmp_eq_u32_e64 s3, 1, v21
	s_delay_alu instid0(VALU_DEP_1) | instskip(SKIP_1) | instid1(VALU_DEP_1)
	v_cndmask_b32_e64 v22, v2, v3, s3
	v_cmp_eq_u32_e64 s3, 2, v21
	v_cndmask_b32_e64 v22, v22, v4, s3
	v_cmp_eq_u32_e64 s3, 3, v21
	s_delay_alu instid0(VALU_DEP_1) | instskip(SKIP_1) | instid1(VALU_DEP_1)
	v_cndmask_b32_e64 v22, v22, v5, s3
	v_cmp_eq_u32_e64 s3, 4, v21
	v_cndmask_b32_e64 v22, v22, v6, s3
	;; [unrolled: 5-line block ×7, first 2 shown]
	v_cmp_eq_u32_e64 s3, 15, v21
	s_delay_alu instid0(VALU_DEP_1) | instskip(SKIP_1) | instid1(VALU_DEP_1)
	v_cndmask_b32_e64 v21, v22, v17, s3
	s_waitcnt lgkmcnt(0)
	v_fmac_f32_e32 v19, v21, v23
	s_and_saveexec_b32 s3, s2
	s_cbranch_execz .LBB79_55
; %bb.44:
	v_add_nc_u32_e32 v21, 2, v0
	ds_load_b32 v23, v20 offset:8
	s_mov_b32 s13, exec_lo
	v_cmp_eq_u32_e64 s2, 1, v21
	s_delay_alu instid0(VALU_DEP_1) | instskip(SKIP_1) | instid1(VALU_DEP_1)
	v_cndmask_b32_e64 v22, v2, v3, s2
	v_cmp_eq_u32_e64 s2, 2, v21
	v_cndmask_b32_e64 v22, v22, v4, s2
	v_cmp_eq_u32_e64 s2, 3, v21
	s_delay_alu instid0(VALU_DEP_1) | instskip(SKIP_1) | instid1(VALU_DEP_1)
	v_cndmask_b32_e64 v22, v22, v5, s2
	v_cmp_eq_u32_e64 s2, 4, v21
	v_cndmask_b32_e64 v22, v22, v6, s2
	;; [unrolled: 5-line block ×7, first 2 shown]
	v_cmp_eq_u32_e64 s2, 15, v21
	s_delay_alu instid0(VALU_DEP_1) | instskip(SKIP_1) | instid1(VALU_DEP_1)
	v_cndmask_b32_e64 v21, v22, v17, s2
	s_waitcnt lgkmcnt(0)
	v_fmac_f32_e32 v19, v21, v23
	v_cmpx_ne_u32_e32 5, v0
	s_cbranch_execz .LBB79_54
; %bb.45:
	v_add_nc_u32_e32 v21, 3, v0
	ds_load_b32 v23, v20 offset:12
	v_cmp_eq_u32_e64 s2, 1, v21
	s_delay_alu instid0(VALU_DEP_1) | instskip(SKIP_1) | instid1(VALU_DEP_1)
	v_cndmask_b32_e64 v22, v2, v3, s2
	v_cmp_eq_u32_e64 s2, 2, v21
	v_cndmask_b32_e64 v22, v22, v4, s2
	v_cmp_eq_u32_e64 s2, 3, v21
	s_delay_alu instid0(VALU_DEP_1) | instskip(SKIP_1) | instid1(VALU_DEP_1)
	v_cndmask_b32_e64 v22, v22, v5, s2
	v_cmp_eq_u32_e64 s2, 4, v21
	v_cndmask_b32_e64 v22, v22, v6, s2
	;; [unrolled: 5-line block ×7, first 2 shown]
	v_cmp_eq_u32_e64 s2, 15, v21
	s_delay_alu instid0(VALU_DEP_1) | instskip(SKIP_1) | instid1(VALU_DEP_1)
	v_cndmask_b32_e64 v21, v22, v17, s2
	s_waitcnt lgkmcnt(0)
	v_fmac_f32_e32 v19, v21, v23
	s_and_saveexec_b32 s2, s1
	s_cbranch_execz .LBB79_53
; %bb.46:
	v_or_b32_e32 v21, 4, v0
	ds_load_b32 v23, v20 offset:16
	s_mov_b32 s14, exec_lo
	v_cmp_eq_u32_e64 s1, 1, v21
	s_delay_alu instid0(VALU_DEP_1) | instskip(SKIP_1) | instid1(VALU_DEP_1)
	v_cndmask_b32_e64 v22, v2, v3, s1
	v_cmp_eq_u32_e64 s1, 2, v21
	v_cndmask_b32_e64 v22, v22, v4, s1
	v_cmp_eq_u32_e64 s1, 3, v21
	s_delay_alu instid0(VALU_DEP_1) | instskip(SKIP_1) | instid1(VALU_DEP_1)
	v_cndmask_b32_e64 v22, v22, v5, s1
	v_cmp_eq_u32_e64 s1, 4, v21
	v_cndmask_b32_e64 v22, v22, v6, s1
	v_cmp_eq_u32_e64 s1, 5, v21
	s_delay_alu instid0(VALU_DEP_1) | instskip(SKIP_1) | instid1(VALU_DEP_1)
	v_cndmask_b32_e64 v22, v22, v7, s1
	v_cmp_eq_u32_e64 s1, 6, v21
	v_cndmask_b32_e64 v22, v22, v8, s1
	v_cmp_eq_u32_e64 s1, 7, v21
	s_delay_alu instid0(VALU_DEP_1) | instskip(SKIP_1) | instid1(VALU_DEP_1)
	v_cndmask_b32_e64 v22, v22, v9, s1
	v_cmp_eq_u32_e64 s1, 8, v21
	v_cndmask_b32_e64 v22, v22, v10, s1
	v_cmp_eq_u32_e64 s1, 9, v21
	s_delay_alu instid0(VALU_DEP_1) | instskip(SKIP_1) | instid1(VALU_DEP_1)
	v_cndmask_b32_e64 v22, v22, v11, s1
	v_cmp_eq_u32_e64 s1, 10, v21
	v_cndmask_b32_e64 v22, v22, v12, s1
	v_cmp_eq_u32_e64 s1, 11, v21
	s_delay_alu instid0(VALU_DEP_1) | instskip(SKIP_1) | instid1(VALU_DEP_1)
	v_cndmask_b32_e64 v22, v22, v13, s1
	v_cmp_eq_u32_e64 s1, 12, v21
	v_cndmask_b32_e64 v22, v22, v14, s1
	v_cmp_eq_u32_e64 s1, 13, v21
	s_delay_alu instid0(VALU_DEP_1) | instskip(SKIP_1) | instid1(VALU_DEP_1)
	v_cndmask_b32_e64 v22, v22, v15, s1
	v_cmp_eq_u32_e64 s1, 14, v21
	v_cndmask_b32_e64 v22, v22, v16, s1
	v_cmp_eq_u32_e64 s1, 15, v21
	s_delay_alu instid0(VALU_DEP_1) | instskip(SKIP_1) | instid1(VALU_DEP_1)
	v_cndmask_b32_e64 v21, v22, v17, s1
	s_waitcnt lgkmcnt(0)
	v_fmac_f32_e32 v19, v21, v23
	v_cmpx_ne_u32_e32 3, v0
	s_cbranch_execz .LBB79_52
; %bb.47:
	v_add_nc_u32_e32 v21, 5, v0
	ds_load_b32 v23, v20 offset:20
	v_cmp_eq_u32_e64 s1, 1, v21
	s_delay_alu instid0(VALU_DEP_1) | instskip(SKIP_1) | instid1(VALU_DEP_1)
	v_cndmask_b32_e64 v22, v2, v3, s1
	v_cmp_eq_u32_e64 s1, 2, v21
	v_cndmask_b32_e64 v22, v22, v4, s1
	v_cmp_eq_u32_e64 s1, 3, v21
	s_delay_alu instid0(VALU_DEP_1) | instskip(SKIP_1) | instid1(VALU_DEP_1)
	v_cndmask_b32_e64 v22, v22, v5, s1
	v_cmp_eq_u32_e64 s1, 4, v21
	v_cndmask_b32_e64 v22, v22, v6, s1
	;; [unrolled: 5-line block ×7, first 2 shown]
	v_cmp_eq_u32_e64 s1, 15, v21
	s_delay_alu instid0(VALU_DEP_1) | instskip(SKIP_1) | instid1(VALU_DEP_1)
	v_cndmask_b32_e64 v21, v22, v17, s1
	s_waitcnt lgkmcnt(0)
	v_fmac_f32_e32 v19, v21, v23
	s_and_saveexec_b32 s1, vcc_lo
	s_cbranch_execz .LBB79_51
; %bb.48:
	v_or_b32_e32 v21, 6, v0
	s_delay_alu instid0(VALU_DEP_1) | instskip(SKIP_2) | instid1(VALU_DEP_2)
	v_cmp_eq_u32_e32 vcc_lo, 1, v21
	v_cndmask_b32_e32 v22, v2, v3, vcc_lo
	v_cmp_eq_u32_e32 vcc_lo, 2, v21
	v_cndmask_b32_e32 v22, v22, v4, vcc_lo
	v_cmp_eq_u32_e32 vcc_lo, 3, v21
	s_delay_alu instid0(VALU_DEP_2) | instskip(SKIP_1) | instid1(VALU_DEP_2)
	v_cndmask_b32_e32 v22, v22, v5, vcc_lo
	v_cmp_eq_u32_e32 vcc_lo, 4, v21
	v_cndmask_b32_e32 v22, v22, v6, vcc_lo
	v_cmp_eq_u32_e32 vcc_lo, 5, v21
	s_delay_alu instid0(VALU_DEP_2) | instskip(SKIP_1) | instid1(VALU_DEP_2)
	;; [unrolled: 5-line block ×3, first 2 shown]
	v_cndmask_b32_e32 v22, v22, v9, vcc_lo
	v_cmp_eq_u32_e32 vcc_lo, 8, v21
	v_cndmask_b32_e32 v10, v22, v10, vcc_lo
	v_cmp_eq_u32_e32 vcc_lo, 9, v21
	ds_load_b32 v22, v20 offset:24
	v_cndmask_b32_e32 v10, v10, v11, vcc_lo
	v_cmp_eq_u32_e32 vcc_lo, 10, v21
	s_delay_alu instid0(VALU_DEP_2) | instskip(SKIP_1) | instid1(VALU_DEP_2)
	v_cndmask_b32_e32 v10, v10, v12, vcc_lo
	v_cmp_eq_u32_e32 vcc_lo, 11, v21
	v_cndmask_b32_e32 v10, v10, v13, vcc_lo
	v_cmp_eq_u32_e32 vcc_lo, 12, v21
	s_delay_alu instid0(VALU_DEP_2) | instskip(SKIP_1) | instid1(VALU_DEP_2)
	v_cndmask_b32_e32 v10, v10, v14, vcc_lo
	v_cmp_eq_u32_e32 vcc_lo, 13, v21
	;; [unrolled: 5-line block ×3, first 2 shown]
	v_cndmask_b32_e32 v10, v10, v17, vcc_lo
	s_waitcnt lgkmcnt(0)
	s_delay_alu instid0(VALU_DEP_1)
	v_fmac_f32_e32 v19, v10, v22
	s_and_saveexec_b32 s15, s0
	s_cbranch_execz .LBB79_50
; %bb.49:
	ds_load_b32 v10, v20 offset:28
	s_waitcnt lgkmcnt(0)
	v_fmac_f32_e32 v19, v9, v10
.LBB79_50:
	s_or_b32 exec_lo, exec_lo, s15
.LBB79_51:
	s_delay_alu instid0(SALU_CYCLE_1)
	s_or_b32 exec_lo, exec_lo, s1
.LBB79_52:
	s_delay_alu instid0(SALU_CYCLE_1)
	s_or_b32 exec_lo, exec_lo, s14
.LBB79_53:
	s_delay_alu instid0(SALU_CYCLE_1)
	s_or_b32 exec_lo, exec_lo, s2
.LBB79_54:
	s_delay_alu instid0(SALU_CYCLE_1)
	s_or_b32 exec_lo, exec_lo, s13
.LBB79_55:
	s_delay_alu instid0(SALU_CYCLE_1)
	s_or_b32 exec_lo, exec_lo, s3
.LBB79_56:
	s_delay_alu instid0(SALU_CYCLE_1)
	s_or_b32 exec_lo, exec_lo, s5
	ds_load_b32 v10, v18 offset:32
	s_waitcnt lgkmcnt(0)
	v_mul_f32_e32 v10, v19, v10
.LBB79_57:
	s_or_b32 exec_lo, exec_lo, s4
	s_delay_alu instid0(SALU_CYCLE_1)
	s_mov_b32 s1, exec_lo
	s_barrier
	buffer_gl0_inv
	ds_store_b32 v20, v11
	s_waitcnt lgkmcnt(0)
	s_barrier
	buffer_gl0_inv
	v_cmpx_gt_u32_e32 9, v0
	s_cbranch_execz .LBB79_61
; %bb.58:
	v_mov_b32_e32 v19, v1
	v_lshl_add_u32 v22, v0, 2, 64
	v_dual_mov_b32 v21, 0 :: v_dual_mov_b32 v18, v0
	s_mov_b32 s2, 0
	s_set_inst_prefetch_distance 0x1
	.p2align	6
.LBB79_59:                              ; =>This Inner Loop Header: Depth=1
	s_delay_alu instid0(VALU_DEP_1) | instskip(SKIP_3) | instid1(VALU_DEP_2)
	v_cmp_eq_u32_e32 vcc_lo, 1, v18
	ds_load_b32 v24, v22
	v_dual_cndmask_b32 v23, v2, v3 :: v_dual_add_nc_u32 v22, 4, v22
	v_cmp_eq_u32_e32 vcc_lo, 2, v18
	v_cndmask_b32_e32 v23, v23, v4, vcc_lo
	v_cmp_eq_u32_e32 vcc_lo, 3, v18
	s_delay_alu instid0(VALU_DEP_2) | instskip(SKIP_1) | instid1(VALU_DEP_2)
	v_cndmask_b32_e32 v23, v23, v5, vcc_lo
	v_cmp_eq_u32_e32 vcc_lo, 4, v18
	v_cndmask_b32_e32 v23, v23, v6, vcc_lo
	v_cmp_eq_u32_e32 vcc_lo, 5, v18
	s_delay_alu instid0(VALU_DEP_2) | instskip(SKIP_1) | instid1(VALU_DEP_2)
	v_cndmask_b32_e32 v23, v23, v7, vcc_lo
	;; [unrolled: 5-line block ×6, first 2 shown]
	v_cmp_eq_u32_e32 vcc_lo, 14, v18
	v_cndmask_b32_e32 v23, v23, v16, vcc_lo
	v_cmp_eq_u32_e32 vcc_lo, 15, v18
	v_add_co_u32 v18, s0, v18, 1
	s_delay_alu instid0(VALU_DEP_1) | instskip(NEXT) | instid1(VALU_DEP_4)
	v_add_co_ci_u32_e64 v19, s0, 0, v19, s0
	v_cndmask_b32_e32 v23, v23, v17, vcc_lo
	s_delay_alu instid0(VALU_DEP_3) | instskip(SKIP_1) | instid1(VALU_DEP_2)
	v_add_nc_u32_e32 v25, -1, v18
	s_waitcnt lgkmcnt(0)
	v_fmac_f32_e32 v21, v23, v24
	s_delay_alu instid0(VALU_DEP_2) | instskip(SKIP_1) | instid1(SALU_CYCLE_1)
	v_cmp_lt_u32_e32 vcc_lo, 7, v25
	s_or_b32 s2, vcc_lo, s2
	s_and_not1_b32 exec_lo, exec_lo, s2
	s_cbranch_execnz .LBB79_59
; %bb.60:
	s_set_inst_prefetch_distance 0x2
	s_or_b32 exec_lo, exec_lo, s2
	v_mov_b32_e32 v11, 0
	ds_load_b32 v11, v11 offset:36
	s_waitcnt lgkmcnt(0)
	v_mul_f32_e32 v11, v21, v11
.LBB79_61:
	s_or_b32 exec_lo, exec_lo, s1
	s_delay_alu instid0(SALU_CYCLE_1)
	s_mov_b32 s1, exec_lo
	s_barrier
	buffer_gl0_inv
	ds_store_b32 v20, v12
	s_waitcnt lgkmcnt(0)
	s_barrier
	buffer_gl0_inv
	v_cmpx_gt_u32_e32 10, v0
	s_cbranch_execz .LBB79_65
; %bb.62:
	v_mov_b32_e32 v19, v1
	v_lshl_add_u32 v22, v0, 2, 64
	v_dual_mov_b32 v21, 0 :: v_dual_mov_b32 v18, v0
	s_mov_b32 s2, 0
	s_set_inst_prefetch_distance 0x1
	.p2align	6
.LBB79_63:                              ; =>This Inner Loop Header: Depth=1
	s_delay_alu instid0(VALU_DEP_1) | instskip(SKIP_3) | instid1(VALU_DEP_2)
	v_cmp_eq_u32_e32 vcc_lo, 1, v18
	ds_load_b32 v24, v22
	v_dual_cndmask_b32 v23, v2, v3 :: v_dual_add_nc_u32 v22, 4, v22
	v_cmp_eq_u32_e32 vcc_lo, 2, v18
	v_cndmask_b32_e32 v23, v23, v4, vcc_lo
	v_cmp_eq_u32_e32 vcc_lo, 3, v18
	s_delay_alu instid0(VALU_DEP_2) | instskip(SKIP_1) | instid1(VALU_DEP_2)
	v_cndmask_b32_e32 v23, v23, v5, vcc_lo
	v_cmp_eq_u32_e32 vcc_lo, 4, v18
	v_cndmask_b32_e32 v23, v23, v6, vcc_lo
	v_cmp_eq_u32_e32 vcc_lo, 5, v18
	s_delay_alu instid0(VALU_DEP_2) | instskip(SKIP_1) | instid1(VALU_DEP_2)
	v_cndmask_b32_e32 v23, v23, v7, vcc_lo
	;; [unrolled: 5-line block ×6, first 2 shown]
	v_cmp_eq_u32_e32 vcc_lo, 14, v18
	v_cndmask_b32_e32 v23, v23, v16, vcc_lo
	v_cmp_eq_u32_e32 vcc_lo, 15, v18
	v_add_co_u32 v18, s0, v18, 1
	s_delay_alu instid0(VALU_DEP_1) | instskip(NEXT) | instid1(VALU_DEP_4)
	v_add_co_ci_u32_e64 v19, s0, 0, v19, s0
	v_cndmask_b32_e32 v23, v23, v17, vcc_lo
	s_delay_alu instid0(VALU_DEP_3) | instskip(SKIP_1) | instid1(VALU_DEP_2)
	v_add_nc_u32_e32 v25, -1, v18
	s_waitcnt lgkmcnt(0)
	v_fmac_f32_e32 v21, v23, v24
	s_delay_alu instid0(VALU_DEP_2) | instskip(SKIP_1) | instid1(SALU_CYCLE_1)
	v_cmp_lt_u32_e32 vcc_lo, 8, v25
	s_or_b32 s2, vcc_lo, s2
	s_and_not1_b32 exec_lo, exec_lo, s2
	s_cbranch_execnz .LBB79_63
; %bb.64:
	s_set_inst_prefetch_distance 0x2
	s_or_b32 exec_lo, exec_lo, s2
	v_mov_b32_e32 v12, 0
	ds_load_b32 v12, v12 offset:40
	s_waitcnt lgkmcnt(0)
	v_mul_f32_e32 v12, v21, v12
.LBB79_65:
	s_or_b32 exec_lo, exec_lo, s1
	s_delay_alu instid0(SALU_CYCLE_1)
	s_mov_b32 s1, exec_lo
	s_barrier
	buffer_gl0_inv
	ds_store_b32 v20, v13
	s_waitcnt lgkmcnt(0)
	s_barrier
	buffer_gl0_inv
	v_cmpx_gt_u32_e32 11, v0
	s_cbranch_execz .LBB79_69
; %bb.66:
	v_mov_b32_e32 v19, v1
	v_lshl_add_u32 v22, v0, 2, 64
	v_dual_mov_b32 v21, 0 :: v_dual_mov_b32 v18, v0
	s_mov_b32 s2, 0
	s_set_inst_prefetch_distance 0x1
	.p2align	6
.LBB79_67:                              ; =>This Inner Loop Header: Depth=1
	s_delay_alu instid0(VALU_DEP_1) | instskip(SKIP_3) | instid1(VALU_DEP_2)
	v_cmp_eq_u32_e32 vcc_lo, 1, v18
	ds_load_b32 v24, v22
	v_dual_cndmask_b32 v23, v2, v3 :: v_dual_add_nc_u32 v22, 4, v22
	v_cmp_eq_u32_e32 vcc_lo, 2, v18
	v_cndmask_b32_e32 v23, v23, v4, vcc_lo
	v_cmp_eq_u32_e32 vcc_lo, 3, v18
	s_delay_alu instid0(VALU_DEP_2) | instskip(SKIP_1) | instid1(VALU_DEP_2)
	v_cndmask_b32_e32 v23, v23, v5, vcc_lo
	v_cmp_eq_u32_e32 vcc_lo, 4, v18
	v_cndmask_b32_e32 v23, v23, v6, vcc_lo
	v_cmp_eq_u32_e32 vcc_lo, 5, v18
	s_delay_alu instid0(VALU_DEP_2) | instskip(SKIP_1) | instid1(VALU_DEP_2)
	v_cndmask_b32_e32 v23, v23, v7, vcc_lo
	;; [unrolled: 5-line block ×6, first 2 shown]
	v_cmp_eq_u32_e32 vcc_lo, 14, v18
	v_cndmask_b32_e32 v23, v23, v16, vcc_lo
	v_cmp_eq_u32_e32 vcc_lo, 15, v18
	v_add_co_u32 v18, s0, v18, 1
	s_delay_alu instid0(VALU_DEP_1) | instskip(NEXT) | instid1(VALU_DEP_4)
	v_add_co_ci_u32_e64 v19, s0, 0, v19, s0
	v_cndmask_b32_e32 v23, v23, v17, vcc_lo
	s_delay_alu instid0(VALU_DEP_3) | instskip(SKIP_1) | instid1(VALU_DEP_2)
	v_add_nc_u32_e32 v25, -1, v18
	s_waitcnt lgkmcnt(0)
	v_fmac_f32_e32 v21, v23, v24
	s_delay_alu instid0(VALU_DEP_2) | instskip(SKIP_1) | instid1(SALU_CYCLE_1)
	v_cmp_lt_u32_e32 vcc_lo, 9, v25
	s_or_b32 s2, vcc_lo, s2
	s_and_not1_b32 exec_lo, exec_lo, s2
	s_cbranch_execnz .LBB79_67
; %bb.68:
	s_set_inst_prefetch_distance 0x2
	s_or_b32 exec_lo, exec_lo, s2
	v_mov_b32_e32 v13, 0
	ds_load_b32 v13, v13 offset:44
	s_waitcnt lgkmcnt(0)
	v_mul_f32_e32 v13, v21, v13
.LBB79_69:
	s_or_b32 exec_lo, exec_lo, s1
	s_delay_alu instid0(SALU_CYCLE_1)
	s_mov_b32 s1, exec_lo
	s_barrier
	buffer_gl0_inv
	ds_store_b32 v20, v14
	s_waitcnt lgkmcnt(0)
	s_barrier
	buffer_gl0_inv
	v_cmpx_gt_u32_e32 12, v0
	s_cbranch_execz .LBB79_73
; %bb.70:
	v_mov_b32_e32 v19, v1
	v_lshl_add_u32 v22, v0, 2, 64
	v_dual_mov_b32 v21, 0 :: v_dual_mov_b32 v18, v0
	s_mov_b32 s2, 0
	s_set_inst_prefetch_distance 0x1
	.p2align	6
.LBB79_71:                              ; =>This Inner Loop Header: Depth=1
	s_delay_alu instid0(VALU_DEP_1) | instskip(SKIP_3) | instid1(VALU_DEP_2)
	v_cmp_eq_u32_e32 vcc_lo, 1, v18
	ds_load_b32 v24, v22
	v_dual_cndmask_b32 v23, v2, v3 :: v_dual_add_nc_u32 v22, 4, v22
	v_cmp_eq_u32_e32 vcc_lo, 2, v18
	v_cndmask_b32_e32 v23, v23, v4, vcc_lo
	v_cmp_eq_u32_e32 vcc_lo, 3, v18
	s_delay_alu instid0(VALU_DEP_2) | instskip(SKIP_1) | instid1(VALU_DEP_2)
	v_cndmask_b32_e32 v23, v23, v5, vcc_lo
	v_cmp_eq_u32_e32 vcc_lo, 4, v18
	v_cndmask_b32_e32 v23, v23, v6, vcc_lo
	v_cmp_eq_u32_e32 vcc_lo, 5, v18
	s_delay_alu instid0(VALU_DEP_2) | instskip(SKIP_1) | instid1(VALU_DEP_2)
	v_cndmask_b32_e32 v23, v23, v7, vcc_lo
	;; [unrolled: 5-line block ×6, first 2 shown]
	v_cmp_eq_u32_e32 vcc_lo, 14, v18
	v_cndmask_b32_e32 v23, v23, v16, vcc_lo
	v_cmp_eq_u32_e32 vcc_lo, 15, v18
	v_add_co_u32 v18, s0, v18, 1
	s_delay_alu instid0(VALU_DEP_1) | instskip(NEXT) | instid1(VALU_DEP_4)
	v_add_co_ci_u32_e64 v19, s0, 0, v19, s0
	v_cndmask_b32_e32 v23, v23, v17, vcc_lo
	s_delay_alu instid0(VALU_DEP_3) | instskip(SKIP_1) | instid1(VALU_DEP_2)
	v_add_nc_u32_e32 v25, -1, v18
	s_waitcnt lgkmcnt(0)
	v_fmac_f32_e32 v21, v23, v24
	s_delay_alu instid0(VALU_DEP_2) | instskip(SKIP_1) | instid1(SALU_CYCLE_1)
	v_cmp_lt_u32_e32 vcc_lo, 10, v25
	s_or_b32 s2, vcc_lo, s2
	s_and_not1_b32 exec_lo, exec_lo, s2
	s_cbranch_execnz .LBB79_71
; %bb.72:
	s_set_inst_prefetch_distance 0x2
	s_or_b32 exec_lo, exec_lo, s2
	v_mov_b32_e32 v14, 0
	ds_load_b32 v14, v14 offset:48
	s_waitcnt lgkmcnt(0)
	v_mul_f32_e32 v14, v21, v14
.LBB79_73:
	s_or_b32 exec_lo, exec_lo, s1
	s_delay_alu instid0(SALU_CYCLE_1)
	s_mov_b32 s1, exec_lo
	s_barrier
	buffer_gl0_inv
	ds_store_b32 v20, v15
	s_waitcnt lgkmcnt(0)
	s_barrier
	buffer_gl0_inv
	v_cmpx_gt_u32_e32 13, v0
	s_cbranch_execz .LBB79_77
; %bb.74:
	v_mov_b32_e32 v19, v1
	v_lshl_add_u32 v22, v0, 2, 64
	v_dual_mov_b32 v21, 0 :: v_dual_mov_b32 v18, v0
	s_mov_b32 s2, 0
	s_set_inst_prefetch_distance 0x1
	.p2align	6
.LBB79_75:                              ; =>This Inner Loop Header: Depth=1
	s_delay_alu instid0(VALU_DEP_1) | instskip(SKIP_3) | instid1(VALU_DEP_2)
	v_cmp_eq_u32_e32 vcc_lo, 1, v18
	ds_load_b32 v24, v22
	v_dual_cndmask_b32 v23, v2, v3 :: v_dual_add_nc_u32 v22, 4, v22
	v_cmp_eq_u32_e32 vcc_lo, 2, v18
	v_cndmask_b32_e32 v23, v23, v4, vcc_lo
	v_cmp_eq_u32_e32 vcc_lo, 3, v18
	s_delay_alu instid0(VALU_DEP_2) | instskip(SKIP_1) | instid1(VALU_DEP_2)
	v_cndmask_b32_e32 v23, v23, v5, vcc_lo
	v_cmp_eq_u32_e32 vcc_lo, 4, v18
	v_cndmask_b32_e32 v23, v23, v6, vcc_lo
	v_cmp_eq_u32_e32 vcc_lo, 5, v18
	s_delay_alu instid0(VALU_DEP_2) | instskip(SKIP_1) | instid1(VALU_DEP_2)
	v_cndmask_b32_e32 v23, v23, v7, vcc_lo
	;; [unrolled: 5-line block ×6, first 2 shown]
	v_cmp_eq_u32_e32 vcc_lo, 14, v18
	v_cndmask_b32_e32 v23, v23, v16, vcc_lo
	v_cmp_eq_u32_e32 vcc_lo, 15, v18
	v_add_co_u32 v18, s0, v18, 1
	s_delay_alu instid0(VALU_DEP_1) | instskip(NEXT) | instid1(VALU_DEP_4)
	v_add_co_ci_u32_e64 v19, s0, 0, v19, s0
	v_cndmask_b32_e32 v23, v23, v17, vcc_lo
	s_delay_alu instid0(VALU_DEP_3) | instskip(SKIP_1) | instid1(VALU_DEP_2)
	v_add_nc_u32_e32 v25, -1, v18
	s_waitcnt lgkmcnt(0)
	v_fmac_f32_e32 v21, v23, v24
	s_delay_alu instid0(VALU_DEP_2) | instskip(SKIP_1) | instid1(SALU_CYCLE_1)
	v_cmp_lt_u32_e32 vcc_lo, 11, v25
	s_or_b32 s2, vcc_lo, s2
	s_and_not1_b32 exec_lo, exec_lo, s2
	s_cbranch_execnz .LBB79_75
; %bb.76:
	s_set_inst_prefetch_distance 0x2
	s_or_b32 exec_lo, exec_lo, s2
	v_mov_b32_e32 v15, 0
	ds_load_b32 v15, v15 offset:52
	s_waitcnt lgkmcnt(0)
	v_mul_f32_e32 v15, v21, v15
.LBB79_77:
	s_or_b32 exec_lo, exec_lo, s1
	s_delay_alu instid0(SALU_CYCLE_1)
	s_mov_b32 s1, exec_lo
	s_barrier
	buffer_gl0_inv
	ds_store_b32 v20, v16
	s_waitcnt lgkmcnt(0)
	s_barrier
	buffer_gl0_inv
	v_cmpx_gt_u32_e32 14, v0
	s_cbranch_execz .LBB79_81
; %bb.78:
	v_mov_b32_e32 v19, v1
	v_lshl_add_u32 v22, v0, 2, 64
	v_dual_mov_b32 v21, 0 :: v_dual_mov_b32 v18, v0
	s_mov_b32 s2, 0
	s_set_inst_prefetch_distance 0x1
	.p2align	6
.LBB79_79:                              ; =>This Inner Loop Header: Depth=1
	s_delay_alu instid0(VALU_DEP_1) | instskip(SKIP_3) | instid1(VALU_DEP_2)
	v_cmp_eq_u32_e32 vcc_lo, 1, v18
	ds_load_b32 v24, v22
	v_dual_cndmask_b32 v23, v2, v3 :: v_dual_add_nc_u32 v22, 4, v22
	v_cmp_eq_u32_e32 vcc_lo, 2, v18
	v_cndmask_b32_e32 v23, v23, v4, vcc_lo
	v_cmp_eq_u32_e32 vcc_lo, 3, v18
	s_delay_alu instid0(VALU_DEP_2) | instskip(SKIP_1) | instid1(VALU_DEP_2)
	v_cndmask_b32_e32 v23, v23, v5, vcc_lo
	v_cmp_eq_u32_e32 vcc_lo, 4, v18
	v_cndmask_b32_e32 v23, v23, v6, vcc_lo
	v_cmp_eq_u32_e32 vcc_lo, 5, v18
	s_delay_alu instid0(VALU_DEP_2) | instskip(SKIP_1) | instid1(VALU_DEP_2)
	v_cndmask_b32_e32 v23, v23, v7, vcc_lo
	;; [unrolled: 5-line block ×6, first 2 shown]
	v_cmp_eq_u32_e32 vcc_lo, 14, v18
	v_cndmask_b32_e32 v23, v23, v16, vcc_lo
	v_cmp_eq_u32_e32 vcc_lo, 15, v18
	v_add_co_u32 v18, s0, v18, 1
	s_delay_alu instid0(VALU_DEP_1) | instskip(NEXT) | instid1(VALU_DEP_4)
	v_add_co_ci_u32_e64 v19, s0, 0, v19, s0
	v_cndmask_b32_e32 v23, v23, v17, vcc_lo
	s_delay_alu instid0(VALU_DEP_3) | instskip(SKIP_1) | instid1(VALU_DEP_2)
	v_add_nc_u32_e32 v25, -1, v18
	s_waitcnt lgkmcnt(0)
	v_fmac_f32_e32 v21, v23, v24
	s_delay_alu instid0(VALU_DEP_2) | instskip(SKIP_1) | instid1(SALU_CYCLE_1)
	v_cmp_lt_u32_e32 vcc_lo, 12, v25
	s_or_b32 s2, vcc_lo, s2
	s_and_not1_b32 exec_lo, exec_lo, s2
	s_cbranch_execnz .LBB79_79
; %bb.80:
	s_set_inst_prefetch_distance 0x2
	s_or_b32 exec_lo, exec_lo, s2
	v_mov_b32_e32 v16, 0
	ds_load_b32 v16, v16 offset:56
	s_waitcnt lgkmcnt(0)
	v_mul_f32_e32 v16, v21, v16
.LBB79_81:
	s_or_b32 exec_lo, exec_lo, s1
	s_delay_alu instid0(SALU_CYCLE_1)
	s_mov_b32 s1, exec_lo
	s_barrier
	buffer_gl0_inv
	ds_store_b32 v20, v17
	s_waitcnt lgkmcnt(0)
	s_barrier
	buffer_gl0_inv
	v_cmpx_ne_u32_e32 15, v0
	s_cbranch_execz .LBB79_85
; %bb.82:
	v_dual_mov_b32 v20, 0 :: v_dual_mov_b32 v19, v1
	v_lshl_add_u32 v21, v0, 2, 64
	v_mov_b32_e32 v18, v0
	s_mov_b32 s2, 0
	s_set_inst_prefetch_distance 0x1
	.p2align	6
.LBB79_83:                              ; =>This Inner Loop Header: Depth=1
	s_delay_alu instid0(VALU_DEP_1) | instskip(SKIP_3) | instid1(VALU_DEP_2)
	v_cmp_eq_u32_e32 vcc_lo, 1, v18
	ds_load_b32 v22, v21
	v_cndmask_b32_e32 v1, v2, v3, vcc_lo
	v_cmp_eq_u32_e32 vcc_lo, 2, v18
	v_cndmask_b32_e32 v1, v1, v4, vcc_lo
	v_cmp_eq_u32_e32 vcc_lo, 3, v18
	s_delay_alu instid0(VALU_DEP_2) | instskip(SKIP_1) | instid1(VALU_DEP_2)
	v_cndmask_b32_e32 v1, v1, v5, vcc_lo
	v_cmp_eq_u32_e32 vcc_lo, 4, v18
	v_cndmask_b32_e32 v1, v1, v6, vcc_lo
	v_cmp_eq_u32_e32 vcc_lo, 5, v18
	s_delay_alu instid0(VALU_DEP_2) | instskip(SKIP_1) | instid1(VALU_DEP_2)
	;; [unrolled: 5-line block ×6, first 2 shown]
	v_cndmask_b32_e32 v1, v1, v15, vcc_lo
	v_cmp_eq_u32_e32 vcc_lo, 14, v18
	v_cndmask_b32_e32 v1, v1, v16, vcc_lo
	v_cmp_eq_u32_e32 vcc_lo, 15, v18
	v_add_co_u32 v18, s0, v18, 1
	s_delay_alu instid0(VALU_DEP_1) | instskip(NEXT) | instid1(VALU_DEP_4)
	v_add_co_ci_u32_e64 v19, s0, 0, v19, s0
	v_cndmask_b32_e32 v1, v1, v17, vcc_lo
	s_delay_alu instid0(VALU_DEP_3) | instskip(SKIP_1) | instid1(VALU_DEP_2)
	v_add_nc_u32_e32 v23, -1, v18
	s_waitcnt lgkmcnt(0)
	v_dual_fmac_f32 v20, v1, v22 :: v_dual_add_nc_u32 v21, 4, v21
	s_delay_alu instid0(VALU_DEP_2) | instskip(SKIP_1) | instid1(SALU_CYCLE_1)
	v_cmp_lt_u32_e32 vcc_lo, 13, v23
	s_or_b32 s2, vcc_lo, s2
	s_and_not1_b32 exec_lo, exec_lo, s2
	s_cbranch_execnz .LBB79_83
; %bb.84:
	s_set_inst_prefetch_distance 0x2
	s_or_b32 exec_lo, exec_lo, s2
	v_mov_b32_e32 v1, 0
	ds_load_b32 v1, v1 offset:60
	s_waitcnt lgkmcnt(0)
	v_mul_f32_e32 v17, v20, v1
.LBB79_85:
	s_or_b32 exec_lo, exec_lo, s1
	s_barrier
	buffer_gl0_inv
	s_cbranch_execnz .LBB79_15
	s_branch .LBB79_16
.LBB79_86:
	v_lshl_add_u32 v1, v0, 2, 64
	s_mov_b32 s0, exec_lo
	v_cmpx_eq_u32_e32 15, v0
	s_cbranch_execz .LBB79_88
; %bb.87:
	s_mov_b32 s1, 0
	ds_store_b32 v1, v16
	v_mov_b32_e32 v16, s1
.LBB79_88:
	s_or_b32 exec_lo, exec_lo, s0
	v_mov_b32_e32 v32, 0
	s_waitcnt lgkmcnt(0)
	s_waitcnt_vscnt null, 0x0
	s_barrier
	buffer_gl0_inv
	s_mov_b32 s0, exec_lo
	ds_load_b32 v18, v32 offset:124
	s_waitcnt lgkmcnt(0)
	v_fma_f32 v18, v17, v18, 0
	s_delay_alu instid0(VALU_DEP_1)
	v_sub_f32_e32 v16, v16, v18
	v_cmpx_lt_u32_e32 13, v0
	s_cbranch_execz .LBB79_90
; %bb.89:
	s_mov_b32 s1, 0
	v_mov_b32_e32 v31, v17
	v_dual_mov_b32 v30, v16 :: v_dual_mov_b32 v29, v15
	v_dual_mov_b32 v28, v14 :: v_dual_mov_b32 v27, v13
	;; [unrolled: 1-line block ×8, first 2 shown]
	ds_store_b32 v1, v15
	v_mov_b32_e32 v2, v16
	v_dual_mov_b32 v3, v17 :: v_dual_mov_b32 v4, v18
	v_dual_mov_b32 v5, v19 :: v_dual_mov_b32 v6, v20
	;; [unrolled: 1-line block ×7, first 2 shown]
	v_mov_b32_e32 v17, v31
.LBB79_90:
	s_or_b32 exec_lo, exec_lo, s0
	s_waitcnt lgkmcnt(0)
	s_barrier
	buffer_gl0_inv
	ds_load_b64 v[18:19], v32 offset:120
	s_mov_b32 s0, exec_lo
	s_waitcnt lgkmcnt(0)
	v_fma_f32 v18, v16, v18, 0
	s_delay_alu instid0(VALU_DEP_1) | instskip(NEXT) | instid1(VALU_DEP_1)
	v_fmac_f32_e32 v18, v17, v19
	v_sub_f32_e32 v15, v15, v18
	v_cmpx_lt_u32_e32 12, v0
	s_cbranch_execz .LBB79_92
; %bb.91:
	s_mov_b32 s1, 0
	v_mov_b32_e32 v30, v17
	v_mov_b32_e32 v27, v14
	v_dual_mov_b32 v27, s1 :: v_dual_mov_b32 v26, v13
	v_dual_mov_b32 v29, v16 :: v_dual_mov_b32 v28, v15
	;; [unrolled: 1-line block ×6, first 2 shown]
	v_mov_b32_e32 v17, v4
	v_mov_b32_e32 v16, v3
	;; [unrolled: 1-line block ×3, first 2 shown]
	ds_store_b32 v1, v14
	v_mov_b32_e32 v2, v15
	v_dual_mov_b32 v3, v16 :: v_dual_mov_b32 v4, v17
	v_dual_mov_b32 v5, v18 :: v_dual_mov_b32 v6, v19
	;; [unrolled: 1-line block ×6, first 2 shown]
	v_mov_b32_e32 v15, v28
	v_mov_b32_e32 v16, v29
	;; [unrolled: 1-line block ×3, first 2 shown]
.LBB79_92:
	s_or_b32 exec_lo, exec_lo, s0
	v_mov_b32_e32 v30, 0
	s_waitcnt lgkmcnt(0)
	s_barrier
	buffer_gl0_inv
	s_mov_b32 s0, exec_lo
	ds_load_2addr_b32 v[18:19], v30 offset0:29 offset1:30
	ds_load_b32 v20, v30 offset:124
	s_waitcnt lgkmcnt(1)
	v_fma_f32 v18, v15, v18, 0
	s_delay_alu instid0(VALU_DEP_1) | instskip(SKIP_1) | instid1(VALU_DEP_1)
	v_fmac_f32_e32 v18, v16, v19
	s_waitcnt lgkmcnt(0)
	v_fmac_f32_e32 v18, v17, v20
	s_delay_alu instid0(VALU_DEP_1)
	v_sub_f32_e32 v14, v14, v18
	v_cmpx_lt_u32_e32 11, v0
	s_cbranch_execz .LBB79_94
; %bb.93:
	s_mov_b32 s1, 0
	v_mov_b32_e32 v29, v17
	v_dual_mov_b32 v26, v14 :: v_dual_mov_b32 v25, v13
	v_dual_mov_b32 v28, v16 :: v_dual_mov_b32 v27, v15
	;; [unrolled: 1-line block ×7, first 2 shown]
	v_mov_b32_e32 v15, v3
	v_mov_b32_e32 v14, v2
	ds_store_b32 v1, v13
	v_mov_b32_e32 v2, v14
	v_dual_mov_b32 v3, v15 :: v_dual_mov_b32 v4, v16
	v_dual_mov_b32 v5, v17 :: v_dual_mov_b32 v6, v18
	;; [unrolled: 1-line block ×6, first 2 shown]
	v_mov_b32_e32 v15, v27
	v_mov_b32_e32 v16, v28
	v_mov_b32_e32 v17, v29
.LBB79_94:
	s_or_b32 exec_lo, exec_lo, s0
	s_waitcnt lgkmcnt(0)
	s_barrier
	buffer_gl0_inv
	ds_load_b128 v[18:21], v30 offset:112
	s_mov_b32 s0, exec_lo
	s_waitcnt lgkmcnt(0)
	v_fma_f32 v18, v14, v18, 0
	s_delay_alu instid0(VALU_DEP_1) | instskip(NEXT) | instid1(VALU_DEP_1)
	v_fmac_f32_e32 v18, v15, v19
	v_fmac_f32_e32 v18, v16, v20
	s_delay_alu instid0(VALU_DEP_1) | instskip(NEXT) | instid1(VALU_DEP_1)
	v_fmac_f32_e32 v18, v17, v21
	v_sub_f32_e32 v13, v13, v18
	v_cmpx_lt_u32_e32 10, v0
	s_cbranch_execz .LBB79_96
; %bb.95:
	s_mov_b32 s1, 0
	v_mov_b32_e32 v28, v17
	v_mov_b32_e32 v23, v12
	v_dual_mov_b32 v23, s1 :: v_dual_mov_b32 v22, v11
	v_dual_mov_b32 v27, v16 :: v_dual_mov_b32 v26, v15
	;; [unrolled: 1-line block ×5, first 2 shown]
	v_mov_b32_e32 v17, v6
	v_mov_b32_e32 v16, v5
	;; [unrolled: 1-line block ×5, first 2 shown]
	ds_store_b32 v1, v12
	v_mov_b32_e32 v2, v13
	v_dual_mov_b32 v3, v14 :: v_dual_mov_b32 v4, v15
	v_dual_mov_b32 v5, v16 :: v_dual_mov_b32 v6, v17
	;; [unrolled: 1-line block ×5, first 2 shown]
	v_mov_b32_e32 v13, v24
	v_mov_b32_e32 v14, v25
	v_mov_b32_e32 v15, v26
	v_mov_b32_e32 v16, v27
	v_mov_b32_e32 v17, v28
.LBB79_96:
	s_or_b32 exec_lo, exec_lo, s0
	v_mov_b32_e32 v28, 0
	s_waitcnt lgkmcnt(0)
	s_barrier
	buffer_gl0_inv
	s_mov_b32 s0, exec_lo
	ds_load_2addr_b32 v[18:19], v28 offset0:27 offset1:28
	ds_load_2addr_b32 v[20:21], v28 offset0:29 offset1:30
	ds_load_b32 v22, v28 offset:124
	s_waitcnt lgkmcnt(2)
	v_fma_f32 v18, v13, v18, 0
	s_delay_alu instid0(VALU_DEP_1) | instskip(SKIP_1) | instid1(VALU_DEP_1)
	v_fmac_f32_e32 v18, v14, v19
	s_waitcnt lgkmcnt(1)
	v_fmac_f32_e32 v18, v15, v20
	s_delay_alu instid0(VALU_DEP_1) | instskip(SKIP_1) | instid1(VALU_DEP_1)
	v_fmac_f32_e32 v18, v16, v21
	s_waitcnt lgkmcnt(0)
	v_fmac_f32_e32 v18, v17, v22
	s_delay_alu instid0(VALU_DEP_1)
	v_sub_f32_e32 v12, v12, v18
	v_cmpx_lt_u32_e32 9, v0
	s_cbranch_execz .LBB79_98
; %bb.97:
	s_mov_b32 s1, 0
	v_mov_b32_e32 v27, v17
	v_dual_mov_b32 v22, v12 :: v_dual_mov_b32 v21, v11
	v_dual_mov_b32 v26, v16 :: v_dual_mov_b32 v25, v15
	;; [unrolled: 1-line block ×6, first 2 shown]
	v_mov_b32_e32 v15, v5
	v_mov_b32_e32 v14, v4
	;; [unrolled: 1-line block ×4, first 2 shown]
	ds_store_b32 v1, v11
	v_mov_b32_e32 v2, v12
	v_dual_mov_b32 v3, v13 :: v_dual_mov_b32 v4, v14
	v_dual_mov_b32 v5, v15 :: v_dual_mov_b32 v6, v16
	v_dual_mov_b32 v7, v17 :: v_dual_mov_b32 v8, v18
	v_dual_mov_b32 v9, v19 :: v_dual_mov_b32 v10, v20
	v_dual_mov_b32 v11, v21 :: v_dual_mov_b32 v12, v22
	v_mov_b32_e32 v13, v23
	v_mov_b32_e32 v14, v24
	;; [unrolled: 1-line block ×5, first 2 shown]
.LBB79_98:
	s_or_b32 exec_lo, exec_lo, s0
	s_waitcnt lgkmcnt(0)
	s_barrier
	buffer_gl0_inv
	ds_load_2addr_b64 v[18:21], v28 offset0:13 offset1:14
	ds_load_b64 v[22:23], v28 offset:120
	s_mov_b32 s0, exec_lo
	s_waitcnt lgkmcnt(1)
	v_fma_f32 v18, v12, v18, 0
	s_delay_alu instid0(VALU_DEP_1) | instskip(NEXT) | instid1(VALU_DEP_1)
	v_fmac_f32_e32 v18, v13, v19
	v_fmac_f32_e32 v18, v14, v20
	s_delay_alu instid0(VALU_DEP_1) | instskip(SKIP_1) | instid1(VALU_DEP_1)
	v_fmac_f32_e32 v18, v15, v21
	s_waitcnt lgkmcnt(0)
	v_fmac_f32_e32 v18, v16, v22
	s_delay_alu instid0(VALU_DEP_1) | instskip(NEXT) | instid1(VALU_DEP_1)
	v_fmac_f32_e32 v18, v17, v23
	v_sub_f32_e32 v11, v11, v18
	v_cmpx_lt_u32_e32 8, v0
	s_cbranch_execz .LBB79_100
; %bb.99:
	s_mov_b32 s1, 0
	v_mov_b32_e32 v26, v17
	v_mov_b32_e32 v19, v10
	v_dual_mov_b32 v19, s1 :: v_dual_mov_b32 v18, v9
	v_dual_mov_b32 v25, v16 :: v_dual_mov_b32 v24, v15
	;; [unrolled: 1-line block ×4, first 2 shown]
	v_mov_b32_e32 v17, v8
	v_mov_b32_e32 v16, v7
	;; [unrolled: 1-line block ×7, first 2 shown]
	ds_store_b32 v1, v10
	v_mov_b32_e32 v2, v11
	v_dual_mov_b32 v3, v12 :: v_dual_mov_b32 v4, v13
	v_dual_mov_b32 v5, v14 :: v_dual_mov_b32 v6, v15
	;; [unrolled: 1-line block ×4, first 2 shown]
	v_mov_b32_e32 v11, v20
	v_mov_b32_e32 v12, v21
	;; [unrolled: 1-line block ×7, first 2 shown]
.LBB79_100:
	s_or_b32 exec_lo, exec_lo, s0
	v_mov_b32_e32 v26, 0
	s_waitcnt lgkmcnt(0)
	s_barrier
	buffer_gl0_inv
	s_mov_b32 s0, exec_lo
	ds_load_2addr_b32 v[18:19], v26 offset0:25 offset1:26
	ds_load_2addr_b32 v[20:21], v26 offset0:27 offset1:28
	;; [unrolled: 1-line block ×3, first 2 shown]
	ds_load_b32 v24, v26 offset:124
	s_waitcnt lgkmcnt(3)
	v_fma_f32 v18, v11, v18, 0
	s_delay_alu instid0(VALU_DEP_1) | instskip(SKIP_1) | instid1(VALU_DEP_1)
	v_fmac_f32_e32 v18, v12, v19
	s_waitcnt lgkmcnt(2)
	v_fmac_f32_e32 v18, v13, v20
	s_delay_alu instid0(VALU_DEP_1) | instskip(SKIP_1) | instid1(VALU_DEP_1)
	v_fmac_f32_e32 v18, v14, v21
	s_waitcnt lgkmcnt(1)
	v_fmac_f32_e32 v18, v15, v22
	;; [unrolled: 4-line block ×3, first 2 shown]
	s_delay_alu instid0(VALU_DEP_1)
	v_sub_f32_e32 v10, v10, v18
	v_cmpx_lt_u32_e32 7, v0
	s_cbranch_execz .LBB79_102
; %bb.101:
	v_mov_b32_e32 v25, v17
	s_mov_b32 s1, 0
	v_dual_mov_b32 v24, v16 :: v_dual_mov_b32 v23, v15
	v_dual_mov_b32 v22, v14 :: v_dual_mov_b32 v21, v13
	;; [unrolled: 1-line block ×4, first 2 shown]
	v_mov_b32_e32 v16, v8
	v_mov_b32_e32 v15, v7
	;; [unrolled: 1-line block ×6, first 2 shown]
	v_dual_mov_b32 v10, v2 :: v_dual_mov_b32 v17, s1
	ds_store_b32 v1, v9
	v_mov_b32_e32 v2, v10
	v_dual_mov_b32 v3, v11 :: v_dual_mov_b32 v4, v12
	v_dual_mov_b32 v5, v13 :: v_dual_mov_b32 v6, v14
	;; [unrolled: 1-line block ×4, first 2 shown]
	v_mov_b32_e32 v11, v19
	v_mov_b32_e32 v12, v20
	;; [unrolled: 1-line block ×7, first 2 shown]
.LBB79_102:
	s_or_b32 exec_lo, exec_lo, s0
	s_waitcnt lgkmcnt(0)
	s_barrier
	buffer_gl0_inv
	ds_load_b128 v[18:21], v26 offset:96
	ds_load_b128 v[22:25], v26 offset:112
	s_mov_b32 s0, exec_lo
	s_waitcnt lgkmcnt(1)
	v_fma_f32 v18, v10, v18, 0
	s_delay_alu instid0(VALU_DEP_1) | instskip(NEXT) | instid1(VALU_DEP_1)
	v_fmac_f32_e32 v18, v11, v19
	v_fmac_f32_e32 v18, v12, v20
	s_delay_alu instid0(VALU_DEP_1) | instskip(SKIP_1) | instid1(VALU_DEP_1)
	v_fmac_f32_e32 v18, v13, v21
	s_waitcnt lgkmcnt(0)
	v_fmac_f32_e32 v18, v14, v22
	s_delay_alu instid0(VALU_DEP_1) | instskip(NEXT) | instid1(VALU_DEP_1)
	v_fmac_f32_e32 v18, v15, v23
	v_fmac_f32_e32 v18, v16, v24
	s_delay_alu instid0(VALU_DEP_1) | instskip(NEXT) | instid1(VALU_DEP_1)
	v_fmac_f32_e32 v18, v17, v25
	v_sub_f32_e32 v9, v9, v18
	v_cmpx_lt_u32_e32 6, v0
	s_cbranch_execz .LBB79_104
; %bb.103:
	s_mov_b32 s1, 0
	v_mov_b32_e32 v24, v17
	v_dual_mov_b32 v23, v16 :: v_dual_mov_b32 v22, v15
	v_dual_mov_b32 v21, v14 :: v_dual_mov_b32 v20, v13
	;; [unrolled: 1-line block ×3, first 2 shown]
	v_mov_b32_e32 v17, v10
	v_mov_b32_e32 v16, v9
	v_mov_b32_e32 v15, v8
	v_mov_b32_e32 v14, v7
	v_mov_b32_e32 v13, v6
	v_mov_b32_e32 v12, v5
	v_mov_b32_e32 v11, v4
	v_mov_b32_e32 v10, v3
	v_mov_b32_e32 v9, v2
	v_mov_b32_e32 v15, s1
	ds_store_b32 v1, v8
	v_mov_b32_e32 v2, v9
	v_dual_mov_b32 v3, v10 :: v_dual_mov_b32 v4, v11
	v_dual_mov_b32 v5, v12 :: v_dual_mov_b32 v6, v13
	;; [unrolled: 1-line block ×3, first 2 shown]
	v_mov_b32_e32 v9, v16
	v_mov_b32_e32 v10, v17
	;; [unrolled: 1-line block ×9, first 2 shown]
.LBB79_104:
	s_or_b32 exec_lo, exec_lo, s0
	v_mov_b32_e32 v24, 0
	s_waitcnt lgkmcnt(0)
	s_barrier
	buffer_gl0_inv
	s_mov_b32 s0, exec_lo
	ds_load_2addr_b32 v[18:19], v24 offset0:23 offset1:24
	ds_load_2addr_b32 v[20:21], v24 offset0:25 offset1:26
	;; [unrolled: 1-line block ×4, first 2 shown]
	s_waitcnt lgkmcnt(3)
	v_fma_f32 v18, v9, v18, 0
	s_delay_alu instid0(VALU_DEP_1) | instskip(SKIP_3) | instid1(VALU_DEP_1)
	v_fmac_f32_e32 v18, v10, v19
	ds_load_b32 v19, v24 offset:124
	s_waitcnt lgkmcnt(3)
	v_fmac_f32_e32 v18, v11, v20
	v_fmac_f32_e32 v18, v12, v21
	s_waitcnt lgkmcnt(2)
	s_delay_alu instid0(VALU_DEP_1) | instskip(NEXT) | instid1(VALU_DEP_1)
	v_fmac_f32_e32 v18, v13, v22
	v_fmac_f32_e32 v18, v14, v23
	s_waitcnt lgkmcnt(1)
	s_delay_alu instid0(VALU_DEP_1) | instskip(NEXT) | instid1(VALU_DEP_1)
	;; [unrolled: 4-line block ×3, first 2 shown]
	v_fmac_f32_e32 v18, v17, v19
	v_sub_f32_e32 v8, v8, v18
	v_cmpx_lt_u32_e32 5, v0
	s_cbranch_execz .LBB79_106
; %bb.105:
	v_mov_b32_e32 v23, v17
	s_mov_b32 s1, 0
	v_dual_mov_b32 v22, v16 :: v_dual_mov_b32 v21, v15
	v_dual_mov_b32 v20, v14 :: v_dual_mov_b32 v19, v13
	;; [unrolled: 1-line block ×3, first 2 shown]
	v_mov_b32_e32 v16, v10
	v_mov_b32_e32 v15, v9
	;; [unrolled: 1-line block ×8, first 2 shown]
	v_dual_mov_b32 v8, v2 :: v_dual_mov_b32 v13, s1
	ds_store_b32 v1, v7
	v_mov_b32_e32 v2, v8
	v_dual_mov_b32 v3, v9 :: v_dual_mov_b32 v4, v10
	v_dual_mov_b32 v5, v11 :: v_dual_mov_b32 v6, v12
	;; [unrolled: 1-line block ×3, first 2 shown]
	v_mov_b32_e32 v9, v15
	v_mov_b32_e32 v10, v16
	;; [unrolled: 1-line block ×9, first 2 shown]
.LBB79_106:
	s_or_b32 exec_lo, exec_lo, s0
	s_waitcnt lgkmcnt(0)
	s_barrier
	buffer_gl0_inv
	ds_load_2addr_b64 v[18:21], v24 offset0:11 offset1:12
	ds_load_2addr_b64 v[25:28], v24 offset0:13 offset1:14
	s_mov_b32 s0, exec_lo
	s_waitcnt lgkmcnt(1)
	v_fma_f32 v22, v8, v18, 0
	s_delay_alu instid0(VALU_DEP_1) | instskip(SKIP_2) | instid1(VALU_DEP_1)
	v_fmac_f32_e32 v22, v9, v19
	ds_load_b64 v[18:19], v24 offset:120
	v_fmac_f32_e32 v22, v10, v20
	v_fmac_f32_e32 v22, v11, v21
	s_waitcnt lgkmcnt(1)
	s_delay_alu instid0(VALU_DEP_1) | instskip(NEXT) | instid1(VALU_DEP_1)
	v_fmac_f32_e32 v22, v12, v25
	v_fmac_f32_e32 v22, v13, v26
	s_delay_alu instid0(VALU_DEP_1) | instskip(NEXT) | instid1(VALU_DEP_1)
	v_fmac_f32_e32 v22, v14, v27
	v_fmac_f32_e32 v22, v15, v28
	s_waitcnt lgkmcnt(0)
	s_delay_alu instid0(VALU_DEP_1) | instskip(NEXT) | instid1(VALU_DEP_1)
	v_fmac_f32_e32 v22, v16, v18
	v_fmac_f32_e32 v22, v17, v19
	s_delay_alu instid0(VALU_DEP_1)
	v_sub_f32_e32 v7, v7, v22
	v_cmpx_lt_u32_e32 4, v0
	s_cbranch_execz .LBB79_108
; %bb.107:
	s_mov_b32 s1, 0
	v_mov_b32_e32 v22, v17
	v_dual_mov_b32 v21, v16 :: v_dual_mov_b32 v20, v15
	v_dual_mov_b32 v19, v14 :: v_dual_mov_b32 v18, v13
	v_mov_b32_e32 v17, v12
	v_mov_b32_e32 v16, v11
	;; [unrolled: 1-line block ×12, first 2 shown]
	ds_store_b32 v1, v6
	v_mov_b32_e32 v2, v7
	v_dual_mov_b32 v3, v8 :: v_dual_mov_b32 v4, v9
	v_dual_mov_b32 v5, v10 :: v_dual_mov_b32 v6, v11
	v_mov_b32_e32 v7, v12
	v_mov_b32_e32 v8, v13
	;; [unrolled: 1-line block ×11, first 2 shown]
.LBB79_108:
	s_or_b32 exec_lo, exec_lo, s0
	v_mov_b32_e32 v22, 0
	s_waitcnt lgkmcnt(0)
	s_barrier
	buffer_gl0_inv
	s_mov_b32 s0, exec_lo
	ds_load_2addr_b32 v[18:19], v22 offset0:21 offset1:22
	ds_load_2addr_b32 v[20:21], v22 offset0:23 offset1:24
	;; [unrolled: 1-line block ×4, first 2 shown]
	s_waitcnt lgkmcnt(3)
	v_fma_f32 v27, v7, v18, 0
	s_delay_alu instid0(VALU_DEP_1)
	v_fmac_f32_e32 v27, v8, v19
	ds_load_2addr_b32 v[18:19], v22 offset0:29 offset1:30
	s_waitcnt lgkmcnt(3)
	v_fmac_f32_e32 v27, v9, v20
	ds_load_b32 v20, v22 offset:124
	v_fmac_f32_e32 v27, v10, v21
	s_waitcnt lgkmcnt(3)
	s_delay_alu instid0(VALU_DEP_1) | instskip(NEXT) | instid1(VALU_DEP_1)
	v_fmac_f32_e32 v27, v11, v23
	v_fmac_f32_e32 v27, v12, v24
	s_waitcnt lgkmcnt(2)
	s_delay_alu instid0(VALU_DEP_1) | instskip(NEXT) | instid1(VALU_DEP_1)
	v_fmac_f32_e32 v27, v13, v25
	;; [unrolled: 4-line block ×4, first 2 shown]
	v_sub_f32_e32 v6, v6, v27
	v_cmpx_lt_u32_e32 3, v0
	s_cbranch_execz .LBB79_110
; %bb.109:
	v_mov_b32_e32 v21, v17
	s_mov_b32 s1, 0
	v_dual_mov_b32 v20, v16 :: v_dual_mov_b32 v19, v15
	v_dual_mov_b32 v18, v14 :: v_dual_mov_b32 v17, v13
	v_mov_b32_e32 v16, v12
	v_mov_b32_e32 v15, v11
	;; [unrolled: 1-line block ×10, first 2 shown]
	v_dual_mov_b32 v6, v2 :: v_dual_mov_b32 v9, s1
	ds_store_b32 v1, v5
	v_mov_b32_e32 v2, v6
	v_dual_mov_b32 v3, v7 :: v_dual_mov_b32 v4, v8
	v_dual_mov_b32 v5, v9 :: v_dual_mov_b32 v6, v10
	v_mov_b32_e32 v7, v11
	v_mov_b32_e32 v8, v12
	;; [unrolled: 1-line block ×11, first 2 shown]
.LBB79_110:
	s_or_b32 exec_lo, exec_lo, s0
	s_waitcnt lgkmcnt(0)
	s_barrier
	buffer_gl0_inv
	ds_load_b128 v[18:21], v22 offset:80
	ds_load_b128 v[23:26], v22 offset:96
	s_mov_b32 s0, exec_lo
	s_waitcnt lgkmcnt(1)
	v_fma_f32 v27, v6, v18, 0
	s_delay_alu instid0(VALU_DEP_1) | instskip(NEXT) | instid1(VALU_DEP_1)
	v_fmac_f32_e32 v27, v7, v19
	v_fmac_f32_e32 v27, v8, v20
	s_delay_alu instid0(VALU_DEP_1) | instskip(SKIP_3) | instid1(VALU_DEP_1)
	v_fmac_f32_e32 v27, v9, v21
	ds_load_b128 v[18:21], v22 offset:112
	s_waitcnt lgkmcnt(1)
	v_fmac_f32_e32 v27, v10, v23
	v_fmac_f32_e32 v27, v11, v24
	s_delay_alu instid0(VALU_DEP_1) | instskip(NEXT) | instid1(VALU_DEP_1)
	v_fmac_f32_e32 v27, v12, v25
	v_fmac_f32_e32 v27, v13, v26
	s_waitcnt lgkmcnt(0)
	s_delay_alu instid0(VALU_DEP_1) | instskip(NEXT) | instid1(VALU_DEP_1)
	v_fmac_f32_e32 v27, v14, v18
	v_fmac_f32_e32 v27, v15, v19
	s_delay_alu instid0(VALU_DEP_1) | instskip(NEXT) | instid1(VALU_DEP_1)
	v_fmac_f32_e32 v27, v16, v20
	v_fmac_f32_e32 v27, v17, v21
	s_delay_alu instid0(VALU_DEP_1)
	v_sub_f32_e32 v5, v5, v27
	v_cmpx_lt_u32_e32 2, v0
	s_cbranch_execz .LBB79_112
; %bb.111:
	s_mov_b32 s1, 0
	v_mov_b32_e32 v20, v17
	v_dual_mov_b32 v19, v16 :: v_dual_mov_b32 v18, v15
	v_mov_b32_e32 v17, v14
	v_mov_b32_e32 v16, v13
	v_mov_b32_e32 v15, v12
	v_mov_b32_e32 v14, v11
	v_mov_b32_e32 v13, v10
	v_mov_b32_e32 v12, v9
	v_mov_b32_e32 v11, v8
	v_mov_b32_e32 v10, v7
	v_mov_b32_e32 v9, v6
	v_mov_b32_e32 v8, v5
	v_mov_b32_e32 v7, v4
	v_mov_b32_e32 v6, v3
	v_mov_b32_e32 v5, v2
	v_mov_b32_e32 v7, s1
	ds_store_b32 v1, v4
	v_mov_b32_e32 v2, v5
	v_dual_mov_b32 v3, v6 :: v_dual_mov_b32 v4, v7
	v_mov_b32_e32 v5, v8
	v_mov_b32_e32 v6, v9
	;; [unrolled: 1-line block ×13, first 2 shown]
.LBB79_112:
	s_or_b32 exec_lo, exec_lo, s0
	v_mov_b32_e32 v20, 0
	s_waitcnt lgkmcnt(0)
	s_barrier
	buffer_gl0_inv
	s_mov_b32 s0, exec_lo
	ds_load_2addr_b32 v[18:19], v20 offset0:19 offset1:20
	ds_load_2addr_b32 v[21:22], v20 offset0:21 offset1:22
	;; [unrolled: 1-line block ×4, first 2 shown]
	s_waitcnt lgkmcnt(3)
	v_fma_f32 v27, v5, v18, 0
	s_delay_alu instid0(VALU_DEP_1) | instskip(SKIP_3) | instid1(VALU_DEP_1)
	v_fmac_f32_e32 v27, v6, v19
	ds_load_2addr_b32 v[18:19], v20 offset0:27 offset1:28
	s_waitcnt lgkmcnt(3)
	v_fmac_f32_e32 v27, v7, v21
	v_fmac_f32_e32 v27, v8, v22
	ds_load_2addr_b32 v[21:22], v20 offset0:29 offset1:30
	s_waitcnt lgkmcnt(3)
	v_fmac_f32_e32 v27, v9, v23
	ds_load_b32 v23, v20 offset:124
	v_fmac_f32_e32 v27, v10, v24
	s_waitcnt lgkmcnt(3)
	s_delay_alu instid0(VALU_DEP_1) | instskip(NEXT) | instid1(VALU_DEP_1)
	v_fmac_f32_e32 v27, v11, v25
	v_fmac_f32_e32 v27, v12, v26
	s_waitcnt lgkmcnt(2)
	s_delay_alu instid0(VALU_DEP_1) | instskip(NEXT) | instid1(VALU_DEP_1)
	v_fmac_f32_e32 v27, v13, v18
	v_fmac_f32_e32 v27, v14, v19
	s_waitcnt lgkmcnt(1)
	s_delay_alu instid0(VALU_DEP_1) | instskip(NEXT) | instid1(VALU_DEP_1)
	v_fmac_f32_e32 v27, v15, v21
	v_fmac_f32_e32 v27, v16, v22
	s_waitcnt lgkmcnt(0)
	s_delay_alu instid0(VALU_DEP_1) | instskip(NEXT) | instid1(VALU_DEP_1)
	v_fmac_f32_e32 v27, v17, v23
	v_sub_f32_e32 v4, v4, v27
	v_cmpx_lt_u32_e32 1, v0
	s_cbranch_execz .LBB79_114
; %bb.113:
	v_mov_b32_e32 v19, v17
	s_mov_b32 s1, 0
	v_dual_mov_b32 v18, v16 :: v_dual_mov_b32 v17, v15
	v_mov_b32_e32 v16, v14
	v_mov_b32_e32 v15, v13
	;; [unrolled: 1-line block ×12, first 2 shown]
	v_dual_mov_b32 v4, v2 :: v_dual_mov_b32 v5, s1
	ds_store_b32 v1, v3
	v_mov_b32_e32 v2, v4
	v_dual_mov_b32 v3, v5 :: v_dual_mov_b32 v4, v6
	v_mov_b32_e32 v5, v7
	v_mov_b32_e32 v6, v8
	v_mov_b32_e32 v7, v9
	v_mov_b32_e32 v8, v10
	v_mov_b32_e32 v9, v11
	v_mov_b32_e32 v10, v12
	v_mov_b32_e32 v11, v13
	v_mov_b32_e32 v12, v14
	v_mov_b32_e32 v13, v15
	v_mov_b32_e32 v14, v16
	v_mov_b32_e32 v15, v17
	v_mov_b32_e32 v16, v18
	v_mov_b32_e32 v17, v19
.LBB79_114:
	s_or_b32 exec_lo, exec_lo, s0
	s_waitcnt lgkmcnt(0)
	s_barrier
	buffer_gl0_inv
	ds_load_2addr_b64 v[21:24], v20 offset0:9 offset1:10
	ds_load_2addr_b64 v[25:28], v20 offset0:11 offset1:12
	s_mov_b32 s1, 0
	s_mov_b32 s0, exec_lo
	ds_load_b64 v[18:19], v20 offset:120
	s_waitcnt lgkmcnt(2)
	v_fma_f32 v29, v4, v21, 0
	s_delay_alu instid0(VALU_DEP_1) | instskip(NEXT) | instid1(VALU_DEP_1)
	v_fmac_f32_e32 v29, v5, v22
	v_fmac_f32_e32 v29, v6, v23
	s_delay_alu instid0(VALU_DEP_1) | instskip(SKIP_3) | instid1(VALU_DEP_1)
	v_fmac_f32_e32 v29, v7, v24
	ds_load_2addr_b64 v[21:24], v20 offset0:13 offset1:14
	s_waitcnt lgkmcnt(2)
	v_fmac_f32_e32 v29, v8, v25
	v_fmac_f32_e32 v29, v9, v26
	s_delay_alu instid0(VALU_DEP_1) | instskip(NEXT) | instid1(VALU_DEP_1)
	v_fmac_f32_e32 v29, v10, v27
	v_fmac_f32_e32 v29, v11, v28
	s_waitcnt lgkmcnt(0)
	s_delay_alu instid0(VALU_DEP_1) | instskip(NEXT) | instid1(VALU_DEP_1)
	v_fmac_f32_e32 v29, v12, v21
	v_fmac_f32_e32 v29, v13, v22
	s_delay_alu instid0(VALU_DEP_1) | instskip(NEXT) | instid1(VALU_DEP_1)
	v_fmac_f32_e32 v29, v14, v23
	v_fmac_f32_e32 v29, v15, v24
	;; [unrolled: 3-line block ×3, first 2 shown]
	s_delay_alu instid0(VALU_DEP_1)
	v_sub_f32_e32 v3, v3, v29
	v_cmpx_ne_u32_e32 0, v0
	s_cbranch_execz .LBB79_116
; %bb.115:
	v_mov_b32_e32 v18, v17
	v_mov_b32_e32 v17, v16
	;; [unrolled: 1-line block ×17, first 2 shown]
	ds_store_b32 v1, v2
	v_mov_b32_e32 v2, v3
	v_mov_b32_e32 v3, v4
	;; [unrolled: 1-line block ×16, first 2 shown]
.LBB79_116:
	s_or_b32 exec_lo, exec_lo, s0
	v_mov_b32_e32 v24, 0
	s_waitcnt lgkmcnt(0)
	s_barrier
	buffer_gl0_inv
	s_and_b32 vcc_lo, exec_lo, s12
	ds_load_2addr_b32 v[0:1], v24 offset0:17 offset1:18
	ds_load_2addr_b32 v[18:19], v24 offset0:19 offset1:20
	;; [unrolled: 1-line block ×4, first 2 shown]
	s_waitcnt lgkmcnt(3)
	v_fma_f32 v25, v3, v0, 0
	s_delay_alu instid0(VALU_DEP_1) | instskip(SKIP_3) | instid1(VALU_DEP_1)
	v_fmac_f32_e32 v25, v4, v1
	ds_load_2addr_b32 v[0:1], v24 offset0:25 offset1:26
	s_waitcnt lgkmcnt(3)
	v_fmac_f32_e32 v25, v5, v18
	v_fmac_f32_e32 v25, v6, v19
	ds_load_2addr_b32 v[18:19], v24 offset0:27 offset1:28
	s_waitcnt lgkmcnt(3)
	v_fmac_f32_e32 v25, v7, v20
	s_delay_alu instid0(VALU_DEP_1) | instskip(SKIP_1) | instid1(VALU_DEP_1)
	v_fmac_f32_e32 v25, v8, v21
	s_waitcnt lgkmcnt(2)
	v_fmac_f32_e32 v25, v9, v22
	ds_load_2addr_b32 v[20:21], v24 offset0:29 offset1:30
	ds_load_b32 v22, v24 offset:124
	v_fmac_f32_e32 v25, v10, v23
	s_waitcnt lgkmcnt(3)
	s_delay_alu instid0(VALU_DEP_1) | instskip(NEXT) | instid1(VALU_DEP_1)
	v_fmac_f32_e32 v25, v11, v0
	v_fmac_f32_e32 v25, v12, v1
	s_waitcnt lgkmcnt(2)
	s_delay_alu instid0(VALU_DEP_1) | instskip(NEXT) | instid1(VALU_DEP_1)
	v_fmac_f32_e32 v25, v13, v18
	;; [unrolled: 4-line block ×4, first 2 shown]
	v_sub_f32_e32 v2, v2, v25
	s_cbranch_vccz .LBB79_148
; %bb.117:
	v_dual_mov_b32 v0, s10 :: v_dual_mov_b32 v1, s11
	s_mov_b32 s12, exec_lo
	flat_load_b32 v0, v[0:1] offset:56
	s_waitcnt vmcnt(0) lgkmcnt(0)
	v_add_nc_u32_e32 v0, -1, v0
	s_delay_alu instid0(VALU_DEP_1)
	v_cmpx_ne_u32_e32 14, v0
	s_cbranch_execz .LBB79_119
; %bb.118:
	v_cmp_eq_u32_e32 vcc_lo, 1, v0
	v_cmp_eq_u32_e64 s0, 2, v0
	v_cmp_eq_u32_e64 s1, 3, v0
	;; [unrolled: 1-line block ×4, first 2 shown]
	v_dual_cndmask_b32 v1, v2, v3 :: v_dual_cndmask_b32 v18, v3, v16
	v_cmp_eq_u32_e64 s4, 6, v0
	v_cmp_eq_u32_e64 s5, 7, v0
	v_cmp_eq_u32_e64 s6, 8, v0
	s_delay_alu instid0(VALU_DEP_4)
	v_cndmask_b32_e64 v1, v1, v4, s0
	v_cmp_eq_u32_e64 s7, 9, v0
	v_cmp_eq_u32_e64 s8, 10, v0
	;; [unrolled: 1-line block ×3, first 2 shown]
	v_cndmask_b32_e64 v19, v4, v16, s0
	v_cndmask_b32_e64 v1, v1, v5, s1
	v_cmp_eq_u32_e64 s0, 12, v0
	v_cmp_eq_u32_e32 vcc_lo, 13, v0
	v_cndmask_b32_e64 v20, v5, v16, s1
	v_cmp_eq_u32_e64 s1, 14, v0
	v_cndmask_b32_e64 v1, v1, v6, s2
	v_cndmask_b32_e64 v21, v6, v16, s2
	v_cmp_eq_u32_e64 s2, 15, v0
	v_cndmask_b32_e64 v22, v7, v16, s3
	v_cndmask_b32_e64 v23, v8, v16, s4
	;; [unrolled: 1-line block ×11, first 2 shown]
	v_cndmask_b32_e32 v30, v15, v16, vcc_lo
	v_cndmask_b32_e64 v1, v1, v9, s5
	s_delay_alu instid0(VALU_DEP_1) | instskip(NEXT) | instid1(VALU_DEP_1)
	v_cndmask_b32_e64 v1, v1, v10, s6
	v_cndmask_b32_e64 v1, v1, v11, s7
	s_delay_alu instid0(VALU_DEP_1) | instskip(NEXT) | instid1(VALU_DEP_1)
	v_cndmask_b32_e64 v1, v1, v12, s8
	;; [unrolled: 3-line block ×3, first 2 shown]
	v_cndmask_b32_e32 v1, v1, v15, vcc_lo
	v_cmp_eq_u32_e32 vcc_lo, 0, v0
	s_delay_alu instid0(VALU_DEP_2) | instskip(NEXT) | instid1(VALU_DEP_1)
	v_cndmask_b32_e64 v1, v1, v16, s1
	v_cndmask_b32_e64 v1, v1, v17, s2
	v_cndmask_b32_e32 v17, v2, v16, vcc_lo
	s_delay_alu instid0(VALU_DEP_2) | instskip(NEXT) | instid1(VALU_DEP_2)
	v_cndmask_b32_e64 v31, v1, v16, s1
	v_mov_b32_e32 v2, v17
	v_dual_mov_b32 v3, v18 :: v_dual_mov_b32 v4, v19
	v_dual_mov_b32 v5, v20 :: v_dual_mov_b32 v6, v21
	;; [unrolled: 1-line block ×7, first 2 shown]
	v_mov_b32_e32 v17, v32
.LBB79_119:
	s_or_b32 exec_lo, exec_lo, s12
	v_dual_mov_b32 v0, s10 :: v_dual_mov_b32 v1, s11
	s_mov_b32 s12, exec_lo
	flat_load_b32 v0, v[0:1] offset:52
	s_waitcnt vmcnt(0) lgkmcnt(0)
	v_add_nc_u32_e32 v0, -1, v0
	s_delay_alu instid0(VALU_DEP_1)
	v_cmpx_ne_u32_e32 13, v0
	s_cbranch_execz .LBB79_121
; %bb.120:
	v_cmp_eq_u32_e32 vcc_lo, 1, v0
	v_cmp_eq_u32_e64 s0, 2, v0
	v_cmp_eq_u32_e64 s1, 3, v0
	;; [unrolled: 1-line block ×10, first 2 shown]
	v_cndmask_b32_e64 v19, v4, v15, s0
	v_cndmask_b32_e32 v18, v3, v15, vcc_lo
	v_cndmask_b32_e64 v20, v5, v15, s1
	v_cndmask_b32_e64 v21, v6, v15, s2
	v_cndmask_b32_e64 v22, v7, v15, s3
	v_cndmask_b32_e64 v23, v8, v15, s4
	v_cndmask_b32_e64 v24, v9, v15, s5
	v_cndmask_b32_e64 v25, v10, v15, s6
	v_cndmask_b32_e64 v26, v11, v15, s7
	v_cndmask_b32_e64 v27, v12, v15, s8
	v_cndmask_b32_e64 v28, v13, v15, s9
	v_cndmask_b32_e32 v1, v2, v3, vcc_lo
	v_cmp_eq_u32_e32 vcc_lo, 13, v0
	s_delay_alu instid0(VALU_DEP_2) | instskip(SKIP_1) | instid1(VALU_DEP_2)
	v_cndmask_b32_e64 v1, v1, v4, s0
	v_cmp_eq_u32_e64 s0, 12, v0
	v_cndmask_b32_e64 v1, v1, v5, s1
	v_cmp_eq_u32_e64 s1, 14, v0
	s_delay_alu instid0(VALU_DEP_3) | instskip(NEXT) | instid1(VALU_DEP_3)
	v_cndmask_b32_e64 v29, v14, v15, s0
	v_cndmask_b32_e64 v1, v1, v6, s2
	v_cmp_eq_u32_e64 s2, 15, v0
	s_delay_alu instid0(VALU_DEP_4) | instskip(NEXT) | instid1(VALU_DEP_3)
	v_cndmask_b32_e64 v31, v16, v15, s1
	v_cndmask_b32_e64 v1, v1, v7, s3
	s_delay_alu instid0(VALU_DEP_3) | instskip(NEXT) | instid1(VALU_DEP_2)
	v_cndmask_b32_e64 v32, v17, v15, s2
	v_cndmask_b32_e64 v1, v1, v8, s4
	s_delay_alu instid0(VALU_DEP_1) | instskip(NEXT) | instid1(VALU_DEP_1)
	v_cndmask_b32_e64 v1, v1, v9, s5
	v_cndmask_b32_e64 v1, v1, v10, s6
	s_delay_alu instid0(VALU_DEP_1) | instskip(NEXT) | instid1(VALU_DEP_1)
	;; [unrolled: 3-line block ×4, first 2 shown]
	v_cndmask_b32_e32 v1, v1, v15, vcc_lo
	v_cndmask_b32_e64 v1, v1, v16, s1
	s_delay_alu instid0(VALU_DEP_1) | instskip(NEXT) | instid1(VALU_DEP_1)
	v_cndmask_b32_e64 v1, v1, v17, s2
	v_cndmask_b32_e32 v30, v1, v15, vcc_lo
	v_cmp_eq_u32_e32 vcc_lo, 0, v0
	v_cndmask_b32_e32 v17, v2, v15, vcc_lo
	s_delay_alu instid0(VALU_DEP_1)
	v_mov_b32_e32 v2, v17
	v_dual_mov_b32 v4, v19 :: v_dual_mov_b32 v3, v18
	v_dual_mov_b32 v6, v21 :: v_dual_mov_b32 v5, v20
	;; [unrolled: 1-line block ×7, first 2 shown]
	v_mov_b32_e32 v17, v32
.LBB79_121:
	s_or_b32 exec_lo, exec_lo, s12
	v_dual_mov_b32 v0, s10 :: v_dual_mov_b32 v1, s11
	s_mov_b32 s12, exec_lo
	flat_load_b32 v0, v[0:1] offset:48
	s_waitcnt vmcnt(0) lgkmcnt(0)
	v_add_nc_u32_e32 v0, -1, v0
	s_delay_alu instid0(VALU_DEP_1)
	v_cmpx_ne_u32_e32 12, v0
	s_cbranch_execz .LBB79_123
; %bb.122:
	v_cmp_eq_u32_e32 vcc_lo, 1, v0
	v_cmp_eq_u32_e64 s0, 2, v0
	v_cmp_eq_u32_e64 s1, 3, v0
	;; [unrolled: 1-line block ×4, first 2 shown]
	v_dual_cndmask_b32 v1, v2, v3 :: v_dual_cndmask_b32 v18, v3, v14
	v_cmp_eq_u32_e64 s4, 6, v0
	v_cmp_eq_u32_e64 s5, 7, v0
	;; [unrolled: 1-line block ×3, first 2 shown]
	s_delay_alu instid0(VALU_DEP_4)
	v_cndmask_b32_e64 v1, v1, v4, s0
	v_cmp_eq_u32_e64 s7, 9, v0
	v_cmp_eq_u32_e64 s8, 10, v0
	;; [unrolled: 1-line block ×3, first 2 shown]
	v_cndmask_b32_e64 v19, v4, v14, s0
	v_cndmask_b32_e64 v1, v1, v5, s1
	v_cmp_eq_u32_e64 s0, 12, v0
	v_cmp_eq_u32_e32 vcc_lo, 13, v0
	v_cndmask_b32_e64 v20, v5, v14, s1
	v_cmp_eq_u32_e64 s1, 14, v0
	v_cndmask_b32_e64 v1, v1, v6, s2
	v_cndmask_b32_e64 v21, v6, v14, s2
	v_cmp_eq_u32_e64 s2, 15, v0
	v_cndmask_b32_e64 v22, v7, v14, s3
	v_cndmask_b32_e64 v23, v8, v14, s4
	;; [unrolled: 1-line block ×11, first 2 shown]
	v_cndmask_b32_e32 v30, v15, v14, vcc_lo
	v_cndmask_b32_e64 v1, v1, v9, s5
	s_delay_alu instid0(VALU_DEP_1) | instskip(NEXT) | instid1(VALU_DEP_1)
	v_cndmask_b32_e64 v1, v1, v10, s6
	v_cndmask_b32_e64 v1, v1, v11, s7
	s_delay_alu instid0(VALU_DEP_1) | instskip(NEXT) | instid1(VALU_DEP_1)
	v_cndmask_b32_e64 v1, v1, v12, s8
	v_cndmask_b32_e64 v1, v1, v13, s9
	s_delay_alu instid0(VALU_DEP_1) | instskip(NEXT) | instid1(VALU_DEP_1)
	v_cndmask_b32_e64 v1, v1, v14, s0
	v_cndmask_b32_e32 v1, v1, v15, vcc_lo
	v_cmp_eq_u32_e32 vcc_lo, 0, v0
	s_delay_alu instid0(VALU_DEP_2) | instskip(NEXT) | instid1(VALU_DEP_1)
	v_cndmask_b32_e64 v1, v1, v16, s1
	v_cndmask_b32_e64 v1, v1, v17, s2
	v_cndmask_b32_e32 v17, v2, v14, vcc_lo
	s_delay_alu instid0(VALU_DEP_2) | instskip(NEXT) | instid1(VALU_DEP_2)
	v_cndmask_b32_e64 v29, v1, v14, s0
	v_mov_b32_e32 v2, v17
	v_dual_mov_b32 v3, v18 :: v_dual_mov_b32 v4, v19
	v_dual_mov_b32 v5, v20 :: v_dual_mov_b32 v6, v21
	;; [unrolled: 1-line block ×7, first 2 shown]
	v_mov_b32_e32 v17, v32
.LBB79_123:
	s_or_b32 exec_lo, exec_lo, s12
	v_dual_mov_b32 v0, s10 :: v_dual_mov_b32 v1, s11
	s_mov_b32 s12, exec_lo
	flat_load_b32 v0, v[0:1] offset:44
	s_waitcnt vmcnt(0) lgkmcnt(0)
	v_add_nc_u32_e32 v0, -1, v0
	s_delay_alu instid0(VALU_DEP_1)
	v_cmpx_ne_u32_e32 11, v0
	s_cbranch_execz .LBB79_125
; %bb.124:
	v_cmp_eq_u32_e32 vcc_lo, 1, v0
	v_cmp_eq_u32_e64 s0, 2, v0
	v_cmp_eq_u32_e64 s1, 3, v0
	v_cmp_eq_u32_e64 s2, 4, v0
	v_cmp_eq_u32_e64 s3, 5, v0
	v_dual_cndmask_b32 v1, v2, v3 :: v_dual_cndmask_b32 v18, v3, v13
	v_cmp_eq_u32_e64 s4, 6, v0
	v_cmp_eq_u32_e64 s5, 7, v0
	;; [unrolled: 1-line block ×3, first 2 shown]
	s_delay_alu instid0(VALU_DEP_4)
	v_cndmask_b32_e64 v1, v1, v4, s0
	v_cmp_eq_u32_e64 s7, 9, v0
	v_cmp_eq_u32_e64 s8, 10, v0
	;; [unrolled: 1-line block ×3, first 2 shown]
	v_cndmask_b32_e64 v19, v4, v13, s0
	v_cndmask_b32_e64 v1, v1, v5, s1
	v_cmp_eq_u32_e64 s0, 12, v0
	v_cmp_eq_u32_e32 vcc_lo, 13, v0
	v_cndmask_b32_e64 v20, v5, v13, s1
	v_cmp_eq_u32_e64 s1, 14, v0
	v_cndmask_b32_e64 v1, v1, v6, s2
	v_cndmask_b32_e64 v21, v6, v13, s2
	v_cmp_eq_u32_e64 s2, 15, v0
	v_cndmask_b32_e64 v22, v7, v13, s3
	v_cndmask_b32_e64 v23, v8, v13, s4
	;; [unrolled: 1-line block ×11, first 2 shown]
	v_cndmask_b32_e32 v30, v15, v13, vcc_lo
	v_cndmask_b32_e64 v1, v1, v9, s5
	s_delay_alu instid0(VALU_DEP_1) | instskip(NEXT) | instid1(VALU_DEP_1)
	v_cndmask_b32_e64 v1, v1, v10, s6
	v_cndmask_b32_e64 v1, v1, v11, s7
	s_delay_alu instid0(VALU_DEP_1) | instskip(NEXT) | instid1(VALU_DEP_1)
	v_cndmask_b32_e64 v1, v1, v12, s8
	;; [unrolled: 3-line block ×3, first 2 shown]
	v_cndmask_b32_e32 v1, v1, v15, vcc_lo
	v_cmp_eq_u32_e32 vcc_lo, 0, v0
	s_delay_alu instid0(VALU_DEP_2) | instskip(NEXT) | instid1(VALU_DEP_1)
	v_cndmask_b32_e64 v1, v1, v16, s1
	v_cndmask_b32_e64 v1, v1, v17, s2
	v_cndmask_b32_e32 v17, v2, v13, vcc_lo
	s_delay_alu instid0(VALU_DEP_2) | instskip(NEXT) | instid1(VALU_DEP_2)
	v_cndmask_b32_e64 v28, v1, v13, s9
	v_mov_b32_e32 v2, v17
	v_dual_mov_b32 v3, v18 :: v_dual_mov_b32 v4, v19
	v_dual_mov_b32 v5, v20 :: v_dual_mov_b32 v6, v21
	;; [unrolled: 1-line block ×7, first 2 shown]
	v_mov_b32_e32 v17, v32
.LBB79_125:
	s_or_b32 exec_lo, exec_lo, s12
	v_dual_mov_b32 v0, s10 :: v_dual_mov_b32 v1, s11
	s_mov_b32 s12, exec_lo
	flat_load_b32 v0, v[0:1] offset:40
	s_waitcnt vmcnt(0) lgkmcnt(0)
	v_add_nc_u32_e32 v0, -1, v0
	s_delay_alu instid0(VALU_DEP_1)
	v_cmpx_ne_u32_e32 10, v0
	s_cbranch_execz .LBB79_127
; %bb.126:
	v_cmp_eq_u32_e32 vcc_lo, 1, v0
	v_cmp_eq_u32_e64 s0, 2, v0
	v_cmp_eq_u32_e64 s1, 3, v0
	;; [unrolled: 1-line block ×4, first 2 shown]
	v_dual_cndmask_b32 v1, v2, v3 :: v_dual_cndmask_b32 v18, v3, v12
	v_cmp_eq_u32_e64 s4, 6, v0
	v_cmp_eq_u32_e64 s5, 7, v0
	;; [unrolled: 1-line block ×3, first 2 shown]
	s_delay_alu instid0(VALU_DEP_4)
	v_cndmask_b32_e64 v1, v1, v4, s0
	v_cmp_eq_u32_e64 s7, 9, v0
	v_cmp_eq_u32_e64 s8, 10, v0
	;; [unrolled: 1-line block ×3, first 2 shown]
	v_cndmask_b32_e64 v19, v4, v12, s0
	v_cndmask_b32_e64 v1, v1, v5, s1
	v_cmp_eq_u32_e64 s0, 12, v0
	v_cmp_eq_u32_e32 vcc_lo, 13, v0
	v_cndmask_b32_e64 v20, v5, v12, s1
	v_cmp_eq_u32_e64 s1, 14, v0
	v_cndmask_b32_e64 v1, v1, v6, s2
	v_cndmask_b32_e64 v21, v6, v12, s2
	v_cmp_eq_u32_e64 s2, 15, v0
	v_cndmask_b32_e64 v22, v7, v12, s3
	v_cndmask_b32_e64 v23, v8, v12, s4
	;; [unrolled: 1-line block ×11, first 2 shown]
	v_cndmask_b32_e32 v30, v15, v12, vcc_lo
	v_cndmask_b32_e64 v1, v1, v9, s5
	s_delay_alu instid0(VALU_DEP_1) | instskip(NEXT) | instid1(VALU_DEP_1)
	v_cndmask_b32_e64 v1, v1, v10, s6
	v_cndmask_b32_e64 v1, v1, v11, s7
	s_delay_alu instid0(VALU_DEP_1) | instskip(NEXT) | instid1(VALU_DEP_1)
	v_cndmask_b32_e64 v1, v1, v12, s8
	;; [unrolled: 3-line block ×3, first 2 shown]
	v_cndmask_b32_e32 v1, v1, v15, vcc_lo
	v_cmp_eq_u32_e32 vcc_lo, 0, v0
	s_delay_alu instid0(VALU_DEP_2) | instskip(NEXT) | instid1(VALU_DEP_1)
	v_cndmask_b32_e64 v1, v1, v16, s1
	v_cndmask_b32_e64 v1, v1, v17, s2
	v_cndmask_b32_e32 v17, v2, v12, vcc_lo
	s_delay_alu instid0(VALU_DEP_2) | instskip(NEXT) | instid1(VALU_DEP_2)
	v_cndmask_b32_e64 v27, v1, v12, s8
	v_mov_b32_e32 v2, v17
	v_dual_mov_b32 v3, v18 :: v_dual_mov_b32 v4, v19
	v_dual_mov_b32 v5, v20 :: v_dual_mov_b32 v6, v21
	;; [unrolled: 1-line block ×7, first 2 shown]
	v_mov_b32_e32 v17, v32
.LBB79_127:
	s_or_b32 exec_lo, exec_lo, s12
	v_dual_mov_b32 v0, s10 :: v_dual_mov_b32 v1, s11
	s_mov_b32 s12, exec_lo
	flat_load_b32 v0, v[0:1] offset:36
	s_waitcnt vmcnt(0) lgkmcnt(0)
	v_add_nc_u32_e32 v0, -1, v0
	s_delay_alu instid0(VALU_DEP_1)
	v_cmpx_ne_u32_e32 9, v0
	s_cbranch_execz .LBB79_129
; %bb.128:
	v_cmp_eq_u32_e32 vcc_lo, 1, v0
	v_cmp_eq_u32_e64 s0, 2, v0
	v_cmp_eq_u32_e64 s1, 3, v0
	;; [unrolled: 1-line block ×9, first 2 shown]
	v_cndmask_b32_e64 v19, v4, v11, s0
	v_cndmask_b32_e32 v18, v3, v11, vcc_lo
	v_cndmask_b32_e64 v20, v5, v11, s1
	v_cndmask_b32_e64 v21, v6, v11, s2
	;; [unrolled: 1-line block ×8, first 2 shown]
	v_cndmask_b32_e32 v1, v2, v3, vcc_lo
	v_cmp_eq_u32_e64 s7, 9, v0
	v_cmp_eq_u32_e32 vcc_lo, 13, v0
	s_delay_alu instid0(VALU_DEP_3) | instskip(SKIP_2) | instid1(VALU_DEP_3)
	v_cndmask_b32_e64 v1, v1, v4, s0
	v_cmp_eq_u32_e64 s0, 12, v0
	v_cndmask_b32_e32 v30, v15, v11, vcc_lo
	v_cndmask_b32_e64 v1, v1, v5, s1
	v_cmp_eq_u32_e64 s1, 14, v0
	s_delay_alu instid0(VALU_DEP_4) | instskip(NEXT) | instid1(VALU_DEP_3)
	v_cndmask_b32_e64 v29, v14, v11, s0
	v_cndmask_b32_e64 v1, v1, v6, s2
	v_cmp_eq_u32_e64 s2, 15, v0
	s_delay_alu instid0(VALU_DEP_4) | instskip(NEXT) | instid1(VALU_DEP_3)
	v_cndmask_b32_e64 v31, v16, v11, s1
	v_cndmask_b32_e64 v1, v1, v7, s3
	s_delay_alu instid0(VALU_DEP_3) | instskip(NEXT) | instid1(VALU_DEP_2)
	v_cndmask_b32_e64 v32, v17, v11, s2
	v_cndmask_b32_e64 v1, v1, v8, s4
	s_delay_alu instid0(VALU_DEP_1) | instskip(NEXT) | instid1(VALU_DEP_1)
	v_cndmask_b32_e64 v1, v1, v9, s5
	v_cndmask_b32_e64 v1, v1, v10, s6
	s_delay_alu instid0(VALU_DEP_1) | instskip(NEXT) | instid1(VALU_DEP_1)
	;; [unrolled: 3-line block ×3, first 2 shown]
	v_cndmask_b32_e64 v1, v1, v13, s9
	v_cndmask_b32_e64 v1, v1, v14, s0
	s_delay_alu instid0(VALU_DEP_1) | instskip(SKIP_1) | instid1(VALU_DEP_2)
	v_cndmask_b32_e32 v1, v1, v15, vcc_lo
	v_cmp_eq_u32_e32 vcc_lo, 0, v0
	v_cndmask_b32_e64 v1, v1, v16, s1
	s_delay_alu instid0(VALU_DEP_1) | instskip(SKIP_1) | instid1(VALU_DEP_2)
	v_cndmask_b32_e64 v1, v1, v17, s2
	v_cndmask_b32_e32 v17, v2, v11, vcc_lo
	v_cndmask_b32_e64 v26, v1, v11, s7
	s_delay_alu instid0(VALU_DEP_2)
	v_mov_b32_e32 v2, v17
	v_dual_mov_b32 v4, v19 :: v_dual_mov_b32 v3, v18
	v_dual_mov_b32 v6, v21 :: v_dual_mov_b32 v5, v20
	v_dual_mov_b32 v8, v23 :: v_dual_mov_b32 v7, v22
	v_dual_mov_b32 v10, v25 :: v_dual_mov_b32 v9, v24
	v_dual_mov_b32 v12, v27 :: v_dual_mov_b32 v11, v26
	v_dual_mov_b32 v14, v29 :: v_dual_mov_b32 v13, v28
	v_dual_mov_b32 v16, v31 :: v_dual_mov_b32 v15, v30
	v_mov_b32_e32 v17, v32
.LBB79_129:
	s_or_b32 exec_lo, exec_lo, s12
	v_dual_mov_b32 v0, s10 :: v_dual_mov_b32 v1, s11
	s_mov_b32 s12, exec_lo
	flat_load_b32 v0, v[0:1] offset:32
	s_waitcnt vmcnt(0) lgkmcnt(0)
	v_add_nc_u32_e32 v0, -1, v0
	s_delay_alu instid0(VALU_DEP_1)
	v_cmpx_ne_u32_e32 8, v0
	s_cbranch_execz .LBB79_131
; %bb.130:
	v_cmp_eq_u32_e32 vcc_lo, 1, v0
	v_cmp_eq_u32_e64 s0, 2, v0
	v_cmp_eq_u32_e64 s1, 3, v0
	;; [unrolled: 1-line block ×4, first 2 shown]
	v_dual_cndmask_b32 v1, v2, v3 :: v_dual_cndmask_b32 v18, v3, v10
	v_cmp_eq_u32_e64 s4, 6, v0
	v_cmp_eq_u32_e64 s5, 7, v0
	;; [unrolled: 1-line block ×3, first 2 shown]
	s_delay_alu instid0(VALU_DEP_4)
	v_cndmask_b32_e64 v1, v1, v4, s0
	v_cmp_eq_u32_e64 s7, 9, v0
	v_cmp_eq_u32_e64 s8, 10, v0
	;; [unrolled: 1-line block ×3, first 2 shown]
	v_cndmask_b32_e64 v19, v4, v10, s0
	v_cndmask_b32_e64 v1, v1, v5, s1
	v_cmp_eq_u32_e64 s0, 12, v0
	v_cmp_eq_u32_e32 vcc_lo, 13, v0
	v_cndmask_b32_e64 v20, v5, v10, s1
	v_cmp_eq_u32_e64 s1, 14, v0
	v_cndmask_b32_e64 v1, v1, v6, s2
	v_cndmask_b32_e64 v21, v6, v10, s2
	v_cmp_eq_u32_e64 s2, 15, v0
	v_cndmask_b32_e64 v22, v7, v10, s3
	v_cndmask_b32_e64 v23, v8, v10, s4
	;; [unrolled: 1-line block ×11, first 2 shown]
	v_cndmask_b32_e32 v30, v15, v10, vcc_lo
	v_cndmask_b32_e64 v1, v1, v9, s5
	s_delay_alu instid0(VALU_DEP_1) | instskip(NEXT) | instid1(VALU_DEP_1)
	v_cndmask_b32_e64 v1, v1, v10, s6
	v_cndmask_b32_e64 v1, v1, v11, s7
	s_delay_alu instid0(VALU_DEP_1) | instskip(NEXT) | instid1(VALU_DEP_1)
	v_cndmask_b32_e64 v1, v1, v12, s8
	;; [unrolled: 3-line block ×3, first 2 shown]
	v_cndmask_b32_e32 v1, v1, v15, vcc_lo
	v_cmp_eq_u32_e32 vcc_lo, 0, v0
	s_delay_alu instid0(VALU_DEP_2) | instskip(NEXT) | instid1(VALU_DEP_1)
	v_cndmask_b32_e64 v1, v1, v16, s1
	v_cndmask_b32_e64 v1, v1, v17, s2
	v_cndmask_b32_e32 v17, v2, v10, vcc_lo
	s_delay_alu instid0(VALU_DEP_2) | instskip(NEXT) | instid1(VALU_DEP_2)
	v_cndmask_b32_e64 v25, v1, v10, s6
	v_mov_b32_e32 v2, v17
	v_dual_mov_b32 v3, v18 :: v_dual_mov_b32 v4, v19
	v_dual_mov_b32 v5, v20 :: v_dual_mov_b32 v6, v21
	;; [unrolled: 1-line block ×7, first 2 shown]
	v_mov_b32_e32 v17, v32
.LBB79_131:
	s_or_b32 exec_lo, exec_lo, s12
	v_dual_mov_b32 v0, s10 :: v_dual_mov_b32 v1, s11
	s_mov_b32 s12, exec_lo
	flat_load_b32 v0, v[0:1] offset:28
	s_waitcnt vmcnt(0) lgkmcnt(0)
	v_add_nc_u32_e32 v0, -1, v0
	s_delay_alu instid0(VALU_DEP_1)
	v_cmpx_ne_u32_e32 7, v0
	s_cbranch_execz .LBB79_133
; %bb.132:
	v_cmp_eq_u32_e32 vcc_lo, 1, v0
	v_cmp_eq_u32_e64 s0, 2, v0
	v_cmp_eq_u32_e64 s1, 3, v0
	;; [unrolled: 1-line block ×4, first 2 shown]
	v_dual_cndmask_b32 v1, v2, v3 :: v_dual_cndmask_b32 v18, v3, v9
	v_cmp_eq_u32_e64 s4, 6, v0
	v_cmp_eq_u32_e64 s5, 7, v0
	;; [unrolled: 1-line block ×3, first 2 shown]
	s_delay_alu instid0(VALU_DEP_4)
	v_cndmask_b32_e64 v1, v1, v4, s0
	v_cmp_eq_u32_e64 s7, 9, v0
	v_cmp_eq_u32_e64 s8, 10, v0
	;; [unrolled: 1-line block ×3, first 2 shown]
	v_cndmask_b32_e64 v19, v4, v9, s0
	v_cndmask_b32_e64 v1, v1, v5, s1
	v_cmp_eq_u32_e64 s0, 12, v0
	v_cmp_eq_u32_e32 vcc_lo, 13, v0
	v_cndmask_b32_e64 v20, v5, v9, s1
	v_cmp_eq_u32_e64 s1, 14, v0
	v_cndmask_b32_e64 v1, v1, v6, s2
	v_cndmask_b32_e64 v21, v6, v9, s2
	v_cmp_eq_u32_e64 s2, 15, v0
	v_cndmask_b32_e64 v22, v7, v9, s3
	v_cndmask_b32_e64 v23, v8, v9, s4
	;; [unrolled: 1-line block ×11, first 2 shown]
	v_cndmask_b32_e32 v30, v15, v9, vcc_lo
	v_cndmask_b32_e64 v1, v1, v9, s5
	s_delay_alu instid0(VALU_DEP_1) | instskip(NEXT) | instid1(VALU_DEP_1)
	v_cndmask_b32_e64 v1, v1, v10, s6
	v_cndmask_b32_e64 v1, v1, v11, s7
	s_delay_alu instid0(VALU_DEP_1) | instskip(NEXT) | instid1(VALU_DEP_1)
	v_cndmask_b32_e64 v1, v1, v12, s8
	;; [unrolled: 3-line block ×3, first 2 shown]
	v_cndmask_b32_e32 v1, v1, v15, vcc_lo
	v_cmp_eq_u32_e32 vcc_lo, 0, v0
	s_delay_alu instid0(VALU_DEP_2) | instskip(NEXT) | instid1(VALU_DEP_1)
	v_cndmask_b32_e64 v1, v1, v16, s1
	v_cndmask_b32_e64 v1, v1, v17, s2
	v_cndmask_b32_e32 v17, v2, v9, vcc_lo
	s_delay_alu instid0(VALU_DEP_2) | instskip(NEXT) | instid1(VALU_DEP_2)
	v_cndmask_b32_e64 v24, v1, v9, s5
	v_mov_b32_e32 v2, v17
	v_dual_mov_b32 v3, v18 :: v_dual_mov_b32 v4, v19
	v_dual_mov_b32 v5, v20 :: v_dual_mov_b32 v6, v21
	;; [unrolled: 1-line block ×7, first 2 shown]
	v_mov_b32_e32 v17, v32
.LBB79_133:
	s_or_b32 exec_lo, exec_lo, s12
	v_dual_mov_b32 v0, s10 :: v_dual_mov_b32 v1, s11
	s_mov_b32 s12, exec_lo
	flat_load_b32 v0, v[0:1] offset:24
	s_waitcnt vmcnt(0) lgkmcnt(0)
	v_add_nc_u32_e32 v0, -1, v0
	s_delay_alu instid0(VALU_DEP_1)
	v_cmpx_ne_u32_e32 6, v0
	s_cbranch_execz .LBB79_135
; %bb.134:
	v_cmp_eq_u32_e32 vcc_lo, 1, v0
	v_cmp_eq_u32_e64 s0, 2, v0
	v_cmp_eq_u32_e64 s1, 3, v0
	;; [unrolled: 1-line block ×4, first 2 shown]
	v_dual_cndmask_b32 v1, v2, v3 :: v_dual_cndmask_b32 v18, v3, v8
	v_cmp_eq_u32_e64 s4, 6, v0
	v_cmp_eq_u32_e64 s5, 7, v0
	;; [unrolled: 1-line block ×3, first 2 shown]
	s_delay_alu instid0(VALU_DEP_4)
	v_cndmask_b32_e64 v1, v1, v4, s0
	v_cmp_eq_u32_e64 s7, 9, v0
	v_cmp_eq_u32_e64 s8, 10, v0
	;; [unrolled: 1-line block ×3, first 2 shown]
	v_cndmask_b32_e64 v19, v4, v8, s0
	v_cndmask_b32_e64 v1, v1, v5, s1
	v_cmp_eq_u32_e64 s0, 12, v0
	v_cmp_eq_u32_e32 vcc_lo, 13, v0
	v_cndmask_b32_e64 v20, v5, v8, s1
	v_cmp_eq_u32_e64 s1, 14, v0
	v_cndmask_b32_e64 v1, v1, v6, s2
	v_cndmask_b32_e64 v21, v6, v8, s2
	v_cmp_eq_u32_e64 s2, 15, v0
	v_cndmask_b32_e64 v22, v7, v8, s3
	v_cndmask_b32_e64 v24, v9, v8, s5
	;; [unrolled: 1-line block ×11, first 2 shown]
	v_cndmask_b32_e32 v30, v15, v8, vcc_lo
	v_cndmask_b32_e64 v1, v1, v9, s5
	s_delay_alu instid0(VALU_DEP_1) | instskip(NEXT) | instid1(VALU_DEP_1)
	v_cndmask_b32_e64 v1, v1, v10, s6
	v_cndmask_b32_e64 v1, v1, v11, s7
	s_delay_alu instid0(VALU_DEP_1) | instskip(NEXT) | instid1(VALU_DEP_1)
	v_cndmask_b32_e64 v1, v1, v12, s8
	v_cndmask_b32_e64 v1, v1, v13, s9
	s_delay_alu instid0(VALU_DEP_1) | instskip(NEXT) | instid1(VALU_DEP_1)
	v_cndmask_b32_e64 v1, v1, v14, s0
	v_cndmask_b32_e32 v1, v1, v15, vcc_lo
	v_cmp_eq_u32_e32 vcc_lo, 0, v0
	s_delay_alu instid0(VALU_DEP_2) | instskip(NEXT) | instid1(VALU_DEP_1)
	v_cndmask_b32_e64 v1, v1, v16, s1
	v_cndmask_b32_e64 v1, v1, v17, s2
	v_cndmask_b32_e32 v17, v2, v8, vcc_lo
	s_delay_alu instid0(VALU_DEP_2) | instskip(NEXT) | instid1(VALU_DEP_2)
	v_cndmask_b32_e64 v23, v1, v8, s4
	v_mov_b32_e32 v2, v17
	v_dual_mov_b32 v3, v18 :: v_dual_mov_b32 v4, v19
	v_dual_mov_b32 v5, v20 :: v_dual_mov_b32 v6, v21
	s_delay_alu instid0(VALU_DEP_4)
	v_dual_mov_b32 v7, v22 :: v_dual_mov_b32 v8, v23
	v_dual_mov_b32 v9, v24 :: v_dual_mov_b32 v10, v25
	v_dual_mov_b32 v11, v26 :: v_dual_mov_b32 v12, v27
	v_dual_mov_b32 v13, v28 :: v_dual_mov_b32 v14, v29
	v_dual_mov_b32 v15, v30 :: v_dual_mov_b32 v16, v31
	v_mov_b32_e32 v17, v32
.LBB79_135:
	s_or_b32 exec_lo, exec_lo, s12
	v_dual_mov_b32 v0, s10 :: v_dual_mov_b32 v1, s11
	s_mov_b32 s12, exec_lo
	flat_load_b32 v0, v[0:1] offset:20
	s_waitcnt vmcnt(0) lgkmcnt(0)
	v_add_nc_u32_e32 v0, -1, v0
	s_delay_alu instid0(VALU_DEP_1)
	v_cmpx_ne_u32_e32 5, v0
	s_cbranch_execz .LBB79_137
; %bb.136:
	v_cmp_eq_u32_e32 vcc_lo, 1, v0
	v_cmp_eq_u32_e64 s0, 2, v0
	v_cmp_eq_u32_e64 s1, 3, v0
	;; [unrolled: 1-line block ×9, first 2 shown]
	v_cndmask_b32_e64 v19, v4, v7, s0
	v_cndmask_b32_e32 v18, v3, v7, vcc_lo
	v_cndmask_b32_e64 v20, v5, v7, s1
	v_cndmask_b32_e64 v21, v6, v7, s2
	;; [unrolled: 1-line block ×8, first 2 shown]
	v_cndmask_b32_e32 v1, v2, v3, vcc_lo
	v_cmp_eq_u32_e64 s3, 5, v0
	v_cmp_eq_u32_e32 vcc_lo, 13, v0
	s_delay_alu instid0(VALU_DEP_3) | instskip(SKIP_2) | instid1(VALU_DEP_3)
	v_cndmask_b32_e64 v1, v1, v4, s0
	v_cmp_eq_u32_e64 s0, 12, v0
	v_cndmask_b32_e32 v30, v15, v7, vcc_lo
	v_cndmask_b32_e64 v1, v1, v5, s1
	v_cmp_eq_u32_e64 s1, 14, v0
	s_delay_alu instid0(VALU_DEP_4) | instskip(NEXT) | instid1(VALU_DEP_3)
	v_cndmask_b32_e64 v29, v14, v7, s0
	v_cndmask_b32_e64 v1, v1, v6, s2
	v_cmp_eq_u32_e64 s2, 15, v0
	s_delay_alu instid0(VALU_DEP_4) | instskip(NEXT) | instid1(VALU_DEP_3)
	v_cndmask_b32_e64 v31, v16, v7, s1
	v_cndmask_b32_e64 v1, v1, v7, s3
	s_delay_alu instid0(VALU_DEP_3) | instskip(NEXT) | instid1(VALU_DEP_2)
	v_cndmask_b32_e64 v32, v17, v7, s2
	v_cndmask_b32_e64 v1, v1, v8, s4
	s_delay_alu instid0(VALU_DEP_1) | instskip(NEXT) | instid1(VALU_DEP_1)
	v_cndmask_b32_e64 v1, v1, v9, s5
	v_cndmask_b32_e64 v1, v1, v10, s6
	s_delay_alu instid0(VALU_DEP_1) | instskip(NEXT) | instid1(VALU_DEP_1)
	;; [unrolled: 3-line block ×3, first 2 shown]
	v_cndmask_b32_e64 v1, v1, v13, s9
	v_cndmask_b32_e64 v1, v1, v14, s0
	s_delay_alu instid0(VALU_DEP_1) | instskip(SKIP_1) | instid1(VALU_DEP_2)
	v_cndmask_b32_e32 v1, v1, v15, vcc_lo
	v_cmp_eq_u32_e32 vcc_lo, 0, v0
	v_cndmask_b32_e64 v1, v1, v16, s1
	s_delay_alu instid0(VALU_DEP_1) | instskip(SKIP_1) | instid1(VALU_DEP_2)
	v_cndmask_b32_e64 v1, v1, v17, s2
	v_cndmask_b32_e32 v17, v2, v7, vcc_lo
	v_cndmask_b32_e64 v22, v1, v7, s3
	s_delay_alu instid0(VALU_DEP_2) | instskip(SKIP_2) | instid1(VALU_DEP_4)
	v_mov_b32_e32 v2, v17
	v_dual_mov_b32 v4, v19 :: v_dual_mov_b32 v3, v18
	v_dual_mov_b32 v6, v21 :: v_dual_mov_b32 v5, v20
	;; [unrolled: 1-line block ×7, first 2 shown]
	v_mov_b32_e32 v17, v32
.LBB79_137:
	s_or_b32 exec_lo, exec_lo, s12
	v_dual_mov_b32 v0, s10 :: v_dual_mov_b32 v1, s11
	s_mov_b32 s12, exec_lo
	flat_load_b32 v0, v[0:1] offset:16
	s_waitcnt vmcnt(0) lgkmcnt(0)
	v_add_nc_u32_e32 v0, -1, v0
	s_delay_alu instid0(VALU_DEP_1)
	v_cmpx_ne_u32_e32 4, v0
	s_cbranch_execz .LBB79_139
; %bb.138:
	v_cmp_eq_u32_e32 vcc_lo, 1, v0
	v_cmp_eq_u32_e64 s0, 2, v0
	v_cmp_eq_u32_e64 s1, 3, v0
	v_cmp_eq_u32_e64 s2, 4, v0
	v_cmp_eq_u32_e64 s3, 5, v0
	v_dual_cndmask_b32 v1, v2, v3 :: v_dual_cndmask_b32 v18, v3, v6
	v_cmp_eq_u32_e64 s4, 6, v0
	v_cmp_eq_u32_e64 s5, 7, v0
	;; [unrolled: 1-line block ×3, first 2 shown]
	s_delay_alu instid0(VALU_DEP_4)
	v_cndmask_b32_e64 v1, v1, v4, s0
	v_cmp_eq_u32_e64 s7, 9, v0
	v_cmp_eq_u32_e64 s8, 10, v0
	;; [unrolled: 1-line block ×3, first 2 shown]
	v_cndmask_b32_e64 v19, v4, v6, s0
	v_cndmask_b32_e64 v1, v1, v5, s1
	v_cmp_eq_u32_e64 s0, 12, v0
	v_cmp_eq_u32_e32 vcc_lo, 13, v0
	v_cndmask_b32_e64 v20, v5, v6, s1
	v_cmp_eq_u32_e64 s1, 14, v0
	v_cndmask_b32_e64 v1, v1, v6, s2
	v_cndmask_b32_e64 v22, v7, v6, s3
	;; [unrolled: 1-line block ×6, first 2 shown]
	v_cmp_eq_u32_e64 s3, 15, v0
	v_cndmask_b32_e64 v26, v11, v6, s7
	v_cndmask_b32_e64 v27, v12, v6, s8
	;; [unrolled: 1-line block ×7, first 2 shown]
	v_cndmask_b32_e32 v30, v15, v6, vcc_lo
	v_cndmask_b32_e64 v1, v1, v9, s5
	s_delay_alu instid0(VALU_DEP_1) | instskip(NEXT) | instid1(VALU_DEP_1)
	v_cndmask_b32_e64 v1, v1, v10, s6
	v_cndmask_b32_e64 v1, v1, v11, s7
	s_delay_alu instid0(VALU_DEP_1) | instskip(NEXT) | instid1(VALU_DEP_1)
	v_cndmask_b32_e64 v1, v1, v12, s8
	;; [unrolled: 3-line block ×3, first 2 shown]
	v_cndmask_b32_e32 v1, v1, v15, vcc_lo
	v_cmp_eq_u32_e32 vcc_lo, 0, v0
	s_delay_alu instid0(VALU_DEP_2) | instskip(NEXT) | instid1(VALU_DEP_1)
	v_cndmask_b32_e64 v1, v1, v16, s1
	v_cndmask_b32_e64 v1, v1, v17, s3
	v_cndmask_b32_e32 v17, v2, v6, vcc_lo
	s_delay_alu instid0(VALU_DEP_2) | instskip(NEXT) | instid1(VALU_DEP_2)
	v_cndmask_b32_e64 v21, v1, v6, s2
	v_mov_b32_e32 v2, v17
	v_dual_mov_b32 v3, v18 :: v_dual_mov_b32 v4, v19
	s_delay_alu instid0(VALU_DEP_3)
	v_dual_mov_b32 v5, v20 :: v_dual_mov_b32 v6, v21
	v_dual_mov_b32 v7, v22 :: v_dual_mov_b32 v8, v23
	;; [unrolled: 1-line block ×6, first 2 shown]
	v_mov_b32_e32 v17, v32
.LBB79_139:
	s_or_b32 exec_lo, exec_lo, s12
	v_dual_mov_b32 v0, s10 :: v_dual_mov_b32 v1, s11
	s_mov_b32 s12, exec_lo
	flat_load_b32 v0, v[0:1] offset:12
	s_waitcnt vmcnt(0) lgkmcnt(0)
	v_add_nc_u32_e32 v0, -1, v0
	s_delay_alu instid0(VALU_DEP_1)
	v_cmpx_ne_u32_e32 3, v0
	s_cbranch_execz .LBB79_141
; %bb.140:
	v_cmp_eq_u32_e32 vcc_lo, 1, v0
	v_cmp_eq_u32_e64 s0, 2, v0
	v_cmp_eq_u32_e64 s1, 3, v0
	;; [unrolled: 1-line block ×4, first 2 shown]
	v_dual_cndmask_b32 v1, v2, v3 :: v_dual_cndmask_b32 v18, v3, v5
	v_cmp_eq_u32_e64 s4, 6, v0
	v_cmp_eq_u32_e64 s5, 7, v0
	;; [unrolled: 1-line block ×3, first 2 shown]
	s_delay_alu instid0(VALU_DEP_4)
	v_cndmask_b32_e64 v1, v1, v4, s0
	v_cmp_eq_u32_e64 s7, 9, v0
	v_cmp_eq_u32_e64 s8, 10, v0
	;; [unrolled: 1-line block ×3, first 2 shown]
	v_cndmask_b32_e64 v19, v4, v5, s0
	v_cndmask_b32_e64 v1, v1, v5, s1
	v_cmp_eq_u32_e64 s0, 12, v0
	v_cmp_eq_u32_e32 vcc_lo, 13, v0
	v_cndmask_b32_e64 v21, v6, v5, s2
	v_cndmask_b32_e64 v22, v7, v5, s3
	v_cndmask_b32_e64 v1, v1, v6, s2
	v_cmp_eq_u32_e64 s2, 14, v0
	v_cndmask_b32_e64 v23, v8, v5, s4
	v_cndmask_b32_e64 v24, v9, v5, s5
	;; [unrolled: 1-line block ×4, first 2 shown]
	v_cmp_eq_u32_e64 s3, 15, v0
	v_cndmask_b32_e64 v26, v11, v5, s7
	v_cndmask_b32_e64 v27, v12, v5, s8
	;; [unrolled: 1-line block ×7, first 2 shown]
	v_cndmask_b32_e32 v30, v15, v5, vcc_lo
	v_cndmask_b32_e64 v1, v1, v9, s5
	s_delay_alu instid0(VALU_DEP_1) | instskip(NEXT) | instid1(VALU_DEP_1)
	v_cndmask_b32_e64 v1, v1, v10, s6
	v_cndmask_b32_e64 v1, v1, v11, s7
	s_delay_alu instid0(VALU_DEP_1) | instskip(NEXT) | instid1(VALU_DEP_1)
	v_cndmask_b32_e64 v1, v1, v12, s8
	;; [unrolled: 3-line block ×3, first 2 shown]
	v_cndmask_b32_e32 v1, v1, v15, vcc_lo
	v_cmp_eq_u32_e32 vcc_lo, 0, v0
	s_delay_alu instid0(VALU_DEP_2) | instskip(NEXT) | instid1(VALU_DEP_1)
	v_cndmask_b32_e64 v1, v1, v16, s2
	v_cndmask_b32_e64 v1, v1, v17, s3
	v_cndmask_b32_e32 v17, v2, v5, vcc_lo
	s_delay_alu instid0(VALU_DEP_2) | instskip(NEXT) | instid1(VALU_DEP_2)
	v_cndmask_b32_e64 v20, v1, v5, s1
	v_mov_b32_e32 v2, v17
	v_dual_mov_b32 v3, v18 :: v_dual_mov_b32 v4, v19
	v_dual_mov_b32 v7, v22 :: v_dual_mov_b32 v8, v23
	s_delay_alu instid0(VALU_DEP_4)
	v_dual_mov_b32 v5, v20 :: v_dual_mov_b32 v6, v21
	v_dual_mov_b32 v9, v24 :: v_dual_mov_b32 v10, v25
	;; [unrolled: 1-line block ×5, first 2 shown]
	v_mov_b32_e32 v17, v32
.LBB79_141:
	s_or_b32 exec_lo, exec_lo, s12
	v_dual_mov_b32 v0, s10 :: v_dual_mov_b32 v1, s11
	s_mov_b32 s12, exec_lo
	flat_load_b32 v0, v[0:1] offset:8
	s_waitcnt vmcnt(0) lgkmcnt(0)
	v_add_nc_u32_e32 v0, -1, v0
	s_delay_alu instid0(VALU_DEP_1)
	v_cmpx_ne_u32_e32 2, v0
	s_cbranch_execz .LBB79_143
; %bb.142:
	v_cmp_eq_u32_e32 vcc_lo, 1, v0
	v_cmp_eq_u32_e64 s0, 2, v0
	v_cmp_eq_u32_e64 s1, 3, v0
	;; [unrolled: 1-line block ×4, first 2 shown]
	v_dual_cndmask_b32 v1, v2, v3 :: v_dual_cndmask_b32 v18, v3, v4
	v_cmp_eq_u32_e64 s4, 6, v0
	v_cmp_eq_u32_e64 s5, 7, v0
	;; [unrolled: 1-line block ×3, first 2 shown]
	s_delay_alu instid0(VALU_DEP_4)
	v_cndmask_b32_e64 v1, v1, v4, s0
	v_cmp_eq_u32_e64 s7, 9, v0
	v_cmp_eq_u32_e64 s8, 10, v0
	;; [unrolled: 1-line block ×3, first 2 shown]
	v_cmp_eq_u32_e32 vcc_lo, 12, v0
	v_cndmask_b32_e64 v1, v1, v5, s1
	v_cndmask_b32_e64 v20, v5, v4, s1
	;; [unrolled: 1-line block ×4, first 2 shown]
	v_cmp_eq_u32_e64 s1, 13, v0
	v_cndmask_b32_e64 v1, v1, v6, s2
	v_cmp_eq_u32_e64 s2, 14, v0
	v_cndmask_b32_e64 v23, v8, v4, s4
	v_cndmask_b32_e64 v24, v9, v4, s5
	;; [unrolled: 1-line block ×4, first 2 shown]
	v_cmp_eq_u32_e64 s3, 15, v0
	v_cndmask_b32_e64 v26, v11, v4, s7
	v_cndmask_b32_e64 v27, v12, v4, s8
	;; [unrolled: 1-line block ×4, first 2 shown]
	v_cndmask_b32_e32 v29, v14, v4, vcc_lo
	v_cndmask_b32_e64 v30, v15, v4, s1
	v_cndmask_b32_e64 v31, v16, v4, s2
	;; [unrolled: 1-line block ×4, first 2 shown]
	s_delay_alu instid0(VALU_DEP_1) | instskip(NEXT) | instid1(VALU_DEP_1)
	v_cndmask_b32_e64 v1, v1, v10, s6
	v_cndmask_b32_e64 v1, v1, v11, s7
	s_delay_alu instid0(VALU_DEP_1) | instskip(NEXT) | instid1(VALU_DEP_1)
	v_cndmask_b32_e64 v1, v1, v12, s8
	v_cndmask_b32_e64 v1, v1, v13, s9
	s_delay_alu instid0(VALU_DEP_1) | instskip(SKIP_1) | instid1(VALU_DEP_2)
	v_cndmask_b32_e32 v1, v1, v14, vcc_lo
	v_cmp_eq_u32_e32 vcc_lo, 0, v0
	v_cndmask_b32_e64 v1, v1, v15, s1
	s_delay_alu instid0(VALU_DEP_1) | instskip(NEXT) | instid1(VALU_DEP_1)
	v_cndmask_b32_e64 v1, v1, v16, s2
	v_cndmask_b32_e64 v1, v1, v17, s3
	v_cndmask_b32_e32 v17, v2, v4, vcc_lo
	s_delay_alu instid0(VALU_DEP_2) | instskip(NEXT) | instid1(VALU_DEP_2)
	v_cndmask_b32_e64 v19, v1, v4, s0
	v_mov_b32_e32 v2, v17
	v_dual_mov_b32 v3, v18 :: v_dual_mov_b32 v6, v21
	v_dual_mov_b32 v5, v20 :: v_dual_mov_b32 v8, v23
	s_delay_alu instid0(VALU_DEP_4)
	v_dual_mov_b32 v4, v19 :: v_dual_mov_b32 v7, v22
	v_dual_mov_b32 v10, v25 :: v_dual_mov_b32 v9, v24
	;; [unrolled: 1-line block ×5, first 2 shown]
	v_mov_b32_e32 v17, v32
.LBB79_143:
	s_or_b32 exec_lo, exec_lo, s12
	v_dual_mov_b32 v0, s10 :: v_dual_mov_b32 v1, s11
	s_mov_b32 s12, exec_lo
	flat_load_b32 v0, v[0:1] offset:4
	s_waitcnt vmcnt(0) lgkmcnt(0)
	v_add_nc_u32_e32 v0, -1, v0
	s_delay_alu instid0(VALU_DEP_1)
	v_cmpx_ne_u32_e32 1, v0
	s_cbranch_execz .LBB79_145
; %bb.144:
	v_cmp_eq_u32_e32 vcc_lo, 1, v0
	v_cmp_eq_u32_e64 s0, 2, v0
	v_cmp_eq_u32_e64 s1, 3, v0
	;; [unrolled: 1-line block ×10, first 2 shown]
	v_cndmask_b32_e64 v18, v4, v3, s0
	v_cndmask_b32_e64 v19, v5, v3, s1
	;; [unrolled: 1-line block ×10, first 2 shown]
	v_cndmask_b32_e32 v1, v2, v3, vcc_lo
	s_delay_alu instid0(VALU_DEP_1) | instskip(SKIP_1) | instid1(VALU_DEP_2)
	v_cndmask_b32_e64 v1, v1, v4, s0
	v_cmp_eq_u32_e64 s0, 12, v0
	v_cndmask_b32_e64 v1, v1, v5, s1
	v_cmp_eq_u32_e64 s1, 13, v0
	s_delay_alu instid0(VALU_DEP_3) | instskip(NEXT) | instid1(VALU_DEP_3)
	v_cndmask_b32_e64 v28, v14, v3, s0
	v_cndmask_b32_e64 v1, v1, v6, s2
	v_cmp_eq_u32_e64 s2, 14, v0
	s_delay_alu instid0(VALU_DEP_4) | instskip(NEXT) | instid1(VALU_DEP_3)
	v_cndmask_b32_e64 v29, v15, v3, s1
	v_cndmask_b32_e64 v1, v1, v7, s3
	v_cmp_eq_u32_e64 s3, 15, v0
	s_delay_alu instid0(VALU_DEP_4) | instskip(NEXT) | instid1(VALU_DEP_3)
	v_cndmask_b32_e64 v30, v16, v3, s2
	v_cndmask_b32_e64 v1, v1, v8, s4
	s_delay_alu instid0(VALU_DEP_3) | instskip(NEXT) | instid1(VALU_DEP_2)
	v_cndmask_b32_e64 v31, v17, v3, s3
	v_cndmask_b32_e64 v1, v1, v9, s5
	s_delay_alu instid0(VALU_DEP_1) | instskip(NEXT) | instid1(VALU_DEP_1)
	v_cndmask_b32_e64 v1, v1, v10, s6
	v_cndmask_b32_e64 v1, v1, v11, s7
	s_delay_alu instid0(VALU_DEP_1) | instskip(NEXT) | instid1(VALU_DEP_1)
	;; [unrolled: 3-line block ×4, first 2 shown]
	v_cndmask_b32_e64 v1, v1, v16, s2
	v_cndmask_b32_e64 v1, v1, v17, s3
	s_delay_alu instid0(VALU_DEP_1) | instskip(SKIP_2) | instid1(VALU_DEP_1)
	v_cndmask_b32_e32 v17, v1, v3, vcc_lo
	v_cmp_eq_u32_e32 vcc_lo, 0, v0
	v_cndmask_b32_e32 v16, v2, v3, vcc_lo
	v_mov_b32_e32 v2, v16
	s_delay_alu instid0(VALU_DEP_4)
	v_dual_mov_b32 v3, v17 :: v_dual_mov_b32 v4, v18
	v_dual_mov_b32 v5, v19 :: v_dual_mov_b32 v6, v20
	;; [unrolled: 1-line block ×7, first 2 shown]
	v_mov_b32_e32 v17, v31
.LBB79_145:
	s_or_b32 exec_lo, exec_lo, s12
	v_dual_mov_b32 v0, s10 :: v_dual_mov_b32 v1, s11
	s_mov_b32 s10, exec_lo
	flat_load_b32 v0, v[0:1]
	s_waitcnt vmcnt(0) lgkmcnt(0)
	v_add_nc_u32_e32 v0, -1, v0
	s_delay_alu instid0(VALU_DEP_1)
	v_cmpx_ne_u32_e32 0, v0
	s_cbranch_execz .LBB79_147
; %bb.146:
	v_cmp_eq_u32_e32 vcc_lo, 1, v0
	v_cmp_eq_u32_e64 s0, 2, v0
	v_cmp_eq_u32_e64 s1, 3, v0
	;; [unrolled: 1-line block ×10, first 2 shown]
	v_cndmask_b32_e64 v18, v4, v2, s0
	v_cndmask_b32_e64 v19, v5, v2, s1
	;; [unrolled: 1-line block ×10, first 2 shown]
	v_cndmask_b32_e32 v1, v2, v3, vcc_lo
	s_delay_alu instid0(VALU_DEP_1) | instskip(SKIP_1) | instid1(VALU_DEP_2)
	v_cndmask_b32_e64 v1, v1, v4, s0
	v_cmp_eq_u32_e64 s0, 12, v0
	v_cndmask_b32_e64 v1, v1, v5, s1
	v_cmp_eq_u32_e64 s1, 13, v0
	s_delay_alu instid0(VALU_DEP_3) | instskip(NEXT) | instid1(VALU_DEP_3)
	v_cndmask_b32_e64 v28, v14, v2, s0
	v_cndmask_b32_e64 v1, v1, v6, s2
	v_cmp_eq_u32_e64 s2, 14, v0
	s_delay_alu instid0(VALU_DEP_4) | instskip(NEXT) | instid1(VALU_DEP_3)
	v_cndmask_b32_e64 v29, v15, v2, s1
	v_cndmask_b32_e64 v1, v1, v7, s3
	v_cmp_eq_u32_e64 s3, 15, v0
	s_delay_alu instid0(VALU_DEP_4) | instskip(NEXT) | instid1(VALU_DEP_3)
	v_cndmask_b32_e64 v30, v16, v2, s2
	v_cndmask_b32_e64 v1, v1, v8, s4
	s_delay_alu instid0(VALU_DEP_3) | instskip(NEXT) | instid1(VALU_DEP_2)
	v_cndmask_b32_e64 v31, v17, v2, s3
	v_cndmask_b32_e64 v1, v1, v9, s5
	s_delay_alu instid0(VALU_DEP_1) | instskip(NEXT) | instid1(VALU_DEP_1)
	v_cndmask_b32_e64 v1, v1, v10, s6
	v_cndmask_b32_e64 v1, v1, v11, s7
	s_delay_alu instid0(VALU_DEP_1) | instskip(NEXT) | instid1(VALU_DEP_1)
	v_cndmask_b32_e64 v1, v1, v12, s8
	v_cndmask_b32_e64 v1, v1, v13, s9
	s_delay_alu instid0(VALU_DEP_1) | instskip(SKIP_1) | instid1(VALU_DEP_2)
	v_cndmask_b32_e64 v1, v1, v14, s0
	v_cmp_eq_u32_e64 s0, 0, v0
	v_cndmask_b32_e64 v1, v1, v15, s1
	s_delay_alu instid0(VALU_DEP_1) | instskip(NEXT) | instid1(VALU_DEP_1)
	v_cndmask_b32_e64 v1, v1, v16, s2
	v_cndmask_b32_e64 v1, v1, v17, s3
	v_cndmask_b32_e32 v17, v3, v2, vcc_lo
	s_delay_alu instid0(VALU_DEP_2) | instskip(NEXT) | instid1(VALU_DEP_1)
	v_cndmask_b32_e64 v16, v1, v2, s0
	v_mov_b32_e32 v2, v16
	s_delay_alu instid0(VALU_DEP_3)
	v_dual_mov_b32 v3, v17 :: v_dual_mov_b32 v4, v18
	v_dual_mov_b32 v5, v19 :: v_dual_mov_b32 v6, v20
	;; [unrolled: 1-line block ×7, first 2 shown]
	v_mov_b32_e32 v17, v31
.LBB79_147:
	s_or_b32 exec_lo, exec_lo, s10
.LBB79_148:
	s_clause 0xf
	global_store_b32 v[33:34], v2, off
	global_store_b32 v[35:36], v3, off
	;; [unrolled: 1-line block ×16, first 2 shown]
	s_nop 0
	s_sendmsg sendmsg(MSG_DEALLOC_VGPRS)
	s_endpgm
	.section	.rodata,"a",@progbits
	.p2align	6, 0x0
	.amdhsa_kernel _ZN9rocsolver6v33100L18getri_kernel_smallILi16EfPKPfEEvT1_iilPiilS6_bb
		.amdhsa_group_segment_fixed_size 132
		.amdhsa_private_segment_fixed_size 0
		.amdhsa_kernarg_size 60
		.amdhsa_user_sgpr_count 15
		.amdhsa_user_sgpr_dispatch_ptr 0
		.amdhsa_user_sgpr_queue_ptr 0
		.amdhsa_user_sgpr_kernarg_segment_ptr 1
		.amdhsa_user_sgpr_dispatch_id 0
		.amdhsa_user_sgpr_private_segment_size 0
		.amdhsa_wavefront_size32 1
		.amdhsa_uses_dynamic_stack 0
		.amdhsa_enable_private_segment 0
		.amdhsa_system_sgpr_workgroup_id_x 1
		.amdhsa_system_sgpr_workgroup_id_y 0
		.amdhsa_system_sgpr_workgroup_id_z 0
		.amdhsa_system_sgpr_workgroup_info 0
		.amdhsa_system_vgpr_workitem_id 0
		.amdhsa_next_free_vgpr 65
		.amdhsa_next_free_sgpr 17
		.amdhsa_reserve_vcc 1
		.amdhsa_float_round_mode_32 0
		.amdhsa_float_round_mode_16_64 0
		.amdhsa_float_denorm_mode_32 3
		.amdhsa_float_denorm_mode_16_64 3
		.amdhsa_dx10_clamp 1
		.amdhsa_ieee_mode 1
		.amdhsa_fp16_overflow 0
		.amdhsa_workgroup_processor_mode 1
		.amdhsa_memory_ordered 1
		.amdhsa_forward_progress 0
		.amdhsa_shared_vgpr_count 0
		.amdhsa_exception_fp_ieee_invalid_op 0
		.amdhsa_exception_fp_denorm_src 0
		.amdhsa_exception_fp_ieee_div_zero 0
		.amdhsa_exception_fp_ieee_overflow 0
		.amdhsa_exception_fp_ieee_underflow 0
		.amdhsa_exception_fp_ieee_inexact 0
		.amdhsa_exception_int_div_zero 0
	.end_amdhsa_kernel
	.section	.text._ZN9rocsolver6v33100L18getri_kernel_smallILi16EfPKPfEEvT1_iilPiilS6_bb,"axG",@progbits,_ZN9rocsolver6v33100L18getri_kernel_smallILi16EfPKPfEEvT1_iilPiilS6_bb,comdat
.Lfunc_end79:
	.size	_ZN9rocsolver6v33100L18getri_kernel_smallILi16EfPKPfEEvT1_iilPiilS6_bb, .Lfunc_end79-_ZN9rocsolver6v33100L18getri_kernel_smallILi16EfPKPfEEvT1_iilPiilS6_bb
                                        ; -- End function
	.section	.AMDGPU.csdata,"",@progbits
; Kernel info:
; codeLenInByte = 20156
; NumSgprs: 19
; NumVgprs: 65
; ScratchSize: 0
; MemoryBound: 0
; FloatMode: 240
; IeeeMode: 1
; LDSByteSize: 132 bytes/workgroup (compile time only)
; SGPRBlocks: 2
; VGPRBlocks: 8
; NumSGPRsForWavesPerEU: 19
; NumVGPRsForWavesPerEU: 65
; Occupancy: 16
; WaveLimiterHint : 1
; COMPUTE_PGM_RSRC2:SCRATCH_EN: 0
; COMPUTE_PGM_RSRC2:USER_SGPR: 15
; COMPUTE_PGM_RSRC2:TRAP_HANDLER: 0
; COMPUTE_PGM_RSRC2:TGID_X_EN: 1
; COMPUTE_PGM_RSRC2:TGID_Y_EN: 0
; COMPUTE_PGM_RSRC2:TGID_Z_EN: 0
; COMPUTE_PGM_RSRC2:TIDIG_COMP_CNT: 0
	.section	.text._ZN9rocsolver6v33100L18getri_kernel_smallILi17EfPKPfEEvT1_iilPiilS6_bb,"axG",@progbits,_ZN9rocsolver6v33100L18getri_kernel_smallILi17EfPKPfEEvT1_iilPiilS6_bb,comdat
	.globl	_ZN9rocsolver6v33100L18getri_kernel_smallILi17EfPKPfEEvT1_iilPiilS6_bb ; -- Begin function _ZN9rocsolver6v33100L18getri_kernel_smallILi17EfPKPfEEvT1_iilPiilS6_bb
	.p2align	8
	.type	_ZN9rocsolver6v33100L18getri_kernel_smallILi17EfPKPfEEvT1_iilPiilS6_bb,@function
_ZN9rocsolver6v33100L18getri_kernel_smallILi17EfPKPfEEvT1_iilPiilS6_bb: ; @_ZN9rocsolver6v33100L18getri_kernel_smallILi17EfPKPfEEvT1_iilPiilS6_bb
; %bb.0:
	s_mov_b32 s2, exec_lo
	v_cmpx_gt_u32_e32 17, v0
	s_cbranch_execz .LBB80_76
; %bb.1:
	s_clause 0x1
	s_load_b32 s13, s[0:1], 0x38
	s_load_b64 s[2:3], s[0:1], 0x0
	s_mov_b32 s8, s15
	s_load_b128 s[4:7], s[0:1], 0x28
	s_waitcnt lgkmcnt(0)
	s_bitcmp1_b32 s13, 8
	s_cselect_b32 s12, -1, 0
	s_ashr_i32 s9, s15, 31
	s_delay_alu instid0(SALU_CYCLE_1) | instskip(NEXT) | instid1(SALU_CYCLE_1)
	s_lshl_b64 s[10:11], s[8:9], 3
	s_add_u32 s2, s2, s10
	s_addc_u32 s3, s3, s11
	s_load_b64 s[10:11], s[2:3], 0x0
	s_bfe_u32 s2, s13, 0x10008
	s_delay_alu instid0(SALU_CYCLE_1)
	s_cmp_eq_u32 s2, 0
                                        ; implicit-def: $sgpr2_sgpr3
	s_cbranch_scc1 .LBB80_3
; %bb.2:
	s_clause 0x1
	s_load_b32 s2, s[0:1], 0x20
	s_load_b64 s[14:15], s[0:1], 0x18
	s_mul_i32 s3, s8, s5
	s_mul_hi_u32 s5, s8, s4
	s_mul_i32 s16, s9, s4
	s_add_i32 s3, s5, s3
	s_mul_i32 s4, s8, s4
	s_add_i32 s5, s3, s16
	s_delay_alu instid0(SALU_CYCLE_1)
	s_lshl_b64 s[4:5], s[4:5], 2
	s_waitcnt lgkmcnt(0)
	s_ashr_i32 s3, s2, 31
	s_add_u32 s4, s14, s4
	s_addc_u32 s5, s15, s5
	s_lshl_b64 s[2:3], s[2:3], 2
	s_delay_alu instid0(SALU_CYCLE_1)
	s_add_u32 s2, s4, s2
	s_addc_u32 s3, s5, s3
.LBB80_3:
	s_load_b64 s[0:1], s[0:1], 0x8
	v_lshlrev_b32_e32 v1, 2, v0
	s_waitcnt lgkmcnt(0)
	v_add3_u32 v2, s1, s1, v0
	s_ashr_i32 s5, s0, 31
	s_mov_b32 s4, s0
	s_mov_b32 s14, s1
	s_lshl_b64 s[4:5], s[4:5], 2
	v_add_nc_u32_e32 v8, s1, v2
	v_ashrrev_i32_e32 v3, 31, v2
	s_add_u32 s4, s10, s4
	s_addc_u32 s5, s11, s5
	v_add_co_u32 v4, s0, s4, v1
	v_add_nc_u32_e32 v10, s1, v8
	s_ashr_i32 s15, s1, 31
	v_add_co_ci_u32_e64 v5, null, s5, 0, s0
	v_lshlrev_b64 v[2:3], 2, v[2:3]
	s_delay_alu instid0(VALU_DEP_3)
	v_add_nc_u32_e32 v14, s1, v10
	v_ashrrev_i32_e32 v9, 31, v8
	s_lshl_b64 s[10:11], s[14:15], 2
	v_ashrrev_i32_e32 v11, 31, v10
	v_add_co_u32 v6, vcc_lo, v4, s10
	v_add_nc_u32_e32 v16, s1, v14
	v_add_co_ci_u32_e32 v7, vcc_lo, s11, v5, vcc_lo
	v_lshlrev_b64 v[12:13], 2, v[8:9]
	v_add_co_u32 v8, vcc_lo, s4, v2
	s_delay_alu instid0(VALU_DEP_4) | instskip(SKIP_3) | instid1(VALU_DEP_4)
	v_add_nc_u32_e32 v18, s1, v16
	v_add_co_ci_u32_e32 v9, vcc_lo, s5, v3, vcc_lo
	v_lshlrev_b64 v[2:3], 2, v[10:11]
	v_ashrrev_i32_e32 v15, 31, v14
	v_add_nc_u32_e32 v20, s1, v18
	v_add_co_u32 v10, vcc_lo, s4, v12
	v_ashrrev_i32_e32 v17, 31, v16
	v_add_co_ci_u32_e32 v11, vcc_lo, s5, v13, vcc_lo
	v_lshlrev_b64 v[14:15], 2, v[14:15]
	v_add_co_u32 v12, vcc_lo, s4, v2
	v_add_nc_u32_e32 v22, s1, v20
	v_add_co_ci_u32_e32 v13, vcc_lo, s5, v3, vcc_lo
	v_lshlrev_b64 v[2:3], 2, v[16:17]
	v_ashrrev_i32_e32 v19, 31, v18
	v_add_co_u32 v14, vcc_lo, s4, v14
	v_ashrrev_i32_e32 v21, 31, v20
	v_add_nc_u32_e32 v24, s1, v22
	v_add_co_ci_u32_e32 v15, vcc_lo, s5, v15, vcc_lo
	v_lshlrev_b64 v[18:19], 2, v[18:19]
	v_add_co_u32 v16, vcc_lo, s4, v2
	v_add_co_ci_u32_e32 v17, vcc_lo, s5, v3, vcc_lo
	v_lshlrev_b64 v[2:3], 2, v[20:21]
	v_add_nc_u32_e32 v26, s1, v24
	v_add_co_u32 v18, vcc_lo, s4, v18
	v_ashrrev_i32_e32 v23, 31, v22
	v_add_co_ci_u32_e32 v19, vcc_lo, s5, v19, vcc_lo
	s_delay_alu instid0(VALU_DEP_4)
	v_add_nc_u32_e32 v28, s1, v26
	v_add_co_u32 v20, vcc_lo, s4, v2
	v_add_co_ci_u32_e32 v21, vcc_lo, s5, v3, vcc_lo
	v_lshlrev_b64 v[2:3], 2, v[22:23]
	v_ashrrev_i32_e32 v25, 31, v24
	v_add_nc_u32_e32 v30, s1, v28
	v_ashrrev_i32_e32 v27, 31, v26
	v_ashrrev_i32_e32 v29, 31, v28
	global_load_b32 v38, v1, s[4:5]
	v_lshlrev_b64 v[24:25], 2, v[24:25]
	v_add_co_u32 v22, vcc_lo, s4, v2
	v_add_nc_u32_e32 v32, s1, v30
	v_add_co_ci_u32_e32 v23, vcc_lo, s5, v3, vcc_lo
	v_lshlrev_b64 v[2:3], 2, v[26:27]
	v_add_co_u32 v24, vcc_lo, s4, v24
	v_ashrrev_i32_e32 v31, 31, v30
	v_add_nc_u32_e32 v34, s1, v32
	v_add_co_ci_u32_e32 v25, vcc_lo, s5, v25, vcc_lo
	v_lshlrev_b64 v[28:29], 2, v[28:29]
	v_add_co_u32 v26, vcc_lo, s4, v2
	v_add_co_ci_u32_e32 v27, vcc_lo, s5, v3, vcc_lo
	v_lshlrev_b64 v[2:3], 2, v[30:31]
	v_ashrrev_i32_e32 v33, 31, v32
	v_add_nc_u32_e32 v36, s1, v34
	v_add_co_u32 v28, vcc_lo, s4, v28
	v_ashrrev_i32_e32 v35, 31, v34
	v_add_co_ci_u32_e32 v29, vcc_lo, s5, v29, vcc_lo
	v_lshlrev_b64 v[32:33], 2, v[32:33]
	v_add_co_u32 v30, vcc_lo, s4, v2
	v_ashrrev_i32_e32 v37, 31, v36
	v_add_co_ci_u32_e32 v31, vcc_lo, s5, v3, vcc_lo
	v_lshlrev_b64 v[2:3], 2, v[34:35]
	v_add_co_u32 v32, vcc_lo, s4, v32
	s_delay_alu instid0(VALU_DEP_4) | instskip(SKIP_1) | instid1(VALU_DEP_4)
	v_lshlrev_b64 v[36:37], 2, v[36:37]
	v_add_co_ci_u32_e32 v33, vcc_lo, s5, v33, vcc_lo
	v_add_co_u32 v34, vcc_lo, s4, v2
	v_add_co_ci_u32_e32 v35, vcc_lo, s5, v3, vcc_lo
	s_delay_alu instid0(VALU_DEP_4)
	v_add_co_u32 v36, vcc_lo, s4, v36
	s_clause 0x7
	global_load_b32 v39, v[6:7], off
	global_load_b32 v40, v[8:9], off
	global_load_b32 v41, v[10:11], off
	global_load_b32 v42, v[12:13], off
	global_load_b32 v43, v[14:15], off
	global_load_b32 v44, v[16:17], off
	global_load_b32 v45, v[18:19], off
	global_load_b32 v46, v[20:21], off
	v_add_co_ci_u32_e32 v37, vcc_lo, s5, v37, vcc_lo
	s_clause 0x7
	global_load_b32 v47, v[22:23], off
	global_load_b32 v48, v[24:25], off
	;; [unrolled: 1-line block ×8, first 2 shown]
	s_bitcmp0_b32 s13, 0
	s_mov_b32 s1, -1
	s_waitcnt vmcnt(13)
	scratch_store_b128 off, v[38:41], off
	s_waitcnt vmcnt(9)
	scratch_store_b128 off, v[42:45], off offset:16
	s_waitcnt vmcnt(5)
	scratch_store_b128 off, v[46:49], off offset:32
	;; [unrolled: 2-line block ×3, first 2 shown]
	s_waitcnt vmcnt(0)
	scratch_store_b32 off, v2, off offset:64
	s_cbranch_scc1 .LBB80_74
; %bb.4:
	v_cmp_eq_u32_e64 s0, 0, v0
	s_delay_alu instid0(VALU_DEP_1)
	s_and_saveexec_b32 s1, s0
	s_cbranch_execz .LBB80_6
; %bb.5:
	v_mov_b32_e32 v2, 0
	ds_store_b32 v2, v2 offset:68
.LBB80_6:
	s_or_b32 exec_lo, exec_lo, s1
	s_waitcnt lgkmcnt(0)
	s_waitcnt_vscnt null, 0x0
	s_barrier
	buffer_gl0_inv
	scratch_load_b32 v2, v1, off
	s_mov_b32 s4, exec_lo
	s_waitcnt vmcnt(0)
	v_cmpx_eq_f32_e32 0, v2
	s_cbranch_execz .LBB80_10
; %bb.7:
	v_mov_b32_e32 v2, 0
	s_mov_b32 s5, 0
	ds_load_b32 v3, v2 offset:68
	s_waitcnt lgkmcnt(0)
	v_readfirstlane_b32 s1, v3
	v_add_nc_u32_e32 v3, 1, v0
	s_delay_alu instid0(VALU_DEP_2) | instskip(NEXT) | instid1(VALU_DEP_1)
	s_cmp_eq_u32 s1, 0
	v_cmp_gt_i32_e32 vcc_lo, s1, v3
	s_cselect_b32 s10, -1, 0
	s_delay_alu instid0(SALU_CYCLE_1) | instskip(NEXT) | instid1(SALU_CYCLE_1)
	s_or_b32 s10, s10, vcc_lo
	s_and_b32 exec_lo, exec_lo, s10
	s_cbranch_execz .LBB80_10
; %bb.8:
	v_mov_b32_e32 v38, s1
.LBB80_9:                               ; =>This Inner Loop Header: Depth=1
	ds_cmpstore_rtn_b32 v38, v2, v3, v38 offset:68
	s_waitcnt lgkmcnt(0)
	v_cmp_ne_u32_e32 vcc_lo, 0, v38
	v_cmp_le_i32_e64 s1, v38, v3
	s_delay_alu instid0(VALU_DEP_1) | instskip(NEXT) | instid1(SALU_CYCLE_1)
	s_and_b32 s1, vcc_lo, s1
	s_and_b32 s1, exec_lo, s1
	s_delay_alu instid0(SALU_CYCLE_1) | instskip(NEXT) | instid1(SALU_CYCLE_1)
	s_or_b32 s5, s1, s5
	s_and_not1_b32 exec_lo, exec_lo, s5
	s_cbranch_execnz .LBB80_9
.LBB80_10:
	s_or_b32 exec_lo, exec_lo, s4
	v_mov_b32_e32 v2, 0
	s_barrier
	buffer_gl0_inv
	ds_load_b32 v3, v2 offset:68
	s_and_saveexec_b32 s1, s0
	s_cbranch_execz .LBB80_12
; %bb.11:
	s_lshl_b64 s[4:5], s[8:9], 2
	s_delay_alu instid0(SALU_CYCLE_1)
	s_add_u32 s4, s6, s4
	s_addc_u32 s5, s7, s5
	s_waitcnt lgkmcnt(0)
	global_store_b32 v2, v3, s[4:5]
.LBB80_12:
	s_or_b32 exec_lo, exec_lo, s1
	s_waitcnt lgkmcnt(0)
	v_cmp_ne_u32_e32 vcc_lo, 0, v3
	s_mov_b32 s1, 0
	s_cbranch_vccnz .LBB80_74
; %bb.13:
	v_add_nc_u32_e32 v2, 0, v1
	scratch_load_b32 v3, v2, off
	s_waitcnt vmcnt(0)
	v_div_scale_f32 v38, null, v3, v3, 1.0
	v_div_scale_f32 v41, vcc_lo, 1.0, v3, 1.0
	s_delay_alu instid0(VALU_DEP_2) | instskip(SKIP_2) | instid1(VALU_DEP_1)
	v_rcp_f32_e32 v39, v38
	s_waitcnt_depctr 0xfff
	v_fma_f32 v40, -v38, v39, 1.0
	v_fmac_f32_e32 v39, v40, v39
	s_delay_alu instid0(VALU_DEP_1) | instskip(NEXT) | instid1(VALU_DEP_1)
	v_mul_f32_e32 v40, v41, v39
	v_fma_f32 v42, -v38, v40, v41
	s_delay_alu instid0(VALU_DEP_1) | instskip(NEXT) | instid1(VALU_DEP_1)
	v_fmac_f32_e32 v40, v42, v39
	v_fma_f32 v38, -v38, v40, v41
	s_delay_alu instid0(VALU_DEP_1) | instskip(NEXT) | instid1(VALU_DEP_1)
	v_div_fmas_f32 v38, v38, v39, v40
	v_div_fixup_f32 v3, v38, v3, 1.0
	scratch_store_b32 v2, v3, off
	scratch_load_b32 v38, off, off offset:4
	v_xor_b32_e32 v39, 0x80000000, v3
	v_add_nc_u32_e32 v3, 0x50, v1
	s_waitcnt vmcnt(0)
	ds_store_2addr_b32 v1, v39, v38 offset1:20
	s_waitcnt lgkmcnt(0)
	s_waitcnt_vscnt null, 0x0
	s_barrier
	buffer_gl0_inv
	s_and_saveexec_b32 s1, s0
	s_cbranch_execz .LBB80_15
; %bb.14:
	scratch_load_b32 v38, v2, off
	ds_load_b32 v39, v3
	v_mov_b32_e32 v40, 0
	ds_load_b32 v40, v40 offset:4
	s_waitcnt vmcnt(0) lgkmcnt(1)
	v_fma_f32 v38, v38, v39, 0
	s_waitcnt lgkmcnt(0)
	s_delay_alu instid0(VALU_DEP_1)
	v_mul_f32_e32 v38, v38, v40
	scratch_store_b32 off, v38, off offset:4
.LBB80_15:
	s_or_b32 exec_lo, exec_lo, s1
	s_waitcnt_vscnt null, 0x0
	s_barrier
	buffer_gl0_inv
	scratch_load_b32 v38, off, off offset:8
	s_mov_b32 s1, exec_lo
	s_waitcnt vmcnt(0)
	ds_store_b32 v3, v38
	s_waitcnt lgkmcnt(0)
	s_barrier
	buffer_gl0_inv
	v_cmpx_gt_u32_e32 2, v0
	s_cbranch_execz .LBB80_17
; %bb.16:
	scratch_load_b32 v40, v2, off
	scratch_load_b32 v41, off, off offset:4
	ds_load_b32 v42, v3
	v_mov_b32_e32 v38, 0
	ds_load_2addr_b32 v[38:39], v38 offset0:2 offset1:21
	s_waitcnt vmcnt(1) lgkmcnt(1)
	v_fma_f32 v40, v40, v42, 0
	s_waitcnt vmcnt(0) lgkmcnt(0)
	s_delay_alu instid0(VALU_DEP_1) | instskip(NEXT) | instid1(VALU_DEP_1)
	v_fma_f32 v39, v41, v39, v40
	v_cndmask_b32_e64 v39, v40, v39, s0
	s_delay_alu instid0(VALU_DEP_1)
	v_mul_f32_e32 v38, v39, v38
	scratch_store_b32 off, v38, off offset:8
.LBB80_17:
	s_or_b32 exec_lo, exec_lo, s1
	s_waitcnt_vscnt null, 0x0
	s_barrier
	buffer_gl0_inv
	scratch_load_b32 v39, off, off offset:12
	v_add_nc_u32_e32 v38, -1, v0
	s_mov_b32 s0, exec_lo
	s_waitcnt vmcnt(0)
	ds_store_b32 v3, v39
	s_waitcnt lgkmcnt(0)
	s_barrier
	buffer_gl0_inv
	v_cmpx_gt_u32_e32 3, v0
	s_cbranch_execz .LBB80_21
; %bb.18:
	v_dual_mov_b32 v39, 0 :: v_dual_add_nc_u32 v40, -1, v0
	v_add_nc_u32_e32 v41, 0x50, v1
	v_add_nc_u32_e32 v42, 0, v1
	s_mov_b32 s1, 0
.LBB80_19:                              ; =>This Inner Loop Header: Depth=1
	scratch_load_b32 v43, v42, off
	ds_load_b32 v44, v41
	v_add_nc_u32_e32 v40, 1, v40
	v_add_nc_u32_e32 v41, 4, v41
	v_add_nc_u32_e32 v42, 4, v42
	s_delay_alu instid0(VALU_DEP_3)
	v_cmp_lt_u32_e32 vcc_lo, 1, v40
	s_or_b32 s1, vcc_lo, s1
	s_waitcnt vmcnt(0) lgkmcnt(0)
	v_fmac_f32_e32 v39, v43, v44
	s_and_not1_b32 exec_lo, exec_lo, s1
	s_cbranch_execnz .LBB80_19
; %bb.20:
	s_or_b32 exec_lo, exec_lo, s1
	v_mov_b32_e32 v40, 0
	ds_load_b32 v40, v40 offset:12
	s_waitcnt lgkmcnt(0)
	v_mul_f32_e32 v39, v39, v40
	scratch_store_b32 off, v39, off offset:12
.LBB80_21:
	s_or_b32 exec_lo, exec_lo, s0
	s_waitcnt_vscnt null, 0x0
	s_barrier
	buffer_gl0_inv
	scratch_load_b32 v39, off, off offset:16
	s_mov_b32 s0, exec_lo
	s_waitcnt vmcnt(0)
	ds_store_b32 v3, v39
	s_waitcnt lgkmcnt(0)
	s_barrier
	buffer_gl0_inv
	v_cmpx_gt_u32_e32 4, v0
	s_cbranch_execz .LBB80_25
; %bb.22:
	v_dual_mov_b32 v39, 0 :: v_dual_add_nc_u32 v40, -1, v0
	v_add_nc_u32_e32 v41, 0x50, v1
	v_add_nc_u32_e32 v42, 0, v1
	s_mov_b32 s1, 0
.LBB80_23:                              ; =>This Inner Loop Header: Depth=1
	scratch_load_b32 v43, v42, off
	ds_load_b32 v44, v41
	v_add_nc_u32_e32 v40, 1, v40
	v_add_nc_u32_e32 v41, 4, v41
	v_add_nc_u32_e32 v42, 4, v42
	s_delay_alu instid0(VALU_DEP_3)
	v_cmp_lt_u32_e32 vcc_lo, 2, v40
	s_or_b32 s1, vcc_lo, s1
	s_waitcnt vmcnt(0) lgkmcnt(0)
	v_fmac_f32_e32 v39, v43, v44
	s_and_not1_b32 exec_lo, exec_lo, s1
	s_cbranch_execnz .LBB80_23
; %bb.24:
	s_or_b32 exec_lo, exec_lo, s1
	v_mov_b32_e32 v40, 0
	ds_load_b32 v40, v40 offset:16
	s_waitcnt lgkmcnt(0)
	v_mul_f32_e32 v39, v39, v40
	scratch_store_b32 off, v39, off offset:16
.LBB80_25:
	s_or_b32 exec_lo, exec_lo, s0
	s_waitcnt_vscnt null, 0x0
	s_barrier
	buffer_gl0_inv
	scratch_load_b32 v39, off, off offset:20
	;; [unrolled: 39-line block ×12, first 2 shown]
	s_mov_b32 s0, exec_lo
	s_waitcnt vmcnt(0)
	ds_store_b32 v3, v39
	s_waitcnt lgkmcnt(0)
	s_barrier
	buffer_gl0_inv
	v_cmpx_gt_u32_e32 15, v0
	s_cbranch_execz .LBB80_69
; %bb.66:
	v_add_nc_u32_e32 v39, -1, v0
	v_add_nc_u32_e32 v40, 0x50, v1
	v_add_nc_u32_e32 v41, 0, v1
	v_mov_b32_e32 v1, 0
	s_mov_b32 s1, 0
.LBB80_67:                              ; =>This Inner Loop Header: Depth=1
	scratch_load_b32 v42, v41, off
	ds_load_b32 v43, v40
	v_add_nc_u32_e32 v39, 1, v39
	v_add_nc_u32_e32 v40, 4, v40
	;; [unrolled: 1-line block ×3, first 2 shown]
	s_delay_alu instid0(VALU_DEP_3)
	v_cmp_lt_u32_e32 vcc_lo, 13, v39
	s_or_b32 s1, vcc_lo, s1
	s_waitcnt vmcnt(0) lgkmcnt(0)
	v_fmac_f32_e32 v1, v42, v43
	s_and_not1_b32 exec_lo, exec_lo, s1
	s_cbranch_execnz .LBB80_67
; %bb.68:
	s_or_b32 exec_lo, exec_lo, s1
	v_mov_b32_e32 v39, 0
	ds_load_b32 v39, v39 offset:60
	s_waitcnt lgkmcnt(0)
	v_mul_f32_e32 v1, v1, v39
	scratch_store_b32 off, v1, off offset:60
.LBB80_69:
	s_or_b32 exec_lo, exec_lo, s0
	s_waitcnt_vscnt null, 0x0
	s_barrier
	buffer_gl0_inv
	scratch_load_b32 v1, off, off offset:64
	s_mov_b32 s0, exec_lo
	s_waitcnt vmcnt(0)
	ds_store_b32 v3, v1
	s_waitcnt lgkmcnt(0)
	s_barrier
	buffer_gl0_inv
	v_cmpx_ne_u32_e32 16, v0
	s_cbranch_execz .LBB80_73
; %bb.70:
	v_mov_b32_e32 v1, 0
	s_mov_b32 s1, 0
.LBB80_71:                              ; =>This Inner Loop Header: Depth=1
	scratch_load_b32 v39, v2, off
	ds_load_b32 v40, v3
	v_add_nc_u32_e32 v38, 1, v38
	v_add_nc_u32_e32 v3, 4, v3
	s_waitcnt vmcnt(0) lgkmcnt(0)
	v_dual_fmac_f32 v1, v39, v40 :: v_dual_add_nc_u32 v2, 4, v2
	s_delay_alu instid0(VALU_DEP_3) | instskip(SKIP_1) | instid1(SALU_CYCLE_1)
	v_cmp_lt_u32_e32 vcc_lo, 14, v38
	s_or_b32 s1, vcc_lo, s1
	s_and_not1_b32 exec_lo, exec_lo, s1
	s_cbranch_execnz .LBB80_71
; %bb.72:
	s_or_b32 exec_lo, exec_lo, s1
	v_mov_b32_e32 v2, 0
	ds_load_b32 v2, v2 offset:64
	s_waitcnt lgkmcnt(0)
	v_mul_f32_e32 v1, v1, v2
	scratch_store_b32 off, v1, off offset:64
.LBB80_73:
	s_or_b32 exec_lo, exec_lo, s0
	s_mov_b32 s1, -1
	s_waitcnt_vscnt null, 0x0
	s_barrier
	buffer_gl0_inv
.LBB80_74:
	s_and_b32 vcc_lo, exec_lo, s1
	s_cbranch_vccz .LBB80_76
; %bb.75:
	s_lshl_b64 s[0:1], s[8:9], 2
	v_mov_b32_e32 v1, 0
	s_add_u32 s0, s6, s0
	s_addc_u32 s1, s7, s1
	global_load_b32 v1, v1, s[0:1]
	s_waitcnt vmcnt(0)
	v_cmp_ne_u32_e32 vcc_lo, 0, v1
	s_cbranch_vccz .LBB80_77
.LBB80_76:
	s_endpgm
.LBB80_77:
	v_lshl_add_u32 v1, v0, 2, 0x50
	s_mov_b32 s0, exec_lo
	v_cmpx_eq_u32_e32 16, v0
	s_cbranch_execz .LBB80_79
; %bb.78:
	scratch_load_b32 v2, off, off offset:60
	v_mov_b32_e32 v3, 0
	scratch_store_b32 off, v3, off offset:60
	s_waitcnt vmcnt(0)
	ds_store_b32 v1, v2
.LBB80_79:
	s_or_b32 exec_lo, exec_lo, s0
	s_waitcnt lgkmcnt(0)
	s_waitcnt_vscnt null, 0x0
	s_barrier
	buffer_gl0_inv
	scratch_load_b64 v[38:39], off, off offset:60
	v_mov_b32_e32 v2, 0
	s_mov_b32 s0, exec_lo
	ds_load_b32 v3, v2 offset:144
	s_waitcnt vmcnt(0) lgkmcnt(0)
	v_fma_f32 v3, v39, v3, 0
	s_delay_alu instid0(VALU_DEP_1)
	v_sub_f32_e32 v3, v38, v3
	scratch_store_b32 off, v3, off offset:60
	v_cmpx_lt_u32_e32 14, v0
	s_cbranch_execz .LBB80_81
; %bb.80:
	scratch_load_b32 v3, off, off offset:56
	scratch_store_b32 off, v2, off offset:56
	s_waitcnt vmcnt(0)
	ds_store_b32 v1, v3
.LBB80_81:
	s_or_b32 exec_lo, exec_lo, s0
	s_waitcnt lgkmcnt(0)
	s_waitcnt_vscnt null, 0x0
	s_barrier
	buffer_gl0_inv
	scratch_load_b96 v[38:40], off, off offset:56
	ds_load_2addr_b32 v[2:3], v2 offset0:35 offset1:36
	s_mov_b32 s0, exec_lo
	s_waitcnt vmcnt(0) lgkmcnt(0)
	v_fma_f32 v2, v39, v2, 0
	s_delay_alu instid0(VALU_DEP_1) | instskip(NEXT) | instid1(VALU_DEP_1)
	v_fmac_f32_e32 v2, v40, v3
	v_sub_f32_e32 v2, v38, v2
	scratch_store_b32 off, v2, off offset:56
	v_cmpx_lt_u32_e32 13, v0
	s_cbranch_execz .LBB80_83
; %bb.82:
	scratch_load_b32 v2, off, off offset:52
	v_mov_b32_e32 v3, 0
	scratch_store_b32 off, v3, off offset:52
	s_waitcnt vmcnt(0)
	ds_store_b32 v1, v2
.LBB80_83:
	s_or_b32 exec_lo, exec_lo, s0
	s_waitcnt lgkmcnt(0)
	s_waitcnt_vscnt null, 0x0
	s_barrier
	buffer_gl0_inv
	scratch_load_b128 v[38:41], off, off offset:52
	v_mov_b32_e32 v2, 0
	ds_load_b64 v[42:43], v2 offset:136
	ds_load_b32 v3, v2 offset:144
	s_mov_b32 s0, exec_lo
	s_waitcnt vmcnt(0) lgkmcnt(1)
	v_fma_f32 v39, v39, v42, 0
	s_delay_alu instid0(VALU_DEP_1) | instskip(SKIP_1) | instid1(VALU_DEP_1)
	v_fmac_f32_e32 v39, v40, v43
	s_waitcnt lgkmcnt(0)
	v_fmac_f32_e32 v39, v41, v3
	s_delay_alu instid0(VALU_DEP_1)
	v_sub_f32_e32 v3, v38, v39
	scratch_store_b32 off, v3, off offset:52
	v_cmpx_lt_u32_e32 12, v0
	s_cbranch_execz .LBB80_85
; %bb.84:
	scratch_load_b32 v3, off, off offset:48
	scratch_store_b32 off, v2, off offset:48
	s_waitcnt vmcnt(0)
	ds_store_b32 v1, v3
.LBB80_85:
	s_or_b32 exec_lo, exec_lo, s0
	s_waitcnt lgkmcnt(0)
	s_waitcnt_vscnt null, 0x0
	s_barrier
	buffer_gl0_inv
	s_clause 0x1
	scratch_load_b128 v[38:41], off, off offset:48
	scratch_load_b32 v44, off, off offset:64
	ds_load_2addr_b32 v[42:43], v2 offset0:33 offset1:34
	ds_load_2addr_b32 v[2:3], v2 offset0:35 offset1:36
	s_mov_b32 s0, exec_lo
	s_waitcnt vmcnt(1) lgkmcnt(1)
	v_fma_f32 v39, v39, v42, 0
	s_delay_alu instid0(VALU_DEP_1) | instskip(SKIP_1) | instid1(VALU_DEP_1)
	v_fmac_f32_e32 v39, v40, v43
	s_waitcnt lgkmcnt(0)
	v_fmac_f32_e32 v39, v41, v2
	s_waitcnt vmcnt(0)
	s_delay_alu instid0(VALU_DEP_1) | instskip(NEXT) | instid1(VALU_DEP_1)
	v_fmac_f32_e32 v39, v44, v3
	v_sub_f32_e32 v2, v38, v39
	scratch_store_b32 off, v2, off offset:48
	v_cmpx_lt_u32_e32 11, v0
	s_cbranch_execz .LBB80_87
; %bb.86:
	scratch_load_b32 v2, off, off offset:44
	v_mov_b32_e32 v3, 0
	scratch_store_b32 off, v3, off offset:44
	s_waitcnt vmcnt(0)
	ds_store_b32 v1, v2
.LBB80_87:
	s_or_b32 exec_lo, exec_lo, s0
	s_waitcnt lgkmcnt(0)
	s_waitcnt_vscnt null, 0x0
	s_barrier
	buffer_gl0_inv
	s_clause 0x1
	scratch_load_b128 v[38:41], off, off offset:44
	scratch_load_b64 v[46:47], off, off offset:60
	v_mov_b32_e32 v2, 0
	ds_load_b128 v[42:45], v2 offset:128
	ds_load_b32 v3, v2 offset:144
	s_mov_b32 s0, exec_lo
	s_waitcnt vmcnt(1) lgkmcnt(1)
	v_fma_f32 v39, v39, v42, 0
	s_delay_alu instid0(VALU_DEP_1) | instskip(NEXT) | instid1(VALU_DEP_1)
	v_fmac_f32_e32 v39, v40, v43
	v_fmac_f32_e32 v39, v41, v44
	s_waitcnt vmcnt(0)
	s_delay_alu instid0(VALU_DEP_1) | instskip(SKIP_1) | instid1(VALU_DEP_1)
	v_fmac_f32_e32 v39, v46, v45
	s_waitcnt lgkmcnt(0)
	v_fmac_f32_e32 v39, v47, v3
	s_delay_alu instid0(VALU_DEP_1)
	v_sub_f32_e32 v3, v38, v39
	scratch_store_b32 off, v3, off offset:44
	v_cmpx_lt_u32_e32 10, v0
	s_cbranch_execz .LBB80_89
; %bb.88:
	scratch_load_b32 v3, off, off offset:40
	scratch_store_b32 off, v2, off offset:40
	s_waitcnt vmcnt(0)
	ds_store_b32 v1, v3
.LBB80_89:
	s_or_b32 exec_lo, exec_lo, s0
	s_waitcnt lgkmcnt(0)
	s_waitcnt_vscnt null, 0x0
	s_barrier
	buffer_gl0_inv
	s_clause 0x1
	scratch_load_b128 v[38:41], off, off offset:40
	scratch_load_b96 v[42:44], off, off offset:56
	ds_load_2addr_b32 v[45:46], v2 offset0:31 offset1:32
	ds_load_2addr_b32 v[47:48], v2 offset0:33 offset1:34
	;; [unrolled: 1-line block ×3, first 2 shown]
	s_mov_b32 s0, exec_lo
	s_waitcnt vmcnt(1) lgkmcnt(2)
	v_fma_f32 v39, v39, v45, 0
	s_delay_alu instid0(VALU_DEP_1) | instskip(SKIP_1) | instid1(VALU_DEP_1)
	v_fmac_f32_e32 v39, v40, v46
	s_waitcnt lgkmcnt(1)
	v_fmac_f32_e32 v39, v41, v47
	s_waitcnt vmcnt(0)
	s_delay_alu instid0(VALU_DEP_1) | instskip(SKIP_1) | instid1(VALU_DEP_1)
	v_fmac_f32_e32 v39, v42, v48
	s_waitcnt lgkmcnt(0)
	v_fmac_f32_e32 v39, v43, v2
	s_delay_alu instid0(VALU_DEP_1) | instskip(NEXT) | instid1(VALU_DEP_1)
	v_fmac_f32_e32 v39, v44, v3
	v_sub_f32_e32 v2, v38, v39
	scratch_store_b32 off, v2, off offset:40
	v_cmpx_lt_u32_e32 9, v0
	s_cbranch_execz .LBB80_91
; %bb.90:
	scratch_load_b32 v2, off, off offset:36
	v_mov_b32_e32 v3, 0
	scratch_store_b32 off, v3, off offset:36
	s_waitcnt vmcnt(0)
	ds_store_b32 v1, v2
.LBB80_91:
	s_or_b32 exec_lo, exec_lo, s0
	s_waitcnt lgkmcnt(0)
	s_waitcnt_vscnt null, 0x0
	s_barrier
	buffer_gl0_inv
	s_clause 0x1
	scratch_load_b128 v[38:41], off, off offset:36
	scratch_load_b128 v[42:45], off, off offset:52
	v_mov_b32_e32 v2, 0
	ds_load_2addr_b64 v[46:49], v2 offset0:15 offset1:16
	ds_load_b64 v[50:51], v2 offset:136
	s_mov_b32 s0, exec_lo
	s_waitcnt vmcnt(1) lgkmcnt(1)
	v_fma_f32 v3, v39, v46, 0
	s_delay_alu instid0(VALU_DEP_1) | instskip(SKIP_3) | instid1(VALU_DEP_1)
	v_fmac_f32_e32 v3, v40, v47
	ds_load_b32 v39, v2 offset:144
	v_fmac_f32_e32 v3, v41, v48
	s_waitcnt vmcnt(0)
	v_fmac_f32_e32 v3, v42, v49
	s_waitcnt lgkmcnt(1)
	s_delay_alu instid0(VALU_DEP_1) | instskip(NEXT) | instid1(VALU_DEP_1)
	v_fmac_f32_e32 v3, v43, v50
	v_fmac_f32_e32 v3, v44, v51
	s_waitcnt lgkmcnt(0)
	s_delay_alu instid0(VALU_DEP_1) | instskip(NEXT) | instid1(VALU_DEP_1)
	v_fmac_f32_e32 v3, v45, v39
	v_sub_f32_e32 v3, v38, v3
	scratch_store_b32 off, v3, off offset:36
	v_cmpx_lt_u32_e32 8, v0
	s_cbranch_execz .LBB80_93
; %bb.92:
	scratch_load_b32 v3, off, off offset:32
	scratch_store_b32 off, v2, off offset:32
	s_waitcnt vmcnt(0)
	ds_store_b32 v1, v3
.LBB80_93:
	s_or_b32 exec_lo, exec_lo, s0
	s_waitcnt lgkmcnt(0)
	s_waitcnt_vscnt null, 0x0
	s_barrier
	buffer_gl0_inv
	s_clause 0x2
	scratch_load_b128 v[38:41], off, off offset:32
	scratch_load_b128 v[42:45], off, off offset:48
	scratch_load_b32 v52, off, off offset:64
	ds_load_2addr_b32 v[46:47], v2 offset0:29 offset1:30
	ds_load_2addr_b32 v[48:49], v2 offset0:31 offset1:32
	;; [unrolled: 1-line block ×4, first 2 shown]
	s_mov_b32 s0, exec_lo
	s_waitcnt vmcnt(2) lgkmcnt(3)
	v_fma_f32 v39, v39, v46, 0
	s_delay_alu instid0(VALU_DEP_1) | instskip(SKIP_1) | instid1(VALU_DEP_1)
	v_fmac_f32_e32 v39, v40, v47
	s_waitcnt lgkmcnt(2)
	v_fmac_f32_e32 v39, v41, v48
	s_waitcnt vmcnt(1)
	s_delay_alu instid0(VALU_DEP_1) | instskip(SKIP_1) | instid1(VALU_DEP_1)
	v_fmac_f32_e32 v39, v42, v49
	s_waitcnt lgkmcnt(1)
	v_fmac_f32_e32 v39, v43, v50
	s_delay_alu instid0(VALU_DEP_1) | instskip(SKIP_1) | instid1(VALU_DEP_1)
	v_fmac_f32_e32 v39, v44, v51
	s_waitcnt lgkmcnt(0)
	v_fmac_f32_e32 v39, v45, v2
	s_waitcnt vmcnt(0)
	s_delay_alu instid0(VALU_DEP_1) | instskip(NEXT) | instid1(VALU_DEP_1)
	v_fmac_f32_e32 v39, v52, v3
	v_sub_f32_e32 v2, v38, v39
	scratch_store_b32 off, v2, off offset:32
	v_cmpx_lt_u32_e32 7, v0
	s_cbranch_execz .LBB80_95
; %bb.94:
	scratch_load_b32 v2, off, off offset:28
	v_mov_b32_e32 v3, 0
	scratch_store_b32 off, v3, off offset:28
	s_waitcnt vmcnt(0)
	ds_store_b32 v1, v2
.LBB80_95:
	s_or_b32 exec_lo, exec_lo, s0
	s_waitcnt lgkmcnt(0)
	s_waitcnt_vscnt null, 0x0
	s_barrier
	buffer_gl0_inv
	s_clause 0x2
	scratch_load_b128 v[38:41], off, off offset:28
	scratch_load_b128 v[42:45], off, off offset:44
	scratch_load_b64 v[54:55], off, off offset:60
	v_mov_b32_e32 v2, 0
	ds_load_b128 v[46:49], v2 offset:112
	ds_load_b128 v[50:53], v2 offset:128
	s_mov_b32 s0, exec_lo
	s_waitcnt vmcnt(2) lgkmcnt(1)
	v_fma_f32 v3, v39, v46, 0
	s_delay_alu instid0(VALU_DEP_1) | instskip(SKIP_3) | instid1(VALU_DEP_1)
	v_fmac_f32_e32 v3, v40, v47
	ds_load_b32 v39, v2 offset:144
	v_fmac_f32_e32 v3, v41, v48
	s_waitcnt vmcnt(1)
	v_fmac_f32_e32 v3, v42, v49
	s_waitcnt lgkmcnt(1)
	s_delay_alu instid0(VALU_DEP_1) | instskip(NEXT) | instid1(VALU_DEP_1)
	v_fmac_f32_e32 v3, v43, v50
	v_fmac_f32_e32 v3, v44, v51
	s_delay_alu instid0(VALU_DEP_1) | instskip(SKIP_1) | instid1(VALU_DEP_1)
	v_fmac_f32_e32 v3, v45, v52
	s_waitcnt vmcnt(0)
	v_fmac_f32_e32 v3, v54, v53
	s_waitcnt lgkmcnt(0)
	s_delay_alu instid0(VALU_DEP_1) | instskip(NEXT) | instid1(VALU_DEP_1)
	v_fmac_f32_e32 v3, v55, v39
	v_sub_f32_e32 v3, v38, v3
	scratch_store_b32 off, v3, off offset:28
	v_cmpx_lt_u32_e32 6, v0
	s_cbranch_execz .LBB80_97
; %bb.96:
	scratch_load_b32 v3, off, off offset:24
	scratch_store_b32 off, v2, off offset:24
	s_waitcnt vmcnt(0)
	ds_store_b32 v1, v3
.LBB80_97:
	s_or_b32 exec_lo, exec_lo, s0
	s_waitcnt lgkmcnt(0)
	s_waitcnt_vscnt null, 0x0
	s_barrier
	buffer_gl0_inv
	s_clause 0x2
	scratch_load_b128 v[38:41], off, off offset:24
	scratch_load_b128 v[42:45], off, off offset:40
	scratch_load_b96 v[46:48], off, off offset:56
	ds_load_2addr_b32 v[49:50], v2 offset0:27 offset1:28
	ds_load_2addr_b32 v[51:52], v2 offset0:29 offset1:30
	;; [unrolled: 1-line block ×5, first 2 shown]
	s_mov_b32 s0, exec_lo
	s_waitcnt vmcnt(2) lgkmcnt(4)
	v_fma_f32 v39, v39, v49, 0
	s_delay_alu instid0(VALU_DEP_1) | instskip(SKIP_1) | instid1(VALU_DEP_1)
	v_fmac_f32_e32 v39, v40, v50
	s_waitcnt lgkmcnt(3)
	v_fmac_f32_e32 v39, v41, v51
	s_waitcnt vmcnt(1)
	s_delay_alu instid0(VALU_DEP_1) | instskip(SKIP_1) | instid1(VALU_DEP_1)
	v_fmac_f32_e32 v39, v42, v52
	s_waitcnt lgkmcnt(2)
	v_fmac_f32_e32 v39, v43, v53
	s_delay_alu instid0(VALU_DEP_1) | instskip(SKIP_1) | instid1(VALU_DEP_1)
	v_fmac_f32_e32 v39, v44, v54
	s_waitcnt lgkmcnt(1)
	v_fmac_f32_e32 v39, v45, v55
	s_waitcnt vmcnt(0)
	s_delay_alu instid0(VALU_DEP_1) | instskip(SKIP_1) | instid1(VALU_DEP_1)
	v_fmac_f32_e32 v39, v46, v56
	s_waitcnt lgkmcnt(0)
	v_fmac_f32_e32 v39, v47, v2
	s_delay_alu instid0(VALU_DEP_1) | instskip(NEXT) | instid1(VALU_DEP_1)
	v_fmac_f32_e32 v39, v48, v3
	v_sub_f32_e32 v2, v38, v39
	scratch_store_b32 off, v2, off offset:24
	v_cmpx_lt_u32_e32 5, v0
	s_cbranch_execz .LBB80_99
; %bb.98:
	scratch_load_b32 v2, off, off offset:20
	v_mov_b32_e32 v3, 0
	scratch_store_b32 off, v3, off offset:20
	s_waitcnt vmcnt(0)
	ds_store_b32 v1, v2
.LBB80_99:
	s_or_b32 exec_lo, exec_lo, s0
	s_waitcnt lgkmcnt(0)
	s_waitcnt_vscnt null, 0x0
	s_barrier
	buffer_gl0_inv
	s_clause 0x2
	scratch_load_b128 v[38:41], off, off offset:20
	scratch_load_b128 v[42:45], off, off offset:36
	;; [unrolled: 1-line block ×3, first 2 shown]
	v_mov_b32_e32 v2, 0
	ds_load_2addr_b64 v[50:53], v2 offset0:13 offset1:14
	ds_load_2addr_b64 v[54:57], v2 offset0:15 offset1:16
	s_mov_b32 s0, exec_lo
	s_waitcnt vmcnt(2) lgkmcnt(1)
	v_fma_f32 v3, v39, v50, 0
	s_delay_alu instid0(VALU_DEP_1)
	v_fmac_f32_e32 v3, v40, v51
	ds_load_b64 v[39:40], v2 offset:136
	v_fmac_f32_e32 v3, v41, v52
	ds_load_b32 v41, v2 offset:144
	s_waitcnt vmcnt(1)
	v_fmac_f32_e32 v3, v42, v53
	s_waitcnt lgkmcnt(2)
	s_delay_alu instid0(VALU_DEP_1) | instskip(NEXT) | instid1(VALU_DEP_1)
	v_fmac_f32_e32 v3, v43, v54
	v_fmac_f32_e32 v3, v44, v55
	s_delay_alu instid0(VALU_DEP_1) | instskip(SKIP_1) | instid1(VALU_DEP_1)
	v_fmac_f32_e32 v3, v45, v56
	s_waitcnt vmcnt(0)
	v_fmac_f32_e32 v3, v46, v57
	s_waitcnt lgkmcnt(1)
	s_delay_alu instid0(VALU_DEP_1) | instskip(NEXT) | instid1(VALU_DEP_1)
	v_fmac_f32_e32 v3, v47, v39
	v_fmac_f32_e32 v3, v48, v40
	s_waitcnt lgkmcnt(0)
	s_delay_alu instid0(VALU_DEP_1) | instskip(NEXT) | instid1(VALU_DEP_1)
	v_fmac_f32_e32 v3, v49, v41
	v_sub_f32_e32 v3, v38, v3
	scratch_store_b32 off, v3, off offset:20
	v_cmpx_lt_u32_e32 4, v0
	s_cbranch_execz .LBB80_101
; %bb.100:
	scratch_load_b32 v3, off, off offset:16
	scratch_store_b32 off, v2, off offset:16
	s_waitcnt vmcnt(0)
	ds_store_b32 v1, v3
.LBB80_101:
	s_or_b32 exec_lo, exec_lo, s0
	s_waitcnt lgkmcnt(0)
	s_waitcnt_vscnt null, 0x0
	s_barrier
	buffer_gl0_inv
	s_clause 0x3
	scratch_load_b128 v[38:41], off, off offset:16
	scratch_load_b128 v[42:45], off, off offset:32
	scratch_load_b128 v[46:49], off, off offset:48
	scratch_load_b32 v58, off, off offset:64
	ds_load_2addr_b32 v[50:51], v2 offset0:25 offset1:26
	ds_load_2addr_b32 v[52:53], v2 offset0:27 offset1:28
	;; [unrolled: 1-line block ×4, first 2 shown]
	s_mov_b32 s0, exec_lo
	s_waitcnt vmcnt(3) lgkmcnt(3)
	v_fma_f32 v50, v39, v50, 0
	s_delay_alu instid0(VALU_DEP_1)
	v_fmac_f32_e32 v50, v40, v51
	ds_load_2addr_b32 v[39:40], v2 offset0:33 offset1:34
	ds_load_2addr_b32 v[2:3], v2 offset0:35 offset1:36
	s_waitcnt lgkmcnt(4)
	v_fmac_f32_e32 v50, v41, v52
	s_waitcnt vmcnt(2)
	s_delay_alu instid0(VALU_DEP_1) | instskip(SKIP_1) | instid1(VALU_DEP_1)
	v_fmac_f32_e32 v50, v42, v53
	s_waitcnt lgkmcnt(3)
	v_fmac_f32_e32 v50, v43, v54
	s_delay_alu instid0(VALU_DEP_1) | instskip(SKIP_1) | instid1(VALU_DEP_1)
	v_fmac_f32_e32 v50, v44, v55
	s_waitcnt lgkmcnt(2)
	v_fmac_f32_e32 v50, v45, v56
	s_waitcnt vmcnt(1)
	s_delay_alu instid0(VALU_DEP_1) | instskip(SKIP_1) | instid1(VALU_DEP_1)
	v_fmac_f32_e32 v50, v46, v57
	s_waitcnt lgkmcnt(1)
	v_fmac_f32_e32 v50, v47, v39
	s_delay_alu instid0(VALU_DEP_1) | instskip(SKIP_1) | instid1(VALU_DEP_1)
	v_fmac_f32_e32 v50, v48, v40
	s_waitcnt lgkmcnt(0)
	v_fmac_f32_e32 v50, v49, v2
	s_waitcnt vmcnt(0)
	s_delay_alu instid0(VALU_DEP_1) | instskip(NEXT) | instid1(VALU_DEP_1)
	v_fmac_f32_e32 v50, v58, v3
	v_sub_f32_e32 v2, v38, v50
	scratch_store_b32 off, v2, off offset:16
	v_cmpx_lt_u32_e32 3, v0
	s_cbranch_execz .LBB80_103
; %bb.102:
	scratch_load_b32 v2, off, off offset:12
	v_mov_b32_e32 v3, 0
	scratch_store_b32 off, v3, off offset:12
	s_waitcnt vmcnt(0)
	ds_store_b32 v1, v2
.LBB80_103:
	s_or_b32 exec_lo, exec_lo, s0
	s_waitcnt lgkmcnt(0)
	s_waitcnt_vscnt null, 0x0
	s_barrier
	buffer_gl0_inv
	s_clause 0x3
	scratch_load_b128 v[38:41], off, off offset:12
	scratch_load_b128 v[42:45], off, off offset:28
	;; [unrolled: 1-line block ×3, first 2 shown]
	scratch_load_b64 v[58:59], off, off offset:60
	v_mov_b32_e32 v2, 0
	ds_load_b128 v[50:53], v2 offset:96
	ds_load_b128 v[54:57], v2 offset:112
	s_mov_b32 s0, exec_lo
	s_waitcnt vmcnt(3) lgkmcnt(1)
	v_fma_f32 v3, v39, v50, 0
	s_delay_alu instid0(VALU_DEP_1) | instskip(NEXT) | instid1(VALU_DEP_1)
	v_fmac_f32_e32 v3, v40, v51
	v_fmac_f32_e32 v3, v41, v52
	s_waitcnt vmcnt(2)
	s_delay_alu instid0(VALU_DEP_1)
	v_fmac_f32_e32 v3, v42, v53
	ds_load_b128 v[39:42], v2 offset:128
	s_waitcnt lgkmcnt(1)
	v_fmac_f32_e32 v3, v43, v54
	ds_load_b32 v43, v2 offset:144
	v_fmac_f32_e32 v3, v44, v55
	s_delay_alu instid0(VALU_DEP_1) | instskip(SKIP_1) | instid1(VALU_DEP_1)
	v_fmac_f32_e32 v3, v45, v56
	s_waitcnt vmcnt(1)
	v_fmac_f32_e32 v3, v46, v57
	s_waitcnt lgkmcnt(1)
	s_delay_alu instid0(VALU_DEP_1) | instskip(NEXT) | instid1(VALU_DEP_1)
	v_fmac_f32_e32 v3, v47, v39
	v_fmac_f32_e32 v3, v48, v40
	s_delay_alu instid0(VALU_DEP_1) | instskip(SKIP_1) | instid1(VALU_DEP_1)
	v_fmac_f32_e32 v3, v49, v41
	s_waitcnt vmcnt(0)
	v_fmac_f32_e32 v3, v58, v42
	s_waitcnt lgkmcnt(0)
	s_delay_alu instid0(VALU_DEP_1) | instskip(NEXT) | instid1(VALU_DEP_1)
	v_fmac_f32_e32 v3, v59, v43
	v_sub_f32_e32 v3, v38, v3
	scratch_store_b32 off, v3, off offset:12
	v_cmpx_lt_u32_e32 2, v0
	s_cbranch_execz .LBB80_105
; %bb.104:
	scratch_load_b32 v3, off, off offset:8
	scratch_store_b32 off, v2, off offset:8
	s_waitcnt vmcnt(0)
	ds_store_b32 v1, v3
.LBB80_105:
	s_or_b32 exec_lo, exec_lo, s0
	s_waitcnt lgkmcnt(0)
	s_waitcnt_vscnt null, 0x0
	s_barrier
	buffer_gl0_inv
	s_clause 0x3
	scratch_load_b128 v[38:41], off, off offset:8
	scratch_load_b128 v[42:45], off, off offset:24
	;; [unrolled: 1-line block ×3, first 2 shown]
	scratch_load_b96 v[50:52], off, off offset:56
	ds_load_2addr_b32 v[53:54], v2 offset0:23 offset1:24
	ds_load_2addr_b32 v[55:56], v2 offset0:25 offset1:26
	;; [unrolled: 1-line block ×4, first 2 shown]
	s_mov_b32 s0, exec_lo
	s_waitcnt vmcnt(3) lgkmcnt(3)
	v_fma_f32 v53, v39, v53, 0
	s_delay_alu instid0(VALU_DEP_1) | instskip(SKIP_4) | instid1(VALU_DEP_1)
	v_fmac_f32_e32 v53, v40, v54
	ds_load_2addr_b32 v[39:40], v2 offset0:31 offset1:32
	s_waitcnt lgkmcnt(3)
	v_fmac_f32_e32 v53, v41, v55
	s_waitcnt vmcnt(2)
	v_fmac_f32_e32 v53, v42, v56
	ds_load_2addr_b32 v[41:42], v2 offset0:33 offset1:34
	ds_load_2addr_b32 v[2:3], v2 offset0:35 offset1:36
	s_waitcnt lgkmcnt(4)
	v_fmac_f32_e32 v53, v43, v57
	s_delay_alu instid0(VALU_DEP_1) | instskip(SKIP_1) | instid1(VALU_DEP_1)
	v_fmac_f32_e32 v53, v44, v58
	s_waitcnt lgkmcnt(3)
	v_fmac_f32_e32 v53, v45, v59
	s_waitcnt vmcnt(1)
	s_delay_alu instid0(VALU_DEP_1) | instskip(SKIP_1) | instid1(VALU_DEP_1)
	v_fmac_f32_e32 v53, v46, v60
	s_waitcnt lgkmcnt(2)
	v_fmac_f32_e32 v53, v47, v39
	s_delay_alu instid0(VALU_DEP_1) | instskip(SKIP_1) | instid1(VALU_DEP_1)
	v_fmac_f32_e32 v53, v48, v40
	s_waitcnt lgkmcnt(1)
	v_fmac_f32_e32 v53, v49, v41
	s_waitcnt vmcnt(0)
	s_delay_alu instid0(VALU_DEP_1) | instskip(SKIP_1) | instid1(VALU_DEP_1)
	v_fmac_f32_e32 v53, v50, v42
	s_waitcnt lgkmcnt(0)
	v_fmac_f32_e32 v53, v51, v2
	s_delay_alu instid0(VALU_DEP_1) | instskip(NEXT) | instid1(VALU_DEP_1)
	v_fmac_f32_e32 v53, v52, v3
	v_sub_f32_e32 v2, v38, v53
	scratch_store_b32 off, v2, off offset:8
	v_cmpx_lt_u32_e32 1, v0
	s_cbranch_execz .LBB80_107
; %bb.106:
	scratch_load_b32 v2, off, off offset:4
	v_mov_b32_e32 v3, 0
	scratch_store_b32 off, v3, off offset:4
	s_waitcnt vmcnt(0)
	ds_store_b32 v1, v2
.LBB80_107:
	s_or_b32 exec_lo, exec_lo, s0
	s_waitcnt lgkmcnt(0)
	s_waitcnt_vscnt null, 0x0
	s_barrier
	buffer_gl0_inv
	s_clause 0x3
	scratch_load_b128 v[39:42], off, off offset:4
	scratch_load_b128 v[43:46], off, off offset:20
	;; [unrolled: 1-line block ×4, first 2 shown]
	v_mov_b32_e32 v38, 0
	ds_load_2addr_b64 v[55:58], v38 offset0:11 offset1:12
	ds_load_2addr_b64 v[59:62], v38 offset0:13 offset1:14
	s_mov_b32 s0, exec_lo
	s_waitcnt vmcnt(3) lgkmcnt(1)
	v_fma_f32 v55, v40, v55, 0
	s_delay_alu instid0(VALU_DEP_1) | instskip(SKIP_3) | instid1(VALU_DEP_1)
	v_fmac_f32_e32 v55, v41, v56
	ds_load_b64 v[2:3], v38 offset:136
	v_fmac_f32_e32 v55, v42, v57
	s_waitcnt vmcnt(2)
	v_fmac_f32_e32 v55, v43, v58
	ds_load_2addr_b64 v[40:43], v38 offset0:15 offset1:16
	s_waitcnt lgkmcnt(2)
	v_fmac_f32_e32 v55, v44, v59
	s_delay_alu instid0(VALU_DEP_1) | instskip(NEXT) | instid1(VALU_DEP_1)
	v_fmac_f32_e32 v55, v45, v60
	v_fmac_f32_e32 v55, v46, v61
	s_waitcnt vmcnt(1)
	s_delay_alu instid0(VALU_DEP_1) | instskip(SKIP_1) | instid1(VALU_DEP_1)
	v_fmac_f32_e32 v55, v47, v62
	s_waitcnt lgkmcnt(0)
	v_fmac_f32_e32 v55, v48, v40
	ds_load_b32 v40, v38 offset:144
	v_fmac_f32_e32 v55, v49, v41
	s_delay_alu instid0(VALU_DEP_1) | instskip(SKIP_1) | instid1(VALU_DEP_1)
	v_fmac_f32_e32 v55, v50, v42
	s_waitcnt vmcnt(0)
	v_fmac_f32_e32 v55, v51, v43
	s_delay_alu instid0(VALU_DEP_1) | instskip(NEXT) | instid1(VALU_DEP_1)
	v_fmac_f32_e32 v55, v52, v2
	v_fmac_f32_e32 v55, v53, v3
	s_waitcnt lgkmcnt(0)
	s_delay_alu instid0(VALU_DEP_1) | instskip(NEXT) | instid1(VALU_DEP_1)
	v_fmac_f32_e32 v55, v54, v40
	v_sub_f32_e32 v2, v39, v55
	scratch_store_b32 off, v2, off offset:4
	v_cmpx_ne_u32_e32 0, v0
	s_cbranch_execz .LBB80_109
; %bb.108:
	scratch_load_b32 v0, off, off
	scratch_store_b32 off, v38, off
	s_waitcnt vmcnt(0)
	ds_store_b32 v1, v0
.LBB80_109:
	s_or_b32 exec_lo, exec_lo, s0
	s_waitcnt lgkmcnt(0)
	s_waitcnt_vscnt null, 0x0
	s_barrier
	buffer_gl0_inv
	s_clause 0x4
	scratch_load_b128 v[39:42], off, off
	scratch_load_b128 v[43:46], off, off offset:16
	scratch_load_b128 v[47:50], off, off offset:32
	;; [unrolled: 1-line block ×3, first 2 shown]
	scratch_load_b32 v59, off, off offset:64
	ds_load_2addr_b32 v[51:52], v38 offset0:21 offset1:22
	ds_load_2addr_b32 v[53:54], v38 offset0:23 offset1:24
	ds_load_2addr_b32 v[55:56], v38 offset0:25 offset1:26
	ds_load_2addr_b32 v[57:58], v38 offset0:27 offset1:28
	s_and_b32 vcc_lo, exec_lo, s12
	s_waitcnt vmcnt(4) lgkmcnt(3)
	v_fma_f32 v51, v40, v51, 0
	s_delay_alu instid0(VALU_DEP_1) | instskip(SKIP_4) | instid1(VALU_DEP_1)
	v_fmac_f32_e32 v51, v41, v52
	ds_load_2addr_b32 v[40:41], v38 offset0:29 offset1:30
	s_waitcnt lgkmcnt(3)
	v_fmac_f32_e32 v51, v42, v53
	s_waitcnt vmcnt(3)
	v_fmac_f32_e32 v51, v43, v54
	ds_load_2addr_b32 v[42:43], v38 offset0:31 offset1:32
	s_waitcnt lgkmcnt(3)
	v_fmac_f32_e32 v51, v44, v55
	s_delay_alu instid0(VALU_DEP_1) | instskip(SKIP_1) | instid1(VALU_DEP_1)
	v_fmac_f32_e32 v51, v45, v56
	s_waitcnt lgkmcnt(2)
	v_fmac_f32_e32 v51, v46, v57
	s_waitcnt vmcnt(2)
	s_delay_alu instid0(VALU_DEP_1) | instskip(SKIP_4) | instid1(VALU_DEP_1)
	v_fmac_f32_e32 v51, v47, v58
	ds_load_2addr_b32 v[44:45], v38 offset0:33 offset1:34
	ds_load_2addr_b32 v[46:47], v38 offset0:35 offset1:36
	s_waitcnt lgkmcnt(3)
	v_fmac_f32_e32 v51, v48, v40
	v_fmac_f32_e32 v51, v49, v41
	s_waitcnt lgkmcnt(2)
	s_delay_alu instid0(VALU_DEP_1) | instskip(SKIP_1) | instid1(VALU_DEP_1)
	v_fmac_f32_e32 v51, v50, v42
	s_waitcnt vmcnt(1)
	v_fmac_f32_e32 v51, v0, v43
	s_waitcnt lgkmcnt(1)
	s_delay_alu instid0(VALU_DEP_1) | instskip(NEXT) | instid1(VALU_DEP_1)
	v_fmac_f32_e32 v51, v1, v44
	v_fmac_f32_e32 v51, v2, v45
	s_waitcnt lgkmcnt(0)
	s_delay_alu instid0(VALU_DEP_1) | instskip(SKIP_1) | instid1(VALU_DEP_1)
	v_fmac_f32_e32 v51, v3, v46
	s_waitcnt vmcnt(0)
	v_fmac_f32_e32 v51, v59, v47
	s_delay_alu instid0(VALU_DEP_1)
	v_sub_f32_e32 v0, v39, v51
	scratch_store_b32 off, v0, off
	s_cbranch_vccz .LBB80_143
; %bb.110:
	v_dual_mov_b32 v0, s2 :: v_dual_mov_b32 v1, s3
	s_mov_b32 s0, exec_lo
	flat_load_b32 v0, v[0:1] offset:60
	s_waitcnt vmcnt(0) lgkmcnt(0)
	v_cmpx_ne_u32_e32 16, v0
	s_cbranch_execz .LBB80_112
; %bb.111:
	v_lshl_add_u32 v0, v0, 2, 0
	scratch_load_b32 v1, v0, off offset:-4
	s_waitcnt vmcnt(0)
	scratch_store_b32 off, v1, off offset:60
	scratch_store_b32 v0, v3, off offset:-4
.LBB80_112:
	s_or_b32 exec_lo, exec_lo, s0
	v_dual_mov_b32 v0, s2 :: v_dual_mov_b32 v1, s3
	s_mov_b32 s0, exec_lo
	flat_load_b32 v0, v[0:1] offset:56
	s_waitcnt vmcnt(0) lgkmcnt(0)
	v_cmpx_ne_u32_e32 15, v0
	s_cbranch_execz .LBB80_114
; %bb.113:
	v_lshl_add_u32 v0, v0, 2, 0
	scratch_load_b32 v1, v0, off offset:-4
	scratch_load_b32 v2, off, off offset:56
	s_waitcnt vmcnt(1)
	scratch_store_b32 off, v1, off offset:56
	s_waitcnt vmcnt(0)
	scratch_store_b32 v0, v2, off offset:-4
.LBB80_114:
	s_or_b32 exec_lo, exec_lo, s0
	v_dual_mov_b32 v0, s2 :: v_dual_mov_b32 v1, s3
	s_mov_b32 s0, exec_lo
	flat_load_b32 v0, v[0:1] offset:52
	s_waitcnt vmcnt(0) lgkmcnt(0)
	v_cmpx_ne_u32_e32 14, v0
	s_cbranch_execz .LBB80_116
; %bb.115:
	v_lshl_add_u32 v0, v0, 2, 0
	scratch_load_b32 v1, v0, off offset:-4
	scratch_load_b32 v2, off, off offset:52
	s_waitcnt vmcnt(1)
	scratch_store_b32 off, v1, off offset:52
	s_waitcnt vmcnt(0)
	scratch_store_b32 v0, v2, off offset:-4
.LBB80_116:
	;; [unrolled: 16-line block ×14, first 2 shown]
	s_or_b32 exec_lo, exec_lo, s0
	v_dual_mov_b32 v0, s2 :: v_dual_mov_b32 v1, s3
	s_mov_b32 s0, exec_lo
	flat_load_b32 v1, v[0:1]
	scratch_load_b32 v0, off, off
	s_waitcnt vmcnt(1) lgkmcnt(0)
	v_cmpx_ne_u32_e32 1, v1
	s_cbranch_execz .LBB80_142
; %bb.141:
	v_lshl_add_u32 v1, v1, 2, 0
	scratch_load_b32 v2, v1, off offset:-4
	s_waitcnt vmcnt(0)
	scratch_store_b32 off, v2, off
	scratch_store_b32 v1, v0, off offset:-4
	scratch_load_b32 v0, off, off
.LBB80_142:
	s_or_b32 exec_lo, exec_lo, s0
.LBB80_143:
	s_clause 0x3
	scratch_load_b128 v[38:41], off, off offset:4
	scratch_load_b128 v[42:45], off, off offset:20
	;; [unrolled: 1-line block ×4, first 2 shown]
	s_waitcnt vmcnt(4)
	global_store_b32 v[4:5], v0, off
	s_waitcnt vmcnt(3)
	s_clause 0x3
	global_store_b32 v[6:7], v38, off
	global_store_b32 v[8:9], v39, off
	global_store_b32 v[10:11], v40, off
	global_store_b32 v[12:13], v41, off
	s_waitcnt vmcnt(2)
	s_clause 0x3
	global_store_b32 v[14:15], v42, off
	global_store_b32 v[16:17], v43, off
	global_store_b32 v[18:19], v44, off
	;; [unrolled: 6-line block ×4, first 2 shown]
	global_store_b32 v[36:37], v53, off
	s_endpgm
	.section	.rodata,"a",@progbits
	.p2align	6, 0x0
	.amdhsa_kernel _ZN9rocsolver6v33100L18getri_kernel_smallILi17EfPKPfEEvT1_iilPiilS6_bb
		.amdhsa_group_segment_fixed_size 148
		.amdhsa_private_segment_fixed_size 80
		.amdhsa_kernarg_size 60
		.amdhsa_user_sgpr_count 15
		.amdhsa_user_sgpr_dispatch_ptr 0
		.amdhsa_user_sgpr_queue_ptr 0
		.amdhsa_user_sgpr_kernarg_segment_ptr 1
		.amdhsa_user_sgpr_dispatch_id 0
		.amdhsa_user_sgpr_private_segment_size 0
		.amdhsa_wavefront_size32 1
		.amdhsa_uses_dynamic_stack 0
		.amdhsa_enable_private_segment 1
		.amdhsa_system_sgpr_workgroup_id_x 1
		.amdhsa_system_sgpr_workgroup_id_y 0
		.amdhsa_system_sgpr_workgroup_id_z 0
		.amdhsa_system_sgpr_workgroup_info 0
		.amdhsa_system_vgpr_workitem_id 0
		.amdhsa_next_free_vgpr 63
		.amdhsa_next_free_sgpr 17
		.amdhsa_reserve_vcc 1
		.amdhsa_float_round_mode_32 0
		.amdhsa_float_round_mode_16_64 0
		.amdhsa_float_denorm_mode_32 3
		.amdhsa_float_denorm_mode_16_64 3
		.amdhsa_dx10_clamp 1
		.amdhsa_ieee_mode 1
		.amdhsa_fp16_overflow 0
		.amdhsa_workgroup_processor_mode 1
		.amdhsa_memory_ordered 1
		.amdhsa_forward_progress 0
		.amdhsa_shared_vgpr_count 0
		.amdhsa_exception_fp_ieee_invalid_op 0
		.amdhsa_exception_fp_denorm_src 0
		.amdhsa_exception_fp_ieee_div_zero 0
		.amdhsa_exception_fp_ieee_overflow 0
		.amdhsa_exception_fp_ieee_underflow 0
		.amdhsa_exception_fp_ieee_inexact 0
		.amdhsa_exception_int_div_zero 0
	.end_amdhsa_kernel
	.section	.text._ZN9rocsolver6v33100L18getri_kernel_smallILi17EfPKPfEEvT1_iilPiilS6_bb,"axG",@progbits,_ZN9rocsolver6v33100L18getri_kernel_smallILi17EfPKPfEEvT1_iilPiilS6_bb,comdat
.Lfunc_end80:
	.size	_ZN9rocsolver6v33100L18getri_kernel_smallILi17EfPKPfEEvT1_iilPiilS6_bb, .Lfunc_end80-_ZN9rocsolver6v33100L18getri_kernel_smallILi17EfPKPfEEvT1_iilPiilS6_bb
                                        ; -- End function
	.section	.AMDGPU.csdata,"",@progbits
; Kernel info:
; codeLenInByte = 9124
; NumSgprs: 19
; NumVgprs: 63
; ScratchSize: 80
; MemoryBound: 0
; FloatMode: 240
; IeeeMode: 1
; LDSByteSize: 148 bytes/workgroup (compile time only)
; SGPRBlocks: 2
; VGPRBlocks: 7
; NumSGPRsForWavesPerEU: 19
; NumVGPRsForWavesPerEU: 63
; Occupancy: 16
; WaveLimiterHint : 1
; COMPUTE_PGM_RSRC2:SCRATCH_EN: 1
; COMPUTE_PGM_RSRC2:USER_SGPR: 15
; COMPUTE_PGM_RSRC2:TRAP_HANDLER: 0
; COMPUTE_PGM_RSRC2:TGID_X_EN: 1
; COMPUTE_PGM_RSRC2:TGID_Y_EN: 0
; COMPUTE_PGM_RSRC2:TGID_Z_EN: 0
; COMPUTE_PGM_RSRC2:TIDIG_COMP_CNT: 0
	.section	.text._ZN9rocsolver6v33100L18getri_kernel_smallILi18EfPKPfEEvT1_iilPiilS6_bb,"axG",@progbits,_ZN9rocsolver6v33100L18getri_kernel_smallILi18EfPKPfEEvT1_iilPiilS6_bb,comdat
	.globl	_ZN9rocsolver6v33100L18getri_kernel_smallILi18EfPKPfEEvT1_iilPiilS6_bb ; -- Begin function _ZN9rocsolver6v33100L18getri_kernel_smallILi18EfPKPfEEvT1_iilPiilS6_bb
	.p2align	8
	.type	_ZN9rocsolver6v33100L18getri_kernel_smallILi18EfPKPfEEvT1_iilPiilS6_bb,@function
_ZN9rocsolver6v33100L18getri_kernel_smallILi18EfPKPfEEvT1_iilPiilS6_bb: ; @_ZN9rocsolver6v33100L18getri_kernel_smallILi18EfPKPfEEvT1_iilPiilS6_bb
; %bb.0:
	s_mov_b32 s2, exec_lo
	v_cmpx_gt_u32_e32 18, v0
	s_cbranch_execz .LBB81_80
; %bb.1:
	s_clause 0x1
	s_load_b32 s13, s[0:1], 0x38
	s_load_b64 s[2:3], s[0:1], 0x0
	s_mov_b32 s8, s15
	s_load_b128 s[4:7], s[0:1], 0x28
	s_waitcnt lgkmcnt(0)
	s_bitcmp1_b32 s13, 8
	s_cselect_b32 s12, -1, 0
	s_ashr_i32 s9, s15, 31
	s_delay_alu instid0(SALU_CYCLE_1) | instskip(NEXT) | instid1(SALU_CYCLE_1)
	s_lshl_b64 s[10:11], s[8:9], 3
	s_add_u32 s2, s2, s10
	s_addc_u32 s3, s3, s11
	s_load_b64 s[10:11], s[2:3], 0x0
	s_bfe_u32 s2, s13, 0x10008
	s_delay_alu instid0(SALU_CYCLE_1)
	s_cmp_eq_u32 s2, 0
                                        ; implicit-def: $sgpr2_sgpr3
	s_cbranch_scc1 .LBB81_3
; %bb.2:
	s_clause 0x1
	s_load_b32 s2, s[0:1], 0x20
	s_load_b64 s[14:15], s[0:1], 0x18
	s_mul_i32 s3, s8, s5
	s_mul_hi_u32 s5, s8, s4
	s_mul_i32 s16, s9, s4
	s_add_i32 s3, s5, s3
	s_mul_i32 s4, s8, s4
	s_add_i32 s5, s3, s16
	s_delay_alu instid0(SALU_CYCLE_1)
	s_lshl_b64 s[4:5], s[4:5], 2
	s_waitcnt lgkmcnt(0)
	s_ashr_i32 s3, s2, 31
	s_add_u32 s4, s14, s4
	s_addc_u32 s5, s15, s5
	s_lshl_b64 s[2:3], s[2:3], 2
	s_delay_alu instid0(SALU_CYCLE_1)
	s_add_u32 s2, s4, s2
	s_addc_u32 s3, s5, s3
.LBB81_3:
	s_load_b64 s[0:1], s[0:1], 0x8
	v_lshlrev_b32_e32 v37, 2, v0
	s_waitcnt lgkmcnt(0)
	v_add3_u32 v3, s1, s1, v0
	s_ashr_i32 s5, s0, 31
	s_mov_b32 s4, s0
	s_mov_b32 s14, s1
	s_lshl_b64 s[4:5], s[4:5], 2
	v_add_nc_u32_e32 v5, s1, v3
	v_ashrrev_i32_e32 v4, 31, v3
	s_add_u32 s4, s10, s4
	s_addc_u32 s5, s11, s5
	v_add_co_u32 v1, s0, s4, v37
	v_add_nc_u32_e32 v9, s1, v5
	v_ashrrev_i32_e32 v6, 31, v5
	s_ashr_i32 s15, s1, 31
	v_add_co_ci_u32_e64 v2, null, s5, 0, s0
	v_lshlrev_b64 v[7:8], 2, v[3:4]
	s_lshl_b64 s[10:11], s[14:15], 2
	v_add_nc_u32_e32 v13, s1, v9
	v_add_co_u32 v3, vcc_lo, v1, s10
	v_lshlrev_b64 v[11:12], 2, v[5:6]
	v_add_co_ci_u32_e32 v4, vcc_lo, s11, v2, vcc_lo
	v_add_co_u32 v5, vcc_lo, s4, v7
	v_ashrrev_i32_e32 v14, 31, v13
	v_add_nc_u32_e32 v15, s1, v13
	v_ashrrev_i32_e32 v10, 31, v9
	v_add_co_ci_u32_e32 v6, vcc_lo, s5, v8, vcc_lo
	v_add_co_u32 v7, vcc_lo, s4, v11
	v_add_co_ci_u32_e32 v8, vcc_lo, s5, v12, vcc_lo
	v_lshlrev_b64 v[11:12], 2, v[13:14]
	v_add_nc_u32_e32 v13, s1, v15
	v_lshlrev_b64 v[9:10], 2, v[9:10]
	v_ashrrev_i32_e32 v16, 31, v15
	global_load_b32 v38, v37, s[4:5]
	s_bitcmp0_b32 s13, 0
	v_ashrrev_i32_e32 v14, 31, v13
	v_add_nc_u32_e32 v17, s1, v13
	v_add_co_u32 v9, vcc_lo, s4, v9
	v_lshlrev_b64 v[15:16], 2, v[15:16]
	v_add_co_ci_u32_e32 v10, vcc_lo, s5, v10, vcc_lo
	v_add_co_u32 v11, vcc_lo, s4, v11
	v_lshlrev_b64 v[19:20], 2, v[13:14]
	v_add_nc_u32_e32 v21, s1, v17
	v_add_co_ci_u32_e32 v12, vcc_lo, s5, v12, vcc_lo
	v_add_co_u32 v13, vcc_lo, s4, v15
	v_add_co_ci_u32_e32 v14, vcc_lo, s5, v16, vcc_lo
	v_add_co_u32 v15, vcc_lo, s4, v19
	v_add_nc_u32_e32 v19, s1, v21
	v_ashrrev_i32_e32 v18, 31, v17
	v_ashrrev_i32_e32 v22, 31, v21
	v_add_co_ci_u32_e32 v16, vcc_lo, s5, v20, vcc_lo
	s_delay_alu instid0(VALU_DEP_4) | instskip(NEXT) | instid1(VALU_DEP_4)
	v_add_nc_u32_e32 v23, s1, v19
	v_lshlrev_b64 v[17:18], 2, v[17:18]
	v_ashrrev_i32_e32 v20, 31, v19
	v_lshlrev_b64 v[21:22], 2, v[21:22]
	s_delay_alu instid0(VALU_DEP_4)
	v_add_nc_u32_e32 v27, s1, v23
	v_ashrrev_i32_e32 v24, 31, v23
	v_add_co_u32 v17, vcc_lo, s4, v17
	v_lshlrev_b64 v[25:26], 2, v[19:20]
	v_add_co_ci_u32_e32 v18, vcc_lo, s5, v18, vcc_lo
	v_add_co_u32 v19, vcc_lo, s4, v21
	v_ashrrev_i32_e32 v28, 31, v27
	v_add_nc_u32_e32 v29, s1, v27
	v_add_co_ci_u32_e32 v20, vcc_lo, s5, v22, vcc_lo
	v_add_co_u32 v21, vcc_lo, s4, v25
	v_add_co_ci_u32_e32 v22, vcc_lo, s5, v26, vcc_lo
	v_lshlrev_b64 v[25:26], 2, v[27:28]
	v_add_nc_u32_e32 v27, s1, v29
	v_lshlrev_b64 v[23:24], 2, v[23:24]
	v_ashrrev_i32_e32 v30, 31, v29
	s_clause 0x7
	global_load_b32 v39, v[3:4], off
	global_load_b32 v40, v[5:6], off
	;; [unrolled: 1-line block ×8, first 2 shown]
	v_add_nc_u32_e32 v31, s1, v27
	v_ashrrev_i32_e32 v28, 31, v27
	v_add_co_u32 v23, vcc_lo, s4, v23
	v_lshlrev_b64 v[29:30], 2, v[29:30]
	s_delay_alu instid0(VALU_DEP_4)
	v_add_nc_u32_e32 v35, s1, v31
	v_add_co_ci_u32_e32 v24, vcc_lo, s5, v24, vcc_lo
	v_add_co_u32 v25, vcc_lo, s4, v25
	v_lshlrev_b64 v[33:34], 2, v[27:28]
	v_ashrrev_i32_e32 v32, 31, v31
	v_add_nc_u32_e32 v47, s1, v35
	v_add_co_ci_u32_e32 v26, vcc_lo, s5, v26, vcc_lo
	v_add_co_u32 v27, vcc_lo, s4, v29
	v_ashrrev_i32_e32 v36, 31, v35
	v_add_co_ci_u32_e32 v28, vcc_lo, s5, v30, vcc_lo
	v_lshlrev_b64 v[31:32], 2, v[31:32]
	v_add_co_u32 v29, vcc_lo, s4, v33
	v_ashrrev_i32_e32 v48, 31, v47
	v_add_co_ci_u32_e32 v30, vcc_lo, s5, v34, vcc_lo
	v_lshlrev_b64 v[33:34], 2, v[35:36]
	v_add_co_u32 v31, vcc_lo, s4, v31
	s_delay_alu instid0(VALU_DEP_4) | instskip(SKIP_1) | instid1(VALU_DEP_4)
	v_lshlrev_b64 v[35:36], 2, v[47:48]
	v_add_co_ci_u32_e32 v32, vcc_lo, s5, v32, vcc_lo
	v_add_co_u32 v33, vcc_lo, s4, v33
	v_add_co_ci_u32_e32 v34, vcc_lo, s5, v34, vcc_lo
	s_delay_alu instid0(VALU_DEP_4)
	v_add_co_u32 v35, vcc_lo, s4, v35
	v_add_co_ci_u32_e32 v36, vcc_lo, s5, v36, vcc_lo
	s_clause 0x8
	global_load_b32 v47, v[19:20], off
	global_load_b32 v48, v[21:22], off
	;; [unrolled: 1-line block ×9, first 2 shown]
	s_mov_b32 s1, -1
	s_waitcnt vmcnt(14)
	scratch_store_b128 off, v[38:41], off
	s_waitcnt vmcnt(10)
	scratch_store_b128 off, v[42:45], off offset:16
	s_waitcnt vmcnt(6)
	scratch_store_b128 off, v[46:49], off offset:32
	;; [unrolled: 2-line block ×3, first 2 shown]
	s_waitcnt vmcnt(0)
	scratch_store_b64 off, v[54:55], off offset:64
	s_cbranch_scc1 .LBB81_78
; %bb.4:
	v_cmp_eq_u32_e64 s0, 0, v0
	s_delay_alu instid0(VALU_DEP_1)
	s_and_saveexec_b32 s1, s0
	s_cbranch_execz .LBB81_6
; %bb.5:
	v_mov_b32_e32 v38, 0
	ds_store_b32 v38, v38 offset:72
.LBB81_6:
	s_or_b32 exec_lo, exec_lo, s1
	s_waitcnt lgkmcnt(0)
	s_waitcnt_vscnt null, 0x0
	s_barrier
	buffer_gl0_inv
	scratch_load_b32 v38, v37, off
	s_mov_b32 s4, exec_lo
	s_waitcnt vmcnt(0)
	v_cmpx_eq_f32_e32 0, v38
	s_cbranch_execz .LBB81_10
; %bb.7:
	v_mov_b32_e32 v38, 0
	s_mov_b32 s5, 0
	ds_load_b32 v39, v38 offset:72
	s_waitcnt lgkmcnt(0)
	v_readfirstlane_b32 s1, v39
	v_add_nc_u32_e32 v39, 1, v0
	s_delay_alu instid0(VALU_DEP_2) | instskip(NEXT) | instid1(VALU_DEP_1)
	s_cmp_eq_u32 s1, 0
	v_cmp_gt_i32_e32 vcc_lo, s1, v39
	s_cselect_b32 s10, -1, 0
	s_delay_alu instid0(SALU_CYCLE_1) | instskip(NEXT) | instid1(SALU_CYCLE_1)
	s_or_b32 s10, s10, vcc_lo
	s_and_b32 exec_lo, exec_lo, s10
	s_cbranch_execz .LBB81_10
; %bb.8:
	v_mov_b32_e32 v40, s1
.LBB81_9:                               ; =>This Inner Loop Header: Depth=1
	ds_cmpstore_rtn_b32 v40, v38, v39, v40 offset:72
	s_waitcnt lgkmcnt(0)
	v_cmp_ne_u32_e32 vcc_lo, 0, v40
	v_cmp_le_i32_e64 s1, v40, v39
	s_delay_alu instid0(VALU_DEP_1) | instskip(NEXT) | instid1(SALU_CYCLE_1)
	s_and_b32 s1, vcc_lo, s1
	s_and_b32 s1, exec_lo, s1
	s_delay_alu instid0(SALU_CYCLE_1) | instskip(NEXT) | instid1(SALU_CYCLE_1)
	s_or_b32 s5, s1, s5
	s_and_not1_b32 exec_lo, exec_lo, s5
	s_cbranch_execnz .LBB81_9
.LBB81_10:
	s_or_b32 exec_lo, exec_lo, s4
	v_mov_b32_e32 v38, 0
	s_barrier
	buffer_gl0_inv
	ds_load_b32 v39, v38 offset:72
	s_and_saveexec_b32 s1, s0
	s_cbranch_execz .LBB81_12
; %bb.11:
	s_lshl_b64 s[4:5], s[8:9], 2
	s_delay_alu instid0(SALU_CYCLE_1)
	s_add_u32 s4, s6, s4
	s_addc_u32 s5, s7, s5
	s_waitcnt lgkmcnt(0)
	global_store_b32 v38, v39, s[4:5]
.LBB81_12:
	s_or_b32 exec_lo, exec_lo, s1
	s_waitcnt lgkmcnt(0)
	v_cmp_ne_u32_e32 vcc_lo, 0, v39
	s_mov_b32 s1, 0
	s_cbranch_vccnz .LBB81_78
; %bb.13:
	v_add_nc_u32_e32 v38, 0, v37
	scratch_load_b32 v39, v38, off
	s_waitcnt vmcnt(0)
	v_div_scale_f32 v40, null, v39, v39, 1.0
	v_div_scale_f32 v43, vcc_lo, 1.0, v39, 1.0
	s_delay_alu instid0(VALU_DEP_2) | instskip(SKIP_2) | instid1(VALU_DEP_1)
	v_rcp_f32_e32 v41, v40
	s_waitcnt_depctr 0xfff
	v_fma_f32 v42, -v40, v41, 1.0
	v_fmac_f32_e32 v41, v42, v41
	s_delay_alu instid0(VALU_DEP_1) | instskip(NEXT) | instid1(VALU_DEP_1)
	v_mul_f32_e32 v42, v43, v41
	v_fma_f32 v44, -v40, v42, v43
	s_delay_alu instid0(VALU_DEP_1) | instskip(NEXT) | instid1(VALU_DEP_1)
	v_fmac_f32_e32 v42, v44, v41
	v_fma_f32 v40, -v40, v42, v43
	s_delay_alu instid0(VALU_DEP_1) | instskip(NEXT) | instid1(VALU_DEP_1)
	v_div_fmas_f32 v40, v40, v41, v42
	v_div_fixup_f32 v39, v40, v39, 1.0
	scratch_store_b32 v38, v39, off
	scratch_load_b32 v40, off, off offset:4
	v_xor_b32_e32 v41, 0x80000000, v39
	v_add_nc_u32_e32 v39, 0x50, v37
	s_waitcnt vmcnt(0)
	ds_store_2addr_b32 v37, v41, v40 offset1:20
	s_waitcnt lgkmcnt(0)
	s_waitcnt_vscnt null, 0x0
	s_barrier
	buffer_gl0_inv
	s_and_saveexec_b32 s1, s0
	s_cbranch_execz .LBB81_15
; %bb.14:
	scratch_load_b32 v40, v38, off
	ds_load_b32 v41, v39
	v_mov_b32_e32 v42, 0
	ds_load_b32 v42, v42 offset:4
	s_waitcnt vmcnt(0) lgkmcnt(1)
	v_fma_f32 v40, v40, v41, 0
	s_waitcnt lgkmcnt(0)
	s_delay_alu instid0(VALU_DEP_1)
	v_mul_f32_e32 v40, v40, v42
	scratch_store_b32 off, v40, off offset:4
.LBB81_15:
	s_or_b32 exec_lo, exec_lo, s1
	s_waitcnt_vscnt null, 0x0
	s_barrier
	buffer_gl0_inv
	scratch_load_b32 v40, off, off offset:8
	s_mov_b32 s1, exec_lo
	s_waitcnt vmcnt(0)
	ds_store_b32 v39, v40
	s_waitcnt lgkmcnt(0)
	s_barrier
	buffer_gl0_inv
	v_cmpx_gt_u32_e32 2, v0
	s_cbranch_execz .LBB81_17
; %bb.16:
	scratch_load_b32 v42, v38, off
	scratch_load_b32 v43, off, off offset:4
	ds_load_b32 v44, v39
	v_mov_b32_e32 v40, 0
	ds_load_2addr_b32 v[40:41], v40 offset0:2 offset1:21
	s_waitcnt vmcnt(1) lgkmcnt(1)
	v_fma_f32 v42, v42, v44, 0
	s_waitcnt vmcnt(0) lgkmcnt(0)
	s_delay_alu instid0(VALU_DEP_1) | instskip(NEXT) | instid1(VALU_DEP_1)
	v_fma_f32 v41, v43, v41, v42
	v_cndmask_b32_e64 v41, v42, v41, s0
	s_delay_alu instid0(VALU_DEP_1)
	v_mul_f32_e32 v40, v41, v40
	scratch_store_b32 off, v40, off offset:8
.LBB81_17:
	s_or_b32 exec_lo, exec_lo, s1
	s_waitcnt_vscnt null, 0x0
	s_barrier
	buffer_gl0_inv
	scratch_load_b32 v41, off, off offset:12
	v_add_nc_u32_e32 v40, -1, v0
	s_mov_b32 s0, exec_lo
	s_waitcnt vmcnt(0)
	ds_store_b32 v39, v41
	s_waitcnt lgkmcnt(0)
	s_barrier
	buffer_gl0_inv
	v_cmpx_gt_u32_e32 3, v0
	s_cbranch_execz .LBB81_21
; %bb.18:
	v_dual_mov_b32 v41, 0 :: v_dual_add_nc_u32 v42, -1, v0
	v_add_nc_u32_e32 v43, 0x50, v37
	v_add_nc_u32_e32 v44, 0, v37
	s_mov_b32 s1, 0
.LBB81_19:                              ; =>This Inner Loop Header: Depth=1
	scratch_load_b32 v45, v44, off
	ds_load_b32 v46, v43
	v_add_nc_u32_e32 v42, 1, v42
	v_add_nc_u32_e32 v43, 4, v43
	v_add_nc_u32_e32 v44, 4, v44
	s_delay_alu instid0(VALU_DEP_3)
	v_cmp_lt_u32_e32 vcc_lo, 1, v42
	s_or_b32 s1, vcc_lo, s1
	s_waitcnt vmcnt(0) lgkmcnt(0)
	v_fmac_f32_e32 v41, v45, v46
	s_and_not1_b32 exec_lo, exec_lo, s1
	s_cbranch_execnz .LBB81_19
; %bb.20:
	s_or_b32 exec_lo, exec_lo, s1
	v_mov_b32_e32 v42, 0
	ds_load_b32 v42, v42 offset:12
	s_waitcnt lgkmcnt(0)
	v_mul_f32_e32 v41, v41, v42
	scratch_store_b32 off, v41, off offset:12
.LBB81_21:
	s_or_b32 exec_lo, exec_lo, s0
	s_waitcnt_vscnt null, 0x0
	s_barrier
	buffer_gl0_inv
	scratch_load_b32 v41, off, off offset:16
	s_mov_b32 s0, exec_lo
	s_waitcnt vmcnt(0)
	ds_store_b32 v39, v41
	s_waitcnt lgkmcnt(0)
	s_barrier
	buffer_gl0_inv
	v_cmpx_gt_u32_e32 4, v0
	s_cbranch_execz .LBB81_25
; %bb.22:
	v_dual_mov_b32 v41, 0 :: v_dual_add_nc_u32 v42, -1, v0
	v_add_nc_u32_e32 v43, 0x50, v37
	v_add_nc_u32_e32 v44, 0, v37
	s_mov_b32 s1, 0
.LBB81_23:                              ; =>This Inner Loop Header: Depth=1
	scratch_load_b32 v45, v44, off
	ds_load_b32 v46, v43
	v_add_nc_u32_e32 v42, 1, v42
	v_add_nc_u32_e32 v43, 4, v43
	v_add_nc_u32_e32 v44, 4, v44
	s_delay_alu instid0(VALU_DEP_3)
	v_cmp_lt_u32_e32 vcc_lo, 2, v42
	s_or_b32 s1, vcc_lo, s1
	s_waitcnt vmcnt(0) lgkmcnt(0)
	v_fmac_f32_e32 v41, v45, v46
	s_and_not1_b32 exec_lo, exec_lo, s1
	s_cbranch_execnz .LBB81_23
; %bb.24:
	s_or_b32 exec_lo, exec_lo, s1
	v_mov_b32_e32 v42, 0
	ds_load_b32 v42, v42 offset:16
	s_waitcnt lgkmcnt(0)
	v_mul_f32_e32 v41, v41, v42
	scratch_store_b32 off, v41, off offset:16
.LBB81_25:
	s_or_b32 exec_lo, exec_lo, s0
	s_waitcnt_vscnt null, 0x0
	s_barrier
	buffer_gl0_inv
	scratch_load_b32 v41, off, off offset:20
	;; [unrolled: 39-line block ×13, first 2 shown]
	s_mov_b32 s0, exec_lo
	s_waitcnt vmcnt(0)
	ds_store_b32 v39, v41
	s_waitcnt lgkmcnt(0)
	s_barrier
	buffer_gl0_inv
	v_cmpx_gt_u32_e32 16, v0
	s_cbranch_execz .LBB81_73
; %bb.70:
	v_add_nc_u32_e32 v41, -1, v0
	v_add_nc_u32_e32 v42, 0x50, v37
	v_add_nc_u32_e32 v43, 0, v37
	v_mov_b32_e32 v37, 0
	s_mov_b32 s1, 0
.LBB81_71:                              ; =>This Inner Loop Header: Depth=1
	scratch_load_b32 v44, v43, off
	ds_load_b32 v45, v42
	v_add_nc_u32_e32 v41, 1, v41
	v_add_nc_u32_e32 v42, 4, v42
	;; [unrolled: 1-line block ×3, first 2 shown]
	s_delay_alu instid0(VALU_DEP_3)
	v_cmp_lt_u32_e32 vcc_lo, 14, v41
	s_or_b32 s1, vcc_lo, s1
	s_waitcnt vmcnt(0) lgkmcnt(0)
	v_fmac_f32_e32 v37, v44, v45
	s_and_not1_b32 exec_lo, exec_lo, s1
	s_cbranch_execnz .LBB81_71
; %bb.72:
	s_or_b32 exec_lo, exec_lo, s1
	v_mov_b32_e32 v41, 0
	ds_load_b32 v41, v41 offset:64
	s_waitcnt lgkmcnt(0)
	v_mul_f32_e32 v37, v37, v41
	scratch_store_b32 off, v37, off offset:64
.LBB81_73:
	s_or_b32 exec_lo, exec_lo, s0
	s_waitcnt_vscnt null, 0x0
	s_barrier
	buffer_gl0_inv
	scratch_load_b32 v37, off, off offset:68
	s_mov_b32 s0, exec_lo
	s_waitcnt vmcnt(0)
	ds_store_b32 v39, v37
	s_waitcnt lgkmcnt(0)
	s_barrier
	buffer_gl0_inv
	v_cmpx_ne_u32_e32 17, v0
	s_cbranch_execz .LBB81_77
; %bb.74:
	v_mov_b32_e32 v37, 0
	s_mov_b32 s1, 0
.LBB81_75:                              ; =>This Inner Loop Header: Depth=1
	scratch_load_b32 v41, v38, off
	ds_load_b32 v42, v39
	v_add_nc_u32_e32 v40, 1, v40
	v_add_nc_u32_e32 v39, 4, v39
	;; [unrolled: 1-line block ×3, first 2 shown]
	s_waitcnt vmcnt(0) lgkmcnt(0)
	v_fmac_f32_e32 v37, v41, v42
	v_cmp_lt_u32_e32 vcc_lo, 15, v40
	s_or_b32 s1, vcc_lo, s1
	s_delay_alu instid0(SALU_CYCLE_1)
	s_and_not1_b32 exec_lo, exec_lo, s1
	s_cbranch_execnz .LBB81_75
; %bb.76:
	s_or_b32 exec_lo, exec_lo, s1
	v_mov_b32_e32 v38, 0
	ds_load_b32 v38, v38 offset:68
	s_waitcnt lgkmcnt(0)
	v_mul_f32_e32 v37, v37, v38
	scratch_store_b32 off, v37, off offset:68
.LBB81_77:
	s_or_b32 exec_lo, exec_lo, s0
	s_mov_b32 s1, -1
	s_waitcnt_vscnt null, 0x0
	s_barrier
	buffer_gl0_inv
.LBB81_78:
	s_and_b32 vcc_lo, exec_lo, s1
	s_cbranch_vccz .LBB81_80
; %bb.79:
	s_lshl_b64 s[0:1], s[8:9], 2
	v_mov_b32_e32 v37, 0
	s_add_u32 s0, s6, s0
	s_addc_u32 s1, s7, s1
	global_load_b32 v37, v37, s[0:1]
	s_waitcnt vmcnt(0)
	v_cmp_ne_u32_e32 vcc_lo, 0, v37
	s_cbranch_vccz .LBB81_81
.LBB81_80:
	s_endpgm
.LBB81_81:
	v_lshl_add_u32 v37, v0, 2, 0x50
	s_mov_b32 s0, exec_lo
	v_cmpx_eq_u32_e32 17, v0
	s_cbranch_execz .LBB81_83
; %bb.82:
	scratch_load_b32 v38, off, off offset:64
	v_mov_b32_e32 v39, 0
	scratch_store_b32 off, v39, off offset:64
	s_waitcnt vmcnt(0)
	ds_store_b32 v37, v38
.LBB81_83:
	s_or_b32 exec_lo, exec_lo, s0
	s_waitcnt lgkmcnt(0)
	s_waitcnt_vscnt null, 0x0
	s_barrier
	buffer_gl0_inv
	scratch_load_b64 v[39:40], off, off offset:64
	v_mov_b32_e32 v38, 0
	s_mov_b32 s0, exec_lo
	ds_load_b32 v41, v38 offset:148
	s_waitcnt vmcnt(0) lgkmcnt(0)
	v_fma_f32 v40, v40, v41, 0
	s_delay_alu instid0(VALU_DEP_1)
	v_sub_f32_e32 v39, v39, v40
	scratch_store_b32 off, v39, off offset:64
	v_cmpx_lt_u32_e32 15, v0
	s_cbranch_execz .LBB81_85
; %bb.84:
	scratch_load_b32 v39, off, off offset:60
	scratch_store_b32 off, v38, off offset:60
	s_waitcnt vmcnt(0)
	ds_store_b32 v37, v39
.LBB81_85:
	s_or_b32 exec_lo, exec_lo, s0
	s_waitcnt lgkmcnt(0)
	s_waitcnt_vscnt null, 0x0
	s_barrier
	buffer_gl0_inv
	scratch_load_b96 v[39:41], off, off offset:60
	ds_load_b64 v[42:43], v38 offset:144
	s_mov_b32 s0, exec_lo
	s_waitcnt vmcnt(0) lgkmcnt(0)
	v_fma_f32 v38, v40, v42, 0
	s_delay_alu instid0(VALU_DEP_1) | instskip(NEXT) | instid1(VALU_DEP_1)
	v_fmac_f32_e32 v38, v41, v43
	v_sub_f32_e32 v38, v39, v38
	scratch_store_b32 off, v38, off offset:60
	v_cmpx_lt_u32_e32 14, v0
	s_cbranch_execz .LBB81_87
; %bb.86:
	scratch_load_b32 v38, off, off offset:56
	v_mov_b32_e32 v39, 0
	scratch_store_b32 off, v39, off offset:56
	s_waitcnt vmcnt(0)
	ds_store_b32 v37, v38
.LBB81_87:
	s_or_b32 exec_lo, exec_lo, s0
	s_waitcnt lgkmcnt(0)
	s_waitcnt_vscnt null, 0x0
	s_barrier
	buffer_gl0_inv
	scratch_load_b128 v[39:42], off, off offset:56
	v_mov_b32_e32 v38, 0
	ds_load_2addr_b32 v[43:44], v38 offset0:35 offset1:36
	ds_load_b32 v45, v38 offset:148
	s_mov_b32 s0, exec_lo
	s_waitcnt vmcnt(0) lgkmcnt(1)
	v_fma_f32 v40, v40, v43, 0
	s_delay_alu instid0(VALU_DEP_1) | instskip(SKIP_1) | instid1(VALU_DEP_1)
	v_fmac_f32_e32 v40, v41, v44
	s_waitcnt lgkmcnt(0)
	v_fmac_f32_e32 v40, v42, v45
	s_delay_alu instid0(VALU_DEP_1)
	v_sub_f32_e32 v39, v39, v40
	scratch_store_b32 off, v39, off offset:56
	v_cmpx_lt_u32_e32 13, v0
	s_cbranch_execz .LBB81_89
; %bb.88:
	scratch_load_b32 v39, off, off offset:52
	scratch_store_b32 off, v38, off offset:52
	s_waitcnt vmcnt(0)
	ds_store_b32 v37, v39
.LBB81_89:
	s_or_b32 exec_lo, exec_lo, s0
	s_waitcnt lgkmcnt(0)
	s_waitcnt_vscnt null, 0x0
	s_barrier
	buffer_gl0_inv
	s_clause 0x1
	scratch_load_b128 v[39:42], off, off offset:52
	scratch_load_b32 v47, off, off offset:68
	ds_load_2addr_b64 v[43:46], v38 offset0:17 offset1:18
	s_mov_b32 s0, exec_lo
	s_waitcnt vmcnt(1) lgkmcnt(0)
	v_fma_f32 v38, v40, v43, 0
	s_delay_alu instid0(VALU_DEP_1) | instskip(NEXT) | instid1(VALU_DEP_1)
	v_fmac_f32_e32 v38, v41, v44
	v_fmac_f32_e32 v38, v42, v45
	s_waitcnt vmcnt(0)
	s_delay_alu instid0(VALU_DEP_1) | instskip(NEXT) | instid1(VALU_DEP_1)
	v_fmac_f32_e32 v38, v47, v46
	v_sub_f32_e32 v38, v39, v38
	scratch_store_b32 off, v38, off offset:52
	v_cmpx_lt_u32_e32 12, v0
	s_cbranch_execz .LBB81_91
; %bb.90:
	scratch_load_b32 v38, off, off offset:48
	v_mov_b32_e32 v39, 0
	scratch_store_b32 off, v39, off offset:48
	s_waitcnt vmcnt(0)
	ds_store_b32 v37, v38
.LBB81_91:
	s_or_b32 exec_lo, exec_lo, s0
	s_waitcnt lgkmcnt(0)
	s_waitcnt_vscnt null, 0x0
	s_barrier
	buffer_gl0_inv
	s_clause 0x1
	scratch_load_b128 v[39:42], off, off offset:48
	scratch_load_b64 v[43:44], off, off offset:64
	v_mov_b32_e32 v38, 0
	ds_load_2addr_b32 v[45:46], v38 offset0:33 offset1:34
	ds_load_2addr_b32 v[47:48], v38 offset0:35 offset1:36
	ds_load_b32 v49, v38 offset:148
	s_mov_b32 s0, exec_lo
	s_waitcnt vmcnt(1) lgkmcnt(2)
	v_fma_f32 v40, v40, v45, 0
	s_delay_alu instid0(VALU_DEP_1) | instskip(SKIP_1) | instid1(VALU_DEP_1)
	v_fmac_f32_e32 v40, v41, v46
	s_waitcnt lgkmcnt(1)
	v_fmac_f32_e32 v40, v42, v47
	s_waitcnt vmcnt(0)
	s_delay_alu instid0(VALU_DEP_1) | instskip(SKIP_1) | instid1(VALU_DEP_1)
	v_fmac_f32_e32 v40, v43, v48
	s_waitcnt lgkmcnt(0)
	v_fmac_f32_e32 v40, v44, v49
	s_delay_alu instid0(VALU_DEP_1)
	v_sub_f32_e32 v39, v39, v40
	scratch_store_b32 off, v39, off offset:48
	v_cmpx_lt_u32_e32 11, v0
	s_cbranch_execz .LBB81_93
; %bb.92:
	scratch_load_b32 v39, off, off offset:44
	scratch_store_b32 off, v38, off offset:44
	s_waitcnt vmcnt(0)
	ds_store_b32 v37, v39
.LBB81_93:
	s_or_b32 exec_lo, exec_lo, s0
	s_waitcnt lgkmcnt(0)
	s_waitcnt_vscnt null, 0x0
	s_barrier
	buffer_gl0_inv
	s_clause 0x1
	scratch_load_b128 v[39:42], off, off offset:44
	scratch_load_b96 v[47:49], off, off offset:60
	ds_load_b128 v[43:46], v38 offset:128
	ds_load_b64 v[50:51], v38 offset:144
	s_mov_b32 s0, exec_lo
	s_waitcnt vmcnt(1) lgkmcnt(1)
	v_fma_f32 v38, v40, v43, 0
	s_delay_alu instid0(VALU_DEP_1) | instskip(NEXT) | instid1(VALU_DEP_1)
	v_fmac_f32_e32 v38, v41, v44
	v_fmac_f32_e32 v38, v42, v45
	s_waitcnt vmcnt(0)
	s_delay_alu instid0(VALU_DEP_1) | instskip(SKIP_1) | instid1(VALU_DEP_1)
	v_fmac_f32_e32 v38, v47, v46
	s_waitcnt lgkmcnt(0)
	v_fmac_f32_e32 v38, v48, v50
	s_delay_alu instid0(VALU_DEP_1) | instskip(NEXT) | instid1(VALU_DEP_1)
	v_fmac_f32_e32 v38, v49, v51
	v_sub_f32_e32 v38, v39, v38
	scratch_store_b32 off, v38, off offset:44
	v_cmpx_lt_u32_e32 10, v0
	s_cbranch_execz .LBB81_95
; %bb.94:
	scratch_load_b32 v38, off, off offset:40
	v_mov_b32_e32 v39, 0
	scratch_store_b32 off, v39, off offset:40
	s_waitcnt vmcnt(0)
	ds_store_b32 v37, v38
.LBB81_95:
	s_or_b32 exec_lo, exec_lo, s0
	s_waitcnt lgkmcnt(0)
	s_waitcnt_vscnt null, 0x0
	s_barrier
	buffer_gl0_inv
	s_clause 0x1
	scratch_load_b128 v[39:42], off, off offset:40
	scratch_load_b128 v[43:46], off, off offset:56
	v_mov_b32_e32 v38, 0
	ds_load_2addr_b32 v[47:48], v38 offset0:31 offset1:32
	ds_load_2addr_b32 v[49:50], v38 offset0:33 offset1:34
	;; [unrolled: 1-line block ×3, first 2 shown]
	ds_load_b32 v53, v38 offset:148
	s_mov_b32 s0, exec_lo
	s_waitcnt vmcnt(1) lgkmcnt(3)
	v_fma_f32 v40, v40, v47, 0
	s_delay_alu instid0(VALU_DEP_1) | instskip(SKIP_1) | instid1(VALU_DEP_1)
	v_fmac_f32_e32 v40, v41, v48
	s_waitcnt lgkmcnt(2)
	v_fmac_f32_e32 v40, v42, v49
	s_waitcnt vmcnt(0)
	s_delay_alu instid0(VALU_DEP_1) | instskip(SKIP_1) | instid1(VALU_DEP_1)
	v_fmac_f32_e32 v40, v43, v50
	s_waitcnt lgkmcnt(1)
	v_fmac_f32_e32 v40, v44, v51
	s_delay_alu instid0(VALU_DEP_1) | instskip(SKIP_1) | instid1(VALU_DEP_1)
	v_fmac_f32_e32 v40, v45, v52
	s_waitcnt lgkmcnt(0)
	v_fmac_f32_e32 v40, v46, v53
	s_delay_alu instid0(VALU_DEP_1)
	v_sub_f32_e32 v39, v39, v40
	scratch_store_b32 off, v39, off offset:40
	v_cmpx_lt_u32_e32 9, v0
	s_cbranch_execz .LBB81_97
; %bb.96:
	scratch_load_b32 v39, off, off offset:36
	scratch_store_b32 off, v38, off offset:36
	s_waitcnt vmcnt(0)
	ds_store_b32 v37, v39
.LBB81_97:
	s_or_b32 exec_lo, exec_lo, s0
	s_waitcnt lgkmcnt(0)
	s_waitcnt_vscnt null, 0x0
	s_barrier
	buffer_gl0_inv
	s_clause 0x2
	scratch_load_b128 v[39:42], off, off offset:36
	scratch_load_b128 v[43:46], off, off offset:52
	scratch_load_b32 v55, off, off offset:68
	ds_load_2addr_b64 v[47:50], v38 offset0:15 offset1:16
	ds_load_2addr_b64 v[51:54], v38 offset0:17 offset1:18
	s_mov_b32 s0, exec_lo
	s_waitcnt vmcnt(2) lgkmcnt(1)
	v_fma_f32 v38, v40, v47, 0
	s_delay_alu instid0(VALU_DEP_1) | instskip(NEXT) | instid1(VALU_DEP_1)
	v_fmac_f32_e32 v38, v41, v48
	v_fmac_f32_e32 v38, v42, v49
	s_waitcnt vmcnt(1)
	s_delay_alu instid0(VALU_DEP_1) | instskip(SKIP_1) | instid1(VALU_DEP_1)
	v_fmac_f32_e32 v38, v43, v50
	s_waitcnt lgkmcnt(0)
	v_fmac_f32_e32 v38, v44, v51
	s_delay_alu instid0(VALU_DEP_1) | instskip(NEXT) | instid1(VALU_DEP_1)
	v_fmac_f32_e32 v38, v45, v52
	v_fmac_f32_e32 v38, v46, v53
	s_waitcnt vmcnt(0)
	s_delay_alu instid0(VALU_DEP_1) | instskip(NEXT) | instid1(VALU_DEP_1)
	v_fmac_f32_e32 v38, v55, v54
	v_sub_f32_e32 v38, v39, v38
	scratch_store_b32 off, v38, off offset:36
	v_cmpx_lt_u32_e32 8, v0
	s_cbranch_execz .LBB81_99
; %bb.98:
	scratch_load_b32 v38, off, off offset:32
	v_mov_b32_e32 v39, 0
	scratch_store_b32 off, v39, off offset:32
	s_waitcnt vmcnt(0)
	ds_store_b32 v37, v38
.LBB81_99:
	s_or_b32 exec_lo, exec_lo, s0
	s_waitcnt lgkmcnt(0)
	s_waitcnt_vscnt null, 0x0
	s_barrier
	buffer_gl0_inv
	s_clause 0x2
	scratch_load_b128 v[39:42], off, off offset:32
	scratch_load_b128 v[43:46], off, off offset:48
	scratch_load_b64 v[47:48], off, off offset:64
	v_mov_b32_e32 v38, 0
	ds_load_2addr_b32 v[49:50], v38 offset0:29 offset1:30
	ds_load_2addr_b32 v[51:52], v38 offset0:31 offset1:32
	;; [unrolled: 1-line block ×4, first 2 shown]
	s_mov_b32 s0, exec_lo
	s_waitcnt vmcnt(2) lgkmcnt(3)
	v_fma_f32 v40, v40, v49, 0
	s_delay_alu instid0(VALU_DEP_1) | instskip(SKIP_4) | instid1(VALU_DEP_1)
	v_fmac_f32_e32 v40, v41, v50
	ds_load_b32 v41, v38 offset:148
	s_waitcnt lgkmcnt(3)
	v_fmac_f32_e32 v40, v42, v51
	s_waitcnt vmcnt(1)
	v_fmac_f32_e32 v40, v43, v52
	s_waitcnt lgkmcnt(2)
	s_delay_alu instid0(VALU_DEP_1) | instskip(NEXT) | instid1(VALU_DEP_1)
	v_fmac_f32_e32 v40, v44, v53
	v_fmac_f32_e32 v40, v45, v54
	s_waitcnt lgkmcnt(1)
	s_delay_alu instid0(VALU_DEP_1) | instskip(SKIP_1) | instid1(VALU_DEP_1)
	v_fmac_f32_e32 v40, v46, v55
	s_waitcnt vmcnt(0)
	v_fmac_f32_e32 v40, v47, v56
	s_waitcnt lgkmcnt(0)
	s_delay_alu instid0(VALU_DEP_1) | instskip(NEXT) | instid1(VALU_DEP_1)
	v_fmac_f32_e32 v40, v48, v41
	v_sub_f32_e32 v39, v39, v40
	scratch_store_b32 off, v39, off offset:32
	v_cmpx_lt_u32_e32 7, v0
	s_cbranch_execz .LBB81_101
; %bb.100:
	scratch_load_b32 v39, off, off offset:28
	scratch_store_b32 off, v38, off offset:28
	s_waitcnt vmcnt(0)
	ds_store_b32 v37, v39
.LBB81_101:
	s_or_b32 exec_lo, exec_lo, s0
	s_waitcnt lgkmcnt(0)
	s_waitcnt_vscnt null, 0x0
	s_barrier
	buffer_gl0_inv
	s_clause 0x2
	scratch_load_b128 v[39:42], off, off offset:28
	scratch_load_b128 v[43:46], off, off offset:44
	scratch_load_b96 v[55:57], off, off offset:60
	ds_load_b128 v[47:50], v38 offset:112
	ds_load_b128 v[51:54], v38 offset:128
	s_mov_b32 s0, exec_lo
	s_waitcnt vmcnt(2) lgkmcnt(1)
	v_fma_f32 v47, v40, v47, 0
	s_delay_alu instid0(VALU_DEP_1) | instskip(SKIP_3) | instid1(VALU_DEP_1)
	v_fmac_f32_e32 v47, v41, v48
	ds_load_b64 v[40:41], v38 offset:144
	v_fmac_f32_e32 v47, v42, v49
	s_waitcnt vmcnt(1)
	v_fmac_f32_e32 v47, v43, v50
	s_waitcnt lgkmcnt(1)
	s_delay_alu instid0(VALU_DEP_1) | instskip(NEXT) | instid1(VALU_DEP_1)
	v_fmac_f32_e32 v47, v44, v51
	v_fmac_f32_e32 v47, v45, v52
	s_delay_alu instid0(VALU_DEP_1) | instskip(SKIP_1) | instid1(VALU_DEP_1)
	v_fmac_f32_e32 v47, v46, v53
	s_waitcnt vmcnt(0)
	v_fmac_f32_e32 v47, v55, v54
	s_waitcnt lgkmcnt(0)
	s_delay_alu instid0(VALU_DEP_1) | instskip(NEXT) | instid1(VALU_DEP_1)
	v_fmac_f32_e32 v47, v56, v40
	v_fmac_f32_e32 v47, v57, v41
	s_delay_alu instid0(VALU_DEP_1)
	v_sub_f32_e32 v38, v39, v47
	scratch_store_b32 off, v38, off offset:28
	v_cmpx_lt_u32_e32 6, v0
	s_cbranch_execz .LBB81_103
; %bb.102:
	scratch_load_b32 v38, off, off offset:24
	v_mov_b32_e32 v39, 0
	scratch_store_b32 off, v39, off offset:24
	s_waitcnt vmcnt(0)
	ds_store_b32 v37, v38
.LBB81_103:
	s_or_b32 exec_lo, exec_lo, s0
	s_waitcnt lgkmcnt(0)
	s_waitcnt_vscnt null, 0x0
	s_barrier
	buffer_gl0_inv
	s_clause 0x2
	scratch_load_b128 v[39:42], off, off offset:24
	scratch_load_b128 v[43:46], off, off offset:40
	scratch_load_b128 v[47:50], off, off offset:56
	v_mov_b32_e32 v38, 0
	ds_load_2addr_b32 v[51:52], v38 offset0:27 offset1:28
	ds_load_2addr_b32 v[53:54], v38 offset0:29 offset1:30
	;; [unrolled: 1-line block ×4, first 2 shown]
	s_mov_b32 s0, exec_lo
	s_waitcnt vmcnt(2) lgkmcnt(3)
	v_fma_f32 v51, v40, v51, 0
	s_delay_alu instid0(VALU_DEP_1)
	v_fmac_f32_e32 v51, v41, v52
	ds_load_2addr_b32 v[40:41], v38 offset0:35 offset1:36
	s_waitcnt lgkmcnt(3)
	v_fmac_f32_e32 v51, v42, v53
	ds_load_b32 v42, v38 offset:148
	s_waitcnt vmcnt(1)
	v_fmac_f32_e32 v51, v43, v54
	s_waitcnt lgkmcnt(3)
	s_delay_alu instid0(VALU_DEP_1) | instskip(NEXT) | instid1(VALU_DEP_1)
	v_fmac_f32_e32 v51, v44, v55
	v_fmac_f32_e32 v51, v45, v56
	s_waitcnt lgkmcnt(2)
	s_delay_alu instid0(VALU_DEP_1) | instskip(SKIP_1) | instid1(VALU_DEP_1)
	v_fmac_f32_e32 v51, v46, v57
	s_waitcnt vmcnt(0)
	v_fmac_f32_e32 v51, v47, v58
	s_waitcnt lgkmcnt(1)
	s_delay_alu instid0(VALU_DEP_1) | instskip(NEXT) | instid1(VALU_DEP_1)
	v_fmac_f32_e32 v51, v48, v40
	v_fmac_f32_e32 v51, v49, v41
	s_waitcnt lgkmcnt(0)
	s_delay_alu instid0(VALU_DEP_1) | instskip(NEXT) | instid1(VALU_DEP_1)
	v_fmac_f32_e32 v51, v50, v42
	v_sub_f32_e32 v39, v39, v51
	scratch_store_b32 off, v39, off offset:24
	v_cmpx_lt_u32_e32 5, v0
	s_cbranch_execz .LBB81_105
; %bb.104:
	scratch_load_b32 v39, off, off offset:20
	scratch_store_b32 off, v38, off offset:20
	s_waitcnt vmcnt(0)
	ds_store_b32 v37, v39
.LBB81_105:
	s_or_b32 exec_lo, exec_lo, s0
	s_waitcnt lgkmcnt(0)
	s_waitcnt_vscnt null, 0x0
	s_barrier
	buffer_gl0_inv
	s_clause 0x3
	scratch_load_b128 v[39:42], off, off offset:20
	scratch_load_b128 v[43:46], off, off offset:36
	;; [unrolled: 1-line block ×3, first 2 shown]
	scratch_load_b32 v59, off, off offset:68
	ds_load_2addr_b64 v[51:54], v38 offset0:13 offset1:14
	ds_load_2addr_b64 v[55:58], v38 offset0:15 offset1:16
	s_mov_b32 s0, exec_lo
	s_waitcnt vmcnt(3) lgkmcnt(1)
	v_fma_f32 v51, v40, v51, 0
	s_delay_alu instid0(VALU_DEP_1) | instskip(NEXT) | instid1(VALU_DEP_1)
	v_fmac_f32_e32 v51, v41, v52
	v_fmac_f32_e32 v51, v42, v53
	s_waitcnt vmcnt(2)
	s_delay_alu instid0(VALU_DEP_1) | instskip(SKIP_3) | instid1(VALU_DEP_1)
	v_fmac_f32_e32 v51, v43, v54
	ds_load_2addr_b64 v[40:43], v38 offset0:17 offset1:18
	s_waitcnt lgkmcnt(1)
	v_fmac_f32_e32 v51, v44, v55
	v_fmac_f32_e32 v51, v45, v56
	s_delay_alu instid0(VALU_DEP_1) | instskip(SKIP_1) | instid1(VALU_DEP_1)
	v_fmac_f32_e32 v51, v46, v57
	s_waitcnt vmcnt(1)
	v_fmac_f32_e32 v51, v47, v58
	s_waitcnt lgkmcnt(0)
	s_delay_alu instid0(VALU_DEP_1) | instskip(NEXT) | instid1(VALU_DEP_1)
	v_fmac_f32_e32 v51, v48, v40
	v_fmac_f32_e32 v51, v49, v41
	s_delay_alu instid0(VALU_DEP_1) | instskip(SKIP_1) | instid1(VALU_DEP_1)
	v_fmac_f32_e32 v51, v50, v42
	s_waitcnt vmcnt(0)
	v_fmac_f32_e32 v51, v59, v43
	s_delay_alu instid0(VALU_DEP_1)
	v_sub_f32_e32 v38, v39, v51
	scratch_store_b32 off, v38, off offset:20
	v_cmpx_lt_u32_e32 4, v0
	s_cbranch_execz .LBB81_107
; %bb.106:
	scratch_load_b32 v38, off, off offset:16
	v_mov_b32_e32 v39, 0
	scratch_store_b32 off, v39, off offset:16
	s_waitcnt vmcnt(0)
	ds_store_b32 v37, v38
.LBB81_107:
	s_or_b32 exec_lo, exec_lo, s0
	s_waitcnt lgkmcnt(0)
	s_waitcnt_vscnt null, 0x0
	s_barrier
	buffer_gl0_inv
	s_clause 0x3
	scratch_load_b128 v[39:42], off, off offset:16
	scratch_load_b128 v[43:46], off, off offset:32
	;; [unrolled: 1-line block ×3, first 2 shown]
	scratch_load_b64 v[51:52], off, off offset:64
	v_mov_b32_e32 v38, 0
	ds_load_2addr_b32 v[53:54], v38 offset0:25 offset1:26
	ds_load_2addr_b32 v[55:56], v38 offset0:27 offset1:28
	;; [unrolled: 1-line block ×4, first 2 shown]
	s_mov_b32 s0, exec_lo
	s_waitcnt vmcnt(3) lgkmcnt(3)
	v_fma_f32 v53, v40, v53, 0
	s_delay_alu instid0(VALU_DEP_1) | instskip(SKIP_4) | instid1(VALU_DEP_1)
	v_fmac_f32_e32 v53, v41, v54
	ds_load_2addr_b32 v[40:41], v38 offset0:33 offset1:34
	s_waitcnt lgkmcnt(3)
	v_fmac_f32_e32 v53, v42, v55
	s_waitcnt vmcnt(2)
	v_fmac_f32_e32 v53, v43, v56
	ds_load_2addr_b32 v[42:43], v38 offset0:35 offset1:36
	s_waitcnt lgkmcnt(3)
	v_fmac_f32_e32 v53, v44, v57
	ds_load_b32 v44, v38 offset:148
	v_fmac_f32_e32 v53, v45, v58
	s_waitcnt lgkmcnt(3)
	s_delay_alu instid0(VALU_DEP_1) | instskip(SKIP_1) | instid1(VALU_DEP_1)
	v_fmac_f32_e32 v53, v46, v59
	s_waitcnt vmcnt(1)
	v_fmac_f32_e32 v53, v47, v60
	s_waitcnt lgkmcnt(2)
	s_delay_alu instid0(VALU_DEP_1) | instskip(NEXT) | instid1(VALU_DEP_1)
	v_fmac_f32_e32 v53, v48, v40
	v_fmac_f32_e32 v53, v49, v41
	s_waitcnt lgkmcnt(1)
	s_delay_alu instid0(VALU_DEP_1) | instskip(SKIP_1) | instid1(VALU_DEP_1)
	v_fmac_f32_e32 v53, v50, v42
	s_waitcnt vmcnt(0)
	v_fmac_f32_e32 v53, v51, v43
	s_waitcnt lgkmcnt(0)
	s_delay_alu instid0(VALU_DEP_1) | instskip(NEXT) | instid1(VALU_DEP_1)
	v_fmac_f32_e32 v53, v52, v44
	v_sub_f32_e32 v39, v39, v53
	scratch_store_b32 off, v39, off offset:16
	v_cmpx_lt_u32_e32 3, v0
	s_cbranch_execz .LBB81_109
; %bb.108:
	scratch_load_b32 v39, off, off offset:12
	scratch_store_b32 off, v38, off offset:12
	s_waitcnt vmcnt(0)
	ds_store_b32 v37, v39
.LBB81_109:
	s_or_b32 exec_lo, exec_lo, s0
	s_waitcnt lgkmcnt(0)
	s_waitcnt_vscnt null, 0x0
	s_barrier
	buffer_gl0_inv
	s_clause 0x3
	scratch_load_b128 v[39:42], off, off offset:12
	scratch_load_b128 v[43:46], off, off offset:28
	;; [unrolled: 1-line block ×3, first 2 shown]
	scratch_load_b96 v[59:61], off, off offset:60
	ds_load_b128 v[51:54], v38 offset:96
	ds_load_b128 v[55:58], v38 offset:112
	s_mov_b32 s0, exec_lo
	s_waitcnt vmcnt(3) lgkmcnt(1)
	v_fma_f32 v51, v40, v51, 0
	s_delay_alu instid0(VALU_DEP_1) | instskip(NEXT) | instid1(VALU_DEP_1)
	v_fmac_f32_e32 v51, v41, v52
	v_fmac_f32_e32 v51, v42, v53
	s_waitcnt vmcnt(2)
	s_delay_alu instid0(VALU_DEP_1) | instskip(SKIP_3) | instid1(VALU_DEP_1)
	v_fmac_f32_e32 v51, v43, v54
	ds_load_b128 v[40:43], v38 offset:128
	s_waitcnt lgkmcnt(1)
	v_fmac_f32_e32 v51, v44, v55
	v_fmac_f32_e32 v51, v45, v56
	ds_load_b64 v[44:45], v38 offset:144
	v_fmac_f32_e32 v51, v46, v57
	s_waitcnt vmcnt(1)
	s_delay_alu instid0(VALU_DEP_1) | instskip(SKIP_1) | instid1(VALU_DEP_1)
	v_fmac_f32_e32 v51, v47, v58
	s_waitcnt lgkmcnt(1)
	v_fmac_f32_e32 v51, v48, v40
	s_delay_alu instid0(VALU_DEP_1) | instskip(NEXT) | instid1(VALU_DEP_1)
	v_fmac_f32_e32 v51, v49, v41
	v_fmac_f32_e32 v51, v50, v42
	s_waitcnt vmcnt(0)
	s_delay_alu instid0(VALU_DEP_1) | instskip(SKIP_1) | instid1(VALU_DEP_1)
	v_fmac_f32_e32 v51, v59, v43
	s_waitcnt lgkmcnt(0)
	v_fmac_f32_e32 v51, v60, v44
	s_delay_alu instid0(VALU_DEP_1) | instskip(NEXT) | instid1(VALU_DEP_1)
	v_fmac_f32_e32 v51, v61, v45
	v_sub_f32_e32 v38, v39, v51
	scratch_store_b32 off, v38, off offset:12
	v_cmpx_lt_u32_e32 2, v0
	s_cbranch_execz .LBB81_111
; %bb.110:
	scratch_load_b32 v38, off, off offset:8
	v_mov_b32_e32 v39, 0
	scratch_store_b32 off, v39, off offset:8
	s_waitcnt vmcnt(0)
	ds_store_b32 v37, v38
.LBB81_111:
	s_or_b32 exec_lo, exec_lo, s0
	s_waitcnt lgkmcnt(0)
	s_waitcnt_vscnt null, 0x0
	s_barrier
	buffer_gl0_inv
	s_clause 0x3
	scratch_load_b128 v[39:42], off, off offset:8
	scratch_load_b128 v[43:46], off, off offset:24
	;; [unrolled: 1-line block ×4, first 2 shown]
	v_mov_b32_e32 v38, 0
	ds_load_2addr_b32 v[55:56], v38 offset0:23 offset1:24
	ds_load_2addr_b32 v[57:58], v38 offset0:25 offset1:26
	;; [unrolled: 1-line block ×4, first 2 shown]
	s_mov_b32 s0, exec_lo
	s_waitcnt vmcnt(3) lgkmcnt(3)
	v_fma_f32 v55, v40, v55, 0
	s_delay_alu instid0(VALU_DEP_1) | instskip(SKIP_4) | instid1(VALU_DEP_1)
	v_fmac_f32_e32 v55, v41, v56
	ds_load_2addr_b32 v[40:41], v38 offset0:31 offset1:32
	s_waitcnt lgkmcnt(3)
	v_fmac_f32_e32 v55, v42, v57
	s_waitcnt vmcnt(2)
	v_fmac_f32_e32 v55, v43, v58
	ds_load_2addr_b32 v[42:43], v38 offset0:33 offset1:34
	s_waitcnt lgkmcnt(3)
	v_fmac_f32_e32 v55, v44, v59
	s_delay_alu instid0(VALU_DEP_1) | instskip(SKIP_1) | instid1(VALU_DEP_1)
	v_fmac_f32_e32 v55, v45, v60
	s_waitcnt lgkmcnt(2)
	v_fmac_f32_e32 v55, v46, v61
	ds_load_2addr_b32 v[44:45], v38 offset0:35 offset1:36
	ds_load_b32 v46, v38 offset:148
	s_waitcnt vmcnt(1)
	v_fmac_f32_e32 v55, v47, v62
	s_waitcnt lgkmcnt(3)
	s_delay_alu instid0(VALU_DEP_1) | instskip(NEXT) | instid1(VALU_DEP_1)
	v_fmac_f32_e32 v55, v48, v40
	v_fmac_f32_e32 v55, v49, v41
	s_waitcnt lgkmcnt(2)
	s_delay_alu instid0(VALU_DEP_1) | instskip(SKIP_1) | instid1(VALU_DEP_1)
	v_fmac_f32_e32 v55, v50, v42
	s_waitcnt vmcnt(0)
	v_fmac_f32_e32 v55, v51, v43
	s_waitcnt lgkmcnt(1)
	s_delay_alu instid0(VALU_DEP_1) | instskip(NEXT) | instid1(VALU_DEP_1)
	v_fmac_f32_e32 v55, v52, v44
	v_fmac_f32_e32 v55, v53, v45
	s_waitcnt lgkmcnt(0)
	s_delay_alu instid0(VALU_DEP_1) | instskip(NEXT) | instid1(VALU_DEP_1)
	v_fmac_f32_e32 v55, v54, v46
	v_sub_f32_e32 v39, v39, v55
	scratch_store_b32 off, v39, off offset:8
	v_cmpx_lt_u32_e32 1, v0
	s_cbranch_execz .LBB81_113
; %bb.112:
	scratch_load_b32 v39, off, off offset:4
	scratch_store_b32 off, v38, off offset:4
	s_waitcnt vmcnt(0)
	ds_store_b32 v37, v39
.LBB81_113:
	s_or_b32 exec_lo, exec_lo, s0
	s_waitcnt lgkmcnt(0)
	s_waitcnt_vscnt null, 0x0
	s_barrier
	buffer_gl0_inv
	s_clause 0x4
	scratch_load_b128 v[39:42], off, off offset:4
	scratch_load_b128 v[43:46], off, off offset:20
	;; [unrolled: 1-line block ×4, first 2 shown]
	scratch_load_b32 v63, off, off offset:68
	ds_load_2addr_b64 v[55:58], v38 offset0:11 offset1:12
	ds_load_2addr_b64 v[59:62], v38 offset0:13 offset1:14
	s_mov_b32 s0, exec_lo
	s_waitcnt vmcnt(4) lgkmcnt(1)
	v_fma_f32 v55, v40, v55, 0
	s_delay_alu instid0(VALU_DEP_1) | instskip(NEXT) | instid1(VALU_DEP_1)
	v_fmac_f32_e32 v55, v41, v56
	v_fmac_f32_e32 v55, v42, v57
	s_waitcnt vmcnt(3)
	s_delay_alu instid0(VALU_DEP_1) | instskip(SKIP_3) | instid1(VALU_DEP_1)
	v_fmac_f32_e32 v55, v43, v58
	ds_load_2addr_b64 v[40:43], v38 offset0:15 offset1:16
	s_waitcnt lgkmcnt(1)
	v_fmac_f32_e32 v55, v44, v59
	v_fmac_f32_e32 v55, v45, v60
	s_delay_alu instid0(VALU_DEP_1) | instskip(SKIP_1) | instid1(VALU_DEP_1)
	v_fmac_f32_e32 v55, v46, v61
	s_waitcnt vmcnt(2)
	v_fmac_f32_e32 v55, v47, v62
	ds_load_2addr_b64 v[44:47], v38 offset0:17 offset1:18
	s_waitcnt lgkmcnt(1)
	v_fmac_f32_e32 v55, v48, v40
	s_delay_alu instid0(VALU_DEP_1) | instskip(NEXT) | instid1(VALU_DEP_1)
	v_fmac_f32_e32 v55, v49, v41
	v_fmac_f32_e32 v55, v50, v42
	s_waitcnt vmcnt(1)
	s_delay_alu instid0(VALU_DEP_1) | instskip(SKIP_1) | instid1(VALU_DEP_1)
	v_fmac_f32_e32 v55, v51, v43
	s_waitcnt lgkmcnt(0)
	v_fmac_f32_e32 v55, v52, v44
	s_delay_alu instid0(VALU_DEP_1) | instskip(NEXT) | instid1(VALU_DEP_1)
	v_fmac_f32_e32 v55, v53, v45
	v_fmac_f32_e32 v55, v54, v46
	s_waitcnt vmcnt(0)
	s_delay_alu instid0(VALU_DEP_1) | instskip(NEXT) | instid1(VALU_DEP_1)
	v_fmac_f32_e32 v55, v63, v47
	v_sub_f32_e32 v38, v39, v55
	scratch_store_b32 off, v38, off offset:4
	v_cmpx_ne_u32_e32 0, v0
	s_cbranch_execz .LBB81_115
; %bb.114:
	scratch_load_b32 v0, off, off
	v_mov_b32_e32 v38, 0
	scratch_store_b32 off, v38, off
	s_waitcnt vmcnt(0)
	ds_store_b32 v37, v0
.LBB81_115:
	s_or_b32 exec_lo, exec_lo, s0
	s_waitcnt lgkmcnt(0)
	s_waitcnt_vscnt null, 0x0
	s_barrier
	buffer_gl0_inv
	s_clause 0x4
	scratch_load_b128 v[39:42], off, off
	scratch_load_b128 v[43:46], off, off offset:16
	scratch_load_b128 v[47:50], off, off offset:32
	;; [unrolled: 1-line block ×3, first 2 shown]
	scratch_load_b64 v[37:38], off, off offset:64
	v_mov_b32_e32 v0, 0
	ds_load_2addr_b32 v[55:56], v0 offset0:21 offset1:22
	ds_load_2addr_b32 v[57:58], v0 offset0:23 offset1:24
	;; [unrolled: 1-line block ×4, first 2 shown]
	s_and_b32 vcc_lo, exec_lo, s12
	s_waitcnt vmcnt(4) lgkmcnt(3)
	v_fma_f32 v55, v40, v55, 0
	s_delay_alu instid0(VALU_DEP_1) | instskip(SKIP_4) | instid1(VALU_DEP_1)
	v_fmac_f32_e32 v55, v41, v56
	ds_load_2addr_b32 v[40:41], v0 offset0:29 offset1:30
	s_waitcnt lgkmcnt(3)
	v_fmac_f32_e32 v55, v42, v57
	s_waitcnt vmcnt(3)
	v_fmac_f32_e32 v55, v43, v58
	ds_load_2addr_b32 v[42:43], v0 offset0:31 offset1:32
	s_waitcnt lgkmcnt(3)
	v_fmac_f32_e32 v55, v44, v59
	s_delay_alu instid0(VALU_DEP_1) | instskip(SKIP_1) | instid1(VALU_DEP_1)
	v_fmac_f32_e32 v55, v45, v60
	s_waitcnt lgkmcnt(2)
	v_fmac_f32_e32 v55, v46, v61
	s_waitcnt vmcnt(2)
	s_delay_alu instid0(VALU_DEP_1)
	v_fmac_f32_e32 v55, v47, v62
	ds_load_2addr_b32 v[44:45], v0 offset0:33 offset1:34
	ds_load_2addr_b32 v[46:47], v0 offset0:35 offset1:36
	ds_load_b32 v0, v0 offset:148
	s_waitcnt lgkmcnt(4)
	v_fmac_f32_e32 v55, v48, v40
	s_delay_alu instid0(VALU_DEP_1) | instskip(SKIP_1) | instid1(VALU_DEP_1)
	v_fmac_f32_e32 v55, v49, v41
	s_waitcnt lgkmcnt(3)
	v_fmac_f32_e32 v55, v50, v42
	s_waitcnt vmcnt(1)
	s_delay_alu instid0(VALU_DEP_1) | instskip(SKIP_1) | instid1(VALU_DEP_1)
	v_fmac_f32_e32 v55, v51, v43
	s_waitcnt lgkmcnt(2)
	v_fmac_f32_e32 v55, v52, v44
	s_delay_alu instid0(VALU_DEP_1) | instskip(SKIP_1) | instid1(VALU_DEP_1)
	v_fmac_f32_e32 v55, v53, v45
	s_waitcnt lgkmcnt(1)
	v_fmac_f32_e32 v55, v54, v46
	s_waitcnt vmcnt(0)
	s_delay_alu instid0(VALU_DEP_1) | instskip(SKIP_1) | instid1(VALU_DEP_1)
	v_fmac_f32_e32 v55, v37, v47
	s_waitcnt lgkmcnt(0)
	v_fmac_f32_e32 v55, v38, v0
	s_delay_alu instid0(VALU_DEP_1)
	v_sub_f32_e32 v0, v39, v55
	scratch_store_b32 off, v0, off
	s_cbranch_vccz .LBB81_151
; %bb.116:
	v_dual_mov_b32 v39, s3 :: v_dual_mov_b32 v38, s2
	s_mov_b32 s0, exec_lo
	flat_load_b32 v0, v[38:39] offset:64
	s_waitcnt vmcnt(0) lgkmcnt(0)
	v_cmpx_ne_u32_e32 17, v0
	s_cbranch_execz .LBB81_118
; %bb.117:
	v_lshl_add_u32 v0, v0, 2, 0
	scratch_load_b32 v38, v0, off offset:-4
	s_waitcnt vmcnt(0)
	scratch_store_b32 off, v38, off offset:64
	scratch_store_b32 v0, v37, off offset:-4
.LBB81_118:
	s_or_b32 exec_lo, exec_lo, s0
	v_dual_mov_b32 v38, s3 :: v_dual_mov_b32 v37, s2
	s_mov_b32 s0, exec_lo
	flat_load_b32 v0, v[37:38] offset:60
	s_waitcnt vmcnt(0) lgkmcnt(0)
	v_cmpx_ne_u32_e32 16, v0
	s_cbranch_execz .LBB81_120
; %bb.119:
	v_lshl_add_u32 v0, v0, 2, 0
	scratch_load_b32 v37, v0, off offset:-4
	scratch_load_b32 v38, off, off offset:60
	s_waitcnt vmcnt(1)
	scratch_store_b32 off, v37, off offset:60
	s_waitcnt vmcnt(0)
	scratch_store_b32 v0, v38, off offset:-4
.LBB81_120:
	s_or_b32 exec_lo, exec_lo, s0
	v_dual_mov_b32 v38, s3 :: v_dual_mov_b32 v37, s2
	s_mov_b32 s0, exec_lo
	flat_load_b32 v0, v[37:38] offset:56
	s_waitcnt vmcnt(0) lgkmcnt(0)
	v_cmpx_ne_u32_e32 15, v0
	s_cbranch_execz .LBB81_122
; %bb.121:
	v_lshl_add_u32 v0, v0, 2, 0
	scratch_load_b32 v37, v0, off offset:-4
	scratch_load_b32 v38, off, off offset:56
	s_waitcnt vmcnt(1)
	scratch_store_b32 off, v37, off offset:56
	s_waitcnt vmcnt(0)
	scratch_store_b32 v0, v38, off offset:-4
.LBB81_122:
	;; [unrolled: 16-line block ×15, first 2 shown]
	s_or_b32 exec_lo, exec_lo, s0
	v_dual_mov_b32 v38, s3 :: v_dual_mov_b32 v37, s2
	s_mov_b32 s0, exec_lo
	flat_load_b32 v37, v[37:38]
	scratch_load_b32 v0, off, off
	s_waitcnt vmcnt(1) lgkmcnt(0)
	v_cmpx_ne_u32_e32 1, v37
	s_cbranch_execz .LBB81_150
; %bb.149:
	v_lshl_add_u32 v37, v37, 2, 0
	scratch_load_b32 v38, v37, off offset:-4
	s_waitcnt vmcnt(0)
	scratch_store_b32 off, v38, off
	scratch_store_b32 v37, v0, off offset:-4
	scratch_load_b32 v0, off, off
.LBB81_150:
	s_or_b32 exec_lo, exec_lo, s0
.LBB81_151:
	s_clause 0x4
	scratch_load_b128 v[37:40], off, off offset:4
	scratch_load_b128 v[41:44], off, off offset:20
	scratch_load_b128 v[45:48], off, off offset:36
	scratch_load_b128 v[49:52], off, off offset:52
	scratch_load_b32 v53, off, off offset:68
	s_waitcnt vmcnt(5)
	global_store_b32 v[1:2], v0, off
	s_waitcnt vmcnt(4)
	s_clause 0x3
	global_store_b32 v[3:4], v37, off
	global_store_b32 v[5:6], v38, off
	global_store_b32 v[7:8], v39, off
	global_store_b32 v[9:10], v40, off
	s_waitcnt vmcnt(3)
	s_clause 0x3
	global_store_b32 v[11:12], v41, off
	global_store_b32 v[13:14], v42, off
	global_store_b32 v[15:16], v43, off
	;; [unrolled: 6-line block ×4, first 2 shown]
	global_store_b32 v[33:34], v52, off
	s_waitcnt vmcnt(0)
	global_store_b32 v[35:36], v53, off
	s_endpgm
	.section	.rodata,"a",@progbits
	.p2align	6, 0x0
	.amdhsa_kernel _ZN9rocsolver6v33100L18getri_kernel_smallILi18EfPKPfEEvT1_iilPiilS6_bb
		.amdhsa_group_segment_fixed_size 152
		.amdhsa_private_segment_fixed_size 80
		.amdhsa_kernarg_size 60
		.amdhsa_user_sgpr_count 15
		.amdhsa_user_sgpr_dispatch_ptr 0
		.amdhsa_user_sgpr_queue_ptr 0
		.amdhsa_user_sgpr_kernarg_segment_ptr 1
		.amdhsa_user_sgpr_dispatch_id 0
		.amdhsa_user_sgpr_private_segment_size 0
		.amdhsa_wavefront_size32 1
		.amdhsa_uses_dynamic_stack 0
		.amdhsa_enable_private_segment 1
		.amdhsa_system_sgpr_workgroup_id_x 1
		.amdhsa_system_sgpr_workgroup_id_y 0
		.amdhsa_system_sgpr_workgroup_id_z 0
		.amdhsa_system_sgpr_workgroup_info 0
		.amdhsa_system_vgpr_workitem_id 0
		.amdhsa_next_free_vgpr 64
		.amdhsa_next_free_sgpr 17
		.amdhsa_reserve_vcc 1
		.amdhsa_float_round_mode_32 0
		.amdhsa_float_round_mode_16_64 0
		.amdhsa_float_denorm_mode_32 3
		.amdhsa_float_denorm_mode_16_64 3
		.amdhsa_dx10_clamp 1
		.amdhsa_ieee_mode 1
		.amdhsa_fp16_overflow 0
		.amdhsa_workgroup_processor_mode 1
		.amdhsa_memory_ordered 1
		.amdhsa_forward_progress 0
		.amdhsa_shared_vgpr_count 0
		.amdhsa_exception_fp_ieee_invalid_op 0
		.amdhsa_exception_fp_denorm_src 0
		.amdhsa_exception_fp_ieee_div_zero 0
		.amdhsa_exception_fp_ieee_overflow 0
		.amdhsa_exception_fp_ieee_underflow 0
		.amdhsa_exception_fp_ieee_inexact 0
		.amdhsa_exception_int_div_zero 0
	.end_amdhsa_kernel
	.section	.text._ZN9rocsolver6v33100L18getri_kernel_smallILi18EfPKPfEEvT1_iilPiilS6_bb,"axG",@progbits,_ZN9rocsolver6v33100L18getri_kernel_smallILi18EfPKPfEEvT1_iilPiilS6_bb,comdat
.Lfunc_end81:
	.size	_ZN9rocsolver6v33100L18getri_kernel_smallILi18EfPKPfEEvT1_iilPiilS6_bb, .Lfunc_end81-_ZN9rocsolver6v33100L18getri_kernel_smallILi18EfPKPfEEvT1_iilPiilS6_bb
                                        ; -- End function
	.section	.AMDGPU.csdata,"",@progbits
; Kernel info:
; codeLenInByte = 9756
; NumSgprs: 19
; NumVgprs: 64
; ScratchSize: 80
; MemoryBound: 0
; FloatMode: 240
; IeeeMode: 1
; LDSByteSize: 152 bytes/workgroup (compile time only)
; SGPRBlocks: 2
; VGPRBlocks: 7
; NumSGPRsForWavesPerEU: 19
; NumVGPRsForWavesPerEU: 64
; Occupancy: 16
; WaveLimiterHint : 1
; COMPUTE_PGM_RSRC2:SCRATCH_EN: 1
; COMPUTE_PGM_RSRC2:USER_SGPR: 15
; COMPUTE_PGM_RSRC2:TRAP_HANDLER: 0
; COMPUTE_PGM_RSRC2:TGID_X_EN: 1
; COMPUTE_PGM_RSRC2:TGID_Y_EN: 0
; COMPUTE_PGM_RSRC2:TGID_Z_EN: 0
; COMPUTE_PGM_RSRC2:TIDIG_COMP_CNT: 0
	.section	.text._ZN9rocsolver6v33100L18getri_kernel_smallILi19EfPKPfEEvT1_iilPiilS6_bb,"axG",@progbits,_ZN9rocsolver6v33100L18getri_kernel_smallILi19EfPKPfEEvT1_iilPiilS6_bb,comdat
	.globl	_ZN9rocsolver6v33100L18getri_kernel_smallILi19EfPKPfEEvT1_iilPiilS6_bb ; -- Begin function _ZN9rocsolver6v33100L18getri_kernel_smallILi19EfPKPfEEvT1_iilPiilS6_bb
	.p2align	8
	.type	_ZN9rocsolver6v33100L18getri_kernel_smallILi19EfPKPfEEvT1_iilPiilS6_bb,@function
_ZN9rocsolver6v33100L18getri_kernel_smallILi19EfPKPfEEvT1_iilPiilS6_bb: ; @_ZN9rocsolver6v33100L18getri_kernel_smallILi19EfPKPfEEvT1_iilPiilS6_bb
; %bb.0:
	s_mov_b32 s2, exec_lo
	v_cmpx_gt_u32_e32 19, v0
	s_cbranch_execz .LBB82_84
; %bb.1:
	s_clause 0x1
	s_load_b32 s13, s[0:1], 0x38
	s_load_b64 s[2:3], s[0:1], 0x0
	s_mov_b32 s8, s15
	s_load_b128 s[4:7], s[0:1], 0x28
	s_waitcnt lgkmcnt(0)
	s_bitcmp1_b32 s13, 8
	s_cselect_b32 s12, -1, 0
	s_ashr_i32 s9, s15, 31
	s_delay_alu instid0(SALU_CYCLE_1) | instskip(NEXT) | instid1(SALU_CYCLE_1)
	s_lshl_b64 s[10:11], s[8:9], 3
	s_add_u32 s2, s2, s10
	s_addc_u32 s3, s3, s11
	s_load_b64 s[10:11], s[2:3], 0x0
	s_bfe_u32 s2, s13, 0x10008
	s_delay_alu instid0(SALU_CYCLE_1)
	s_cmp_eq_u32 s2, 0
                                        ; implicit-def: $sgpr2_sgpr3
	s_cbranch_scc1 .LBB82_3
; %bb.2:
	s_clause 0x1
	s_load_b32 s2, s[0:1], 0x20
	s_load_b64 s[14:15], s[0:1], 0x18
	s_mul_i32 s3, s8, s5
	s_mul_hi_u32 s5, s8, s4
	s_mul_i32 s16, s9, s4
	s_add_i32 s3, s5, s3
	s_mul_i32 s4, s8, s4
	s_add_i32 s5, s3, s16
	s_delay_alu instid0(SALU_CYCLE_1)
	s_lshl_b64 s[4:5], s[4:5], 2
	s_waitcnt lgkmcnt(0)
	s_ashr_i32 s3, s2, 31
	s_add_u32 s4, s14, s4
	s_addc_u32 s5, s15, s5
	s_lshl_b64 s[2:3], s[2:3], 2
	s_delay_alu instid0(SALU_CYCLE_1)
	s_add_u32 s2, s4, s2
	s_addc_u32 s3, s5, s3
.LBB82_3:
	s_load_b64 s[0:1], s[0:1], 0x8
	v_lshlrev_b32_e32 v1, 2, v0
	s_waitcnt lgkmcnt(0)
	v_add3_u32 v5, s1, s1, v0
	s_ashr_i32 s5, s0, 31
	s_mov_b32 s4, s0
	s_mov_b32 s14, s1
	s_lshl_b64 s[4:5], s[4:5], 2
	v_add_nc_u32_e32 v7, s1, v5
	v_ashrrev_i32_e32 v6, 31, v5
	s_add_u32 s4, s10, s4
	s_addc_u32 s5, s11, s5
	v_add_co_u32 v3, s0, s4, v1
	v_add_nc_u32_e32 v11, s1, v7
	v_ashrrev_i32_e32 v8, 31, v7
	s_ashr_i32 s15, s1, 31
	v_add_co_ci_u32_e64 v4, null, s5, 0, s0
	v_lshlrev_b64 v[9:10], 2, v[5:6]
	s_lshl_b64 s[10:11], s[14:15], 2
	v_add_nc_u32_e32 v15, s1, v11
	v_add_co_u32 v5, vcc_lo, v3, s10
	v_lshlrev_b64 v[13:14], 2, v[7:8]
	v_add_co_ci_u32_e32 v6, vcc_lo, s11, v4, vcc_lo
	v_add_co_u32 v7, vcc_lo, s4, v9
	v_ashrrev_i32_e32 v16, 31, v15
	v_add_nc_u32_e32 v17, s1, v15
	v_ashrrev_i32_e32 v12, 31, v11
	v_add_co_ci_u32_e32 v8, vcc_lo, s5, v10, vcc_lo
	v_add_co_u32 v9, vcc_lo, s4, v13
	v_add_co_ci_u32_e32 v10, vcc_lo, s5, v14, vcc_lo
	v_lshlrev_b64 v[13:14], 2, v[15:16]
	v_add_nc_u32_e32 v15, s1, v17
	v_lshlrev_b64 v[11:12], 2, v[11:12]
	v_ashrrev_i32_e32 v18, 31, v17
	global_load_b32 v41, v1, s[4:5]
	s_bitcmp0_b32 s13, 0
	v_ashrrev_i32_e32 v16, 31, v15
	v_add_nc_u32_e32 v19, s1, v15
	v_add_co_u32 v11, vcc_lo, s4, v11
	v_lshlrev_b64 v[17:18], 2, v[17:18]
	v_add_co_ci_u32_e32 v12, vcc_lo, s5, v12, vcc_lo
	v_add_co_u32 v13, vcc_lo, s4, v13
	v_lshlrev_b64 v[21:22], 2, v[15:16]
	v_add_nc_u32_e32 v23, s1, v19
	v_add_co_ci_u32_e32 v14, vcc_lo, s5, v14, vcc_lo
	v_add_co_u32 v15, vcc_lo, s4, v17
	v_add_co_ci_u32_e32 v16, vcc_lo, s5, v18, vcc_lo
	v_add_co_u32 v17, vcc_lo, s4, v21
	v_add_nc_u32_e32 v21, s1, v23
	v_ashrrev_i32_e32 v20, 31, v19
	v_ashrrev_i32_e32 v24, 31, v23
	v_add_co_ci_u32_e32 v18, vcc_lo, s5, v22, vcc_lo
	s_delay_alu instid0(VALU_DEP_4) | instskip(NEXT) | instid1(VALU_DEP_4)
	v_add_nc_u32_e32 v25, s1, v21
	v_lshlrev_b64 v[19:20], 2, v[19:20]
	v_ashrrev_i32_e32 v22, 31, v21
	v_lshlrev_b64 v[23:24], 2, v[23:24]
	s_delay_alu instid0(VALU_DEP_4)
	v_add_nc_u32_e32 v29, s1, v25
	v_ashrrev_i32_e32 v26, 31, v25
	v_add_co_u32 v19, vcc_lo, s4, v19
	v_lshlrev_b64 v[27:28], 2, v[21:22]
	v_add_co_ci_u32_e32 v20, vcc_lo, s5, v20, vcc_lo
	v_add_co_u32 v21, vcc_lo, s4, v23
	v_ashrrev_i32_e32 v30, 31, v29
	v_add_nc_u32_e32 v31, s1, v29
	v_add_co_ci_u32_e32 v22, vcc_lo, s5, v24, vcc_lo
	v_add_co_u32 v23, vcc_lo, s4, v27
	v_add_co_ci_u32_e32 v24, vcc_lo, s5, v28, vcc_lo
	v_lshlrev_b64 v[27:28], 2, v[29:30]
	v_add_nc_u32_e32 v29, s1, v31
	v_lshlrev_b64 v[25:26], 2, v[25:26]
	v_ashrrev_i32_e32 v32, 31, v31
	s_clause 0x7
	global_load_b32 v42, v[5:6], off
	global_load_b32 v43, v[7:8], off
	;; [unrolled: 1-line block ×8, first 2 shown]
	v_add_nc_u32_e32 v33, s1, v29
	v_ashrrev_i32_e32 v30, 31, v29
	v_add_co_u32 v25, vcc_lo, s4, v25
	v_lshlrev_b64 v[31:32], 2, v[31:32]
	s_delay_alu instid0(VALU_DEP_4)
	v_add_nc_u32_e32 v37, s1, v33
	v_add_co_ci_u32_e32 v26, vcc_lo, s5, v26, vcc_lo
	v_add_co_u32 v27, vcc_lo, s4, v27
	v_lshlrev_b64 v[35:36], 2, v[29:30]
	v_add_co_ci_u32_e32 v28, vcc_lo, s5, v28, vcc_lo
	v_add_co_u32 v29, vcc_lo, s4, v31
	v_ashrrev_i32_e32 v38, 31, v37
	v_add_nc_u32_e32 v39, s1, v37
	v_ashrrev_i32_e32 v34, 31, v33
	v_add_co_ci_u32_e32 v30, vcc_lo, s5, v32, vcc_lo
	v_add_co_u32 v31, vcc_lo, s4, v35
	v_add_co_ci_u32_e32 v32, vcc_lo, s5, v36, vcc_lo
	v_lshlrev_b64 v[35:36], 2, v[37:38]
	v_add_nc_u32_e32 v37, s1, v39
	v_lshlrev_b64 v[33:34], 2, v[33:34]
	v_ashrrev_i32_e32 v40, 31, v39
	s_mov_b32 s1, -1
	s_delay_alu instid0(VALU_DEP_3) | instskip(NEXT) | instid1(VALU_DEP_3)
	v_ashrrev_i32_e32 v38, 31, v37
	v_add_co_u32 v33, vcc_lo, s4, v33
	s_delay_alu instid0(VALU_DEP_3)
	v_lshlrev_b64 v[39:40], 2, v[39:40]
	v_add_co_ci_u32_e32 v34, vcc_lo, s5, v34, vcc_lo
	v_add_co_u32 v35, vcc_lo, s4, v35
	v_lshlrev_b64 v[50:51], 2, v[37:38]
	v_add_co_ci_u32_e32 v36, vcc_lo, s5, v36, vcc_lo
	v_add_co_u32 v37, vcc_lo, s4, v39
	v_add_co_ci_u32_e32 v38, vcc_lo, s5, v40, vcc_lo
	s_delay_alu instid0(VALU_DEP_4)
	v_add_co_u32 v39, vcc_lo, s4, v50
	v_add_co_ci_u32_e32 v40, vcc_lo, s5, v51, vcc_lo
	s_clause 0x9
	global_load_b32 v50, v[21:22], off
	global_load_b32 v51, v[23:24], off
	;; [unrolled: 1-line block ×10, first 2 shown]
	s_waitcnt vmcnt(15)
	scratch_store_b128 off, v[41:44], off
	s_waitcnt vmcnt(11)
	scratch_store_b128 off, v[45:48], off offset:16
	s_waitcnt vmcnt(7)
	scratch_store_b128 off, v[49:52], off offset:32
	;; [unrolled: 2-line block ×3, first 2 shown]
	s_waitcnt vmcnt(0)
	scratch_store_b96 off, v[57:59], off offset:64
	s_cbranch_scc1 .LBB82_82
; %bb.4:
	v_cmp_eq_u32_e64 s0, 0, v0
	s_delay_alu instid0(VALU_DEP_1)
	s_and_saveexec_b32 s1, s0
	s_cbranch_execz .LBB82_6
; %bb.5:
	v_mov_b32_e32 v2, 0
	ds_store_b32 v2, v2 offset:76
.LBB82_6:
	s_or_b32 exec_lo, exec_lo, s1
	s_waitcnt lgkmcnt(0)
	s_waitcnt_vscnt null, 0x0
	s_barrier
	buffer_gl0_inv
	scratch_load_b32 v2, v1, off
	s_mov_b32 s4, exec_lo
	s_waitcnt vmcnt(0)
	v_cmpx_eq_f32_e32 0, v2
	s_cbranch_execz .LBB82_10
; %bb.7:
	v_mov_b32_e32 v2, 0
	s_mov_b32 s5, 0
	ds_load_b32 v41, v2 offset:76
	s_waitcnt lgkmcnt(0)
	v_readfirstlane_b32 s1, v41
	v_add_nc_u32_e32 v41, 1, v0
	s_delay_alu instid0(VALU_DEP_2) | instskip(NEXT) | instid1(VALU_DEP_1)
	s_cmp_eq_u32 s1, 0
	v_cmp_gt_i32_e32 vcc_lo, s1, v41
	s_cselect_b32 s10, -1, 0
	s_delay_alu instid0(SALU_CYCLE_1) | instskip(NEXT) | instid1(SALU_CYCLE_1)
	s_or_b32 s10, s10, vcc_lo
	s_and_b32 exec_lo, exec_lo, s10
	s_cbranch_execz .LBB82_10
; %bb.8:
	v_mov_b32_e32 v42, s1
.LBB82_9:                               ; =>This Inner Loop Header: Depth=1
	ds_cmpstore_rtn_b32 v42, v2, v41, v42 offset:76
	s_waitcnt lgkmcnt(0)
	v_cmp_ne_u32_e32 vcc_lo, 0, v42
	v_cmp_le_i32_e64 s1, v42, v41
	s_delay_alu instid0(VALU_DEP_1) | instskip(NEXT) | instid1(SALU_CYCLE_1)
	s_and_b32 s1, vcc_lo, s1
	s_and_b32 s1, exec_lo, s1
	s_delay_alu instid0(SALU_CYCLE_1) | instskip(NEXT) | instid1(SALU_CYCLE_1)
	s_or_b32 s5, s1, s5
	s_and_not1_b32 exec_lo, exec_lo, s5
	s_cbranch_execnz .LBB82_9
.LBB82_10:
	s_or_b32 exec_lo, exec_lo, s4
	v_mov_b32_e32 v2, 0
	s_barrier
	buffer_gl0_inv
	ds_load_b32 v41, v2 offset:76
	s_and_saveexec_b32 s1, s0
	s_cbranch_execz .LBB82_12
; %bb.11:
	s_lshl_b64 s[4:5], s[8:9], 2
	s_delay_alu instid0(SALU_CYCLE_1)
	s_add_u32 s4, s6, s4
	s_addc_u32 s5, s7, s5
	s_waitcnt lgkmcnt(0)
	global_store_b32 v2, v41, s[4:5]
.LBB82_12:
	s_or_b32 exec_lo, exec_lo, s1
	s_waitcnt lgkmcnt(0)
	v_cmp_ne_u32_e32 vcc_lo, 0, v41
	s_mov_b32 s1, 0
	s_cbranch_vccnz .LBB82_82
; %bb.13:
	v_add_nc_u32_e32 v2, 0, v1
	scratch_load_b32 v41, v2, off
	s_waitcnt vmcnt(0)
	v_div_scale_f32 v42, null, v41, v41, 1.0
	v_div_scale_f32 v45, vcc_lo, 1.0, v41, 1.0
	s_delay_alu instid0(VALU_DEP_2) | instskip(SKIP_2) | instid1(VALU_DEP_1)
	v_rcp_f32_e32 v43, v42
	s_waitcnt_depctr 0xfff
	v_fma_f32 v44, -v42, v43, 1.0
	v_fmac_f32_e32 v43, v44, v43
	s_delay_alu instid0(VALU_DEP_1) | instskip(NEXT) | instid1(VALU_DEP_1)
	v_mul_f32_e32 v44, v45, v43
	v_fma_f32 v46, -v42, v44, v45
	s_delay_alu instid0(VALU_DEP_1) | instskip(NEXT) | instid1(VALU_DEP_1)
	v_fmac_f32_e32 v44, v46, v43
	v_fma_f32 v42, -v42, v44, v45
	s_delay_alu instid0(VALU_DEP_1) | instskip(NEXT) | instid1(VALU_DEP_1)
	v_div_fmas_f32 v42, v42, v43, v44
	v_div_fixup_f32 v41, v42, v41, 1.0
	scratch_store_b32 v2, v41, off
	scratch_load_b32 v42, off, off offset:4
	v_xor_b32_e32 v43, 0x80000000, v41
	v_add_nc_u32_e32 v41, 0x50, v1
	s_waitcnt vmcnt(0)
	ds_store_2addr_b32 v1, v43, v42 offset1:20
	s_waitcnt lgkmcnt(0)
	s_waitcnt_vscnt null, 0x0
	s_barrier
	buffer_gl0_inv
	s_and_saveexec_b32 s1, s0
	s_cbranch_execz .LBB82_15
; %bb.14:
	scratch_load_b32 v42, v2, off
	ds_load_b32 v43, v41
	v_mov_b32_e32 v44, 0
	ds_load_b32 v44, v44 offset:4
	s_waitcnt vmcnt(0) lgkmcnt(1)
	v_fma_f32 v42, v42, v43, 0
	s_waitcnt lgkmcnt(0)
	s_delay_alu instid0(VALU_DEP_1)
	v_mul_f32_e32 v42, v42, v44
	scratch_store_b32 off, v42, off offset:4
.LBB82_15:
	s_or_b32 exec_lo, exec_lo, s1
	s_waitcnt_vscnt null, 0x0
	s_barrier
	buffer_gl0_inv
	scratch_load_b32 v42, off, off offset:8
	s_mov_b32 s1, exec_lo
	s_waitcnt vmcnt(0)
	ds_store_b32 v41, v42
	s_waitcnt lgkmcnt(0)
	s_barrier
	buffer_gl0_inv
	v_cmpx_gt_u32_e32 2, v0
	s_cbranch_execz .LBB82_17
; %bb.16:
	scratch_load_b32 v44, v2, off
	scratch_load_b32 v45, off, off offset:4
	ds_load_b32 v46, v41
	v_mov_b32_e32 v42, 0
	ds_load_2addr_b32 v[42:43], v42 offset0:2 offset1:21
	s_waitcnt vmcnt(1) lgkmcnt(1)
	v_fma_f32 v44, v44, v46, 0
	s_waitcnt vmcnt(0) lgkmcnt(0)
	s_delay_alu instid0(VALU_DEP_1) | instskip(NEXT) | instid1(VALU_DEP_1)
	v_fma_f32 v43, v45, v43, v44
	v_cndmask_b32_e64 v43, v44, v43, s0
	s_delay_alu instid0(VALU_DEP_1)
	v_mul_f32_e32 v42, v43, v42
	scratch_store_b32 off, v42, off offset:8
.LBB82_17:
	s_or_b32 exec_lo, exec_lo, s1
	s_waitcnt_vscnt null, 0x0
	s_barrier
	buffer_gl0_inv
	scratch_load_b32 v43, off, off offset:12
	v_add_nc_u32_e32 v42, -1, v0
	s_mov_b32 s0, exec_lo
	s_waitcnt vmcnt(0)
	ds_store_b32 v41, v43
	s_waitcnt lgkmcnt(0)
	s_barrier
	buffer_gl0_inv
	v_cmpx_gt_u32_e32 3, v0
	s_cbranch_execz .LBB82_21
; %bb.18:
	v_dual_mov_b32 v43, 0 :: v_dual_add_nc_u32 v44, -1, v0
	v_add_nc_u32_e32 v45, 0x50, v1
	v_add_nc_u32_e32 v46, 0, v1
	s_mov_b32 s1, 0
.LBB82_19:                              ; =>This Inner Loop Header: Depth=1
	scratch_load_b32 v47, v46, off
	ds_load_b32 v48, v45
	v_add_nc_u32_e32 v44, 1, v44
	v_add_nc_u32_e32 v45, 4, v45
	v_add_nc_u32_e32 v46, 4, v46
	s_delay_alu instid0(VALU_DEP_3)
	v_cmp_lt_u32_e32 vcc_lo, 1, v44
	s_or_b32 s1, vcc_lo, s1
	s_waitcnt vmcnt(0) lgkmcnt(0)
	v_fmac_f32_e32 v43, v47, v48
	s_and_not1_b32 exec_lo, exec_lo, s1
	s_cbranch_execnz .LBB82_19
; %bb.20:
	s_or_b32 exec_lo, exec_lo, s1
	v_mov_b32_e32 v44, 0
	ds_load_b32 v44, v44 offset:12
	s_waitcnt lgkmcnt(0)
	v_mul_f32_e32 v43, v43, v44
	scratch_store_b32 off, v43, off offset:12
.LBB82_21:
	s_or_b32 exec_lo, exec_lo, s0
	s_waitcnt_vscnt null, 0x0
	s_barrier
	buffer_gl0_inv
	scratch_load_b32 v43, off, off offset:16
	s_mov_b32 s0, exec_lo
	s_waitcnt vmcnt(0)
	ds_store_b32 v41, v43
	s_waitcnt lgkmcnt(0)
	s_barrier
	buffer_gl0_inv
	v_cmpx_gt_u32_e32 4, v0
	s_cbranch_execz .LBB82_25
; %bb.22:
	v_dual_mov_b32 v43, 0 :: v_dual_add_nc_u32 v44, -1, v0
	v_add_nc_u32_e32 v45, 0x50, v1
	v_add_nc_u32_e32 v46, 0, v1
	s_mov_b32 s1, 0
.LBB82_23:                              ; =>This Inner Loop Header: Depth=1
	scratch_load_b32 v47, v46, off
	ds_load_b32 v48, v45
	v_add_nc_u32_e32 v44, 1, v44
	v_add_nc_u32_e32 v45, 4, v45
	v_add_nc_u32_e32 v46, 4, v46
	s_delay_alu instid0(VALU_DEP_3)
	v_cmp_lt_u32_e32 vcc_lo, 2, v44
	s_or_b32 s1, vcc_lo, s1
	s_waitcnt vmcnt(0) lgkmcnt(0)
	v_fmac_f32_e32 v43, v47, v48
	s_and_not1_b32 exec_lo, exec_lo, s1
	s_cbranch_execnz .LBB82_23
; %bb.24:
	s_or_b32 exec_lo, exec_lo, s1
	v_mov_b32_e32 v44, 0
	ds_load_b32 v44, v44 offset:16
	s_waitcnt lgkmcnt(0)
	v_mul_f32_e32 v43, v43, v44
	scratch_store_b32 off, v43, off offset:16
.LBB82_25:
	s_or_b32 exec_lo, exec_lo, s0
	s_waitcnt_vscnt null, 0x0
	s_barrier
	buffer_gl0_inv
	scratch_load_b32 v43, off, off offset:20
	;; [unrolled: 39-line block ×14, first 2 shown]
	s_mov_b32 s0, exec_lo
	s_waitcnt vmcnt(0)
	ds_store_b32 v41, v43
	s_waitcnt lgkmcnt(0)
	s_barrier
	buffer_gl0_inv
	v_cmpx_gt_u32_e32 17, v0
	s_cbranch_execz .LBB82_77
; %bb.74:
	v_add_nc_u32_e32 v43, -1, v0
	v_add_nc_u32_e32 v44, 0x50, v1
	v_add_nc_u32_e32 v45, 0, v1
	v_mov_b32_e32 v1, 0
	s_mov_b32 s1, 0
.LBB82_75:                              ; =>This Inner Loop Header: Depth=1
	scratch_load_b32 v46, v45, off
	ds_load_b32 v47, v44
	v_add_nc_u32_e32 v43, 1, v43
	v_add_nc_u32_e32 v44, 4, v44
	v_add_nc_u32_e32 v45, 4, v45
	s_delay_alu instid0(VALU_DEP_3)
	v_cmp_lt_u32_e32 vcc_lo, 15, v43
	s_or_b32 s1, vcc_lo, s1
	s_waitcnt vmcnt(0) lgkmcnt(0)
	v_fmac_f32_e32 v1, v46, v47
	s_and_not1_b32 exec_lo, exec_lo, s1
	s_cbranch_execnz .LBB82_75
; %bb.76:
	s_or_b32 exec_lo, exec_lo, s1
	v_mov_b32_e32 v43, 0
	ds_load_b32 v43, v43 offset:68
	s_waitcnt lgkmcnt(0)
	v_mul_f32_e32 v1, v1, v43
	scratch_store_b32 off, v1, off offset:68
.LBB82_77:
	s_or_b32 exec_lo, exec_lo, s0
	s_waitcnt_vscnt null, 0x0
	s_barrier
	buffer_gl0_inv
	scratch_load_b32 v1, off, off offset:72
	s_mov_b32 s0, exec_lo
	s_waitcnt vmcnt(0)
	ds_store_b32 v41, v1
	s_waitcnt lgkmcnt(0)
	s_barrier
	buffer_gl0_inv
	v_cmpx_ne_u32_e32 18, v0
	s_cbranch_execz .LBB82_81
; %bb.78:
	v_mov_b32_e32 v1, 0
	s_mov_b32 s1, 0
.LBB82_79:                              ; =>This Inner Loop Header: Depth=1
	scratch_load_b32 v43, v2, off
	ds_load_b32 v44, v41
	v_add_nc_u32_e32 v42, 1, v42
	v_add_nc_u32_e32 v41, 4, v41
	s_waitcnt vmcnt(0) lgkmcnt(0)
	v_dual_fmac_f32 v1, v43, v44 :: v_dual_add_nc_u32 v2, 4, v2
	s_delay_alu instid0(VALU_DEP_3) | instskip(SKIP_1) | instid1(SALU_CYCLE_1)
	v_cmp_lt_u32_e32 vcc_lo, 16, v42
	s_or_b32 s1, vcc_lo, s1
	s_and_not1_b32 exec_lo, exec_lo, s1
	s_cbranch_execnz .LBB82_79
; %bb.80:
	s_or_b32 exec_lo, exec_lo, s1
	v_mov_b32_e32 v2, 0
	ds_load_b32 v2, v2 offset:72
	s_waitcnt lgkmcnt(0)
	v_mul_f32_e32 v1, v1, v2
	scratch_store_b32 off, v1, off offset:72
.LBB82_81:
	s_or_b32 exec_lo, exec_lo, s0
	s_mov_b32 s1, -1
	s_waitcnt_vscnt null, 0x0
	s_barrier
	buffer_gl0_inv
.LBB82_82:
	s_and_b32 vcc_lo, exec_lo, s1
	s_cbranch_vccz .LBB82_84
; %bb.83:
	s_lshl_b64 s[0:1], s[8:9], 2
	v_mov_b32_e32 v1, 0
	s_add_u32 s0, s6, s0
	s_addc_u32 s1, s7, s1
	global_load_b32 v1, v1, s[0:1]
	s_waitcnt vmcnt(0)
	v_cmp_ne_u32_e32 vcc_lo, 0, v1
	s_cbranch_vccz .LBB82_85
.LBB82_84:
	s_endpgm
.LBB82_85:
	v_lshl_add_u32 v1, v0, 2, 0x50
	s_mov_b32 s0, exec_lo
	v_cmpx_eq_u32_e32 18, v0
	s_cbranch_execz .LBB82_87
; %bb.86:
	scratch_load_b32 v2, off, off offset:68
	v_mov_b32_e32 v41, 0
	scratch_store_b32 off, v41, off offset:68
	s_waitcnt vmcnt(0)
	ds_store_b32 v1, v2
.LBB82_87:
	s_or_b32 exec_lo, exec_lo, s0
	s_waitcnt lgkmcnt(0)
	s_waitcnt_vscnt null, 0x0
	s_barrier
	buffer_gl0_inv
	scratch_load_b64 v[41:42], off, off offset:68
	v_mov_b32_e32 v2, 0
	s_mov_b32 s0, exec_lo
	ds_load_b32 v43, v2 offset:152
	s_waitcnt vmcnt(0) lgkmcnt(0)
	v_fma_f32 v42, v42, v43, 0
	s_delay_alu instid0(VALU_DEP_1)
	v_sub_f32_e32 v41, v41, v42
	scratch_store_b32 off, v41, off offset:68
	v_cmpx_lt_u32_e32 16, v0
	s_cbranch_execz .LBB82_89
; %bb.88:
	scratch_load_b32 v41, off, off offset:64
	scratch_store_b32 off, v2, off offset:64
	s_waitcnt vmcnt(0)
	ds_store_b32 v1, v41
.LBB82_89:
	s_or_b32 exec_lo, exec_lo, s0
	s_waitcnt lgkmcnt(0)
	s_waitcnt_vscnt null, 0x0
	s_barrier
	buffer_gl0_inv
	scratch_load_b96 v[41:43], off, off offset:64
	ds_load_2addr_b32 v[44:45], v2 offset0:37 offset1:38
	s_mov_b32 s0, exec_lo
	s_waitcnt vmcnt(0) lgkmcnt(0)
	v_fma_f32 v2, v42, v44, 0
	s_delay_alu instid0(VALU_DEP_1) | instskip(NEXT) | instid1(VALU_DEP_1)
	v_fmac_f32_e32 v2, v43, v45
	v_sub_f32_e32 v2, v41, v2
	scratch_store_b32 off, v2, off offset:64
	v_cmpx_lt_u32_e32 15, v0
	s_cbranch_execz .LBB82_91
; %bb.90:
	scratch_load_b32 v2, off, off offset:60
	v_mov_b32_e32 v41, 0
	scratch_store_b32 off, v41, off offset:60
	s_waitcnt vmcnt(0)
	ds_store_b32 v1, v2
.LBB82_91:
	s_or_b32 exec_lo, exec_lo, s0
	s_waitcnt lgkmcnt(0)
	s_waitcnt_vscnt null, 0x0
	s_barrier
	buffer_gl0_inv
	scratch_load_b128 v[41:44], off, off offset:60
	v_mov_b32_e32 v2, 0
	s_mov_b32 s0, exec_lo
	ds_load_b96 v[45:47], v2 offset:144
	s_waitcnt vmcnt(0) lgkmcnt(0)
	v_fma_f32 v42, v42, v45, 0
	s_delay_alu instid0(VALU_DEP_1) | instskip(NEXT) | instid1(VALU_DEP_1)
	v_fmac_f32_e32 v42, v43, v46
	v_fmac_f32_e32 v42, v44, v47
	s_delay_alu instid0(VALU_DEP_1)
	v_sub_f32_e32 v41, v41, v42
	scratch_store_b32 off, v41, off offset:60
	v_cmpx_lt_u32_e32 14, v0
	s_cbranch_execz .LBB82_93
; %bb.92:
	scratch_load_b32 v41, off, off offset:56
	scratch_store_b32 off, v2, off offset:56
	s_waitcnt vmcnt(0)
	ds_store_b32 v1, v41
.LBB82_93:
	s_or_b32 exec_lo, exec_lo, s0
	s_waitcnt lgkmcnt(0)
	s_waitcnt_vscnt null, 0x0
	s_barrier
	buffer_gl0_inv
	s_clause 0x1
	scratch_load_b128 v[41:44], off, off offset:56
	scratch_load_b32 v49, off, off offset:72
	ds_load_2addr_b32 v[45:46], v2 offset0:35 offset1:36
	ds_load_2addr_b32 v[47:48], v2 offset0:37 offset1:38
	s_mov_b32 s0, exec_lo
	s_waitcnt vmcnt(1) lgkmcnt(1)
	v_fma_f32 v2, v42, v45, 0
	s_delay_alu instid0(VALU_DEP_1) | instskip(SKIP_1) | instid1(VALU_DEP_1)
	v_fmac_f32_e32 v2, v43, v46
	s_waitcnt lgkmcnt(0)
	v_fmac_f32_e32 v2, v44, v47
	s_waitcnt vmcnt(0)
	s_delay_alu instid0(VALU_DEP_1) | instskip(NEXT) | instid1(VALU_DEP_1)
	v_fmac_f32_e32 v2, v49, v48
	v_sub_f32_e32 v2, v41, v2
	scratch_store_b32 off, v2, off offset:56
	v_cmpx_lt_u32_e32 13, v0
	s_cbranch_execz .LBB82_95
; %bb.94:
	scratch_load_b32 v2, off, off offset:52
	v_mov_b32_e32 v41, 0
	scratch_store_b32 off, v41, off offset:52
	s_waitcnt vmcnt(0)
	ds_store_b32 v1, v2
.LBB82_95:
	s_or_b32 exec_lo, exec_lo, s0
	s_waitcnt lgkmcnt(0)
	s_waitcnt_vscnt null, 0x0
	s_barrier
	buffer_gl0_inv
	s_clause 0x1
	scratch_load_b128 v[41:44], off, off offset:52
	scratch_load_b64 v[49:50], off, off offset:68
	v_mov_b32_e32 v2, 0
	ds_load_2addr_b64 v[45:48], v2 offset0:17 offset1:18
	ds_load_b32 v51, v2 offset:152
	s_mov_b32 s0, exec_lo
	s_waitcnt vmcnt(1) lgkmcnt(1)
	v_fma_f32 v42, v42, v45, 0
	s_delay_alu instid0(VALU_DEP_1) | instskip(NEXT) | instid1(VALU_DEP_1)
	v_fmac_f32_e32 v42, v43, v46
	v_fmac_f32_e32 v42, v44, v47
	s_waitcnt vmcnt(0)
	s_delay_alu instid0(VALU_DEP_1) | instskip(SKIP_1) | instid1(VALU_DEP_1)
	v_fmac_f32_e32 v42, v49, v48
	s_waitcnt lgkmcnt(0)
	v_fmac_f32_e32 v42, v50, v51
	s_delay_alu instid0(VALU_DEP_1)
	v_sub_f32_e32 v41, v41, v42
	scratch_store_b32 off, v41, off offset:52
	v_cmpx_lt_u32_e32 12, v0
	s_cbranch_execz .LBB82_97
; %bb.96:
	scratch_load_b32 v41, off, off offset:48
	scratch_store_b32 off, v2, off offset:48
	s_waitcnt vmcnt(0)
	ds_store_b32 v1, v41
.LBB82_97:
	s_or_b32 exec_lo, exec_lo, s0
	s_waitcnt lgkmcnt(0)
	s_waitcnt_vscnt null, 0x0
	s_barrier
	buffer_gl0_inv
	s_clause 0x1
	scratch_load_b128 v[41:44], off, off offset:48
	scratch_load_b96 v[45:47], off, off offset:64
	ds_load_2addr_b32 v[48:49], v2 offset0:33 offset1:34
	ds_load_2addr_b32 v[50:51], v2 offset0:35 offset1:36
	;; [unrolled: 1-line block ×3, first 2 shown]
	s_mov_b32 s0, exec_lo
	s_waitcnt vmcnt(1) lgkmcnt(2)
	v_fma_f32 v2, v42, v48, 0
	s_delay_alu instid0(VALU_DEP_1) | instskip(SKIP_1) | instid1(VALU_DEP_1)
	v_fmac_f32_e32 v2, v43, v49
	s_waitcnt lgkmcnt(1)
	v_fmac_f32_e32 v2, v44, v50
	s_waitcnt vmcnt(0)
	s_delay_alu instid0(VALU_DEP_1) | instskip(SKIP_1) | instid1(VALU_DEP_1)
	v_fmac_f32_e32 v2, v45, v51
	s_waitcnt lgkmcnt(0)
	v_fmac_f32_e32 v2, v46, v52
	s_delay_alu instid0(VALU_DEP_1) | instskip(NEXT) | instid1(VALU_DEP_1)
	v_fmac_f32_e32 v2, v47, v53
	v_sub_f32_e32 v2, v41, v2
	scratch_store_b32 off, v2, off offset:48
	v_cmpx_lt_u32_e32 11, v0
	s_cbranch_execz .LBB82_99
; %bb.98:
	scratch_load_b32 v2, off, off offset:44
	v_mov_b32_e32 v41, 0
	scratch_store_b32 off, v41, off offset:44
	s_waitcnt vmcnt(0)
	ds_store_b32 v1, v2
.LBB82_99:
	s_or_b32 exec_lo, exec_lo, s0
	s_waitcnt lgkmcnt(0)
	s_waitcnt_vscnt null, 0x0
	s_barrier
	buffer_gl0_inv
	s_clause 0x1
	scratch_load_b128 v[41:44], off, off offset:44
	scratch_load_b128 v[45:48], off, off offset:60
	v_mov_b32_e32 v2, 0
	ds_load_b128 v[49:52], v2 offset:128
	ds_load_b96 v[53:55], v2 offset:144
	s_mov_b32 s0, exec_lo
	s_waitcnt vmcnt(1) lgkmcnt(1)
	v_fma_f32 v42, v42, v49, 0
	s_delay_alu instid0(VALU_DEP_1) | instskip(NEXT) | instid1(VALU_DEP_1)
	v_fmac_f32_e32 v42, v43, v50
	v_fmac_f32_e32 v42, v44, v51
	s_waitcnt vmcnt(0)
	s_delay_alu instid0(VALU_DEP_1) | instskip(SKIP_1) | instid1(VALU_DEP_1)
	v_fmac_f32_e32 v42, v45, v52
	s_waitcnt lgkmcnt(0)
	v_fmac_f32_e32 v42, v46, v53
	s_delay_alu instid0(VALU_DEP_1) | instskip(NEXT) | instid1(VALU_DEP_1)
	v_fmac_f32_e32 v42, v47, v54
	v_fmac_f32_e32 v42, v48, v55
	s_delay_alu instid0(VALU_DEP_1)
	v_sub_f32_e32 v41, v41, v42
	scratch_store_b32 off, v41, off offset:44
	v_cmpx_lt_u32_e32 10, v0
	s_cbranch_execz .LBB82_101
; %bb.100:
	scratch_load_b32 v41, off, off offset:40
	scratch_store_b32 off, v2, off offset:40
	s_waitcnt vmcnt(0)
	ds_store_b32 v1, v41
.LBB82_101:
	s_or_b32 exec_lo, exec_lo, s0
	s_waitcnt lgkmcnt(0)
	s_waitcnt_vscnt null, 0x0
	s_barrier
	buffer_gl0_inv
	s_clause 0x2
	scratch_load_b128 v[41:44], off, off offset:40
	scratch_load_b128 v[45:48], off, off offset:56
	scratch_load_b32 v57, off, off offset:72
	ds_load_2addr_b32 v[49:50], v2 offset0:31 offset1:32
	ds_load_2addr_b32 v[51:52], v2 offset0:33 offset1:34
	;; [unrolled: 1-line block ×4, first 2 shown]
	s_mov_b32 s0, exec_lo
	s_waitcnt vmcnt(2) lgkmcnt(3)
	v_fma_f32 v2, v42, v49, 0
	s_delay_alu instid0(VALU_DEP_1) | instskip(SKIP_1) | instid1(VALU_DEP_1)
	v_fmac_f32_e32 v2, v43, v50
	s_waitcnt lgkmcnt(2)
	v_fmac_f32_e32 v2, v44, v51
	s_waitcnt vmcnt(1)
	s_delay_alu instid0(VALU_DEP_1) | instskip(SKIP_1) | instid1(VALU_DEP_1)
	v_fmac_f32_e32 v2, v45, v52
	s_waitcnt lgkmcnt(1)
	v_fmac_f32_e32 v2, v46, v53
	s_delay_alu instid0(VALU_DEP_1) | instskip(SKIP_1) | instid1(VALU_DEP_1)
	v_fmac_f32_e32 v2, v47, v54
	s_waitcnt lgkmcnt(0)
	v_fmac_f32_e32 v2, v48, v55
	s_waitcnt vmcnt(0)
	s_delay_alu instid0(VALU_DEP_1) | instskip(NEXT) | instid1(VALU_DEP_1)
	v_fmac_f32_e32 v2, v57, v56
	v_sub_f32_e32 v2, v41, v2
	scratch_store_b32 off, v2, off offset:40
	v_cmpx_lt_u32_e32 9, v0
	s_cbranch_execz .LBB82_103
; %bb.102:
	scratch_load_b32 v2, off, off offset:36
	v_mov_b32_e32 v41, 0
	scratch_store_b32 off, v41, off offset:36
	s_waitcnt vmcnt(0)
	ds_store_b32 v1, v2
.LBB82_103:
	s_or_b32 exec_lo, exec_lo, s0
	s_waitcnt lgkmcnt(0)
	s_waitcnt_vscnt null, 0x0
	s_barrier
	buffer_gl0_inv
	s_clause 0x2
	scratch_load_b128 v[41:44], off, off offset:36
	scratch_load_b128 v[45:48], off, off offset:52
	scratch_load_b64 v[57:58], off, off offset:68
	v_mov_b32_e32 v2, 0
	ds_load_2addr_b64 v[49:52], v2 offset0:15 offset1:16
	ds_load_2addr_b64 v[53:56], v2 offset0:17 offset1:18
	s_mov_b32 s0, exec_lo
	s_waitcnt vmcnt(2) lgkmcnt(1)
	v_fma_f32 v42, v42, v49, 0
	s_delay_alu instid0(VALU_DEP_1) | instskip(SKIP_3) | instid1(VALU_DEP_1)
	v_fmac_f32_e32 v42, v43, v50
	ds_load_b32 v43, v2 offset:152
	v_fmac_f32_e32 v42, v44, v51
	s_waitcnt vmcnt(1)
	v_fmac_f32_e32 v42, v45, v52
	s_waitcnt lgkmcnt(1)
	s_delay_alu instid0(VALU_DEP_1) | instskip(NEXT) | instid1(VALU_DEP_1)
	v_fmac_f32_e32 v42, v46, v53
	v_fmac_f32_e32 v42, v47, v54
	s_delay_alu instid0(VALU_DEP_1) | instskip(SKIP_1) | instid1(VALU_DEP_1)
	v_fmac_f32_e32 v42, v48, v55
	s_waitcnt vmcnt(0)
	v_fmac_f32_e32 v42, v57, v56
	s_waitcnt lgkmcnt(0)
	s_delay_alu instid0(VALU_DEP_1) | instskip(NEXT) | instid1(VALU_DEP_1)
	v_fmac_f32_e32 v42, v58, v43
	v_sub_f32_e32 v41, v41, v42
	scratch_store_b32 off, v41, off offset:36
	v_cmpx_lt_u32_e32 8, v0
	s_cbranch_execz .LBB82_105
; %bb.104:
	scratch_load_b32 v41, off, off offset:32
	scratch_store_b32 off, v2, off offset:32
	s_waitcnt vmcnt(0)
	ds_store_b32 v1, v41
.LBB82_105:
	s_or_b32 exec_lo, exec_lo, s0
	s_waitcnt lgkmcnt(0)
	s_waitcnt_vscnt null, 0x0
	s_barrier
	buffer_gl0_inv
	s_clause 0x2
	scratch_load_b128 v[41:44], off, off offset:32
	scratch_load_b128 v[45:48], off, off offset:48
	scratch_load_b96 v[49:51], off, off offset:64
	ds_load_2addr_b32 v[52:53], v2 offset0:29 offset1:30
	ds_load_2addr_b32 v[54:55], v2 offset0:31 offset1:32
	;; [unrolled: 1-line block ×4, first 2 shown]
	s_mov_b32 s0, exec_lo
	s_waitcnt vmcnt(2) lgkmcnt(3)
	v_fma_f32 v52, v42, v52, 0
	s_delay_alu instid0(VALU_DEP_1) | instskip(SKIP_4) | instid1(VALU_DEP_1)
	v_fmac_f32_e32 v52, v43, v53
	ds_load_2addr_b32 v[42:43], v2 offset0:37 offset1:38
	s_waitcnt lgkmcnt(3)
	v_fmac_f32_e32 v52, v44, v54
	s_waitcnt vmcnt(1)
	v_fmac_f32_e32 v52, v45, v55
	s_waitcnt lgkmcnt(2)
	s_delay_alu instid0(VALU_DEP_1) | instskip(NEXT) | instid1(VALU_DEP_1)
	v_fmac_f32_e32 v52, v46, v56
	v_fmac_f32_e32 v52, v47, v57
	s_waitcnt lgkmcnt(1)
	s_delay_alu instid0(VALU_DEP_1) | instskip(SKIP_1) | instid1(VALU_DEP_1)
	v_fmac_f32_e32 v52, v48, v58
	s_waitcnt vmcnt(0)
	v_fmac_f32_e32 v52, v49, v59
	s_waitcnt lgkmcnt(0)
	s_delay_alu instid0(VALU_DEP_1) | instskip(NEXT) | instid1(VALU_DEP_1)
	v_fmac_f32_e32 v52, v50, v42
	v_fmac_f32_e32 v52, v51, v43
	s_delay_alu instid0(VALU_DEP_1)
	v_sub_f32_e32 v2, v41, v52
	scratch_store_b32 off, v2, off offset:32
	v_cmpx_lt_u32_e32 7, v0
	s_cbranch_execz .LBB82_107
; %bb.106:
	scratch_load_b32 v2, off, off offset:28
	v_mov_b32_e32 v41, 0
	scratch_store_b32 off, v41, off offset:28
	s_waitcnt vmcnt(0)
	ds_store_b32 v1, v2
.LBB82_107:
	s_or_b32 exec_lo, exec_lo, s0
	s_waitcnt lgkmcnt(0)
	s_waitcnt_vscnt null, 0x0
	s_barrier
	buffer_gl0_inv
	s_clause 0x2
	scratch_load_b128 v[41:44], off, off offset:28
	scratch_load_b128 v[45:48], off, off offset:44
	;; [unrolled: 1-line block ×3, first 2 shown]
	v_mov_b32_e32 v2, 0
	ds_load_b128 v[53:56], v2 offset:112
	ds_load_b128 v[57:60], v2 offset:128
	s_mov_b32 s0, exec_lo
	s_waitcnt vmcnt(2) lgkmcnt(1)
	v_fma_f32 v53, v42, v53, 0
	s_delay_alu instid0(VALU_DEP_1) | instskip(NEXT) | instid1(VALU_DEP_1)
	v_fmac_f32_e32 v53, v43, v54
	v_fmac_f32_e32 v53, v44, v55
	ds_load_b96 v[42:44], v2 offset:144
	s_waitcnt vmcnt(1)
	v_fmac_f32_e32 v53, v45, v56
	s_waitcnt lgkmcnt(1)
	s_delay_alu instid0(VALU_DEP_1) | instskip(NEXT) | instid1(VALU_DEP_1)
	v_fmac_f32_e32 v53, v46, v57
	v_fmac_f32_e32 v53, v47, v58
	s_delay_alu instid0(VALU_DEP_1) | instskip(SKIP_1) | instid1(VALU_DEP_1)
	v_fmac_f32_e32 v53, v48, v59
	s_waitcnt vmcnt(0)
	v_fmac_f32_e32 v53, v49, v60
	s_waitcnt lgkmcnt(0)
	s_delay_alu instid0(VALU_DEP_1) | instskip(NEXT) | instid1(VALU_DEP_1)
	v_fmac_f32_e32 v53, v50, v42
	v_fmac_f32_e32 v53, v51, v43
	s_delay_alu instid0(VALU_DEP_1) | instskip(NEXT) | instid1(VALU_DEP_1)
	v_fmac_f32_e32 v53, v52, v44
	v_sub_f32_e32 v41, v41, v53
	scratch_store_b32 off, v41, off offset:28
	v_cmpx_lt_u32_e32 6, v0
	s_cbranch_execz .LBB82_109
; %bb.108:
	scratch_load_b32 v41, off, off offset:24
	scratch_store_b32 off, v2, off offset:24
	s_waitcnt vmcnt(0)
	ds_store_b32 v1, v41
.LBB82_109:
	s_or_b32 exec_lo, exec_lo, s0
	s_waitcnt lgkmcnt(0)
	s_waitcnt_vscnt null, 0x0
	s_barrier
	buffer_gl0_inv
	s_clause 0x3
	scratch_load_b128 v[41:44], off, off offset:24
	scratch_load_b128 v[45:48], off, off offset:40
	;; [unrolled: 1-line block ×3, first 2 shown]
	scratch_load_b32 v61, off, off offset:72
	ds_load_2addr_b32 v[53:54], v2 offset0:27 offset1:28
	ds_load_2addr_b32 v[55:56], v2 offset0:29 offset1:30
	;; [unrolled: 1-line block ×4, first 2 shown]
	s_mov_b32 s0, exec_lo
	s_waitcnt vmcnt(3) lgkmcnt(3)
	v_fma_f32 v53, v42, v53, 0
	s_delay_alu instid0(VALU_DEP_1) | instskip(SKIP_4) | instid1(VALU_DEP_1)
	v_fmac_f32_e32 v53, v43, v54
	ds_load_2addr_b32 v[42:43], v2 offset0:35 offset1:36
	s_waitcnt lgkmcnt(3)
	v_fmac_f32_e32 v53, v44, v55
	s_waitcnt vmcnt(2)
	v_fmac_f32_e32 v53, v45, v56
	ds_load_2addr_b32 v[44:45], v2 offset0:37 offset1:38
	s_waitcnt lgkmcnt(3)
	v_fmac_f32_e32 v53, v46, v57
	s_delay_alu instid0(VALU_DEP_1) | instskip(SKIP_1) | instid1(VALU_DEP_1)
	v_fmac_f32_e32 v53, v47, v58
	s_waitcnt lgkmcnt(2)
	v_fmac_f32_e32 v53, v48, v59
	s_waitcnt vmcnt(1)
	s_delay_alu instid0(VALU_DEP_1) | instskip(SKIP_1) | instid1(VALU_DEP_1)
	v_fmac_f32_e32 v53, v49, v60
	s_waitcnt lgkmcnt(1)
	v_fmac_f32_e32 v53, v50, v42
	s_delay_alu instid0(VALU_DEP_1) | instskip(SKIP_1) | instid1(VALU_DEP_1)
	v_fmac_f32_e32 v53, v51, v43
	s_waitcnt lgkmcnt(0)
	v_fmac_f32_e32 v53, v52, v44
	s_waitcnt vmcnt(0)
	s_delay_alu instid0(VALU_DEP_1) | instskip(NEXT) | instid1(VALU_DEP_1)
	v_fmac_f32_e32 v53, v61, v45
	v_sub_f32_e32 v2, v41, v53
	scratch_store_b32 off, v2, off offset:24
	v_cmpx_lt_u32_e32 5, v0
	s_cbranch_execz .LBB82_111
; %bb.110:
	scratch_load_b32 v2, off, off offset:20
	v_mov_b32_e32 v41, 0
	scratch_store_b32 off, v41, off offset:20
	s_waitcnt vmcnt(0)
	ds_store_b32 v1, v2
.LBB82_111:
	s_or_b32 exec_lo, exec_lo, s0
	s_waitcnt lgkmcnt(0)
	s_waitcnt_vscnt null, 0x0
	s_barrier
	buffer_gl0_inv
	s_clause 0x3
	scratch_load_b128 v[41:44], off, off offset:20
	scratch_load_b128 v[45:48], off, off offset:36
	;; [unrolled: 1-line block ×3, first 2 shown]
	scratch_load_b64 v[61:62], off, off offset:68
	v_mov_b32_e32 v2, 0
	ds_load_2addr_b64 v[53:56], v2 offset0:13 offset1:14
	ds_load_2addr_b64 v[57:60], v2 offset0:15 offset1:16
	s_mov_b32 s0, exec_lo
	s_waitcnt vmcnt(3) lgkmcnt(1)
	v_fma_f32 v53, v42, v53, 0
	s_delay_alu instid0(VALU_DEP_1) | instskip(NEXT) | instid1(VALU_DEP_1)
	v_fmac_f32_e32 v53, v43, v54
	v_fmac_f32_e32 v53, v44, v55
	s_waitcnt vmcnt(2)
	s_delay_alu instid0(VALU_DEP_1)
	v_fmac_f32_e32 v53, v45, v56
	ds_load_2addr_b64 v[42:45], v2 offset0:17 offset1:18
	s_waitcnt lgkmcnt(1)
	v_fmac_f32_e32 v53, v46, v57
	ds_load_b32 v46, v2 offset:152
	v_fmac_f32_e32 v53, v47, v58
	s_delay_alu instid0(VALU_DEP_1) | instskip(SKIP_1) | instid1(VALU_DEP_1)
	v_fmac_f32_e32 v53, v48, v59
	s_waitcnt vmcnt(1)
	v_fmac_f32_e32 v53, v49, v60
	s_waitcnt lgkmcnt(1)
	s_delay_alu instid0(VALU_DEP_1) | instskip(NEXT) | instid1(VALU_DEP_1)
	v_fmac_f32_e32 v53, v50, v42
	v_fmac_f32_e32 v53, v51, v43
	s_delay_alu instid0(VALU_DEP_1) | instskip(SKIP_1) | instid1(VALU_DEP_1)
	v_fmac_f32_e32 v53, v52, v44
	s_waitcnt vmcnt(0)
	v_fmac_f32_e32 v53, v61, v45
	s_waitcnt lgkmcnt(0)
	s_delay_alu instid0(VALU_DEP_1) | instskip(NEXT) | instid1(VALU_DEP_1)
	v_fmac_f32_e32 v53, v62, v46
	v_sub_f32_e32 v41, v41, v53
	scratch_store_b32 off, v41, off offset:20
	v_cmpx_lt_u32_e32 4, v0
	s_cbranch_execz .LBB82_113
; %bb.112:
	scratch_load_b32 v41, off, off offset:16
	scratch_store_b32 off, v2, off offset:16
	s_waitcnt vmcnt(0)
	ds_store_b32 v1, v41
.LBB82_113:
	s_or_b32 exec_lo, exec_lo, s0
	s_waitcnt lgkmcnt(0)
	s_waitcnt_vscnt null, 0x0
	s_barrier
	buffer_gl0_inv
	s_clause 0x3
	scratch_load_b128 v[41:44], off, off offset:16
	scratch_load_b128 v[45:48], off, off offset:32
	;; [unrolled: 1-line block ×3, first 2 shown]
	scratch_load_b96 v[53:55], off, off offset:64
	ds_load_2addr_b32 v[56:57], v2 offset0:25 offset1:26
	ds_load_2addr_b32 v[58:59], v2 offset0:27 offset1:28
	;; [unrolled: 1-line block ×4, first 2 shown]
	s_mov_b32 s0, exec_lo
	s_waitcnt vmcnt(3) lgkmcnt(3)
	v_fma_f32 v56, v42, v56, 0
	s_delay_alu instid0(VALU_DEP_1) | instskip(SKIP_4) | instid1(VALU_DEP_1)
	v_fmac_f32_e32 v56, v43, v57
	ds_load_2addr_b32 v[42:43], v2 offset0:33 offset1:34
	s_waitcnt lgkmcnt(3)
	v_fmac_f32_e32 v56, v44, v58
	s_waitcnt vmcnt(2)
	v_fmac_f32_e32 v56, v45, v59
	ds_load_2addr_b32 v[44:45], v2 offset0:35 offset1:36
	s_waitcnt lgkmcnt(3)
	v_fmac_f32_e32 v56, v46, v60
	s_delay_alu instid0(VALU_DEP_1) | instskip(SKIP_4) | instid1(VALU_DEP_1)
	v_fmac_f32_e32 v56, v47, v61
	ds_load_2addr_b32 v[46:47], v2 offset0:37 offset1:38
	s_waitcnt lgkmcnt(3)
	v_fmac_f32_e32 v56, v48, v62
	s_waitcnt vmcnt(1)
	v_fmac_f32_e32 v56, v49, v63
	s_waitcnt lgkmcnt(2)
	s_delay_alu instid0(VALU_DEP_1) | instskip(NEXT) | instid1(VALU_DEP_1)
	v_fmac_f32_e32 v56, v50, v42
	v_fmac_f32_e32 v56, v51, v43
	s_waitcnt lgkmcnt(1)
	s_delay_alu instid0(VALU_DEP_1) | instskip(SKIP_1) | instid1(VALU_DEP_1)
	v_fmac_f32_e32 v56, v52, v44
	s_waitcnt vmcnt(0)
	v_fmac_f32_e32 v56, v53, v45
	s_waitcnt lgkmcnt(0)
	s_delay_alu instid0(VALU_DEP_1) | instskip(NEXT) | instid1(VALU_DEP_1)
	v_fmac_f32_e32 v56, v54, v46
	v_fmac_f32_e32 v56, v55, v47
	s_delay_alu instid0(VALU_DEP_1)
	v_sub_f32_e32 v2, v41, v56
	scratch_store_b32 off, v2, off offset:16
	v_cmpx_lt_u32_e32 3, v0
	s_cbranch_execz .LBB82_115
; %bb.114:
	scratch_load_b32 v2, off, off offset:12
	v_mov_b32_e32 v41, 0
	scratch_store_b32 off, v41, off offset:12
	s_waitcnt vmcnt(0)
	ds_store_b32 v1, v2
.LBB82_115:
	s_or_b32 exec_lo, exec_lo, s0
	s_waitcnt lgkmcnt(0)
	s_waitcnt_vscnt null, 0x0
	s_barrier
	buffer_gl0_inv
	s_clause 0x3
	scratch_load_b128 v[41:44], off, off offset:12
	scratch_load_b128 v[45:48], off, off offset:28
	;; [unrolled: 1-line block ×4, first 2 shown]
	v_mov_b32_e32 v2, 0
	ds_load_b128 v[57:60], v2 offset:96
	ds_load_b128 v[61:64], v2 offset:112
	s_mov_b32 s0, exec_lo
	s_waitcnt vmcnt(3) lgkmcnt(1)
	v_fma_f32 v57, v42, v57, 0
	s_delay_alu instid0(VALU_DEP_1) | instskip(NEXT) | instid1(VALU_DEP_1)
	v_fmac_f32_e32 v57, v43, v58
	v_fmac_f32_e32 v57, v44, v59
	s_waitcnt vmcnt(2)
	s_delay_alu instid0(VALU_DEP_1) | instskip(SKIP_3) | instid1(VALU_DEP_1)
	v_fmac_f32_e32 v57, v45, v60
	ds_load_b128 v[42:45], v2 offset:128
	s_waitcnt lgkmcnt(1)
	v_fmac_f32_e32 v57, v46, v61
	v_fmac_f32_e32 v57, v47, v62
	s_delay_alu instid0(VALU_DEP_1) | instskip(SKIP_4) | instid1(VALU_DEP_1)
	v_fmac_f32_e32 v57, v48, v63
	ds_load_b96 v[46:48], v2 offset:144
	s_waitcnt vmcnt(1)
	v_fmac_f32_e32 v57, v49, v64
	s_waitcnt lgkmcnt(1)
	v_fmac_f32_e32 v57, v50, v42
	s_delay_alu instid0(VALU_DEP_1) | instskip(NEXT) | instid1(VALU_DEP_1)
	v_fmac_f32_e32 v57, v51, v43
	v_fmac_f32_e32 v57, v52, v44
	s_waitcnt vmcnt(0)
	s_delay_alu instid0(VALU_DEP_1) | instskip(SKIP_1) | instid1(VALU_DEP_1)
	v_fmac_f32_e32 v57, v53, v45
	s_waitcnt lgkmcnt(0)
	v_fmac_f32_e32 v57, v54, v46
	s_delay_alu instid0(VALU_DEP_1) | instskip(NEXT) | instid1(VALU_DEP_1)
	v_fmac_f32_e32 v57, v55, v47
	v_fmac_f32_e32 v57, v56, v48
	s_delay_alu instid0(VALU_DEP_1)
	v_sub_f32_e32 v41, v41, v57
	scratch_store_b32 off, v41, off offset:12
	v_cmpx_lt_u32_e32 2, v0
	s_cbranch_execz .LBB82_117
; %bb.116:
	scratch_load_b32 v41, off, off offset:8
	scratch_store_b32 off, v2, off offset:8
	s_waitcnt vmcnt(0)
	ds_store_b32 v1, v41
.LBB82_117:
	s_or_b32 exec_lo, exec_lo, s0
	s_waitcnt lgkmcnt(0)
	s_waitcnt_vscnt null, 0x0
	s_barrier
	buffer_gl0_inv
	s_clause 0x4
	scratch_load_b128 v[41:44], off, off offset:8
	scratch_load_b128 v[45:48], off, off offset:24
	;; [unrolled: 1-line block ×4, first 2 shown]
	scratch_load_b32 v65, off, off offset:72
	ds_load_2addr_b32 v[57:58], v2 offset0:23 offset1:24
	ds_load_2addr_b32 v[59:60], v2 offset0:25 offset1:26
	;; [unrolled: 1-line block ×4, first 2 shown]
	s_mov_b32 s0, exec_lo
	s_waitcnt vmcnt(4) lgkmcnt(3)
	v_fma_f32 v57, v42, v57, 0
	s_delay_alu instid0(VALU_DEP_1) | instskip(SKIP_4) | instid1(VALU_DEP_1)
	v_fmac_f32_e32 v57, v43, v58
	ds_load_2addr_b32 v[42:43], v2 offset0:31 offset1:32
	s_waitcnt lgkmcnt(3)
	v_fmac_f32_e32 v57, v44, v59
	s_waitcnt vmcnt(3)
	v_fmac_f32_e32 v57, v45, v60
	ds_load_2addr_b32 v[44:45], v2 offset0:33 offset1:34
	s_waitcnt lgkmcnt(3)
	v_fmac_f32_e32 v57, v46, v61
	s_delay_alu instid0(VALU_DEP_1) | instskip(SKIP_1) | instid1(VALU_DEP_1)
	v_fmac_f32_e32 v57, v47, v62
	s_waitcnt lgkmcnt(2)
	v_fmac_f32_e32 v57, v48, v63
	s_waitcnt vmcnt(2)
	s_delay_alu instid0(VALU_DEP_1) | instskip(SKIP_4) | instid1(VALU_DEP_1)
	v_fmac_f32_e32 v57, v49, v64
	ds_load_2addr_b32 v[46:47], v2 offset0:35 offset1:36
	ds_load_2addr_b32 v[48:49], v2 offset0:37 offset1:38
	s_waitcnt lgkmcnt(3)
	v_fmac_f32_e32 v57, v50, v42
	v_fmac_f32_e32 v57, v51, v43
	s_waitcnt lgkmcnt(2)
	s_delay_alu instid0(VALU_DEP_1) | instskip(SKIP_1) | instid1(VALU_DEP_1)
	v_fmac_f32_e32 v57, v52, v44
	s_waitcnt vmcnt(1)
	v_fmac_f32_e32 v57, v53, v45
	s_waitcnt lgkmcnt(1)
	s_delay_alu instid0(VALU_DEP_1) | instskip(NEXT) | instid1(VALU_DEP_1)
	v_fmac_f32_e32 v57, v54, v46
	v_fmac_f32_e32 v57, v55, v47
	s_waitcnt lgkmcnt(0)
	s_delay_alu instid0(VALU_DEP_1) | instskip(SKIP_1) | instid1(VALU_DEP_1)
	v_fmac_f32_e32 v57, v56, v48
	s_waitcnt vmcnt(0)
	v_fmac_f32_e32 v57, v65, v49
	s_delay_alu instid0(VALU_DEP_1)
	v_sub_f32_e32 v2, v41, v57
	scratch_store_b32 off, v2, off offset:8
	v_cmpx_lt_u32_e32 1, v0
	s_cbranch_execz .LBB82_119
; %bb.118:
	scratch_load_b32 v2, off, off offset:4
	v_mov_b32_e32 v41, 0
	scratch_store_b32 off, v41, off offset:4
	s_waitcnt vmcnt(0)
	ds_store_b32 v1, v2
.LBB82_119:
	s_or_b32 exec_lo, exec_lo, s0
	s_waitcnt lgkmcnt(0)
	s_waitcnt_vscnt null, 0x0
	s_barrier
	buffer_gl0_inv
	s_clause 0x4
	scratch_load_b128 v[42:45], off, off offset:4
	scratch_load_b128 v[46:49], off, off offset:20
	;; [unrolled: 1-line block ×4, first 2 shown]
	scratch_load_b64 v[66:67], off, off offset:68
	v_mov_b32_e32 v41, 0
	ds_load_2addr_b64 v[58:61], v41 offset0:11 offset1:12
	ds_load_2addr_b64 v[62:65], v41 offset0:13 offset1:14
	s_mov_b32 s0, exec_lo
	s_waitcnt vmcnt(4) lgkmcnt(1)
	v_fma_f32 v2, v43, v58, 0
	s_delay_alu instid0(VALU_DEP_1) | instskip(NEXT) | instid1(VALU_DEP_1)
	v_fmac_f32_e32 v2, v44, v59
	v_fmac_f32_e32 v2, v45, v60
	s_waitcnt vmcnt(3)
	s_delay_alu instid0(VALU_DEP_1) | instskip(SKIP_3) | instid1(VALU_DEP_1)
	v_fmac_f32_e32 v2, v46, v61
	ds_load_2addr_b64 v[43:46], v41 offset0:15 offset1:16
	s_waitcnt lgkmcnt(1)
	v_fmac_f32_e32 v2, v47, v62
	v_fmac_f32_e32 v2, v48, v63
	s_delay_alu instid0(VALU_DEP_1) | instskip(SKIP_1) | instid1(VALU_DEP_1)
	v_fmac_f32_e32 v2, v49, v64
	s_waitcnt vmcnt(2)
	v_fmac_f32_e32 v2, v50, v65
	ds_load_2addr_b64 v[47:50], v41 offset0:17 offset1:18
	s_waitcnt lgkmcnt(1)
	v_fmac_f32_e32 v2, v51, v43
	ds_load_b32 v43, v41 offset:152
	v_fmac_f32_e32 v2, v52, v44
	s_delay_alu instid0(VALU_DEP_1) | instskip(SKIP_1) | instid1(VALU_DEP_1)
	v_fmac_f32_e32 v2, v53, v45
	s_waitcnt vmcnt(1)
	v_fmac_f32_e32 v2, v54, v46
	s_waitcnt lgkmcnt(1)
	s_delay_alu instid0(VALU_DEP_1) | instskip(NEXT) | instid1(VALU_DEP_1)
	v_fmac_f32_e32 v2, v55, v47
	v_fmac_f32_e32 v2, v56, v48
	s_delay_alu instid0(VALU_DEP_1) | instskip(SKIP_1) | instid1(VALU_DEP_1)
	v_fmac_f32_e32 v2, v57, v49
	s_waitcnt vmcnt(0)
	v_fmac_f32_e32 v2, v66, v50
	s_waitcnt lgkmcnt(0)
	s_delay_alu instid0(VALU_DEP_1) | instskip(NEXT) | instid1(VALU_DEP_1)
	v_fmac_f32_e32 v2, v67, v43
	v_sub_f32_e32 v2, v42, v2
	scratch_store_b32 off, v2, off offset:4
	v_cmpx_ne_u32_e32 0, v0
	s_cbranch_execz .LBB82_121
; %bb.120:
	scratch_load_b32 v0, off, off
	scratch_store_b32 off, v41, off
	s_waitcnt vmcnt(0)
	ds_store_b32 v1, v0
.LBB82_121:
	s_or_b32 exec_lo, exec_lo, s0
	s_waitcnt lgkmcnt(0)
	s_waitcnt_vscnt null, 0x0
	s_barrier
	buffer_gl0_inv
	s_clause 0x4
	scratch_load_b128 v[42:45], off, off
	scratch_load_b128 v[46:49], off, off offset:16
	scratch_load_b128 v[50:53], off, off offset:32
	;; [unrolled: 1-line block ×3, first 2 shown]
	scratch_load_b96 v[0:2], off, off offset:64
	ds_load_2addr_b32 v[58:59], v41 offset0:21 offset1:22
	ds_load_2addr_b32 v[60:61], v41 offset0:23 offset1:24
	;; [unrolled: 1-line block ×4, first 2 shown]
	s_and_b32 vcc_lo, exec_lo, s12
	s_waitcnt vmcnt(4) lgkmcnt(3)
	v_fma_f32 v58, v43, v58, 0
	s_delay_alu instid0(VALU_DEP_1) | instskip(SKIP_4) | instid1(VALU_DEP_1)
	v_fmac_f32_e32 v58, v44, v59
	ds_load_2addr_b32 v[43:44], v41 offset0:29 offset1:30
	s_waitcnt lgkmcnt(3)
	v_fmac_f32_e32 v58, v45, v60
	s_waitcnt vmcnt(3)
	v_fmac_f32_e32 v58, v46, v61
	ds_load_2addr_b32 v[45:46], v41 offset0:31 offset1:32
	s_waitcnt lgkmcnt(3)
	v_fmac_f32_e32 v58, v47, v62
	s_delay_alu instid0(VALU_DEP_1) | instskip(SKIP_1) | instid1(VALU_DEP_1)
	v_fmac_f32_e32 v58, v48, v63
	s_waitcnt lgkmcnt(2)
	v_fmac_f32_e32 v58, v49, v64
	s_waitcnt vmcnt(2)
	s_delay_alu instid0(VALU_DEP_1) | instskip(SKIP_4) | instid1(VALU_DEP_1)
	v_fmac_f32_e32 v58, v50, v65
	ds_load_2addr_b32 v[47:48], v41 offset0:33 offset1:34
	ds_load_2addr_b32 v[49:50], v41 offset0:35 offset1:36
	s_waitcnt lgkmcnt(3)
	v_fmac_f32_e32 v58, v51, v43
	v_fmac_f32_e32 v58, v52, v44
	ds_load_2addr_b32 v[43:44], v41 offset0:37 offset1:38
	s_waitcnt lgkmcnt(3)
	v_fmac_f32_e32 v58, v53, v45
	s_waitcnt vmcnt(1)
	s_delay_alu instid0(VALU_DEP_1) | instskip(SKIP_1) | instid1(VALU_DEP_1)
	v_fmac_f32_e32 v58, v54, v46
	s_waitcnt lgkmcnt(2)
	v_fmac_f32_e32 v58, v55, v47
	s_delay_alu instid0(VALU_DEP_1) | instskip(SKIP_1) | instid1(VALU_DEP_1)
	v_fmac_f32_e32 v58, v56, v48
	s_waitcnt lgkmcnt(1)
	v_fmac_f32_e32 v58, v57, v49
	s_waitcnt vmcnt(0)
	s_delay_alu instid0(VALU_DEP_1) | instskip(SKIP_1) | instid1(VALU_DEP_1)
	v_fmac_f32_e32 v58, v0, v50
	s_waitcnt lgkmcnt(0)
	v_fmac_f32_e32 v58, v1, v43
	s_delay_alu instid0(VALU_DEP_1) | instskip(NEXT) | instid1(VALU_DEP_1)
	v_fmac_f32_e32 v58, v2, v44
	v_sub_f32_e32 v0, v42, v58
	scratch_store_b32 off, v0, off
	s_cbranch_vccz .LBB82_159
; %bb.122:
	v_dual_mov_b32 v42, s3 :: v_dual_mov_b32 v41, s2
	s_mov_b32 s0, exec_lo
	flat_load_b32 v0, v[41:42] offset:68
	s_waitcnt vmcnt(0) lgkmcnt(0)
	v_cmpx_ne_u32_e32 18, v0
	s_cbranch_execz .LBB82_124
; %bb.123:
	v_lshl_add_u32 v0, v0, 2, 0
	scratch_load_b32 v2, v0, off offset:-4
	s_waitcnt vmcnt(0)
	scratch_store_b32 off, v2, off offset:68
	scratch_store_b32 v0, v1, off offset:-4
.LBB82_124:
	s_or_b32 exec_lo, exec_lo, s0
	v_dual_mov_b32 v0, s2 :: v_dual_mov_b32 v1, s3
	s_mov_b32 s0, exec_lo
	flat_load_b32 v0, v[0:1] offset:64
	s_waitcnt vmcnt(0) lgkmcnt(0)
	v_cmpx_ne_u32_e32 17, v0
	s_cbranch_execz .LBB82_126
; %bb.125:
	v_lshl_add_u32 v0, v0, 2, 0
	scratch_load_b32 v1, v0, off offset:-4
	scratch_load_b32 v2, off, off offset:64
	s_waitcnt vmcnt(1)
	scratch_store_b32 off, v1, off offset:64
	s_waitcnt vmcnt(0)
	scratch_store_b32 v0, v2, off offset:-4
.LBB82_126:
	s_or_b32 exec_lo, exec_lo, s0
	v_dual_mov_b32 v0, s2 :: v_dual_mov_b32 v1, s3
	s_mov_b32 s0, exec_lo
	flat_load_b32 v0, v[0:1] offset:60
	s_waitcnt vmcnt(0) lgkmcnt(0)
	v_cmpx_ne_u32_e32 16, v0
	s_cbranch_execz .LBB82_128
; %bb.127:
	v_lshl_add_u32 v0, v0, 2, 0
	scratch_load_b32 v1, v0, off offset:-4
	scratch_load_b32 v2, off, off offset:60
	s_waitcnt vmcnt(1)
	scratch_store_b32 off, v1, off offset:60
	s_waitcnt vmcnt(0)
	scratch_store_b32 v0, v2, off offset:-4
.LBB82_128:
	;; [unrolled: 16-line block ×16, first 2 shown]
	s_or_b32 exec_lo, exec_lo, s0
	v_dual_mov_b32 v0, s2 :: v_dual_mov_b32 v1, s3
	s_mov_b32 s0, exec_lo
	flat_load_b32 v1, v[0:1]
	scratch_load_b32 v0, off, off
	s_waitcnt vmcnt(1) lgkmcnt(0)
	v_cmpx_ne_u32_e32 1, v1
	s_cbranch_execz .LBB82_158
; %bb.157:
	v_lshl_add_u32 v1, v1, 2, 0
	scratch_load_b32 v2, v1, off offset:-4
	s_waitcnt vmcnt(0)
	scratch_store_b32 off, v2, off
	scratch_store_b32 v1, v0, off offset:-4
	scratch_load_b32 v0, off, off
.LBB82_158:
	s_or_b32 exec_lo, exec_lo, s0
.LBB82_159:
	s_clause 0x4
	scratch_load_b128 v[41:44], off, off offset:4
	scratch_load_b128 v[45:48], off, off offset:20
	;; [unrolled: 1-line block ×4, first 2 shown]
	scratch_load_b64 v[1:2], off, off offset:68
	s_waitcnt vmcnt(5)
	global_store_b32 v[3:4], v0, off
	s_waitcnt vmcnt(4)
	s_clause 0x3
	global_store_b32 v[5:6], v41, off
	global_store_b32 v[7:8], v42, off
	global_store_b32 v[9:10], v43, off
	global_store_b32 v[11:12], v44, off
	s_waitcnt vmcnt(3)
	s_clause 0x3
	global_store_b32 v[13:14], v45, off
	global_store_b32 v[15:16], v46, off
	global_store_b32 v[17:18], v47, off
	;; [unrolled: 6-line block ×4, first 2 shown]
	global_store_b32 v[35:36], v56, off
	s_waitcnt vmcnt(0)
	s_clause 0x1
	global_store_b32 v[37:38], v1, off
	global_store_b32 v[39:40], v2, off
	s_endpgm
	.section	.rodata,"a",@progbits
	.p2align	6, 0x0
	.amdhsa_kernel _ZN9rocsolver6v33100L18getri_kernel_smallILi19EfPKPfEEvT1_iilPiilS6_bb
		.amdhsa_group_segment_fixed_size 156
		.amdhsa_private_segment_fixed_size 80
		.amdhsa_kernarg_size 60
		.amdhsa_user_sgpr_count 15
		.amdhsa_user_sgpr_dispatch_ptr 0
		.amdhsa_user_sgpr_queue_ptr 0
		.amdhsa_user_sgpr_kernarg_segment_ptr 1
		.amdhsa_user_sgpr_dispatch_id 0
		.amdhsa_user_sgpr_private_segment_size 0
		.amdhsa_wavefront_size32 1
		.amdhsa_uses_dynamic_stack 0
		.amdhsa_enable_private_segment 1
		.amdhsa_system_sgpr_workgroup_id_x 1
		.amdhsa_system_sgpr_workgroup_id_y 0
		.amdhsa_system_sgpr_workgroup_id_z 0
		.amdhsa_system_sgpr_workgroup_info 0
		.amdhsa_system_vgpr_workitem_id 0
		.amdhsa_next_free_vgpr 68
		.amdhsa_next_free_sgpr 17
		.amdhsa_reserve_vcc 1
		.amdhsa_float_round_mode_32 0
		.amdhsa_float_round_mode_16_64 0
		.amdhsa_float_denorm_mode_32 3
		.amdhsa_float_denorm_mode_16_64 3
		.amdhsa_dx10_clamp 1
		.amdhsa_ieee_mode 1
		.amdhsa_fp16_overflow 0
		.amdhsa_workgroup_processor_mode 1
		.amdhsa_memory_ordered 1
		.amdhsa_forward_progress 0
		.amdhsa_shared_vgpr_count 0
		.amdhsa_exception_fp_ieee_invalid_op 0
		.amdhsa_exception_fp_denorm_src 0
		.amdhsa_exception_fp_ieee_div_zero 0
		.amdhsa_exception_fp_ieee_overflow 0
		.amdhsa_exception_fp_ieee_underflow 0
		.amdhsa_exception_fp_ieee_inexact 0
		.amdhsa_exception_int_div_zero 0
	.end_amdhsa_kernel
	.section	.text._ZN9rocsolver6v33100L18getri_kernel_smallILi19EfPKPfEEvT1_iilPiilS6_bb,"axG",@progbits,_ZN9rocsolver6v33100L18getri_kernel_smallILi19EfPKPfEEvT1_iilPiilS6_bb,comdat
.Lfunc_end82:
	.size	_ZN9rocsolver6v33100L18getri_kernel_smallILi19EfPKPfEEvT1_iilPiilS6_bb, .Lfunc_end82-_ZN9rocsolver6v33100L18getri_kernel_smallILi19EfPKPfEEvT1_iilPiilS6_bb
                                        ; -- End function
	.section	.AMDGPU.csdata,"",@progbits
; Kernel info:
; codeLenInByte = 10372
; NumSgprs: 19
; NumVgprs: 68
; ScratchSize: 80
; MemoryBound: 0
; FloatMode: 240
; IeeeMode: 1
; LDSByteSize: 156 bytes/workgroup (compile time only)
; SGPRBlocks: 2
; VGPRBlocks: 8
; NumSGPRsForWavesPerEU: 19
; NumVGPRsForWavesPerEU: 68
; Occupancy: 16
; WaveLimiterHint : 1
; COMPUTE_PGM_RSRC2:SCRATCH_EN: 1
; COMPUTE_PGM_RSRC2:USER_SGPR: 15
; COMPUTE_PGM_RSRC2:TRAP_HANDLER: 0
; COMPUTE_PGM_RSRC2:TGID_X_EN: 1
; COMPUTE_PGM_RSRC2:TGID_Y_EN: 0
; COMPUTE_PGM_RSRC2:TGID_Z_EN: 0
; COMPUTE_PGM_RSRC2:TIDIG_COMP_CNT: 0
	.section	.text._ZN9rocsolver6v33100L18getri_kernel_smallILi20EfPKPfEEvT1_iilPiilS6_bb,"axG",@progbits,_ZN9rocsolver6v33100L18getri_kernel_smallILi20EfPKPfEEvT1_iilPiilS6_bb,comdat
	.globl	_ZN9rocsolver6v33100L18getri_kernel_smallILi20EfPKPfEEvT1_iilPiilS6_bb ; -- Begin function _ZN9rocsolver6v33100L18getri_kernel_smallILi20EfPKPfEEvT1_iilPiilS6_bb
	.p2align	8
	.type	_ZN9rocsolver6v33100L18getri_kernel_smallILi20EfPKPfEEvT1_iilPiilS6_bb,@function
_ZN9rocsolver6v33100L18getri_kernel_smallILi20EfPKPfEEvT1_iilPiilS6_bb: ; @_ZN9rocsolver6v33100L18getri_kernel_smallILi20EfPKPfEEvT1_iilPiilS6_bb
; %bb.0:
	s_mov_b32 s2, exec_lo
	v_cmpx_gt_u32_e32 20, v0
	s_cbranch_execz .LBB83_88
; %bb.1:
	s_clause 0x1
	s_load_b32 s13, s[0:1], 0x38
	s_load_b64 s[2:3], s[0:1], 0x0
	s_mov_b32 s8, s15
	s_load_b128 s[4:7], s[0:1], 0x28
	s_waitcnt lgkmcnt(0)
	s_bitcmp1_b32 s13, 8
	s_cselect_b32 s12, -1, 0
	s_ashr_i32 s9, s15, 31
	s_delay_alu instid0(SALU_CYCLE_1) | instskip(NEXT) | instid1(SALU_CYCLE_1)
	s_lshl_b64 s[10:11], s[8:9], 3
	s_add_u32 s2, s2, s10
	s_addc_u32 s3, s3, s11
	s_load_b64 s[10:11], s[2:3], 0x0
	s_bfe_u32 s2, s13, 0x10008
	s_delay_alu instid0(SALU_CYCLE_1)
	s_cmp_eq_u32 s2, 0
                                        ; implicit-def: $sgpr2_sgpr3
	s_cbranch_scc1 .LBB83_3
; %bb.2:
	s_clause 0x1
	s_load_b32 s2, s[0:1], 0x20
	s_load_b64 s[14:15], s[0:1], 0x18
	s_mul_i32 s3, s8, s5
	s_mul_hi_u32 s5, s8, s4
	s_mul_i32 s16, s9, s4
	s_add_i32 s3, s5, s3
	s_mul_i32 s4, s8, s4
	s_add_i32 s5, s3, s16
	s_delay_alu instid0(SALU_CYCLE_1)
	s_lshl_b64 s[4:5], s[4:5], 2
	s_waitcnt lgkmcnt(0)
	s_ashr_i32 s3, s2, 31
	s_add_u32 s4, s14, s4
	s_addc_u32 s5, s15, s5
	s_lshl_b64 s[2:3], s[2:3], 2
	s_delay_alu instid0(SALU_CYCLE_1)
	s_add_u32 s2, s4, s2
	s_addc_u32 s3, s5, s3
.LBB83_3:
	s_load_b64 s[0:1], s[0:1], 0x8
	v_lshlrev_b32_e32 v1, 2, v0
	s_waitcnt lgkmcnt(0)
	v_add3_u32 v2, s1, s1, v0
	s_ashr_i32 s5, s0, 31
	s_mov_b32 s4, s0
	s_mov_b32 s14, s1
	s_lshl_b64 s[4:5], s[4:5], 2
	v_add_nc_u32_e32 v8, s1, v2
	v_ashrrev_i32_e32 v3, 31, v2
	s_add_u32 s4, s10, s4
	s_addc_u32 s5, s11, s5
	v_add_co_u32 v4, s0, s4, v1
	v_add_nc_u32_e32 v10, s1, v8
	s_ashr_i32 s15, s1, 31
	v_add_co_ci_u32_e64 v5, null, s5, 0, s0
	v_lshlrev_b64 v[2:3], 2, v[2:3]
	s_delay_alu instid0(VALU_DEP_3)
	v_add_nc_u32_e32 v14, s1, v10
	v_ashrrev_i32_e32 v9, 31, v8
	s_lshl_b64 s[10:11], s[14:15], 2
	v_ashrrev_i32_e32 v11, 31, v10
	v_add_co_u32 v6, vcc_lo, v4, s10
	v_add_nc_u32_e32 v16, s1, v14
	v_add_co_ci_u32_e32 v7, vcc_lo, s11, v5, vcc_lo
	v_lshlrev_b64 v[12:13], 2, v[8:9]
	v_add_co_u32 v8, vcc_lo, s4, v2
	s_delay_alu instid0(VALU_DEP_4) | instskip(SKIP_3) | instid1(VALU_DEP_4)
	v_add_nc_u32_e32 v18, s1, v16
	v_add_co_ci_u32_e32 v9, vcc_lo, s5, v3, vcc_lo
	v_lshlrev_b64 v[2:3], 2, v[10:11]
	v_ashrrev_i32_e32 v15, 31, v14
	v_add_nc_u32_e32 v20, s1, v18
	v_add_co_u32 v10, vcc_lo, s4, v12
	v_ashrrev_i32_e32 v17, 31, v16
	v_add_co_ci_u32_e32 v11, vcc_lo, s5, v13, vcc_lo
	s_delay_alu instid0(VALU_DEP_4)
	v_add_nc_u32_e32 v22, s1, v20
	v_lshlrev_b64 v[14:15], 2, v[14:15]
	v_add_co_u32 v12, vcc_lo, s4, v2
	v_add_co_ci_u32_e32 v13, vcc_lo, s5, v3, vcc_lo
	v_lshlrev_b64 v[2:3], 2, v[16:17]
	v_ashrrev_i32_e32 v19, 31, v18
	v_add_nc_u32_e32 v24, s1, v22
	v_add_co_u32 v14, vcc_lo, s4, v14
	v_ashrrev_i32_e32 v21, 31, v20
	v_add_co_ci_u32_e32 v15, vcc_lo, s5, v15, vcc_lo
	v_lshlrev_b64 v[18:19], 2, v[18:19]
	v_add_co_u32 v16, vcc_lo, s4, v2
	v_add_nc_u32_e32 v26, s1, v24
	v_add_co_ci_u32_e32 v17, vcc_lo, s5, v3, vcc_lo
	v_lshlrev_b64 v[2:3], 2, v[20:21]
	v_add_co_u32 v18, vcc_lo, s4, v18
	v_ashrrev_i32_e32 v23, 31, v22
	v_add_nc_u32_e32 v28, s1, v26
	v_add_co_ci_u32_e32 v19, vcc_lo, s5, v19, vcc_lo
	v_add_co_u32 v20, vcc_lo, s4, v2
	v_add_co_ci_u32_e32 v21, vcc_lo, s5, v3, vcc_lo
	v_lshlrev_b64 v[2:3], 2, v[22:23]
	v_ashrrev_i32_e32 v25, 31, v24
	v_add_nc_u32_e32 v30, s1, v28
	v_ashrrev_i32_e32 v27, 31, v26
	v_ashrrev_i32_e32 v29, 31, v28
	global_load_b32 v44, v1, s[4:5]
	v_lshlrev_b64 v[24:25], 2, v[24:25]
	v_add_nc_u32_e32 v32, s1, v30
	v_add_co_u32 v22, vcc_lo, s4, v2
	v_add_co_ci_u32_e32 v23, vcc_lo, s5, v3, vcc_lo
	v_lshlrev_b64 v[2:3], 2, v[26:27]
	s_delay_alu instid0(VALU_DEP_4)
	v_add_nc_u32_e32 v34, s1, v32
	v_add_co_u32 v24, vcc_lo, s4, v24
	v_ashrrev_i32_e32 v31, 31, v30
	v_add_co_ci_u32_e32 v25, vcc_lo, s5, v25, vcc_lo
	v_lshlrev_b64 v[28:29], 2, v[28:29]
	v_add_co_u32 v26, vcc_lo, s4, v2
	v_add_nc_u32_e32 v36, s1, v34
	v_add_co_ci_u32_e32 v27, vcc_lo, s5, v3, vcc_lo
	v_lshlrev_b64 v[2:3], 2, v[30:31]
	v_ashrrev_i32_e32 v33, 31, v32
	v_add_co_u32 v28, vcc_lo, s4, v28
	v_ashrrev_i32_e32 v35, 31, v34
	v_add_nc_u32_e32 v38, s1, v36
	v_add_co_ci_u32_e32 v29, vcc_lo, s5, v29, vcc_lo
	v_lshlrev_b64 v[32:33], 2, v[32:33]
	v_add_co_u32 v30, vcc_lo, s4, v2
	v_add_co_ci_u32_e32 v31, vcc_lo, s5, v3, vcc_lo
	v_lshlrev_b64 v[2:3], 2, v[34:35]
	v_ashrrev_i32_e32 v37, 31, v36
	v_add_nc_u32_e32 v40, s1, v38
	v_add_co_u32 v32, vcc_lo, s4, v32
	v_ashrrev_i32_e32 v39, 31, v38
	v_add_co_ci_u32_e32 v33, vcc_lo, s5, v33, vcc_lo
	v_lshlrev_b64 v[36:37], 2, v[36:37]
	v_add_co_u32 v34, vcc_lo, s4, v2
	v_add_nc_u32_e32 v42, s1, v40
	v_add_co_ci_u32_e32 v35, vcc_lo, s5, v3, vcc_lo
	v_lshlrev_b64 v[2:3], 2, v[38:39]
	v_ashrrev_i32_e32 v41, 31, v40
	v_add_co_u32 v36, vcc_lo, s4, v36
	v_ashrrev_i32_e32 v43, 31, v42
	v_add_co_ci_u32_e32 v37, vcc_lo, s5, v37, vcc_lo
	s_delay_alu instid0(VALU_DEP_4) | instskip(SKIP_3) | instid1(VALU_DEP_4)
	v_lshlrev_b64 v[40:41], 2, v[40:41]
	v_add_co_u32 v38, vcc_lo, s4, v2
	v_add_co_ci_u32_e32 v39, vcc_lo, s5, v3, vcc_lo
	v_lshlrev_b64 v[2:3], 2, v[42:43]
	v_add_co_u32 v40, vcc_lo, s4, v40
	v_add_co_ci_u32_e32 v41, vcc_lo, s5, v41, vcc_lo
	s_clause 0x7
	global_load_b32 v45, v[6:7], off
	global_load_b32 v46, v[8:9], off
	;; [unrolled: 1-line block ×8, first 2 shown]
	v_add_co_u32 v42, vcc_lo, s4, v2
	v_add_co_ci_u32_e32 v43, vcc_lo, s5, v3, vcc_lo
	s_clause 0xa
	global_load_b32 v53, v[22:23], off
	global_load_b32 v54, v[24:25], off
	;; [unrolled: 1-line block ×11, first 2 shown]
	s_bitcmp0_b32 s13, 0
	s_mov_b32 s1, -1
	s_waitcnt vmcnt(16)
	scratch_store_b128 off, v[44:47], off
	s_waitcnt vmcnt(12)
	scratch_store_b128 off, v[48:51], off offset:16
	s_waitcnt vmcnt(8)
	scratch_store_b128 off, v[52:55], off offset:32
	;; [unrolled: 2-line block ×4, first 2 shown]
	s_cbranch_scc1 .LBB83_86
; %bb.4:
	v_cmp_eq_u32_e64 s0, 0, v0
	s_delay_alu instid0(VALU_DEP_1)
	s_and_saveexec_b32 s1, s0
	s_cbranch_execz .LBB83_6
; %bb.5:
	v_mov_b32_e32 v2, 0
	ds_store_b32 v2, v2 offset:160
.LBB83_6:
	s_or_b32 exec_lo, exec_lo, s1
	s_waitcnt lgkmcnt(0)
	s_waitcnt_vscnt null, 0x0
	s_barrier
	buffer_gl0_inv
	scratch_load_b32 v2, v1, off
	s_mov_b32 s4, exec_lo
	s_waitcnt vmcnt(0)
	v_cmpx_eq_f32_e32 0, v2
	s_cbranch_execz .LBB83_10
; %bb.7:
	v_mov_b32_e32 v2, 0
	s_mov_b32 s5, 0
	ds_load_b32 v3, v2 offset:160
	s_waitcnt lgkmcnt(0)
	v_readfirstlane_b32 s1, v3
	v_add_nc_u32_e32 v3, 1, v0
	s_delay_alu instid0(VALU_DEP_2) | instskip(NEXT) | instid1(VALU_DEP_1)
	s_cmp_eq_u32 s1, 0
	v_cmp_gt_i32_e32 vcc_lo, s1, v3
	s_cselect_b32 s10, -1, 0
	s_delay_alu instid0(SALU_CYCLE_1) | instskip(NEXT) | instid1(SALU_CYCLE_1)
	s_or_b32 s10, s10, vcc_lo
	s_and_b32 exec_lo, exec_lo, s10
	s_cbranch_execz .LBB83_10
; %bb.8:
	v_mov_b32_e32 v44, s1
.LBB83_9:                               ; =>This Inner Loop Header: Depth=1
	ds_cmpstore_rtn_b32 v44, v2, v3, v44 offset:160
	s_waitcnt lgkmcnt(0)
	v_cmp_ne_u32_e32 vcc_lo, 0, v44
	v_cmp_le_i32_e64 s1, v44, v3
	s_delay_alu instid0(VALU_DEP_1) | instskip(NEXT) | instid1(SALU_CYCLE_1)
	s_and_b32 s1, vcc_lo, s1
	s_and_b32 s1, exec_lo, s1
	s_delay_alu instid0(SALU_CYCLE_1) | instskip(NEXT) | instid1(SALU_CYCLE_1)
	s_or_b32 s5, s1, s5
	s_and_not1_b32 exec_lo, exec_lo, s5
	s_cbranch_execnz .LBB83_9
.LBB83_10:
	s_or_b32 exec_lo, exec_lo, s4
	v_mov_b32_e32 v2, 0
	s_barrier
	buffer_gl0_inv
	ds_load_b32 v3, v2 offset:160
	s_and_saveexec_b32 s1, s0
	s_cbranch_execz .LBB83_12
; %bb.11:
	s_lshl_b64 s[4:5], s[8:9], 2
	s_delay_alu instid0(SALU_CYCLE_1)
	s_add_u32 s4, s6, s4
	s_addc_u32 s5, s7, s5
	s_waitcnt lgkmcnt(0)
	global_store_b32 v2, v3, s[4:5]
.LBB83_12:
	s_or_b32 exec_lo, exec_lo, s1
	s_waitcnt lgkmcnt(0)
	v_cmp_ne_u32_e32 vcc_lo, 0, v3
	s_mov_b32 s1, 0
	s_cbranch_vccnz .LBB83_86
; %bb.13:
	v_add_nc_u32_e32 v2, 0, v1
	scratch_load_b32 v3, v2, off
	s_waitcnt vmcnt(0)
	v_div_scale_f32 v44, null, v3, v3, 1.0
	v_div_scale_f32 v47, vcc_lo, 1.0, v3, 1.0
	s_delay_alu instid0(VALU_DEP_2) | instskip(SKIP_2) | instid1(VALU_DEP_1)
	v_rcp_f32_e32 v45, v44
	s_waitcnt_depctr 0xfff
	v_fma_f32 v46, -v44, v45, 1.0
	v_fmac_f32_e32 v45, v46, v45
	s_delay_alu instid0(VALU_DEP_1) | instskip(NEXT) | instid1(VALU_DEP_1)
	v_mul_f32_e32 v46, v47, v45
	v_fma_f32 v48, -v44, v46, v47
	s_delay_alu instid0(VALU_DEP_1) | instskip(NEXT) | instid1(VALU_DEP_1)
	v_fmac_f32_e32 v46, v48, v45
	v_fma_f32 v44, -v44, v46, v47
	s_delay_alu instid0(VALU_DEP_1) | instskip(NEXT) | instid1(VALU_DEP_1)
	v_div_fmas_f32 v44, v44, v45, v46
	v_div_fixup_f32 v3, v44, v3, 1.0
	scratch_store_b32 v2, v3, off
	scratch_load_b32 v44, off, off offset:4
	v_xor_b32_e32 v45, 0x80000000, v3
	v_add_nc_u32_e32 v3, 0x50, v1
	s_waitcnt vmcnt(0)
	ds_store_2addr_b32 v1, v45, v44 offset1:20
	s_waitcnt lgkmcnt(0)
	s_waitcnt_vscnt null, 0x0
	s_barrier
	buffer_gl0_inv
	s_and_saveexec_b32 s1, s0
	s_cbranch_execz .LBB83_15
; %bb.14:
	scratch_load_b32 v44, v2, off
	ds_load_b32 v45, v3
	v_mov_b32_e32 v46, 0
	ds_load_b32 v46, v46 offset:4
	s_waitcnt vmcnt(0) lgkmcnt(1)
	v_fma_f32 v44, v44, v45, 0
	s_waitcnt lgkmcnt(0)
	s_delay_alu instid0(VALU_DEP_1)
	v_mul_f32_e32 v44, v44, v46
	scratch_store_b32 off, v44, off offset:4
.LBB83_15:
	s_or_b32 exec_lo, exec_lo, s1
	s_waitcnt_vscnt null, 0x0
	s_barrier
	buffer_gl0_inv
	scratch_load_b32 v44, off, off offset:8
	s_mov_b32 s1, exec_lo
	s_waitcnt vmcnt(0)
	ds_store_b32 v3, v44
	s_waitcnt lgkmcnt(0)
	s_barrier
	buffer_gl0_inv
	v_cmpx_gt_u32_e32 2, v0
	s_cbranch_execz .LBB83_17
; %bb.16:
	scratch_load_b32 v46, v2, off
	scratch_load_b32 v47, off, off offset:4
	ds_load_b32 v48, v3
	v_mov_b32_e32 v44, 0
	ds_load_2addr_b32 v[44:45], v44 offset0:2 offset1:21
	s_waitcnt vmcnt(1) lgkmcnt(1)
	v_fma_f32 v46, v46, v48, 0
	s_waitcnt vmcnt(0) lgkmcnt(0)
	s_delay_alu instid0(VALU_DEP_1) | instskip(NEXT) | instid1(VALU_DEP_1)
	v_fma_f32 v45, v47, v45, v46
	v_cndmask_b32_e64 v45, v46, v45, s0
	s_delay_alu instid0(VALU_DEP_1)
	v_mul_f32_e32 v44, v45, v44
	scratch_store_b32 off, v44, off offset:8
.LBB83_17:
	s_or_b32 exec_lo, exec_lo, s1
	s_waitcnt_vscnt null, 0x0
	s_barrier
	buffer_gl0_inv
	scratch_load_b32 v45, off, off offset:12
	v_add_nc_u32_e32 v44, -1, v0
	s_mov_b32 s0, exec_lo
	s_waitcnt vmcnt(0)
	ds_store_b32 v3, v45
	s_waitcnt lgkmcnt(0)
	s_barrier
	buffer_gl0_inv
	v_cmpx_gt_u32_e32 3, v0
	s_cbranch_execz .LBB83_21
; %bb.18:
	v_dual_mov_b32 v45, 0 :: v_dual_add_nc_u32 v46, -1, v0
	v_add_nc_u32_e32 v47, 0x50, v1
	v_add_nc_u32_e32 v48, 0, v1
	s_mov_b32 s1, 0
.LBB83_19:                              ; =>This Inner Loop Header: Depth=1
	scratch_load_b32 v49, v48, off
	ds_load_b32 v50, v47
	v_add_nc_u32_e32 v46, 1, v46
	v_add_nc_u32_e32 v47, 4, v47
	v_add_nc_u32_e32 v48, 4, v48
	s_delay_alu instid0(VALU_DEP_3)
	v_cmp_lt_u32_e32 vcc_lo, 1, v46
	s_or_b32 s1, vcc_lo, s1
	s_waitcnt vmcnt(0) lgkmcnt(0)
	v_fmac_f32_e32 v45, v49, v50
	s_and_not1_b32 exec_lo, exec_lo, s1
	s_cbranch_execnz .LBB83_19
; %bb.20:
	s_or_b32 exec_lo, exec_lo, s1
	v_mov_b32_e32 v46, 0
	ds_load_b32 v46, v46 offset:12
	s_waitcnt lgkmcnt(0)
	v_mul_f32_e32 v45, v45, v46
	scratch_store_b32 off, v45, off offset:12
.LBB83_21:
	s_or_b32 exec_lo, exec_lo, s0
	s_waitcnt_vscnt null, 0x0
	s_barrier
	buffer_gl0_inv
	scratch_load_b32 v45, off, off offset:16
	s_mov_b32 s0, exec_lo
	s_waitcnt vmcnt(0)
	ds_store_b32 v3, v45
	s_waitcnt lgkmcnt(0)
	s_barrier
	buffer_gl0_inv
	v_cmpx_gt_u32_e32 4, v0
	s_cbranch_execz .LBB83_25
; %bb.22:
	v_dual_mov_b32 v45, 0 :: v_dual_add_nc_u32 v46, -1, v0
	v_add_nc_u32_e32 v47, 0x50, v1
	v_add_nc_u32_e32 v48, 0, v1
	s_mov_b32 s1, 0
.LBB83_23:                              ; =>This Inner Loop Header: Depth=1
	scratch_load_b32 v49, v48, off
	ds_load_b32 v50, v47
	v_add_nc_u32_e32 v46, 1, v46
	v_add_nc_u32_e32 v47, 4, v47
	v_add_nc_u32_e32 v48, 4, v48
	s_delay_alu instid0(VALU_DEP_3)
	v_cmp_lt_u32_e32 vcc_lo, 2, v46
	s_or_b32 s1, vcc_lo, s1
	s_waitcnt vmcnt(0) lgkmcnt(0)
	v_fmac_f32_e32 v45, v49, v50
	s_and_not1_b32 exec_lo, exec_lo, s1
	s_cbranch_execnz .LBB83_23
; %bb.24:
	s_or_b32 exec_lo, exec_lo, s1
	v_mov_b32_e32 v46, 0
	ds_load_b32 v46, v46 offset:16
	s_waitcnt lgkmcnt(0)
	v_mul_f32_e32 v45, v45, v46
	scratch_store_b32 off, v45, off offset:16
.LBB83_25:
	s_or_b32 exec_lo, exec_lo, s0
	s_waitcnt_vscnt null, 0x0
	s_barrier
	buffer_gl0_inv
	scratch_load_b32 v45, off, off offset:20
	;; [unrolled: 39-line block ×15, first 2 shown]
	s_mov_b32 s0, exec_lo
	s_waitcnt vmcnt(0)
	ds_store_b32 v3, v45
	s_waitcnt lgkmcnt(0)
	s_barrier
	buffer_gl0_inv
	v_cmpx_gt_u32_e32 18, v0
	s_cbranch_execz .LBB83_81
; %bb.78:
	v_add_nc_u32_e32 v45, -1, v0
	v_add_nc_u32_e32 v46, 0x50, v1
	v_add_nc_u32_e32 v47, 0, v1
	v_mov_b32_e32 v1, 0
	s_mov_b32 s1, 0
.LBB83_79:                              ; =>This Inner Loop Header: Depth=1
	scratch_load_b32 v48, v47, off
	ds_load_b32 v49, v46
	v_add_nc_u32_e32 v45, 1, v45
	v_add_nc_u32_e32 v46, 4, v46
	;; [unrolled: 1-line block ×3, first 2 shown]
	s_delay_alu instid0(VALU_DEP_3)
	v_cmp_lt_u32_e32 vcc_lo, 16, v45
	s_or_b32 s1, vcc_lo, s1
	s_waitcnt vmcnt(0) lgkmcnt(0)
	v_fmac_f32_e32 v1, v48, v49
	s_and_not1_b32 exec_lo, exec_lo, s1
	s_cbranch_execnz .LBB83_79
; %bb.80:
	s_or_b32 exec_lo, exec_lo, s1
	v_mov_b32_e32 v45, 0
	ds_load_b32 v45, v45 offset:72
	s_waitcnt lgkmcnt(0)
	v_mul_f32_e32 v1, v1, v45
	scratch_store_b32 off, v1, off offset:72
.LBB83_81:
	s_or_b32 exec_lo, exec_lo, s0
	s_waitcnt_vscnt null, 0x0
	s_barrier
	buffer_gl0_inv
	scratch_load_b32 v1, off, off offset:76
	s_mov_b32 s0, exec_lo
	s_waitcnt vmcnt(0)
	ds_store_b32 v3, v1
	s_waitcnt lgkmcnt(0)
	s_barrier
	buffer_gl0_inv
	v_cmpx_ne_u32_e32 19, v0
	s_cbranch_execz .LBB83_85
; %bb.82:
	v_mov_b32_e32 v1, 0
	s_mov_b32 s1, 0
.LBB83_83:                              ; =>This Inner Loop Header: Depth=1
	scratch_load_b32 v45, v2, off
	ds_load_b32 v46, v3
	v_add_nc_u32_e32 v44, 1, v44
	v_add_nc_u32_e32 v3, 4, v3
	;; [unrolled: 1-line block ×3, first 2 shown]
	s_waitcnt vmcnt(0) lgkmcnt(0)
	v_fmac_f32_e32 v1, v45, v46
	v_cmp_lt_u32_e32 vcc_lo, 17, v44
	s_or_b32 s1, vcc_lo, s1
	s_delay_alu instid0(SALU_CYCLE_1)
	s_and_not1_b32 exec_lo, exec_lo, s1
	s_cbranch_execnz .LBB83_83
; %bb.84:
	s_or_b32 exec_lo, exec_lo, s1
	v_mov_b32_e32 v2, 0
	ds_load_b32 v2, v2 offset:76
	s_waitcnt lgkmcnt(0)
	v_mul_f32_e32 v1, v1, v2
	scratch_store_b32 off, v1, off offset:76
.LBB83_85:
	s_or_b32 exec_lo, exec_lo, s0
	s_mov_b32 s1, -1
	s_waitcnt_vscnt null, 0x0
	s_barrier
	buffer_gl0_inv
.LBB83_86:
	s_and_b32 vcc_lo, exec_lo, s1
	s_cbranch_vccz .LBB83_88
; %bb.87:
	s_lshl_b64 s[0:1], s[8:9], 2
	v_mov_b32_e32 v1, 0
	s_add_u32 s0, s6, s0
	s_addc_u32 s1, s7, s1
	global_load_b32 v1, v1, s[0:1]
	s_waitcnt vmcnt(0)
	v_cmp_ne_u32_e32 vcc_lo, 0, v1
	s_cbranch_vccz .LBB83_89
.LBB83_88:
	s_endpgm
.LBB83_89:
	v_lshl_add_u32 v1, v0, 2, 0x50
	s_mov_b32 s0, exec_lo
	v_cmpx_eq_u32_e32 19, v0
	s_cbranch_execz .LBB83_91
; %bb.90:
	scratch_load_b32 v2, off, off offset:72
	v_mov_b32_e32 v3, 0
	scratch_store_b32 off, v3, off offset:72
	s_waitcnt vmcnt(0)
	ds_store_b32 v1, v2
.LBB83_91:
	s_or_b32 exec_lo, exec_lo, s0
	s_waitcnt lgkmcnt(0)
	s_waitcnt_vscnt null, 0x0
	s_barrier
	buffer_gl0_inv
	scratch_load_b64 v[44:45], off, off offset:72
	v_mov_b32_e32 v2, 0
	s_mov_b32 s0, exec_lo
	ds_load_b32 v3, v2 offset:156
	s_waitcnt vmcnt(0) lgkmcnt(0)
	v_fma_f32 v3, v45, v3, 0
	s_delay_alu instid0(VALU_DEP_1)
	v_sub_f32_e32 v3, v44, v3
	scratch_store_b32 off, v3, off offset:72
	v_cmpx_lt_u32_e32 17, v0
	s_cbranch_execz .LBB83_93
; %bb.92:
	scratch_load_b32 v3, off, off offset:68
	scratch_store_b32 off, v2, off offset:68
	s_waitcnt vmcnt(0)
	ds_store_b32 v1, v3
.LBB83_93:
	s_or_b32 exec_lo, exec_lo, s0
	s_waitcnt lgkmcnt(0)
	s_waitcnt_vscnt null, 0x0
	s_barrier
	buffer_gl0_inv
	scratch_load_b96 v[44:46], off, off offset:68
	ds_load_b64 v[2:3], v2 offset:152
	s_mov_b32 s0, exec_lo
	s_waitcnt vmcnt(0) lgkmcnt(0)
	v_fma_f32 v2, v45, v2, 0
	s_delay_alu instid0(VALU_DEP_1) | instskip(NEXT) | instid1(VALU_DEP_1)
	v_fmac_f32_e32 v2, v46, v3
	v_sub_f32_e32 v2, v44, v2
	scratch_store_b32 off, v2, off offset:68
	v_cmpx_lt_u32_e32 16, v0
	s_cbranch_execz .LBB83_95
; %bb.94:
	scratch_load_b32 v2, off, off offset:64
	v_mov_b32_e32 v3, 0
	scratch_store_b32 off, v3, off offset:64
	s_waitcnt vmcnt(0)
	ds_store_b32 v1, v2
.LBB83_95:
	s_or_b32 exec_lo, exec_lo, s0
	s_waitcnt lgkmcnt(0)
	s_waitcnt_vscnt null, 0x0
	s_barrier
	buffer_gl0_inv
	scratch_load_b128 v[44:47], off, off offset:64
	v_mov_b32_e32 v2, 0
	ds_load_2addr_b32 v[48:49], v2 offset0:37 offset1:38
	ds_load_b32 v3, v2 offset:156
	s_mov_b32 s0, exec_lo
	s_waitcnt vmcnt(0) lgkmcnt(1)
	v_fma_f32 v45, v45, v48, 0
	s_delay_alu instid0(VALU_DEP_1) | instskip(SKIP_1) | instid1(VALU_DEP_1)
	v_fmac_f32_e32 v45, v46, v49
	s_waitcnt lgkmcnt(0)
	v_fmac_f32_e32 v45, v47, v3
	s_delay_alu instid0(VALU_DEP_1)
	v_sub_f32_e32 v3, v44, v45
	scratch_store_b32 off, v3, off offset:64
	v_cmpx_lt_u32_e32 15, v0
	s_cbranch_execz .LBB83_97
; %bb.96:
	scratch_load_b32 v3, off, off offset:60
	scratch_store_b32 off, v2, off offset:60
	s_waitcnt vmcnt(0)
	ds_store_b32 v1, v3
.LBB83_97:
	s_or_b32 exec_lo, exec_lo, s0
	s_waitcnt lgkmcnt(0)
	s_waitcnt_vscnt null, 0x0
	s_barrier
	buffer_gl0_inv
	s_clause 0x1
	scratch_load_b128 v[44:47], off, off offset:60
	scratch_load_b32 v3, off, off offset:76
	ds_load_b128 v[48:51], v2 offset:144
	s_mov_b32 s0, exec_lo
	s_waitcnt vmcnt(1) lgkmcnt(0)
	v_fma_f32 v2, v45, v48, 0
	s_delay_alu instid0(VALU_DEP_1) | instskip(NEXT) | instid1(VALU_DEP_1)
	v_fmac_f32_e32 v2, v46, v49
	v_fmac_f32_e32 v2, v47, v50
	s_waitcnt vmcnt(0)
	s_delay_alu instid0(VALU_DEP_1) | instskip(NEXT) | instid1(VALU_DEP_1)
	v_fmac_f32_e32 v2, v3, v51
	v_sub_f32_e32 v2, v44, v2
	scratch_store_b32 off, v2, off offset:60
	v_cmpx_lt_u32_e32 14, v0
	s_cbranch_execz .LBB83_99
; %bb.98:
	scratch_load_b32 v2, off, off offset:56
	v_mov_b32_e32 v3, 0
	scratch_store_b32 off, v3, off offset:56
	s_waitcnt vmcnt(0)
	ds_store_b32 v1, v2
.LBB83_99:
	s_or_b32 exec_lo, exec_lo, s0
	s_waitcnt lgkmcnt(0)
	s_waitcnt_vscnt null, 0x0
	s_barrier
	buffer_gl0_inv
	s_clause 0x1
	scratch_load_b128 v[44:47], off, off offset:56
	scratch_load_b64 v[48:49], off, off offset:72
	v_mov_b32_e32 v2, 0
	ds_load_2addr_b32 v[50:51], v2 offset0:35 offset1:36
	ds_load_2addr_b32 v[52:53], v2 offset0:37 offset1:38
	ds_load_b32 v3, v2 offset:156
	s_mov_b32 s0, exec_lo
	s_waitcnt vmcnt(1) lgkmcnt(2)
	v_fma_f32 v45, v45, v50, 0
	s_delay_alu instid0(VALU_DEP_1) | instskip(SKIP_1) | instid1(VALU_DEP_1)
	v_fmac_f32_e32 v45, v46, v51
	s_waitcnt lgkmcnt(1)
	v_fmac_f32_e32 v45, v47, v52
	s_waitcnt vmcnt(0)
	s_delay_alu instid0(VALU_DEP_1) | instskip(SKIP_1) | instid1(VALU_DEP_1)
	v_fmac_f32_e32 v45, v48, v53
	s_waitcnt lgkmcnt(0)
	v_fmac_f32_e32 v45, v49, v3
	s_delay_alu instid0(VALU_DEP_1)
	v_sub_f32_e32 v3, v44, v45
	scratch_store_b32 off, v3, off offset:56
	v_cmpx_lt_u32_e32 13, v0
	s_cbranch_execz .LBB83_101
; %bb.100:
	scratch_load_b32 v3, off, off offset:52
	scratch_store_b32 off, v2, off offset:52
	s_waitcnt vmcnt(0)
	ds_store_b32 v1, v3
.LBB83_101:
	s_or_b32 exec_lo, exec_lo, s0
	s_waitcnt lgkmcnt(0)
	s_waitcnt_vscnt null, 0x0
	s_barrier
	buffer_gl0_inv
	s_clause 0x1
	scratch_load_b128 v[44:47], off, off offset:52
	scratch_load_b96 v[52:54], off, off offset:68
	ds_load_2addr_b64 v[48:51], v2 offset0:17 offset1:18
	ds_load_b64 v[2:3], v2 offset:152
	s_mov_b32 s0, exec_lo
	s_waitcnt vmcnt(1) lgkmcnt(1)
	v_fma_f32 v45, v45, v48, 0
	s_delay_alu instid0(VALU_DEP_1) | instskip(NEXT) | instid1(VALU_DEP_1)
	v_fmac_f32_e32 v45, v46, v49
	v_fmac_f32_e32 v45, v47, v50
	s_waitcnt vmcnt(0)
	s_delay_alu instid0(VALU_DEP_1) | instskip(SKIP_1) | instid1(VALU_DEP_1)
	v_fmac_f32_e32 v45, v52, v51
	s_waitcnt lgkmcnt(0)
	v_fmac_f32_e32 v45, v53, v2
	s_delay_alu instid0(VALU_DEP_1) | instskip(NEXT) | instid1(VALU_DEP_1)
	v_fmac_f32_e32 v45, v54, v3
	v_sub_f32_e32 v2, v44, v45
	scratch_store_b32 off, v2, off offset:52
	v_cmpx_lt_u32_e32 12, v0
	s_cbranch_execz .LBB83_103
; %bb.102:
	scratch_load_b32 v2, off, off offset:48
	v_mov_b32_e32 v3, 0
	scratch_store_b32 off, v3, off offset:48
	s_waitcnt vmcnt(0)
	ds_store_b32 v1, v2
.LBB83_103:
	s_or_b32 exec_lo, exec_lo, s0
	s_waitcnt lgkmcnt(0)
	s_waitcnt_vscnt null, 0x0
	s_barrier
	buffer_gl0_inv
	s_clause 0x1
	scratch_load_b128 v[44:47], off, off offset:48
	scratch_load_b128 v[48:51], off, off offset:64
	v_mov_b32_e32 v2, 0
	ds_load_2addr_b32 v[52:53], v2 offset0:33 offset1:34
	ds_load_2addr_b32 v[54:55], v2 offset0:35 offset1:36
	;; [unrolled: 1-line block ×3, first 2 shown]
	ds_load_b32 v3, v2 offset:156
	s_mov_b32 s0, exec_lo
	s_waitcnt vmcnt(1) lgkmcnt(3)
	v_fma_f32 v45, v45, v52, 0
	s_delay_alu instid0(VALU_DEP_1) | instskip(SKIP_1) | instid1(VALU_DEP_1)
	v_fmac_f32_e32 v45, v46, v53
	s_waitcnt lgkmcnt(2)
	v_fmac_f32_e32 v45, v47, v54
	s_waitcnt vmcnt(0)
	s_delay_alu instid0(VALU_DEP_1) | instskip(SKIP_1) | instid1(VALU_DEP_1)
	v_fmac_f32_e32 v45, v48, v55
	s_waitcnt lgkmcnt(1)
	v_fmac_f32_e32 v45, v49, v56
	s_delay_alu instid0(VALU_DEP_1) | instskip(SKIP_1) | instid1(VALU_DEP_1)
	v_fmac_f32_e32 v45, v50, v57
	s_waitcnt lgkmcnt(0)
	v_fmac_f32_e32 v45, v51, v3
	s_delay_alu instid0(VALU_DEP_1)
	v_sub_f32_e32 v3, v44, v45
	scratch_store_b32 off, v3, off offset:48
	v_cmpx_lt_u32_e32 11, v0
	s_cbranch_execz .LBB83_105
; %bb.104:
	scratch_load_b32 v3, off, off offset:44
	scratch_store_b32 off, v2, off offset:44
	s_waitcnt vmcnt(0)
	ds_store_b32 v1, v3
.LBB83_105:
	s_or_b32 exec_lo, exec_lo, s0
	s_waitcnt lgkmcnt(0)
	s_waitcnt_vscnt null, 0x0
	s_barrier
	buffer_gl0_inv
	s_clause 0x2
	scratch_load_b128 v[44:47], off, off offset:44
	scratch_load_b128 v[48:51], off, off offset:60
	scratch_load_b32 v3, off, off offset:76
	ds_load_b128 v[52:55], v2 offset:128
	ds_load_b128 v[56:59], v2 offset:144
	s_mov_b32 s0, exec_lo
	s_waitcnt vmcnt(2) lgkmcnt(1)
	v_fma_f32 v2, v45, v52, 0
	s_delay_alu instid0(VALU_DEP_1) | instskip(NEXT) | instid1(VALU_DEP_1)
	v_fmac_f32_e32 v2, v46, v53
	v_fmac_f32_e32 v2, v47, v54
	s_waitcnt vmcnt(1)
	s_delay_alu instid0(VALU_DEP_1) | instskip(SKIP_1) | instid1(VALU_DEP_1)
	v_fmac_f32_e32 v2, v48, v55
	s_waitcnt lgkmcnt(0)
	v_fmac_f32_e32 v2, v49, v56
	s_delay_alu instid0(VALU_DEP_1) | instskip(NEXT) | instid1(VALU_DEP_1)
	v_fmac_f32_e32 v2, v50, v57
	v_fmac_f32_e32 v2, v51, v58
	s_waitcnt vmcnt(0)
	s_delay_alu instid0(VALU_DEP_1) | instskip(NEXT) | instid1(VALU_DEP_1)
	v_fmac_f32_e32 v2, v3, v59
	v_sub_f32_e32 v2, v44, v2
	scratch_store_b32 off, v2, off offset:44
	v_cmpx_lt_u32_e32 10, v0
	s_cbranch_execz .LBB83_107
; %bb.106:
	scratch_load_b32 v2, off, off offset:40
	v_mov_b32_e32 v3, 0
	scratch_store_b32 off, v3, off offset:40
	s_waitcnt vmcnt(0)
	ds_store_b32 v1, v2
.LBB83_107:
	s_or_b32 exec_lo, exec_lo, s0
	s_waitcnt lgkmcnt(0)
	s_waitcnt_vscnt null, 0x0
	s_barrier
	buffer_gl0_inv
	s_clause 0x2
	scratch_load_b128 v[44:47], off, off offset:40
	scratch_load_b128 v[48:51], off, off offset:56
	scratch_load_b64 v[52:53], off, off offset:72
	v_mov_b32_e32 v2, 0
	ds_load_2addr_b32 v[54:55], v2 offset0:31 offset1:32
	ds_load_2addr_b32 v[56:57], v2 offset0:33 offset1:34
	;; [unrolled: 1-line block ×4, first 2 shown]
	s_mov_b32 s0, exec_lo
	s_waitcnt vmcnt(2) lgkmcnt(3)
	v_fma_f32 v3, v45, v54, 0
	s_delay_alu instid0(VALU_DEP_1) | instskip(SKIP_4) | instid1(VALU_DEP_1)
	v_fmac_f32_e32 v3, v46, v55
	ds_load_b32 v45, v2 offset:156
	s_waitcnt lgkmcnt(3)
	v_fmac_f32_e32 v3, v47, v56
	s_waitcnt vmcnt(1)
	v_fmac_f32_e32 v3, v48, v57
	s_waitcnt lgkmcnt(2)
	s_delay_alu instid0(VALU_DEP_1) | instskip(NEXT) | instid1(VALU_DEP_1)
	v_fmac_f32_e32 v3, v49, v58
	v_fmac_f32_e32 v3, v50, v59
	s_waitcnt lgkmcnt(1)
	s_delay_alu instid0(VALU_DEP_1) | instskip(SKIP_1) | instid1(VALU_DEP_1)
	v_fmac_f32_e32 v3, v51, v60
	s_waitcnt vmcnt(0)
	v_fmac_f32_e32 v3, v52, v61
	s_waitcnt lgkmcnt(0)
	s_delay_alu instid0(VALU_DEP_1) | instskip(NEXT) | instid1(VALU_DEP_1)
	v_fmac_f32_e32 v3, v53, v45
	v_sub_f32_e32 v3, v44, v3
	scratch_store_b32 off, v3, off offset:40
	v_cmpx_lt_u32_e32 9, v0
	s_cbranch_execz .LBB83_109
; %bb.108:
	scratch_load_b32 v3, off, off offset:36
	scratch_store_b32 off, v2, off offset:36
	s_waitcnt vmcnt(0)
	ds_store_b32 v1, v3
.LBB83_109:
	s_or_b32 exec_lo, exec_lo, s0
	s_waitcnt lgkmcnt(0)
	s_waitcnt_vscnt null, 0x0
	s_barrier
	buffer_gl0_inv
	s_clause 0x2
	scratch_load_b128 v[44:47], off, off offset:36
	scratch_load_b128 v[48:51], off, off offset:52
	scratch_load_b96 v[60:62], off, off offset:68
	ds_load_2addr_b64 v[52:55], v2 offset0:15 offset1:16
	ds_load_2addr_b64 v[56:59], v2 offset0:17 offset1:18
	ds_load_b64 v[2:3], v2 offset:152
	s_mov_b32 s0, exec_lo
	s_waitcnt vmcnt(2) lgkmcnt(2)
	v_fma_f32 v45, v45, v52, 0
	s_delay_alu instid0(VALU_DEP_1) | instskip(NEXT) | instid1(VALU_DEP_1)
	v_fmac_f32_e32 v45, v46, v53
	v_fmac_f32_e32 v45, v47, v54
	s_waitcnt vmcnt(1)
	s_delay_alu instid0(VALU_DEP_1) | instskip(SKIP_1) | instid1(VALU_DEP_1)
	v_fmac_f32_e32 v45, v48, v55
	s_waitcnt lgkmcnt(1)
	v_fmac_f32_e32 v45, v49, v56
	s_delay_alu instid0(VALU_DEP_1) | instskip(NEXT) | instid1(VALU_DEP_1)
	v_fmac_f32_e32 v45, v50, v57
	v_fmac_f32_e32 v45, v51, v58
	s_waitcnt vmcnt(0)
	s_delay_alu instid0(VALU_DEP_1) | instskip(SKIP_1) | instid1(VALU_DEP_1)
	v_fmac_f32_e32 v45, v60, v59
	s_waitcnt lgkmcnt(0)
	v_fmac_f32_e32 v45, v61, v2
	s_delay_alu instid0(VALU_DEP_1) | instskip(NEXT) | instid1(VALU_DEP_1)
	v_fmac_f32_e32 v45, v62, v3
	v_sub_f32_e32 v2, v44, v45
	scratch_store_b32 off, v2, off offset:36
	v_cmpx_lt_u32_e32 8, v0
	s_cbranch_execz .LBB83_111
; %bb.110:
	scratch_load_b32 v2, off, off offset:32
	v_mov_b32_e32 v3, 0
	scratch_store_b32 off, v3, off offset:32
	s_waitcnt vmcnt(0)
	ds_store_b32 v1, v2
.LBB83_111:
	s_or_b32 exec_lo, exec_lo, s0
	s_waitcnt lgkmcnt(0)
	s_waitcnt_vscnt null, 0x0
	s_barrier
	buffer_gl0_inv
	s_clause 0x2
	scratch_load_b128 v[44:47], off, off offset:32
	scratch_load_b128 v[48:51], off, off offset:48
	;; [unrolled: 1-line block ×3, first 2 shown]
	v_mov_b32_e32 v2, 0
	ds_load_2addr_b32 v[56:57], v2 offset0:29 offset1:30
	ds_load_2addr_b32 v[58:59], v2 offset0:31 offset1:32
	;; [unrolled: 1-line block ×4, first 2 shown]
	s_mov_b32 s0, exec_lo
	s_waitcnt vmcnt(2) lgkmcnt(3)
	v_fma_f32 v3, v45, v56, 0
	s_delay_alu instid0(VALU_DEP_1)
	v_fmac_f32_e32 v3, v46, v57
	ds_load_2addr_b32 v[45:46], v2 offset0:37 offset1:38
	s_waitcnt lgkmcnt(3)
	v_fmac_f32_e32 v3, v47, v58
	ds_load_b32 v47, v2 offset:156
	s_waitcnt vmcnt(1)
	v_fmac_f32_e32 v3, v48, v59
	s_waitcnt lgkmcnt(3)
	s_delay_alu instid0(VALU_DEP_1) | instskip(NEXT) | instid1(VALU_DEP_1)
	v_fmac_f32_e32 v3, v49, v60
	v_fmac_f32_e32 v3, v50, v61
	s_waitcnt lgkmcnt(2)
	s_delay_alu instid0(VALU_DEP_1) | instskip(SKIP_1) | instid1(VALU_DEP_1)
	v_fmac_f32_e32 v3, v51, v62
	s_waitcnt vmcnt(0)
	v_fmac_f32_e32 v3, v52, v63
	s_waitcnt lgkmcnt(1)
	s_delay_alu instid0(VALU_DEP_1) | instskip(NEXT) | instid1(VALU_DEP_1)
	v_fmac_f32_e32 v3, v53, v45
	v_fmac_f32_e32 v3, v54, v46
	s_waitcnt lgkmcnt(0)
	s_delay_alu instid0(VALU_DEP_1) | instskip(NEXT) | instid1(VALU_DEP_1)
	v_fmac_f32_e32 v3, v55, v47
	v_sub_f32_e32 v3, v44, v3
	scratch_store_b32 off, v3, off offset:32
	v_cmpx_lt_u32_e32 7, v0
	s_cbranch_execz .LBB83_113
; %bb.112:
	scratch_load_b32 v3, off, off offset:28
	scratch_store_b32 off, v2, off offset:28
	s_waitcnt vmcnt(0)
	ds_store_b32 v1, v3
.LBB83_113:
	s_or_b32 exec_lo, exec_lo, s0
	s_waitcnt lgkmcnt(0)
	s_waitcnt_vscnt null, 0x0
	s_barrier
	buffer_gl0_inv
	s_clause 0x3
	scratch_load_b128 v[44:47], off, off offset:28
	scratch_load_b128 v[48:51], off, off offset:44
	;; [unrolled: 1-line block ×3, first 2 shown]
	scratch_load_b32 v3, off, off offset:76
	ds_load_b128 v[56:59], v2 offset:112
	ds_load_b128 v[60:63], v2 offset:128
	s_mov_b32 s0, exec_lo
	s_waitcnt vmcnt(3) lgkmcnt(1)
	v_fma_f32 v56, v45, v56, 0
	s_delay_alu instid0(VALU_DEP_1) | instskip(NEXT) | instid1(VALU_DEP_1)
	v_fmac_f32_e32 v56, v46, v57
	v_fmac_f32_e32 v56, v47, v58
	s_waitcnt vmcnt(2)
	s_delay_alu instid0(VALU_DEP_1) | instskip(SKIP_3) | instid1(VALU_DEP_1)
	v_fmac_f32_e32 v56, v48, v59
	ds_load_b128 v[45:48], v2 offset:144
	s_waitcnt lgkmcnt(1)
	v_fmac_f32_e32 v56, v49, v60
	v_fmac_f32_e32 v56, v50, v61
	s_delay_alu instid0(VALU_DEP_1) | instskip(SKIP_1) | instid1(VALU_DEP_1)
	v_fmac_f32_e32 v56, v51, v62
	s_waitcnt vmcnt(1)
	v_fmac_f32_e32 v56, v52, v63
	s_waitcnt lgkmcnt(0)
	s_delay_alu instid0(VALU_DEP_1) | instskip(NEXT) | instid1(VALU_DEP_1)
	v_fmac_f32_e32 v56, v53, v45
	v_fmac_f32_e32 v56, v54, v46
	s_delay_alu instid0(VALU_DEP_1) | instskip(SKIP_1) | instid1(VALU_DEP_1)
	v_fmac_f32_e32 v56, v55, v47
	s_waitcnt vmcnt(0)
	v_fmac_f32_e32 v56, v3, v48
	s_delay_alu instid0(VALU_DEP_1)
	v_sub_f32_e32 v2, v44, v56
	scratch_store_b32 off, v2, off offset:28
	v_cmpx_lt_u32_e32 6, v0
	s_cbranch_execz .LBB83_115
; %bb.114:
	scratch_load_b32 v2, off, off offset:24
	v_mov_b32_e32 v3, 0
	scratch_store_b32 off, v3, off offset:24
	s_waitcnt vmcnt(0)
	ds_store_b32 v1, v2
.LBB83_115:
	s_or_b32 exec_lo, exec_lo, s0
	s_waitcnt lgkmcnt(0)
	s_waitcnt_vscnt null, 0x0
	s_barrier
	buffer_gl0_inv
	s_clause 0x3
	scratch_load_b128 v[44:47], off, off offset:24
	scratch_load_b128 v[48:51], off, off offset:40
	;; [unrolled: 1-line block ×3, first 2 shown]
	scratch_load_b64 v[56:57], off, off offset:72
	v_mov_b32_e32 v2, 0
	ds_load_2addr_b32 v[58:59], v2 offset0:27 offset1:28
	ds_load_2addr_b32 v[60:61], v2 offset0:29 offset1:30
	;; [unrolled: 1-line block ×4, first 2 shown]
	s_mov_b32 s0, exec_lo
	s_waitcnt vmcnt(3) lgkmcnt(3)
	v_fma_f32 v3, v45, v58, 0
	s_delay_alu instid0(VALU_DEP_1) | instskip(SKIP_4) | instid1(VALU_DEP_1)
	v_fmac_f32_e32 v3, v46, v59
	ds_load_2addr_b32 v[45:46], v2 offset0:35 offset1:36
	s_waitcnt lgkmcnt(3)
	v_fmac_f32_e32 v3, v47, v60
	s_waitcnt vmcnt(2)
	v_fmac_f32_e32 v3, v48, v61
	ds_load_2addr_b32 v[47:48], v2 offset0:37 offset1:38
	s_waitcnt lgkmcnt(3)
	v_fmac_f32_e32 v3, v49, v62
	ds_load_b32 v49, v2 offset:156
	v_fmac_f32_e32 v3, v50, v63
	s_waitcnt lgkmcnt(3)
	s_delay_alu instid0(VALU_DEP_1) | instskip(SKIP_1) | instid1(VALU_DEP_1)
	v_fmac_f32_e32 v3, v51, v64
	s_waitcnt vmcnt(1)
	v_fmac_f32_e32 v3, v52, v65
	s_waitcnt lgkmcnt(2)
	s_delay_alu instid0(VALU_DEP_1) | instskip(NEXT) | instid1(VALU_DEP_1)
	v_fmac_f32_e32 v3, v53, v45
	v_fmac_f32_e32 v3, v54, v46
	s_waitcnt lgkmcnt(1)
	s_delay_alu instid0(VALU_DEP_1) | instskip(SKIP_1) | instid1(VALU_DEP_1)
	v_fmac_f32_e32 v3, v55, v47
	s_waitcnt vmcnt(0)
	v_fmac_f32_e32 v3, v56, v48
	s_waitcnt lgkmcnt(0)
	s_delay_alu instid0(VALU_DEP_1) | instskip(NEXT) | instid1(VALU_DEP_1)
	v_fmac_f32_e32 v3, v57, v49
	v_sub_f32_e32 v3, v44, v3
	scratch_store_b32 off, v3, off offset:24
	v_cmpx_lt_u32_e32 5, v0
	s_cbranch_execz .LBB83_117
; %bb.116:
	scratch_load_b32 v3, off, off offset:20
	scratch_store_b32 off, v2, off offset:20
	s_waitcnt vmcnt(0)
	ds_store_b32 v1, v3
.LBB83_117:
	s_or_b32 exec_lo, exec_lo, s0
	s_waitcnt lgkmcnt(0)
	s_waitcnt_vscnt null, 0x0
	s_barrier
	buffer_gl0_inv
	s_clause 0x3
	scratch_load_b128 v[44:47], off, off offset:20
	scratch_load_b128 v[48:51], off, off offset:36
	;; [unrolled: 1-line block ×3, first 2 shown]
	scratch_load_b96 v[64:66], off, off offset:68
	ds_load_2addr_b64 v[56:59], v2 offset0:13 offset1:14
	ds_load_2addr_b64 v[60:63], v2 offset0:15 offset1:16
	s_mov_b32 s0, exec_lo
	s_waitcnt vmcnt(3) lgkmcnt(1)
	v_fma_f32 v56, v45, v56, 0
	s_delay_alu instid0(VALU_DEP_1) | instskip(NEXT) | instid1(VALU_DEP_1)
	v_fmac_f32_e32 v56, v46, v57
	v_fmac_f32_e32 v56, v47, v58
	s_waitcnt vmcnt(2)
	s_delay_alu instid0(VALU_DEP_1) | instskip(SKIP_4) | instid1(VALU_DEP_1)
	v_fmac_f32_e32 v56, v48, v59
	ds_load_2addr_b64 v[45:48], v2 offset0:17 offset1:18
	ds_load_b64 v[2:3], v2 offset:152
	s_waitcnt lgkmcnt(2)
	v_fmac_f32_e32 v56, v49, v60
	v_fmac_f32_e32 v56, v50, v61
	s_delay_alu instid0(VALU_DEP_1) | instskip(SKIP_1) | instid1(VALU_DEP_1)
	v_fmac_f32_e32 v56, v51, v62
	s_waitcnt vmcnt(1)
	v_fmac_f32_e32 v56, v52, v63
	s_waitcnt lgkmcnt(1)
	s_delay_alu instid0(VALU_DEP_1) | instskip(NEXT) | instid1(VALU_DEP_1)
	v_fmac_f32_e32 v56, v53, v45
	v_fmac_f32_e32 v56, v54, v46
	s_delay_alu instid0(VALU_DEP_1) | instskip(SKIP_1) | instid1(VALU_DEP_1)
	v_fmac_f32_e32 v56, v55, v47
	s_waitcnt vmcnt(0)
	v_fmac_f32_e32 v56, v64, v48
	s_waitcnt lgkmcnt(0)
	s_delay_alu instid0(VALU_DEP_1) | instskip(NEXT) | instid1(VALU_DEP_1)
	v_fmac_f32_e32 v56, v65, v2
	v_fmac_f32_e32 v56, v66, v3
	s_delay_alu instid0(VALU_DEP_1)
	v_sub_f32_e32 v2, v44, v56
	scratch_store_b32 off, v2, off offset:20
	v_cmpx_lt_u32_e32 4, v0
	s_cbranch_execz .LBB83_119
; %bb.118:
	scratch_load_b32 v2, off, off offset:16
	v_mov_b32_e32 v3, 0
	scratch_store_b32 off, v3, off offset:16
	s_waitcnt vmcnt(0)
	ds_store_b32 v1, v2
.LBB83_119:
	s_or_b32 exec_lo, exec_lo, s0
	s_waitcnt lgkmcnt(0)
	s_waitcnt_vscnt null, 0x0
	s_barrier
	buffer_gl0_inv
	s_clause 0x3
	scratch_load_b128 v[44:47], off, off offset:16
	scratch_load_b128 v[48:51], off, off offset:32
	;; [unrolled: 1-line block ×4, first 2 shown]
	v_mov_b32_e32 v2, 0
	ds_load_2addr_b32 v[60:61], v2 offset0:25 offset1:26
	ds_load_2addr_b32 v[62:63], v2 offset0:27 offset1:28
	ds_load_2addr_b32 v[64:65], v2 offset0:29 offset1:30
	ds_load_2addr_b32 v[66:67], v2 offset0:31 offset1:32
	s_mov_b32 s0, exec_lo
	s_waitcnt vmcnt(3) lgkmcnt(3)
	v_fma_f32 v3, v45, v60, 0
	s_delay_alu instid0(VALU_DEP_1) | instskip(SKIP_4) | instid1(VALU_DEP_1)
	v_fmac_f32_e32 v3, v46, v61
	ds_load_2addr_b32 v[45:46], v2 offset0:33 offset1:34
	s_waitcnt lgkmcnt(3)
	v_fmac_f32_e32 v3, v47, v62
	s_waitcnt vmcnt(2)
	v_fmac_f32_e32 v3, v48, v63
	ds_load_2addr_b32 v[47:48], v2 offset0:35 offset1:36
	s_waitcnt lgkmcnt(3)
	v_fmac_f32_e32 v3, v49, v64
	s_delay_alu instid0(VALU_DEP_1) | instskip(SKIP_1) | instid1(VALU_DEP_1)
	v_fmac_f32_e32 v3, v50, v65
	s_waitcnt lgkmcnt(2)
	v_fmac_f32_e32 v3, v51, v66
	ds_load_2addr_b32 v[49:50], v2 offset0:37 offset1:38
	ds_load_b32 v51, v2 offset:156
	s_waitcnt vmcnt(1)
	v_fmac_f32_e32 v3, v52, v67
	s_waitcnt lgkmcnt(3)
	s_delay_alu instid0(VALU_DEP_1) | instskip(NEXT) | instid1(VALU_DEP_1)
	v_fmac_f32_e32 v3, v53, v45
	v_fmac_f32_e32 v3, v54, v46
	s_waitcnt lgkmcnt(2)
	s_delay_alu instid0(VALU_DEP_1) | instskip(SKIP_1) | instid1(VALU_DEP_1)
	v_fmac_f32_e32 v3, v55, v47
	s_waitcnt vmcnt(0)
	v_fmac_f32_e32 v3, v56, v48
	s_waitcnt lgkmcnt(1)
	s_delay_alu instid0(VALU_DEP_1) | instskip(NEXT) | instid1(VALU_DEP_1)
	v_fmac_f32_e32 v3, v57, v49
	v_fmac_f32_e32 v3, v58, v50
	s_waitcnt lgkmcnt(0)
	s_delay_alu instid0(VALU_DEP_1) | instskip(NEXT) | instid1(VALU_DEP_1)
	v_fmac_f32_e32 v3, v59, v51
	v_sub_f32_e32 v3, v44, v3
	scratch_store_b32 off, v3, off offset:16
	v_cmpx_lt_u32_e32 3, v0
	s_cbranch_execz .LBB83_121
; %bb.120:
	scratch_load_b32 v3, off, off offset:12
	scratch_store_b32 off, v2, off offset:12
	s_waitcnt vmcnt(0)
	ds_store_b32 v1, v3
.LBB83_121:
	s_or_b32 exec_lo, exec_lo, s0
	s_waitcnt lgkmcnt(0)
	s_waitcnt_vscnt null, 0x0
	s_barrier
	buffer_gl0_inv
	s_clause 0x4
	scratch_load_b128 v[44:47], off, off offset:12
	scratch_load_b128 v[48:51], off, off offset:28
	;; [unrolled: 1-line block ×4, first 2 shown]
	scratch_load_b32 v3, off, off offset:76
	ds_load_b128 v[60:63], v2 offset:96
	ds_load_b128 v[64:67], v2 offset:112
	s_mov_b32 s0, exec_lo
	s_waitcnt vmcnt(4) lgkmcnt(1)
	v_fma_f32 v60, v45, v60, 0
	s_delay_alu instid0(VALU_DEP_1) | instskip(NEXT) | instid1(VALU_DEP_1)
	v_fmac_f32_e32 v60, v46, v61
	v_fmac_f32_e32 v60, v47, v62
	s_waitcnt vmcnt(3)
	s_delay_alu instid0(VALU_DEP_1) | instskip(SKIP_3) | instid1(VALU_DEP_1)
	v_fmac_f32_e32 v60, v48, v63
	ds_load_b128 v[45:48], v2 offset:128
	s_waitcnt lgkmcnt(1)
	v_fmac_f32_e32 v60, v49, v64
	v_fmac_f32_e32 v60, v50, v65
	s_delay_alu instid0(VALU_DEP_1) | instskip(SKIP_1) | instid1(VALU_DEP_1)
	v_fmac_f32_e32 v60, v51, v66
	s_waitcnt vmcnt(2)
	v_fmac_f32_e32 v60, v52, v67
	ds_load_b128 v[49:52], v2 offset:144
	s_waitcnt lgkmcnt(1)
	v_fmac_f32_e32 v60, v53, v45
	s_delay_alu instid0(VALU_DEP_1) | instskip(NEXT) | instid1(VALU_DEP_1)
	v_fmac_f32_e32 v60, v54, v46
	v_fmac_f32_e32 v60, v55, v47
	s_waitcnt vmcnt(1)
	s_delay_alu instid0(VALU_DEP_1) | instskip(SKIP_1) | instid1(VALU_DEP_1)
	v_fmac_f32_e32 v60, v56, v48
	s_waitcnt lgkmcnt(0)
	v_fmac_f32_e32 v60, v57, v49
	s_delay_alu instid0(VALU_DEP_1) | instskip(NEXT) | instid1(VALU_DEP_1)
	v_fmac_f32_e32 v60, v58, v50
	v_fmac_f32_e32 v60, v59, v51
	s_waitcnt vmcnt(0)
	s_delay_alu instid0(VALU_DEP_1) | instskip(NEXT) | instid1(VALU_DEP_1)
	v_fmac_f32_e32 v60, v3, v52
	v_sub_f32_e32 v2, v44, v60
	scratch_store_b32 off, v2, off offset:12
	v_cmpx_lt_u32_e32 2, v0
	s_cbranch_execz .LBB83_123
; %bb.122:
	scratch_load_b32 v2, off, off offset:8
	v_mov_b32_e32 v3, 0
	scratch_store_b32 off, v3, off offset:8
	s_waitcnt vmcnt(0)
	ds_store_b32 v1, v2
.LBB83_123:
	s_or_b32 exec_lo, exec_lo, s0
	s_waitcnt lgkmcnt(0)
	s_waitcnt_vscnt null, 0x0
	s_barrier
	buffer_gl0_inv
	s_clause 0x4
	scratch_load_b128 v[44:47], off, off offset:8
	scratch_load_b128 v[48:51], off, off offset:24
	;; [unrolled: 1-line block ×4, first 2 shown]
	scratch_load_b64 v[60:61], off, off offset:72
	v_mov_b32_e32 v2, 0
	ds_load_2addr_b32 v[62:63], v2 offset0:23 offset1:24
	ds_load_2addr_b32 v[64:65], v2 offset0:25 offset1:26
	;; [unrolled: 1-line block ×4, first 2 shown]
	s_mov_b32 s0, exec_lo
	s_waitcnt vmcnt(4) lgkmcnt(3)
	v_fma_f32 v3, v45, v62, 0
	s_delay_alu instid0(VALU_DEP_1) | instskip(SKIP_4) | instid1(VALU_DEP_1)
	v_fmac_f32_e32 v3, v46, v63
	ds_load_2addr_b32 v[45:46], v2 offset0:31 offset1:32
	s_waitcnt lgkmcnt(3)
	v_fmac_f32_e32 v3, v47, v64
	s_waitcnt vmcnt(3)
	v_fmac_f32_e32 v3, v48, v65
	ds_load_2addr_b32 v[47:48], v2 offset0:33 offset1:34
	s_waitcnt lgkmcnt(3)
	v_fmac_f32_e32 v3, v49, v66
	s_delay_alu instid0(VALU_DEP_1) | instskip(SKIP_1) | instid1(VALU_DEP_1)
	v_fmac_f32_e32 v3, v50, v67
	s_waitcnt lgkmcnt(2)
	v_fmac_f32_e32 v3, v51, v68
	s_waitcnt vmcnt(2)
	s_delay_alu instid0(VALU_DEP_1)
	v_fmac_f32_e32 v3, v52, v69
	ds_load_2addr_b32 v[49:50], v2 offset0:35 offset1:36
	ds_load_2addr_b32 v[51:52], v2 offset0:37 offset1:38
	s_waitcnt lgkmcnt(3)
	v_fmac_f32_e32 v3, v53, v45
	ds_load_b32 v45, v2 offset:156
	v_fmac_f32_e32 v3, v54, v46
	s_waitcnt lgkmcnt(3)
	s_delay_alu instid0(VALU_DEP_1) | instskip(SKIP_1) | instid1(VALU_DEP_1)
	v_fmac_f32_e32 v3, v55, v47
	s_waitcnt vmcnt(1)
	v_fmac_f32_e32 v3, v56, v48
	s_waitcnt lgkmcnt(2)
	s_delay_alu instid0(VALU_DEP_1) | instskip(NEXT) | instid1(VALU_DEP_1)
	v_fmac_f32_e32 v3, v57, v49
	v_fmac_f32_e32 v3, v58, v50
	s_waitcnt lgkmcnt(1)
	s_delay_alu instid0(VALU_DEP_1) | instskip(SKIP_1) | instid1(VALU_DEP_1)
	v_fmac_f32_e32 v3, v59, v51
	s_waitcnt vmcnt(0)
	v_fmac_f32_e32 v3, v60, v52
	s_waitcnt lgkmcnt(0)
	s_delay_alu instid0(VALU_DEP_1) | instskip(NEXT) | instid1(VALU_DEP_1)
	v_fmac_f32_e32 v3, v61, v45
	v_sub_f32_e32 v3, v44, v3
	scratch_store_b32 off, v3, off offset:8
	v_cmpx_lt_u32_e32 1, v0
	s_cbranch_execz .LBB83_125
; %bb.124:
	scratch_load_b32 v3, off, off offset:4
	scratch_store_b32 off, v2, off offset:4
	s_waitcnt vmcnt(0)
	ds_store_b32 v1, v3
.LBB83_125:
	s_or_b32 exec_lo, exec_lo, s0
	s_waitcnt lgkmcnt(0)
	s_waitcnt_vscnt null, 0x0
	s_barrier
	buffer_gl0_inv
	s_clause 0x4
	scratch_load_b128 v[44:47], off, off offset:4
	scratch_load_b128 v[48:51], off, off offset:20
	;; [unrolled: 1-line block ×4, first 2 shown]
	scratch_load_b96 v[68:70], off, off offset:68
	ds_load_2addr_b64 v[60:63], v2 offset0:11 offset1:12
	ds_load_2addr_b64 v[64:67], v2 offset0:13 offset1:14
	s_mov_b32 s0, exec_lo
	s_waitcnt vmcnt(4) lgkmcnt(1)
	v_fma_f32 v60, v45, v60, 0
	s_delay_alu instid0(VALU_DEP_1) | instskip(NEXT) | instid1(VALU_DEP_1)
	v_fmac_f32_e32 v60, v46, v61
	v_fmac_f32_e32 v60, v47, v62
	s_waitcnt vmcnt(3)
	s_delay_alu instid0(VALU_DEP_1) | instskip(SKIP_3) | instid1(VALU_DEP_1)
	v_fmac_f32_e32 v60, v48, v63
	ds_load_2addr_b64 v[45:48], v2 offset0:15 offset1:16
	s_waitcnt lgkmcnt(1)
	v_fmac_f32_e32 v60, v49, v64
	v_fmac_f32_e32 v60, v50, v65
	s_delay_alu instid0(VALU_DEP_1) | instskip(SKIP_1) | instid1(VALU_DEP_1)
	v_fmac_f32_e32 v60, v51, v66
	s_waitcnt vmcnt(2)
	v_fmac_f32_e32 v60, v52, v67
	ds_load_2addr_b64 v[49:52], v2 offset0:17 offset1:18
	ds_load_b64 v[2:3], v2 offset:152
	s_waitcnt lgkmcnt(2)
	v_fmac_f32_e32 v60, v53, v45
	s_delay_alu instid0(VALU_DEP_1) | instskip(NEXT) | instid1(VALU_DEP_1)
	v_fmac_f32_e32 v60, v54, v46
	v_fmac_f32_e32 v60, v55, v47
	s_waitcnt vmcnt(1)
	s_delay_alu instid0(VALU_DEP_1) | instskip(SKIP_1) | instid1(VALU_DEP_1)
	v_fmac_f32_e32 v60, v56, v48
	s_waitcnt lgkmcnt(1)
	v_fmac_f32_e32 v60, v57, v49
	s_delay_alu instid0(VALU_DEP_1) | instskip(NEXT) | instid1(VALU_DEP_1)
	v_fmac_f32_e32 v60, v58, v50
	v_fmac_f32_e32 v60, v59, v51
	s_waitcnt vmcnt(0)
	s_delay_alu instid0(VALU_DEP_1) | instskip(SKIP_1) | instid1(VALU_DEP_1)
	v_fmac_f32_e32 v60, v68, v52
	s_waitcnt lgkmcnt(0)
	v_fmac_f32_e32 v60, v69, v2
	s_delay_alu instid0(VALU_DEP_1) | instskip(NEXT) | instid1(VALU_DEP_1)
	v_fmac_f32_e32 v60, v70, v3
	v_sub_f32_e32 v2, v44, v60
	scratch_store_b32 off, v2, off offset:4
	v_cmpx_ne_u32_e32 0, v0
	s_cbranch_execz .LBB83_127
; %bb.126:
	scratch_load_b32 v0, off, off
	v_mov_b32_e32 v2, 0
	scratch_store_b32 off, v2, off
	s_waitcnt vmcnt(0)
	ds_store_b32 v1, v0
.LBB83_127:
	s_or_b32 exec_lo, exec_lo, s0
	s_waitcnt lgkmcnt(0)
	s_waitcnt_vscnt null, 0x0
	s_barrier
	buffer_gl0_inv
	s_clause 0x4
	scratch_load_b128 v[44:47], off, off
	scratch_load_b128 v[48:51], off, off offset:16
	scratch_load_b128 v[52:55], off, off offset:32
	;; [unrolled: 1-line block ×4, first 2 shown]
	v_mov_b32_e32 v68, 0
	ds_load_2addr_b32 v[60:61], v68 offset0:21 offset1:22
	ds_load_2addr_b32 v[62:63], v68 offset0:23 offset1:24
	;; [unrolled: 1-line block ×4, first 2 shown]
	s_and_b32 vcc_lo, exec_lo, s12
	s_waitcnt vmcnt(4) lgkmcnt(3)
	v_fma_f32 v60, v45, v60, 0
	s_delay_alu instid0(VALU_DEP_1) | instskip(SKIP_4) | instid1(VALU_DEP_1)
	v_fmac_f32_e32 v60, v46, v61
	ds_load_2addr_b32 v[45:46], v68 offset0:29 offset1:30
	s_waitcnt lgkmcnt(3)
	v_fmac_f32_e32 v60, v47, v62
	s_waitcnt vmcnt(3)
	v_fmac_f32_e32 v60, v48, v63
	ds_load_2addr_b32 v[47:48], v68 offset0:31 offset1:32
	s_waitcnt lgkmcnt(3)
	v_fmac_f32_e32 v60, v49, v64
	s_delay_alu instid0(VALU_DEP_1) | instskip(SKIP_1) | instid1(VALU_DEP_1)
	v_fmac_f32_e32 v60, v50, v65
	s_waitcnt lgkmcnt(2)
	v_fmac_f32_e32 v60, v51, v66
	s_waitcnt vmcnt(2)
	s_delay_alu instid0(VALU_DEP_1) | instskip(SKIP_4) | instid1(VALU_DEP_1)
	v_fmac_f32_e32 v60, v52, v67
	ds_load_2addr_b32 v[49:50], v68 offset0:33 offset1:34
	ds_load_2addr_b32 v[51:52], v68 offset0:35 offset1:36
	s_waitcnt lgkmcnt(3)
	v_fmac_f32_e32 v60, v53, v45
	v_fmac_f32_e32 v60, v54, v46
	ds_load_2addr_b32 v[45:46], v68 offset0:37 offset1:38
	s_waitcnt lgkmcnt(3)
	v_fmac_f32_e32 v60, v55, v47
	ds_load_b32 v47, v68 offset:156
	s_waitcnt vmcnt(1)
	v_fmac_f32_e32 v60, v56, v48
	s_waitcnt lgkmcnt(3)
	s_delay_alu instid0(VALU_DEP_1) | instskip(NEXT) | instid1(VALU_DEP_1)
	v_fmac_f32_e32 v60, v57, v49
	v_fmac_f32_e32 v60, v58, v50
	s_waitcnt lgkmcnt(2)
	s_delay_alu instid0(VALU_DEP_1) | instskip(SKIP_1) | instid1(VALU_DEP_1)
	v_fmac_f32_e32 v60, v59, v51
	s_waitcnt vmcnt(0)
	v_fmac_f32_e32 v60, v0, v52
	s_waitcnt lgkmcnt(1)
	s_delay_alu instid0(VALU_DEP_1) | instskip(NEXT) | instid1(VALU_DEP_1)
	v_fmac_f32_e32 v60, v1, v45
	v_fmac_f32_e32 v60, v2, v46
	s_waitcnt lgkmcnt(0)
	s_delay_alu instid0(VALU_DEP_1) | instskip(NEXT) | instid1(VALU_DEP_1)
	v_fmac_f32_e32 v60, v3, v47
	v_sub_f32_e32 v0, v44, v60
	scratch_store_b32 off, v0, off
	s_cbranch_vccz .LBB83_167
; %bb.128:
	v_dual_mov_b32 v0, s2 :: v_dual_mov_b32 v1, s3
	s_mov_b32 s0, exec_lo
	flat_load_b32 v0, v[0:1] offset:72
	s_waitcnt vmcnt(0) lgkmcnt(0)
	v_cmpx_ne_u32_e32 19, v0
	s_cbranch_execz .LBB83_130
; %bb.129:
	v_lshl_add_u32 v0, v0, 2, 0
	scratch_load_b32 v1, v0, off offset:-4
	s_waitcnt vmcnt(0)
	scratch_store_b32 off, v1, off offset:72
	scratch_store_b32 v0, v2, off offset:-4
.LBB83_130:
	s_or_b32 exec_lo, exec_lo, s0
	v_dual_mov_b32 v0, s2 :: v_dual_mov_b32 v1, s3
	s_mov_b32 s0, exec_lo
	flat_load_b32 v0, v[0:1] offset:68
	s_waitcnt vmcnt(0) lgkmcnt(0)
	v_cmpx_ne_u32_e32 18, v0
	s_cbranch_execz .LBB83_132
; %bb.131:
	v_lshl_add_u32 v0, v0, 2, 0
	scratch_load_b32 v1, v0, off offset:-4
	scratch_load_b32 v2, off, off offset:68
	s_waitcnt vmcnt(1)
	scratch_store_b32 off, v1, off offset:68
	s_waitcnt vmcnt(0)
	scratch_store_b32 v0, v2, off offset:-4
.LBB83_132:
	s_or_b32 exec_lo, exec_lo, s0
	v_dual_mov_b32 v0, s2 :: v_dual_mov_b32 v1, s3
	s_mov_b32 s0, exec_lo
	flat_load_b32 v0, v[0:1] offset:64
	s_waitcnt vmcnt(0) lgkmcnt(0)
	v_cmpx_ne_u32_e32 17, v0
	s_cbranch_execz .LBB83_134
; %bb.133:
	v_lshl_add_u32 v0, v0, 2, 0
	scratch_load_b32 v1, v0, off offset:-4
	scratch_load_b32 v2, off, off offset:64
	s_waitcnt vmcnt(1)
	scratch_store_b32 off, v1, off offset:64
	s_waitcnt vmcnt(0)
	scratch_store_b32 v0, v2, off offset:-4
.LBB83_134:
	;; [unrolled: 16-line block ×17, first 2 shown]
	s_or_b32 exec_lo, exec_lo, s0
	v_dual_mov_b32 v0, s2 :: v_dual_mov_b32 v1, s3
	s_mov_b32 s0, exec_lo
	flat_load_b32 v1, v[0:1]
	scratch_load_b32 v0, off, off
	s_waitcnt vmcnt(1) lgkmcnt(0)
	v_cmpx_ne_u32_e32 1, v1
	s_cbranch_execz .LBB83_166
; %bb.165:
	v_lshl_add_u32 v1, v1, 2, 0
	scratch_load_b32 v2, v1, off offset:-4
	s_waitcnt vmcnt(0)
	scratch_store_b32 off, v2, off
	scratch_store_b32 v1, v0, off offset:-4
	scratch_load_b32 v0, off, off
.LBB83_166:
	s_or_b32 exec_lo, exec_lo, s0
.LBB83_167:
	s_clause 0x4
	scratch_load_b128 v[44:47], off, off offset:4
	scratch_load_b128 v[48:51], off, off offset:20
	;; [unrolled: 1-line block ×4, first 2 shown]
	scratch_load_b96 v[1:3], off, off offset:68
	s_waitcnt vmcnt(5)
	global_store_b32 v[4:5], v0, off
	s_waitcnt vmcnt(4)
	s_clause 0x3
	global_store_b32 v[6:7], v44, off
	global_store_b32 v[8:9], v45, off
	global_store_b32 v[10:11], v46, off
	global_store_b32 v[12:13], v47, off
	s_waitcnt vmcnt(3)
	s_clause 0x3
	global_store_b32 v[14:15], v48, off
	global_store_b32 v[16:17], v49, off
	global_store_b32 v[18:19], v50, off
	;; [unrolled: 6-line block ×5, first 2 shown]
	s_endpgm
	.section	.rodata,"a",@progbits
	.p2align	6, 0x0
	.amdhsa_kernel _ZN9rocsolver6v33100L18getri_kernel_smallILi20EfPKPfEEvT1_iilPiilS6_bb
		.amdhsa_group_segment_fixed_size 164
		.amdhsa_private_segment_fixed_size 96
		.amdhsa_kernarg_size 60
		.amdhsa_user_sgpr_count 15
		.amdhsa_user_sgpr_dispatch_ptr 0
		.amdhsa_user_sgpr_queue_ptr 0
		.amdhsa_user_sgpr_kernarg_segment_ptr 1
		.amdhsa_user_sgpr_dispatch_id 0
		.amdhsa_user_sgpr_private_segment_size 0
		.amdhsa_wavefront_size32 1
		.amdhsa_uses_dynamic_stack 0
		.amdhsa_enable_private_segment 1
		.amdhsa_system_sgpr_workgroup_id_x 1
		.amdhsa_system_sgpr_workgroup_id_y 0
		.amdhsa_system_sgpr_workgroup_id_z 0
		.amdhsa_system_sgpr_workgroup_info 0
		.amdhsa_system_vgpr_workitem_id 0
		.amdhsa_next_free_vgpr 71
		.amdhsa_next_free_sgpr 17
		.amdhsa_reserve_vcc 1
		.amdhsa_float_round_mode_32 0
		.amdhsa_float_round_mode_16_64 0
		.amdhsa_float_denorm_mode_32 3
		.amdhsa_float_denorm_mode_16_64 3
		.amdhsa_dx10_clamp 1
		.amdhsa_ieee_mode 1
		.amdhsa_fp16_overflow 0
		.amdhsa_workgroup_processor_mode 1
		.amdhsa_memory_ordered 1
		.amdhsa_forward_progress 0
		.amdhsa_shared_vgpr_count 0
		.amdhsa_exception_fp_ieee_invalid_op 0
		.amdhsa_exception_fp_denorm_src 0
		.amdhsa_exception_fp_ieee_div_zero 0
		.amdhsa_exception_fp_ieee_overflow 0
		.amdhsa_exception_fp_ieee_underflow 0
		.amdhsa_exception_fp_ieee_inexact 0
		.amdhsa_exception_int_div_zero 0
	.end_amdhsa_kernel
	.section	.text._ZN9rocsolver6v33100L18getri_kernel_smallILi20EfPKPfEEvT1_iilPiilS6_bb,"axG",@progbits,_ZN9rocsolver6v33100L18getri_kernel_smallILi20EfPKPfEEvT1_iilPiilS6_bb,comdat
.Lfunc_end83:
	.size	_ZN9rocsolver6v33100L18getri_kernel_smallILi20EfPKPfEEvT1_iilPiilS6_bb, .Lfunc_end83-_ZN9rocsolver6v33100L18getri_kernel_smallILi20EfPKPfEEvT1_iilPiilS6_bb
                                        ; -- End function
	.section	.AMDGPU.csdata,"",@progbits
; Kernel info:
; codeLenInByte = 11052
; NumSgprs: 19
; NumVgprs: 71
; ScratchSize: 96
; MemoryBound: 0
; FloatMode: 240
; IeeeMode: 1
; LDSByteSize: 164 bytes/workgroup (compile time only)
; SGPRBlocks: 2
; VGPRBlocks: 8
; NumSGPRsForWavesPerEU: 19
; NumVGPRsForWavesPerEU: 71
; Occupancy: 16
; WaveLimiterHint : 1
; COMPUTE_PGM_RSRC2:SCRATCH_EN: 1
; COMPUTE_PGM_RSRC2:USER_SGPR: 15
; COMPUTE_PGM_RSRC2:TRAP_HANDLER: 0
; COMPUTE_PGM_RSRC2:TGID_X_EN: 1
; COMPUTE_PGM_RSRC2:TGID_Y_EN: 0
; COMPUTE_PGM_RSRC2:TGID_Z_EN: 0
; COMPUTE_PGM_RSRC2:TIDIG_COMP_CNT: 0
	.section	.text._ZN9rocsolver6v33100L18getri_kernel_smallILi21EfPKPfEEvT1_iilPiilS6_bb,"axG",@progbits,_ZN9rocsolver6v33100L18getri_kernel_smallILi21EfPKPfEEvT1_iilPiilS6_bb,comdat
	.globl	_ZN9rocsolver6v33100L18getri_kernel_smallILi21EfPKPfEEvT1_iilPiilS6_bb ; -- Begin function _ZN9rocsolver6v33100L18getri_kernel_smallILi21EfPKPfEEvT1_iilPiilS6_bb
	.p2align	8
	.type	_ZN9rocsolver6v33100L18getri_kernel_smallILi21EfPKPfEEvT1_iilPiilS6_bb,@function
_ZN9rocsolver6v33100L18getri_kernel_smallILi21EfPKPfEEvT1_iilPiilS6_bb: ; @_ZN9rocsolver6v33100L18getri_kernel_smallILi21EfPKPfEEvT1_iilPiilS6_bb
; %bb.0:
	s_mov_b32 s2, exec_lo
	v_cmpx_gt_u32_e32 21, v0
	s_cbranch_execz .LBB84_92
; %bb.1:
	s_clause 0x1
	s_load_b32 s13, s[0:1], 0x38
	s_load_b64 s[2:3], s[0:1], 0x0
	s_mov_b32 s8, s15
	s_load_b128 s[4:7], s[0:1], 0x28
	s_waitcnt lgkmcnt(0)
	s_bitcmp1_b32 s13, 8
	s_cselect_b32 s12, -1, 0
	s_ashr_i32 s9, s15, 31
	s_delay_alu instid0(SALU_CYCLE_1) | instskip(NEXT) | instid1(SALU_CYCLE_1)
	s_lshl_b64 s[10:11], s[8:9], 3
	s_add_u32 s2, s2, s10
	s_addc_u32 s3, s3, s11
	s_load_b64 s[10:11], s[2:3], 0x0
	s_bfe_u32 s2, s13, 0x10008
	s_delay_alu instid0(SALU_CYCLE_1)
	s_cmp_eq_u32 s2, 0
                                        ; implicit-def: $sgpr2_sgpr3
	s_cbranch_scc1 .LBB84_3
; %bb.2:
	s_clause 0x1
	s_load_b32 s2, s[0:1], 0x20
	s_load_b64 s[14:15], s[0:1], 0x18
	s_mul_i32 s3, s8, s5
	s_mul_hi_u32 s5, s8, s4
	s_mul_i32 s16, s9, s4
	s_add_i32 s3, s5, s3
	s_mul_i32 s4, s8, s4
	s_add_i32 s5, s3, s16
	s_delay_alu instid0(SALU_CYCLE_1)
	s_lshl_b64 s[4:5], s[4:5], 2
	s_waitcnt lgkmcnt(0)
	s_ashr_i32 s3, s2, 31
	s_add_u32 s4, s14, s4
	s_addc_u32 s5, s15, s5
	s_lshl_b64 s[2:3], s[2:3], 2
	s_delay_alu instid0(SALU_CYCLE_1)
	s_add_u32 s2, s4, s2
	s_addc_u32 s3, s5, s3
.LBB84_3:
	s_load_b64 s[0:1], s[0:1], 0x8
	v_lshlrev_b32_e32 v1, 2, v0
	s_waitcnt lgkmcnt(0)
	v_add3_u32 v2, s1, s1, v0
	s_ashr_i32 s5, s0, 31
	s_mov_b32 s4, s0
	s_mov_b32 s14, s1
	s_lshl_b64 s[4:5], s[4:5], 2
	v_add_nc_u32_e32 v8, s1, v2
	v_ashrrev_i32_e32 v3, 31, v2
	s_add_u32 s4, s10, s4
	s_addc_u32 s5, s11, s5
	v_add_co_u32 v4, s0, s4, v1
	v_add_nc_u32_e32 v10, s1, v8
	s_ashr_i32 s15, s1, 31
	v_add_co_ci_u32_e64 v5, null, s5, 0, s0
	v_lshlrev_b64 v[2:3], 2, v[2:3]
	s_delay_alu instid0(VALU_DEP_3)
	v_add_nc_u32_e32 v14, s1, v10
	v_ashrrev_i32_e32 v9, 31, v8
	s_lshl_b64 s[10:11], s[14:15], 2
	v_ashrrev_i32_e32 v11, 31, v10
	v_add_co_u32 v6, vcc_lo, v4, s10
	v_add_nc_u32_e32 v16, s1, v14
	v_add_co_ci_u32_e32 v7, vcc_lo, s11, v5, vcc_lo
	v_lshlrev_b64 v[12:13], 2, v[8:9]
	v_add_co_u32 v8, vcc_lo, s4, v2
	s_delay_alu instid0(VALU_DEP_4) | instskip(SKIP_3) | instid1(VALU_DEP_4)
	v_add_nc_u32_e32 v18, s1, v16
	v_add_co_ci_u32_e32 v9, vcc_lo, s5, v3, vcc_lo
	v_lshlrev_b64 v[2:3], 2, v[10:11]
	v_ashrrev_i32_e32 v15, 31, v14
	v_add_nc_u32_e32 v20, s1, v18
	v_add_co_u32 v10, vcc_lo, s4, v12
	v_ashrrev_i32_e32 v17, 31, v16
	v_add_co_ci_u32_e32 v11, vcc_lo, s5, v13, vcc_lo
	s_delay_alu instid0(VALU_DEP_4) | instskip(SKIP_3) | instid1(VALU_DEP_4)
	v_add_nc_u32_e32 v22, s1, v20
	v_lshlrev_b64 v[14:15], 2, v[14:15]
	v_add_co_u32 v12, vcc_lo, s4, v2
	v_add_co_ci_u32_e32 v13, vcc_lo, s5, v3, vcc_lo
	v_add_nc_u32_e32 v24, s1, v22
	v_lshlrev_b64 v[2:3], 2, v[16:17]
	v_ashrrev_i32_e32 v19, 31, v18
	v_add_co_u32 v14, vcc_lo, s4, v14
	v_ashrrev_i32_e32 v21, 31, v20
	v_add_nc_u32_e32 v26, s1, v24
	v_add_co_ci_u32_e32 v15, vcc_lo, s5, v15, vcc_lo
	v_lshlrev_b64 v[18:19], 2, v[18:19]
	v_add_co_u32 v16, vcc_lo, s4, v2
	v_add_co_ci_u32_e32 v17, vcc_lo, s5, v3, vcc_lo
	v_lshlrev_b64 v[2:3], 2, v[20:21]
	v_add_nc_u32_e32 v28, s1, v26
	v_add_co_u32 v18, vcc_lo, s4, v18
	v_ashrrev_i32_e32 v23, 31, v22
	v_add_co_ci_u32_e32 v19, vcc_lo, s5, v19, vcc_lo
	v_add_co_u32 v20, vcc_lo, s4, v2
	v_add_nc_u32_e32 v30, s1, v28
	v_add_co_ci_u32_e32 v21, vcc_lo, s5, v3, vcc_lo
	v_lshlrev_b64 v[2:3], 2, v[22:23]
	v_ashrrev_i32_e32 v25, 31, v24
	v_ashrrev_i32_e32 v27, 31, v26
	v_add_nc_u32_e32 v32, s1, v30
	v_ashrrev_i32_e32 v29, 31, v28
	v_ashrrev_i32_e32 v31, 31, v30
	v_lshlrev_b64 v[24:25], 2, v[24:25]
	v_add_co_u32 v22, vcc_lo, s4, v2
	v_add_co_ci_u32_e32 v23, vcc_lo, s5, v3, vcc_lo
	v_lshlrev_b64 v[2:3], 2, v[26:27]
	v_add_nc_u32_e32 v34, s1, v32
	v_add_co_u32 v24, vcc_lo, s4, v24
	v_add_co_ci_u32_e32 v25, vcc_lo, s5, v25, vcc_lo
	v_lshlrev_b64 v[28:29], 2, v[28:29]
	s_delay_alu instid0(VALU_DEP_4)
	v_add_nc_u32_e32 v36, s1, v34
	v_add_co_u32 v26, vcc_lo, s4, v2
	v_add_co_ci_u32_e32 v27, vcc_lo, s5, v3, vcc_lo
	v_lshlrev_b64 v[2:3], 2, v[30:31]
	v_ashrrev_i32_e32 v33, 31, v32
	v_add_nc_u32_e32 v38, s1, v36
	v_add_co_u32 v28, vcc_lo, s4, v28
	v_ashrrev_i32_e32 v35, 31, v34
	v_add_co_ci_u32_e32 v29, vcc_lo, s5, v29, vcc_lo
	v_lshlrev_b64 v[32:33], 2, v[32:33]
	v_add_co_u32 v30, vcc_lo, s4, v2
	v_add_nc_u32_e32 v40, s1, v38
	v_add_co_ci_u32_e32 v31, vcc_lo, s5, v3, vcc_lo
	v_lshlrev_b64 v[2:3], 2, v[34:35]
	v_ashrrev_i32_e32 v37, 31, v36
	v_add_co_u32 v32, vcc_lo, s4, v32
	v_ashrrev_i32_e32 v39, 31, v38
	v_add_nc_u32_e32 v42, s1, v40
	v_add_co_ci_u32_e32 v33, vcc_lo, s5, v33, vcc_lo
	v_lshlrev_b64 v[36:37], 2, v[36:37]
	v_add_co_u32 v34, vcc_lo, s4, v2
	v_add_co_ci_u32_e32 v35, vcc_lo, s5, v3, vcc_lo
	v_lshlrev_b64 v[2:3], 2, v[38:39]
	v_ashrrev_i32_e32 v41, 31, v40
	v_add_nc_u32_e32 v44, s1, v42
	v_add_co_u32 v36, vcc_lo, s4, v36
	v_ashrrev_i32_e32 v43, 31, v42
	v_add_co_ci_u32_e32 v37, vcc_lo, s5, v37, vcc_lo
	v_lshlrev_b64 v[40:41], 2, v[40:41]
	v_add_co_u32 v38, vcc_lo, s4, v2
	v_ashrrev_i32_e32 v45, 31, v44
	v_add_co_ci_u32_e32 v39, vcc_lo, s5, v3, vcc_lo
	v_lshlrev_b64 v[2:3], 2, v[42:43]
	v_add_co_u32 v40, vcc_lo, s4, v40
	s_delay_alu instid0(VALU_DEP_4) | instskip(SKIP_1) | instid1(VALU_DEP_4)
	v_lshlrev_b64 v[44:45], 2, v[44:45]
	v_add_co_ci_u32_e32 v41, vcc_lo, s5, v41, vcc_lo
	v_add_co_u32 v42, vcc_lo, s4, v2
	v_add_co_ci_u32_e32 v43, vcc_lo, s5, v3, vcc_lo
	s_delay_alu instid0(VALU_DEP_4)
	v_add_co_u32 v44, vcc_lo, s4, v44
	s_clause 0x8
	global_load_b32 v46, v1, s[4:5]
	global_load_b32 v47, v[6:7], off
	global_load_b32 v48, v[8:9], off
	;; [unrolled: 1-line block ×8, first 2 shown]
	v_add_co_ci_u32_e32 v45, vcc_lo, s5, v45, vcc_lo
	s_clause 0xb
	global_load_b32 v55, v[22:23], off
	global_load_b32 v56, v[24:25], off
	;; [unrolled: 1-line block ×12, first 2 shown]
	s_mov_b32 s1, -1
	s_bitcmp0_b32 s13, 0
	s_waitcnt vmcnt(17)
	scratch_store_b128 off, v[46:49], off
	s_waitcnt vmcnt(13)
	scratch_store_b128 off, v[50:53], off offset:16
	s_waitcnt vmcnt(9)
	scratch_store_b128 off, v[54:57], off offset:32
	;; [unrolled: 2-line block ×4, first 2 shown]
	s_waitcnt vmcnt(0)
	scratch_store_b32 off, v2, off offset:80
	s_cbranch_scc1 .LBB84_90
; %bb.4:
	v_cmp_eq_u32_e64 s0, 0, v0
	s_delay_alu instid0(VALU_DEP_1)
	s_and_saveexec_b32 s1, s0
	s_cbranch_execz .LBB84_6
; %bb.5:
	v_mov_b32_e32 v2, 0
	ds_store_b32 v2, v2 offset:84
.LBB84_6:
	s_or_b32 exec_lo, exec_lo, s1
	s_waitcnt lgkmcnt(0)
	s_waitcnt_vscnt null, 0x0
	s_barrier
	buffer_gl0_inv
	scratch_load_b32 v2, v1, off
	s_mov_b32 s4, exec_lo
	s_waitcnt vmcnt(0)
	v_cmpx_eq_f32_e32 0, v2
	s_cbranch_execz .LBB84_10
; %bb.7:
	v_mov_b32_e32 v2, 0
	s_mov_b32 s5, 0
	ds_load_b32 v3, v2 offset:84
	s_waitcnt lgkmcnt(0)
	v_readfirstlane_b32 s1, v3
	v_add_nc_u32_e32 v3, 1, v0
	s_delay_alu instid0(VALU_DEP_2) | instskip(NEXT) | instid1(VALU_DEP_1)
	s_cmp_eq_u32 s1, 0
	v_cmp_gt_i32_e32 vcc_lo, s1, v3
	s_cselect_b32 s10, -1, 0
	s_delay_alu instid0(SALU_CYCLE_1) | instskip(NEXT) | instid1(SALU_CYCLE_1)
	s_or_b32 s10, s10, vcc_lo
	s_and_b32 exec_lo, exec_lo, s10
	s_cbranch_execz .LBB84_10
; %bb.8:
	v_mov_b32_e32 v46, s1
.LBB84_9:                               ; =>This Inner Loop Header: Depth=1
	ds_cmpstore_rtn_b32 v46, v2, v3, v46 offset:84
	s_waitcnt lgkmcnt(0)
	v_cmp_ne_u32_e32 vcc_lo, 0, v46
	v_cmp_le_i32_e64 s1, v46, v3
	s_delay_alu instid0(VALU_DEP_1) | instskip(NEXT) | instid1(SALU_CYCLE_1)
	s_and_b32 s1, vcc_lo, s1
	s_and_b32 s1, exec_lo, s1
	s_delay_alu instid0(SALU_CYCLE_1) | instskip(NEXT) | instid1(SALU_CYCLE_1)
	s_or_b32 s5, s1, s5
	s_and_not1_b32 exec_lo, exec_lo, s5
	s_cbranch_execnz .LBB84_9
.LBB84_10:
	s_or_b32 exec_lo, exec_lo, s4
	v_mov_b32_e32 v2, 0
	s_barrier
	buffer_gl0_inv
	ds_load_b32 v3, v2 offset:84
	s_and_saveexec_b32 s1, s0
	s_cbranch_execz .LBB84_12
; %bb.11:
	s_lshl_b64 s[4:5], s[8:9], 2
	s_delay_alu instid0(SALU_CYCLE_1)
	s_add_u32 s4, s6, s4
	s_addc_u32 s5, s7, s5
	s_waitcnt lgkmcnt(0)
	global_store_b32 v2, v3, s[4:5]
.LBB84_12:
	s_or_b32 exec_lo, exec_lo, s1
	s_waitcnt lgkmcnt(0)
	v_cmp_ne_u32_e32 vcc_lo, 0, v3
	s_mov_b32 s1, 0
	s_cbranch_vccnz .LBB84_90
; %bb.13:
	v_add_nc_u32_e32 v2, 0, v1
	scratch_load_b32 v3, v2, off
	s_waitcnt vmcnt(0)
	v_div_scale_f32 v46, null, v3, v3, 1.0
	v_div_scale_f32 v49, vcc_lo, 1.0, v3, 1.0
	s_delay_alu instid0(VALU_DEP_2) | instskip(SKIP_2) | instid1(VALU_DEP_1)
	v_rcp_f32_e32 v47, v46
	s_waitcnt_depctr 0xfff
	v_fma_f32 v48, -v46, v47, 1.0
	v_fmac_f32_e32 v47, v48, v47
	s_delay_alu instid0(VALU_DEP_1) | instskip(NEXT) | instid1(VALU_DEP_1)
	v_mul_f32_e32 v48, v49, v47
	v_fma_f32 v50, -v46, v48, v49
	s_delay_alu instid0(VALU_DEP_1) | instskip(NEXT) | instid1(VALU_DEP_1)
	v_fmac_f32_e32 v48, v50, v47
	v_fma_f32 v46, -v46, v48, v49
	s_delay_alu instid0(VALU_DEP_1) | instskip(NEXT) | instid1(VALU_DEP_1)
	v_div_fmas_f32 v46, v46, v47, v48
	v_div_fixup_f32 v3, v46, v3, 1.0
	scratch_store_b32 v2, v3, off
	scratch_load_b32 v46, off, off offset:4
	v_xor_b32_e32 v47, 0x80000000, v3
	v_add_nc_u32_e32 v3, 0x60, v1
	s_waitcnt vmcnt(0)
	ds_store_2addr_b32 v1, v47, v46 offset1:24
	s_waitcnt lgkmcnt(0)
	s_waitcnt_vscnt null, 0x0
	s_barrier
	buffer_gl0_inv
	s_and_saveexec_b32 s1, s0
	s_cbranch_execz .LBB84_15
; %bb.14:
	scratch_load_b32 v46, v2, off
	ds_load_b32 v47, v3
	v_mov_b32_e32 v48, 0
	ds_load_b32 v48, v48 offset:4
	s_waitcnt vmcnt(0) lgkmcnt(1)
	v_fma_f32 v46, v46, v47, 0
	s_waitcnt lgkmcnt(0)
	s_delay_alu instid0(VALU_DEP_1)
	v_mul_f32_e32 v46, v46, v48
	scratch_store_b32 off, v46, off offset:4
.LBB84_15:
	s_or_b32 exec_lo, exec_lo, s1
	s_waitcnt_vscnt null, 0x0
	s_barrier
	buffer_gl0_inv
	scratch_load_b32 v46, off, off offset:8
	s_mov_b32 s1, exec_lo
	s_waitcnt vmcnt(0)
	ds_store_b32 v3, v46
	s_waitcnt lgkmcnt(0)
	s_barrier
	buffer_gl0_inv
	v_cmpx_gt_u32_e32 2, v0
	s_cbranch_execz .LBB84_17
; %bb.16:
	scratch_load_b32 v48, v2, off
	scratch_load_b32 v49, off, off offset:4
	ds_load_b32 v50, v3
	v_mov_b32_e32 v46, 0
	ds_load_2addr_b32 v[46:47], v46 offset0:2 offset1:25
	s_waitcnt vmcnt(1) lgkmcnt(1)
	v_fma_f32 v48, v48, v50, 0
	s_waitcnt vmcnt(0) lgkmcnt(0)
	s_delay_alu instid0(VALU_DEP_1) | instskip(NEXT) | instid1(VALU_DEP_1)
	v_fma_f32 v47, v49, v47, v48
	v_cndmask_b32_e64 v47, v48, v47, s0
	s_delay_alu instid0(VALU_DEP_1)
	v_mul_f32_e32 v46, v47, v46
	scratch_store_b32 off, v46, off offset:8
.LBB84_17:
	s_or_b32 exec_lo, exec_lo, s1
	s_waitcnt_vscnt null, 0x0
	s_barrier
	buffer_gl0_inv
	scratch_load_b32 v47, off, off offset:12
	v_add_nc_u32_e32 v46, -1, v0
	s_mov_b32 s0, exec_lo
	s_waitcnt vmcnt(0)
	ds_store_b32 v3, v47
	s_waitcnt lgkmcnt(0)
	s_barrier
	buffer_gl0_inv
	v_cmpx_gt_u32_e32 3, v0
	s_cbranch_execz .LBB84_21
; %bb.18:
	v_dual_mov_b32 v47, 0 :: v_dual_add_nc_u32 v48, -1, v0
	v_add_nc_u32_e32 v49, 0x60, v1
	v_add_nc_u32_e32 v50, 0, v1
	s_mov_b32 s1, 0
.LBB84_19:                              ; =>This Inner Loop Header: Depth=1
	scratch_load_b32 v51, v50, off
	ds_load_b32 v52, v49
	v_add_nc_u32_e32 v48, 1, v48
	v_add_nc_u32_e32 v49, 4, v49
	v_add_nc_u32_e32 v50, 4, v50
	s_delay_alu instid0(VALU_DEP_3)
	v_cmp_lt_u32_e32 vcc_lo, 1, v48
	s_or_b32 s1, vcc_lo, s1
	s_waitcnt vmcnt(0) lgkmcnt(0)
	v_fmac_f32_e32 v47, v51, v52
	s_and_not1_b32 exec_lo, exec_lo, s1
	s_cbranch_execnz .LBB84_19
; %bb.20:
	s_or_b32 exec_lo, exec_lo, s1
	v_mov_b32_e32 v48, 0
	ds_load_b32 v48, v48 offset:12
	s_waitcnt lgkmcnt(0)
	v_mul_f32_e32 v47, v47, v48
	scratch_store_b32 off, v47, off offset:12
.LBB84_21:
	s_or_b32 exec_lo, exec_lo, s0
	s_waitcnt_vscnt null, 0x0
	s_barrier
	buffer_gl0_inv
	scratch_load_b32 v47, off, off offset:16
	s_mov_b32 s0, exec_lo
	s_waitcnt vmcnt(0)
	ds_store_b32 v3, v47
	s_waitcnt lgkmcnt(0)
	s_barrier
	buffer_gl0_inv
	v_cmpx_gt_u32_e32 4, v0
	s_cbranch_execz .LBB84_25
; %bb.22:
	v_dual_mov_b32 v47, 0 :: v_dual_add_nc_u32 v48, -1, v0
	v_add_nc_u32_e32 v49, 0x60, v1
	v_add_nc_u32_e32 v50, 0, v1
	s_mov_b32 s1, 0
.LBB84_23:                              ; =>This Inner Loop Header: Depth=1
	scratch_load_b32 v51, v50, off
	ds_load_b32 v52, v49
	v_add_nc_u32_e32 v48, 1, v48
	v_add_nc_u32_e32 v49, 4, v49
	v_add_nc_u32_e32 v50, 4, v50
	s_delay_alu instid0(VALU_DEP_3)
	v_cmp_lt_u32_e32 vcc_lo, 2, v48
	s_or_b32 s1, vcc_lo, s1
	s_waitcnt vmcnt(0) lgkmcnt(0)
	v_fmac_f32_e32 v47, v51, v52
	s_and_not1_b32 exec_lo, exec_lo, s1
	s_cbranch_execnz .LBB84_23
; %bb.24:
	s_or_b32 exec_lo, exec_lo, s1
	v_mov_b32_e32 v48, 0
	ds_load_b32 v48, v48 offset:16
	s_waitcnt lgkmcnt(0)
	v_mul_f32_e32 v47, v47, v48
	scratch_store_b32 off, v47, off offset:16
.LBB84_25:
	s_or_b32 exec_lo, exec_lo, s0
	s_waitcnt_vscnt null, 0x0
	s_barrier
	buffer_gl0_inv
	scratch_load_b32 v47, off, off offset:20
	;; [unrolled: 39-line block ×16, first 2 shown]
	s_mov_b32 s0, exec_lo
	s_waitcnt vmcnt(0)
	ds_store_b32 v3, v47
	s_waitcnt lgkmcnt(0)
	s_barrier
	buffer_gl0_inv
	v_cmpx_gt_u32_e32 19, v0
	s_cbranch_execz .LBB84_85
; %bb.82:
	v_add_nc_u32_e32 v47, -1, v0
	v_add_nc_u32_e32 v48, 0x60, v1
	v_add_nc_u32_e32 v49, 0, v1
	v_mov_b32_e32 v1, 0
	s_mov_b32 s1, 0
.LBB84_83:                              ; =>This Inner Loop Header: Depth=1
	scratch_load_b32 v50, v49, off
	ds_load_b32 v51, v48
	v_add_nc_u32_e32 v47, 1, v47
	v_add_nc_u32_e32 v48, 4, v48
	;; [unrolled: 1-line block ×3, first 2 shown]
	s_delay_alu instid0(VALU_DEP_3)
	v_cmp_lt_u32_e32 vcc_lo, 17, v47
	s_or_b32 s1, vcc_lo, s1
	s_waitcnt vmcnt(0) lgkmcnt(0)
	v_fmac_f32_e32 v1, v50, v51
	s_and_not1_b32 exec_lo, exec_lo, s1
	s_cbranch_execnz .LBB84_83
; %bb.84:
	s_or_b32 exec_lo, exec_lo, s1
	v_mov_b32_e32 v47, 0
	ds_load_b32 v47, v47 offset:76
	s_waitcnt lgkmcnt(0)
	v_mul_f32_e32 v1, v1, v47
	scratch_store_b32 off, v1, off offset:76
.LBB84_85:
	s_or_b32 exec_lo, exec_lo, s0
	s_waitcnt_vscnt null, 0x0
	s_barrier
	buffer_gl0_inv
	scratch_load_b32 v1, off, off offset:80
	s_mov_b32 s0, exec_lo
	s_waitcnt vmcnt(0)
	ds_store_b32 v3, v1
	s_waitcnt lgkmcnt(0)
	s_barrier
	buffer_gl0_inv
	v_cmpx_ne_u32_e32 20, v0
	s_cbranch_execz .LBB84_89
; %bb.86:
	v_mov_b32_e32 v1, 0
	s_mov_b32 s1, 0
.LBB84_87:                              ; =>This Inner Loop Header: Depth=1
	scratch_load_b32 v47, v2, off
	ds_load_b32 v48, v3
	v_add_nc_u32_e32 v46, 1, v46
	v_add_nc_u32_e32 v3, 4, v3
	s_waitcnt vmcnt(0) lgkmcnt(0)
	v_dual_fmac_f32 v1, v47, v48 :: v_dual_add_nc_u32 v2, 4, v2
	s_delay_alu instid0(VALU_DEP_3) | instskip(SKIP_1) | instid1(SALU_CYCLE_1)
	v_cmp_lt_u32_e32 vcc_lo, 18, v46
	s_or_b32 s1, vcc_lo, s1
	s_and_not1_b32 exec_lo, exec_lo, s1
	s_cbranch_execnz .LBB84_87
; %bb.88:
	s_or_b32 exec_lo, exec_lo, s1
	v_mov_b32_e32 v2, 0
	ds_load_b32 v2, v2 offset:80
	s_waitcnt lgkmcnt(0)
	v_mul_f32_e32 v1, v1, v2
	scratch_store_b32 off, v1, off offset:80
.LBB84_89:
	s_or_b32 exec_lo, exec_lo, s0
	s_mov_b32 s1, -1
	s_waitcnt_vscnt null, 0x0
	s_barrier
	buffer_gl0_inv
.LBB84_90:
	s_and_b32 vcc_lo, exec_lo, s1
	s_cbranch_vccz .LBB84_92
; %bb.91:
	s_lshl_b64 s[0:1], s[8:9], 2
	v_mov_b32_e32 v1, 0
	s_add_u32 s0, s6, s0
	s_addc_u32 s1, s7, s1
	global_load_b32 v1, v1, s[0:1]
	s_waitcnt vmcnt(0)
	v_cmp_ne_u32_e32 vcc_lo, 0, v1
	s_cbranch_vccz .LBB84_93
.LBB84_92:
	s_endpgm
.LBB84_93:
	v_lshl_add_u32 v1, v0, 2, 0x60
	s_mov_b32 s0, exec_lo
	v_cmpx_eq_u32_e32 20, v0
	s_cbranch_execz .LBB84_95
; %bb.94:
	scratch_load_b32 v2, off, off offset:76
	v_mov_b32_e32 v3, 0
	scratch_store_b32 off, v3, off offset:76
	s_waitcnt vmcnt(0)
	ds_store_b32 v1, v2
.LBB84_95:
	s_or_b32 exec_lo, exec_lo, s0
	s_waitcnt lgkmcnt(0)
	s_waitcnt_vscnt null, 0x0
	s_barrier
	buffer_gl0_inv
	scratch_load_b64 v[46:47], off, off offset:76
	v_mov_b32_e32 v2, 0
	s_mov_b32 s0, exec_lo
	ds_load_b32 v3, v2 offset:176
	s_waitcnt vmcnt(0) lgkmcnt(0)
	v_fma_f32 v3, v47, v3, 0
	s_delay_alu instid0(VALU_DEP_1)
	v_sub_f32_e32 v3, v46, v3
	scratch_store_b32 off, v3, off offset:76
	v_cmpx_lt_u32_e32 18, v0
	s_cbranch_execz .LBB84_97
; %bb.96:
	scratch_load_b32 v3, off, off offset:72
	scratch_store_b32 off, v2, off offset:72
	s_waitcnt vmcnt(0)
	ds_store_b32 v1, v3
.LBB84_97:
	s_or_b32 exec_lo, exec_lo, s0
	s_waitcnt lgkmcnt(0)
	s_waitcnt_vscnt null, 0x0
	s_barrier
	buffer_gl0_inv
	scratch_load_b96 v[46:48], off, off offset:72
	ds_load_2addr_b32 v[2:3], v2 offset0:43 offset1:44
	s_mov_b32 s0, exec_lo
	s_waitcnt vmcnt(0) lgkmcnt(0)
	v_fma_f32 v2, v47, v2, 0
	s_delay_alu instid0(VALU_DEP_1) | instskip(NEXT) | instid1(VALU_DEP_1)
	v_fmac_f32_e32 v2, v48, v3
	v_sub_f32_e32 v2, v46, v2
	scratch_store_b32 off, v2, off offset:72
	v_cmpx_lt_u32_e32 17, v0
	s_cbranch_execz .LBB84_99
; %bb.98:
	scratch_load_b32 v2, off, off offset:68
	v_mov_b32_e32 v3, 0
	scratch_store_b32 off, v3, off offset:68
	s_waitcnt vmcnt(0)
	ds_store_b32 v1, v2
.LBB84_99:
	s_or_b32 exec_lo, exec_lo, s0
	s_waitcnt lgkmcnt(0)
	s_waitcnt_vscnt null, 0x0
	s_barrier
	buffer_gl0_inv
	scratch_load_b128 v[46:49], off, off offset:68
	v_mov_b32_e32 v2, 0
	ds_load_b64 v[50:51], v2 offset:168
	ds_load_b32 v3, v2 offset:176
	s_mov_b32 s0, exec_lo
	s_waitcnt vmcnt(0) lgkmcnt(1)
	v_fma_f32 v47, v47, v50, 0
	s_delay_alu instid0(VALU_DEP_1) | instskip(SKIP_1) | instid1(VALU_DEP_1)
	v_fmac_f32_e32 v47, v48, v51
	s_waitcnt lgkmcnt(0)
	v_fmac_f32_e32 v47, v49, v3
	s_delay_alu instid0(VALU_DEP_1)
	v_sub_f32_e32 v3, v46, v47
	scratch_store_b32 off, v3, off offset:68
	v_cmpx_lt_u32_e32 16, v0
	s_cbranch_execz .LBB84_101
; %bb.100:
	scratch_load_b32 v3, off, off offset:64
	scratch_store_b32 off, v2, off offset:64
	s_waitcnt vmcnt(0)
	ds_store_b32 v1, v3
.LBB84_101:
	s_or_b32 exec_lo, exec_lo, s0
	s_waitcnt lgkmcnt(0)
	s_waitcnt_vscnt null, 0x0
	s_barrier
	buffer_gl0_inv
	s_clause 0x1
	scratch_load_b128 v[46:49], off, off offset:64
	scratch_load_b32 v52, off, off offset:80
	ds_load_2addr_b32 v[50:51], v2 offset0:41 offset1:42
	ds_load_2addr_b32 v[2:3], v2 offset0:43 offset1:44
	s_mov_b32 s0, exec_lo
	s_waitcnt vmcnt(1) lgkmcnt(1)
	v_fma_f32 v47, v47, v50, 0
	s_delay_alu instid0(VALU_DEP_1) | instskip(SKIP_1) | instid1(VALU_DEP_1)
	v_fmac_f32_e32 v47, v48, v51
	s_waitcnt lgkmcnt(0)
	v_fmac_f32_e32 v47, v49, v2
	s_waitcnt vmcnt(0)
	s_delay_alu instid0(VALU_DEP_1) | instskip(NEXT) | instid1(VALU_DEP_1)
	v_fmac_f32_e32 v47, v52, v3
	v_sub_f32_e32 v2, v46, v47
	scratch_store_b32 off, v2, off offset:64
	v_cmpx_lt_u32_e32 15, v0
	s_cbranch_execz .LBB84_103
; %bb.102:
	scratch_load_b32 v2, off, off offset:60
	v_mov_b32_e32 v3, 0
	scratch_store_b32 off, v3, off offset:60
	s_waitcnt vmcnt(0)
	ds_store_b32 v1, v2
.LBB84_103:
	s_or_b32 exec_lo, exec_lo, s0
	s_waitcnt lgkmcnt(0)
	s_waitcnt_vscnt null, 0x0
	s_barrier
	buffer_gl0_inv
	s_clause 0x1
	scratch_load_b128 v[46:49], off, off offset:60
	scratch_load_b64 v[54:55], off, off offset:76
	v_mov_b32_e32 v2, 0
	ds_load_b128 v[50:53], v2 offset:160
	ds_load_b32 v3, v2 offset:176
	s_mov_b32 s0, exec_lo
	s_waitcnt vmcnt(1) lgkmcnt(1)
	v_fma_f32 v47, v47, v50, 0
	s_delay_alu instid0(VALU_DEP_1) | instskip(NEXT) | instid1(VALU_DEP_1)
	v_fmac_f32_e32 v47, v48, v51
	v_fmac_f32_e32 v47, v49, v52
	s_waitcnt vmcnt(0)
	s_delay_alu instid0(VALU_DEP_1) | instskip(SKIP_1) | instid1(VALU_DEP_1)
	v_fmac_f32_e32 v47, v54, v53
	s_waitcnt lgkmcnt(0)
	v_fmac_f32_e32 v47, v55, v3
	s_delay_alu instid0(VALU_DEP_1)
	v_sub_f32_e32 v3, v46, v47
	scratch_store_b32 off, v3, off offset:60
	v_cmpx_lt_u32_e32 14, v0
	s_cbranch_execz .LBB84_105
; %bb.104:
	scratch_load_b32 v3, off, off offset:56
	scratch_store_b32 off, v2, off offset:56
	s_waitcnt vmcnt(0)
	ds_store_b32 v1, v3
.LBB84_105:
	s_or_b32 exec_lo, exec_lo, s0
	s_waitcnt lgkmcnt(0)
	s_waitcnt_vscnt null, 0x0
	s_barrier
	buffer_gl0_inv
	s_clause 0x1
	scratch_load_b128 v[46:49], off, off offset:56
	scratch_load_b96 v[50:52], off, off offset:72
	ds_load_2addr_b32 v[53:54], v2 offset0:39 offset1:40
	ds_load_2addr_b32 v[55:56], v2 offset0:41 offset1:42
	;; [unrolled: 1-line block ×3, first 2 shown]
	s_mov_b32 s0, exec_lo
	s_waitcnt vmcnt(1) lgkmcnt(2)
	v_fma_f32 v47, v47, v53, 0
	s_delay_alu instid0(VALU_DEP_1) | instskip(SKIP_1) | instid1(VALU_DEP_1)
	v_fmac_f32_e32 v47, v48, v54
	s_waitcnt lgkmcnt(1)
	v_fmac_f32_e32 v47, v49, v55
	s_waitcnt vmcnt(0)
	s_delay_alu instid0(VALU_DEP_1) | instskip(SKIP_1) | instid1(VALU_DEP_1)
	v_fmac_f32_e32 v47, v50, v56
	s_waitcnt lgkmcnt(0)
	v_fmac_f32_e32 v47, v51, v2
	s_delay_alu instid0(VALU_DEP_1) | instskip(NEXT) | instid1(VALU_DEP_1)
	v_fmac_f32_e32 v47, v52, v3
	v_sub_f32_e32 v2, v46, v47
	scratch_store_b32 off, v2, off offset:56
	v_cmpx_lt_u32_e32 13, v0
	s_cbranch_execz .LBB84_107
; %bb.106:
	scratch_load_b32 v2, off, off offset:52
	v_mov_b32_e32 v3, 0
	scratch_store_b32 off, v3, off offset:52
	s_waitcnt vmcnt(0)
	ds_store_b32 v1, v2
.LBB84_107:
	s_or_b32 exec_lo, exec_lo, s0
	s_waitcnt lgkmcnt(0)
	s_waitcnt_vscnt null, 0x0
	s_barrier
	buffer_gl0_inv
	s_clause 0x1
	scratch_load_b128 v[46:49], off, off offset:52
	scratch_load_b128 v[50:53], off, off offset:68
	v_mov_b32_e32 v2, 0
	ds_load_2addr_b64 v[54:57], v2 offset0:19 offset1:20
	ds_load_b64 v[58:59], v2 offset:168
	s_mov_b32 s0, exec_lo
	s_waitcnt vmcnt(1) lgkmcnt(1)
	v_fma_f32 v3, v47, v54, 0
	s_delay_alu instid0(VALU_DEP_1) | instskip(SKIP_3) | instid1(VALU_DEP_1)
	v_fmac_f32_e32 v3, v48, v55
	ds_load_b32 v47, v2 offset:176
	v_fmac_f32_e32 v3, v49, v56
	s_waitcnt vmcnt(0)
	v_fmac_f32_e32 v3, v50, v57
	s_waitcnt lgkmcnt(1)
	s_delay_alu instid0(VALU_DEP_1) | instskip(NEXT) | instid1(VALU_DEP_1)
	v_fmac_f32_e32 v3, v51, v58
	v_fmac_f32_e32 v3, v52, v59
	s_waitcnt lgkmcnt(0)
	s_delay_alu instid0(VALU_DEP_1) | instskip(NEXT) | instid1(VALU_DEP_1)
	v_fmac_f32_e32 v3, v53, v47
	v_sub_f32_e32 v3, v46, v3
	scratch_store_b32 off, v3, off offset:52
	v_cmpx_lt_u32_e32 12, v0
	s_cbranch_execz .LBB84_109
; %bb.108:
	scratch_load_b32 v3, off, off offset:48
	scratch_store_b32 off, v2, off offset:48
	s_waitcnt vmcnt(0)
	ds_store_b32 v1, v3
.LBB84_109:
	s_or_b32 exec_lo, exec_lo, s0
	s_waitcnt lgkmcnt(0)
	s_waitcnt_vscnt null, 0x0
	s_barrier
	buffer_gl0_inv
	s_clause 0x2
	scratch_load_b128 v[46:49], off, off offset:48
	scratch_load_b128 v[50:53], off, off offset:64
	scratch_load_b32 v60, off, off offset:80
	ds_load_2addr_b32 v[54:55], v2 offset0:37 offset1:38
	ds_load_2addr_b32 v[56:57], v2 offset0:39 offset1:40
	;; [unrolled: 1-line block ×4, first 2 shown]
	s_mov_b32 s0, exec_lo
	s_waitcnt vmcnt(2) lgkmcnt(3)
	v_fma_f32 v47, v47, v54, 0
	s_delay_alu instid0(VALU_DEP_1) | instskip(SKIP_1) | instid1(VALU_DEP_1)
	v_fmac_f32_e32 v47, v48, v55
	s_waitcnt lgkmcnt(2)
	v_fmac_f32_e32 v47, v49, v56
	s_waitcnt vmcnt(1)
	s_delay_alu instid0(VALU_DEP_1) | instskip(SKIP_1) | instid1(VALU_DEP_1)
	v_fmac_f32_e32 v47, v50, v57
	s_waitcnt lgkmcnt(1)
	v_fmac_f32_e32 v47, v51, v58
	s_delay_alu instid0(VALU_DEP_1) | instskip(SKIP_1) | instid1(VALU_DEP_1)
	v_fmac_f32_e32 v47, v52, v59
	s_waitcnt lgkmcnt(0)
	v_fmac_f32_e32 v47, v53, v2
	s_waitcnt vmcnt(0)
	s_delay_alu instid0(VALU_DEP_1) | instskip(NEXT) | instid1(VALU_DEP_1)
	v_fmac_f32_e32 v47, v60, v3
	v_sub_f32_e32 v2, v46, v47
	scratch_store_b32 off, v2, off offset:48
	v_cmpx_lt_u32_e32 11, v0
	s_cbranch_execz .LBB84_111
; %bb.110:
	scratch_load_b32 v2, off, off offset:44
	v_mov_b32_e32 v3, 0
	scratch_store_b32 off, v3, off offset:44
	s_waitcnt vmcnt(0)
	ds_store_b32 v1, v2
.LBB84_111:
	s_or_b32 exec_lo, exec_lo, s0
	s_waitcnt lgkmcnt(0)
	s_waitcnt_vscnt null, 0x0
	s_barrier
	buffer_gl0_inv
	s_clause 0x2
	scratch_load_b128 v[46:49], off, off offset:44
	scratch_load_b128 v[50:53], off, off offset:60
	scratch_load_b64 v[62:63], off, off offset:76
	v_mov_b32_e32 v2, 0
	ds_load_b128 v[54:57], v2 offset:144
	ds_load_b128 v[58:61], v2 offset:160
	s_mov_b32 s0, exec_lo
	s_waitcnt vmcnt(2) lgkmcnt(1)
	v_fma_f32 v3, v47, v54, 0
	s_delay_alu instid0(VALU_DEP_1) | instskip(SKIP_3) | instid1(VALU_DEP_1)
	v_fmac_f32_e32 v3, v48, v55
	ds_load_b32 v47, v2 offset:176
	v_fmac_f32_e32 v3, v49, v56
	s_waitcnt vmcnt(1)
	v_fmac_f32_e32 v3, v50, v57
	s_waitcnt lgkmcnt(1)
	s_delay_alu instid0(VALU_DEP_1) | instskip(NEXT) | instid1(VALU_DEP_1)
	v_fmac_f32_e32 v3, v51, v58
	v_fmac_f32_e32 v3, v52, v59
	s_delay_alu instid0(VALU_DEP_1) | instskip(SKIP_1) | instid1(VALU_DEP_1)
	v_fmac_f32_e32 v3, v53, v60
	s_waitcnt vmcnt(0)
	v_fmac_f32_e32 v3, v62, v61
	s_waitcnt lgkmcnt(0)
	s_delay_alu instid0(VALU_DEP_1) | instskip(NEXT) | instid1(VALU_DEP_1)
	v_fmac_f32_e32 v3, v63, v47
	v_sub_f32_e32 v3, v46, v3
	scratch_store_b32 off, v3, off offset:44
	v_cmpx_lt_u32_e32 10, v0
	s_cbranch_execz .LBB84_113
; %bb.112:
	scratch_load_b32 v3, off, off offset:40
	scratch_store_b32 off, v2, off offset:40
	s_waitcnt vmcnt(0)
	ds_store_b32 v1, v3
.LBB84_113:
	s_or_b32 exec_lo, exec_lo, s0
	s_waitcnt lgkmcnt(0)
	s_waitcnt_vscnt null, 0x0
	s_barrier
	buffer_gl0_inv
	s_clause 0x2
	scratch_load_b128 v[46:49], off, off offset:40
	scratch_load_b128 v[50:53], off, off offset:56
	scratch_load_b96 v[54:56], off, off offset:72
	ds_load_2addr_b32 v[57:58], v2 offset0:35 offset1:36
	ds_load_2addr_b32 v[59:60], v2 offset0:37 offset1:38
	ds_load_2addr_b32 v[61:62], v2 offset0:39 offset1:40
	ds_load_2addr_b32 v[63:64], v2 offset0:41 offset1:42
	ds_load_2addr_b32 v[2:3], v2 offset0:43 offset1:44
	s_mov_b32 s0, exec_lo
	s_waitcnt vmcnt(2) lgkmcnt(4)
	v_fma_f32 v47, v47, v57, 0
	s_delay_alu instid0(VALU_DEP_1) | instskip(SKIP_1) | instid1(VALU_DEP_1)
	v_fmac_f32_e32 v47, v48, v58
	s_waitcnt lgkmcnt(3)
	v_fmac_f32_e32 v47, v49, v59
	s_waitcnt vmcnt(1)
	s_delay_alu instid0(VALU_DEP_1) | instskip(SKIP_1) | instid1(VALU_DEP_1)
	v_fmac_f32_e32 v47, v50, v60
	s_waitcnt lgkmcnt(2)
	v_fmac_f32_e32 v47, v51, v61
	s_delay_alu instid0(VALU_DEP_1) | instskip(SKIP_1) | instid1(VALU_DEP_1)
	v_fmac_f32_e32 v47, v52, v62
	s_waitcnt lgkmcnt(1)
	v_fmac_f32_e32 v47, v53, v63
	s_waitcnt vmcnt(0)
	s_delay_alu instid0(VALU_DEP_1) | instskip(SKIP_1) | instid1(VALU_DEP_1)
	v_fmac_f32_e32 v47, v54, v64
	s_waitcnt lgkmcnt(0)
	v_fmac_f32_e32 v47, v55, v2
	s_delay_alu instid0(VALU_DEP_1) | instskip(NEXT) | instid1(VALU_DEP_1)
	v_fmac_f32_e32 v47, v56, v3
	v_sub_f32_e32 v2, v46, v47
	scratch_store_b32 off, v2, off offset:40
	v_cmpx_lt_u32_e32 9, v0
	s_cbranch_execz .LBB84_115
; %bb.114:
	scratch_load_b32 v2, off, off offset:36
	v_mov_b32_e32 v3, 0
	scratch_store_b32 off, v3, off offset:36
	s_waitcnt vmcnt(0)
	ds_store_b32 v1, v2
.LBB84_115:
	s_or_b32 exec_lo, exec_lo, s0
	s_waitcnt lgkmcnt(0)
	s_waitcnt_vscnt null, 0x0
	s_barrier
	buffer_gl0_inv
	s_clause 0x2
	scratch_load_b128 v[46:49], off, off offset:36
	scratch_load_b128 v[50:53], off, off offset:52
	;; [unrolled: 1-line block ×3, first 2 shown]
	v_mov_b32_e32 v2, 0
	ds_load_2addr_b64 v[58:61], v2 offset0:17 offset1:18
	ds_load_2addr_b64 v[62:65], v2 offset0:19 offset1:20
	s_mov_b32 s0, exec_lo
	s_waitcnt vmcnt(2) lgkmcnt(1)
	v_fma_f32 v3, v47, v58, 0
	s_delay_alu instid0(VALU_DEP_1)
	v_fmac_f32_e32 v3, v48, v59
	ds_load_b64 v[47:48], v2 offset:168
	v_fmac_f32_e32 v3, v49, v60
	ds_load_b32 v49, v2 offset:176
	s_waitcnt vmcnt(1)
	v_fmac_f32_e32 v3, v50, v61
	s_waitcnt lgkmcnt(2)
	s_delay_alu instid0(VALU_DEP_1) | instskip(NEXT) | instid1(VALU_DEP_1)
	v_fmac_f32_e32 v3, v51, v62
	v_fmac_f32_e32 v3, v52, v63
	s_delay_alu instid0(VALU_DEP_1) | instskip(SKIP_1) | instid1(VALU_DEP_1)
	v_fmac_f32_e32 v3, v53, v64
	s_waitcnt vmcnt(0)
	v_fmac_f32_e32 v3, v54, v65
	s_waitcnt lgkmcnt(1)
	s_delay_alu instid0(VALU_DEP_1) | instskip(NEXT) | instid1(VALU_DEP_1)
	v_fmac_f32_e32 v3, v55, v47
	v_fmac_f32_e32 v3, v56, v48
	s_waitcnt lgkmcnt(0)
	s_delay_alu instid0(VALU_DEP_1) | instskip(NEXT) | instid1(VALU_DEP_1)
	v_fmac_f32_e32 v3, v57, v49
	v_sub_f32_e32 v3, v46, v3
	scratch_store_b32 off, v3, off offset:36
	v_cmpx_lt_u32_e32 8, v0
	s_cbranch_execz .LBB84_117
; %bb.116:
	scratch_load_b32 v3, off, off offset:32
	scratch_store_b32 off, v2, off offset:32
	s_waitcnt vmcnt(0)
	ds_store_b32 v1, v3
.LBB84_117:
	s_or_b32 exec_lo, exec_lo, s0
	s_waitcnt lgkmcnt(0)
	s_waitcnt_vscnt null, 0x0
	s_barrier
	buffer_gl0_inv
	s_clause 0x3
	scratch_load_b128 v[46:49], off, off offset:32
	scratch_load_b128 v[50:53], off, off offset:48
	scratch_load_b128 v[54:57], off, off offset:64
	scratch_load_b32 v66, off, off offset:80
	ds_load_2addr_b32 v[58:59], v2 offset0:33 offset1:34
	ds_load_2addr_b32 v[60:61], v2 offset0:35 offset1:36
	;; [unrolled: 1-line block ×4, first 2 shown]
	s_mov_b32 s0, exec_lo
	s_waitcnt vmcnt(3) lgkmcnt(3)
	v_fma_f32 v58, v47, v58, 0
	s_delay_alu instid0(VALU_DEP_1)
	v_fmac_f32_e32 v58, v48, v59
	ds_load_2addr_b32 v[47:48], v2 offset0:41 offset1:42
	ds_load_2addr_b32 v[2:3], v2 offset0:43 offset1:44
	s_waitcnt lgkmcnt(4)
	v_fmac_f32_e32 v58, v49, v60
	s_waitcnt vmcnt(2)
	s_delay_alu instid0(VALU_DEP_1) | instskip(SKIP_1) | instid1(VALU_DEP_1)
	v_fmac_f32_e32 v58, v50, v61
	s_waitcnt lgkmcnt(3)
	v_fmac_f32_e32 v58, v51, v62
	s_delay_alu instid0(VALU_DEP_1) | instskip(SKIP_1) | instid1(VALU_DEP_1)
	v_fmac_f32_e32 v58, v52, v63
	s_waitcnt lgkmcnt(2)
	v_fmac_f32_e32 v58, v53, v64
	s_waitcnt vmcnt(1)
	s_delay_alu instid0(VALU_DEP_1) | instskip(SKIP_1) | instid1(VALU_DEP_1)
	v_fmac_f32_e32 v58, v54, v65
	s_waitcnt lgkmcnt(1)
	v_fmac_f32_e32 v58, v55, v47
	s_delay_alu instid0(VALU_DEP_1) | instskip(SKIP_1) | instid1(VALU_DEP_1)
	v_fmac_f32_e32 v58, v56, v48
	s_waitcnt lgkmcnt(0)
	v_fmac_f32_e32 v58, v57, v2
	s_waitcnt vmcnt(0)
	s_delay_alu instid0(VALU_DEP_1) | instskip(NEXT) | instid1(VALU_DEP_1)
	v_fmac_f32_e32 v58, v66, v3
	v_sub_f32_e32 v2, v46, v58
	scratch_store_b32 off, v2, off offset:32
	v_cmpx_lt_u32_e32 7, v0
	s_cbranch_execz .LBB84_119
; %bb.118:
	scratch_load_b32 v2, off, off offset:28
	v_mov_b32_e32 v3, 0
	scratch_store_b32 off, v3, off offset:28
	s_waitcnt vmcnt(0)
	ds_store_b32 v1, v2
.LBB84_119:
	s_or_b32 exec_lo, exec_lo, s0
	s_waitcnt lgkmcnt(0)
	s_waitcnt_vscnt null, 0x0
	s_barrier
	buffer_gl0_inv
	s_clause 0x3
	scratch_load_b128 v[46:49], off, off offset:28
	scratch_load_b128 v[50:53], off, off offset:44
	;; [unrolled: 1-line block ×3, first 2 shown]
	scratch_load_b64 v[66:67], off, off offset:76
	v_mov_b32_e32 v2, 0
	ds_load_b128 v[58:61], v2 offset:128
	ds_load_b128 v[62:65], v2 offset:144
	s_mov_b32 s0, exec_lo
	s_waitcnt vmcnt(3) lgkmcnt(1)
	v_fma_f32 v3, v47, v58, 0
	s_delay_alu instid0(VALU_DEP_1) | instskip(NEXT) | instid1(VALU_DEP_1)
	v_fmac_f32_e32 v3, v48, v59
	v_fmac_f32_e32 v3, v49, v60
	s_waitcnt vmcnt(2)
	s_delay_alu instid0(VALU_DEP_1)
	v_fmac_f32_e32 v3, v50, v61
	ds_load_b128 v[47:50], v2 offset:160
	s_waitcnt lgkmcnt(1)
	v_fmac_f32_e32 v3, v51, v62
	ds_load_b32 v51, v2 offset:176
	v_fmac_f32_e32 v3, v52, v63
	s_delay_alu instid0(VALU_DEP_1) | instskip(SKIP_1) | instid1(VALU_DEP_1)
	v_fmac_f32_e32 v3, v53, v64
	s_waitcnt vmcnt(1)
	v_fmac_f32_e32 v3, v54, v65
	s_waitcnt lgkmcnt(1)
	s_delay_alu instid0(VALU_DEP_1) | instskip(NEXT) | instid1(VALU_DEP_1)
	v_fmac_f32_e32 v3, v55, v47
	v_fmac_f32_e32 v3, v56, v48
	s_delay_alu instid0(VALU_DEP_1) | instskip(SKIP_1) | instid1(VALU_DEP_1)
	v_fmac_f32_e32 v3, v57, v49
	s_waitcnt vmcnt(0)
	v_fmac_f32_e32 v3, v66, v50
	s_waitcnt lgkmcnt(0)
	s_delay_alu instid0(VALU_DEP_1) | instskip(NEXT) | instid1(VALU_DEP_1)
	v_fmac_f32_e32 v3, v67, v51
	v_sub_f32_e32 v3, v46, v3
	scratch_store_b32 off, v3, off offset:28
	v_cmpx_lt_u32_e32 6, v0
	s_cbranch_execz .LBB84_121
; %bb.120:
	scratch_load_b32 v3, off, off offset:24
	scratch_store_b32 off, v2, off offset:24
	s_waitcnt vmcnt(0)
	ds_store_b32 v1, v3
.LBB84_121:
	s_or_b32 exec_lo, exec_lo, s0
	s_waitcnt lgkmcnt(0)
	s_waitcnt_vscnt null, 0x0
	s_barrier
	buffer_gl0_inv
	s_clause 0x3
	scratch_load_b128 v[46:49], off, off offset:24
	scratch_load_b128 v[50:53], off, off offset:40
	;; [unrolled: 1-line block ×3, first 2 shown]
	scratch_load_b96 v[58:60], off, off offset:72
	ds_load_2addr_b32 v[61:62], v2 offset0:31 offset1:32
	ds_load_2addr_b32 v[63:64], v2 offset0:33 offset1:34
	;; [unrolled: 1-line block ×4, first 2 shown]
	s_mov_b32 s0, exec_lo
	s_waitcnt vmcnt(3) lgkmcnt(3)
	v_fma_f32 v61, v47, v61, 0
	s_delay_alu instid0(VALU_DEP_1) | instskip(SKIP_4) | instid1(VALU_DEP_1)
	v_fmac_f32_e32 v61, v48, v62
	ds_load_2addr_b32 v[47:48], v2 offset0:39 offset1:40
	s_waitcnt lgkmcnt(3)
	v_fmac_f32_e32 v61, v49, v63
	s_waitcnt vmcnt(2)
	v_fmac_f32_e32 v61, v50, v64
	ds_load_2addr_b32 v[49:50], v2 offset0:41 offset1:42
	ds_load_2addr_b32 v[2:3], v2 offset0:43 offset1:44
	s_waitcnt lgkmcnt(4)
	v_fmac_f32_e32 v61, v51, v65
	s_delay_alu instid0(VALU_DEP_1) | instskip(SKIP_1) | instid1(VALU_DEP_1)
	v_fmac_f32_e32 v61, v52, v66
	s_waitcnt lgkmcnt(3)
	v_fmac_f32_e32 v61, v53, v67
	s_waitcnt vmcnt(1)
	s_delay_alu instid0(VALU_DEP_1) | instskip(SKIP_1) | instid1(VALU_DEP_1)
	v_fmac_f32_e32 v61, v54, v68
	s_waitcnt lgkmcnt(2)
	v_fmac_f32_e32 v61, v55, v47
	s_delay_alu instid0(VALU_DEP_1) | instskip(SKIP_1) | instid1(VALU_DEP_1)
	v_fmac_f32_e32 v61, v56, v48
	s_waitcnt lgkmcnt(1)
	v_fmac_f32_e32 v61, v57, v49
	s_waitcnt vmcnt(0)
	s_delay_alu instid0(VALU_DEP_1) | instskip(SKIP_1) | instid1(VALU_DEP_1)
	v_fmac_f32_e32 v61, v58, v50
	s_waitcnt lgkmcnt(0)
	v_fmac_f32_e32 v61, v59, v2
	s_delay_alu instid0(VALU_DEP_1) | instskip(NEXT) | instid1(VALU_DEP_1)
	v_fmac_f32_e32 v61, v60, v3
	v_sub_f32_e32 v2, v46, v61
	scratch_store_b32 off, v2, off offset:24
	v_cmpx_lt_u32_e32 5, v0
	s_cbranch_execz .LBB84_123
; %bb.122:
	scratch_load_b32 v2, off, off offset:20
	v_mov_b32_e32 v3, 0
	scratch_store_b32 off, v3, off offset:20
	s_waitcnt vmcnt(0)
	ds_store_b32 v1, v2
.LBB84_123:
	s_or_b32 exec_lo, exec_lo, s0
	s_waitcnt lgkmcnt(0)
	s_waitcnt_vscnt null, 0x0
	s_barrier
	buffer_gl0_inv
	s_clause 0x3
	scratch_load_b128 v[46:49], off, off offset:20
	scratch_load_b128 v[50:53], off, off offset:36
	;; [unrolled: 1-line block ×4, first 2 shown]
	v_mov_b32_e32 v2, 0
	ds_load_2addr_b64 v[62:65], v2 offset0:15 offset1:16
	ds_load_2addr_b64 v[66:69], v2 offset0:17 offset1:18
	s_mov_b32 s0, exec_lo
	s_waitcnt vmcnt(3) lgkmcnt(1)
	v_fma_f32 v3, v47, v62, 0
	s_delay_alu instid0(VALU_DEP_1) | instskip(NEXT) | instid1(VALU_DEP_1)
	v_fmac_f32_e32 v3, v48, v63
	v_fmac_f32_e32 v3, v49, v64
	s_waitcnt vmcnt(2)
	s_delay_alu instid0(VALU_DEP_1) | instskip(SKIP_3) | instid1(VALU_DEP_1)
	v_fmac_f32_e32 v3, v50, v65
	ds_load_2addr_b64 v[47:50], v2 offset0:19 offset1:20
	s_waitcnt lgkmcnt(1)
	v_fmac_f32_e32 v3, v51, v66
	v_fmac_f32_e32 v3, v52, v67
	ds_load_b64 v[51:52], v2 offset:168
	v_fmac_f32_e32 v3, v53, v68
	s_waitcnt vmcnt(1)
	s_delay_alu instid0(VALU_DEP_1) | instskip(SKIP_1) | instid1(VALU_DEP_1)
	v_fmac_f32_e32 v3, v54, v69
	s_waitcnt lgkmcnt(1)
	v_fmac_f32_e32 v3, v55, v47
	ds_load_b32 v47, v2 offset:176
	v_fmac_f32_e32 v3, v56, v48
	s_delay_alu instid0(VALU_DEP_1) | instskip(SKIP_1) | instid1(VALU_DEP_1)
	v_fmac_f32_e32 v3, v57, v49
	s_waitcnt vmcnt(0)
	v_fmac_f32_e32 v3, v58, v50
	s_waitcnt lgkmcnt(1)
	s_delay_alu instid0(VALU_DEP_1) | instskip(NEXT) | instid1(VALU_DEP_1)
	v_fmac_f32_e32 v3, v59, v51
	v_fmac_f32_e32 v3, v60, v52
	s_waitcnt lgkmcnt(0)
	s_delay_alu instid0(VALU_DEP_1) | instskip(NEXT) | instid1(VALU_DEP_1)
	v_fmac_f32_e32 v3, v61, v47
	v_sub_f32_e32 v3, v46, v3
	scratch_store_b32 off, v3, off offset:20
	v_cmpx_lt_u32_e32 4, v0
	s_cbranch_execz .LBB84_125
; %bb.124:
	scratch_load_b32 v3, off, off offset:16
	scratch_store_b32 off, v2, off offset:16
	s_waitcnt vmcnt(0)
	ds_store_b32 v1, v3
.LBB84_125:
	s_or_b32 exec_lo, exec_lo, s0
	s_waitcnt lgkmcnt(0)
	s_waitcnt_vscnt null, 0x0
	s_barrier
	buffer_gl0_inv
	s_clause 0x4
	scratch_load_b128 v[46:49], off, off offset:16
	scratch_load_b128 v[50:53], off, off offset:32
	;; [unrolled: 1-line block ×4, first 2 shown]
	scratch_load_b32 v70, off, off offset:80
	ds_load_2addr_b32 v[62:63], v2 offset0:29 offset1:30
	ds_load_2addr_b32 v[64:65], v2 offset0:31 offset1:32
	;; [unrolled: 1-line block ×4, first 2 shown]
	s_mov_b32 s0, exec_lo
	s_waitcnt vmcnt(4) lgkmcnt(3)
	v_fma_f32 v62, v47, v62, 0
	s_delay_alu instid0(VALU_DEP_1) | instskip(SKIP_4) | instid1(VALU_DEP_1)
	v_fmac_f32_e32 v62, v48, v63
	ds_load_2addr_b32 v[47:48], v2 offset0:37 offset1:38
	s_waitcnt lgkmcnt(3)
	v_fmac_f32_e32 v62, v49, v64
	s_waitcnt vmcnt(3)
	v_fmac_f32_e32 v62, v50, v65
	ds_load_2addr_b32 v[49:50], v2 offset0:39 offset1:40
	s_waitcnt lgkmcnt(3)
	v_fmac_f32_e32 v62, v51, v66
	s_delay_alu instid0(VALU_DEP_1)
	v_fmac_f32_e32 v62, v52, v67
	ds_load_2addr_b32 v[51:52], v2 offset0:41 offset1:42
	ds_load_2addr_b32 v[2:3], v2 offset0:43 offset1:44
	s_waitcnt lgkmcnt(4)
	v_fmac_f32_e32 v62, v53, v68
	s_waitcnt vmcnt(2)
	s_delay_alu instid0(VALU_DEP_1) | instskip(SKIP_1) | instid1(VALU_DEP_1)
	v_fmac_f32_e32 v62, v54, v69
	s_waitcnt lgkmcnt(3)
	v_fmac_f32_e32 v62, v55, v47
	s_delay_alu instid0(VALU_DEP_1) | instskip(SKIP_1) | instid1(VALU_DEP_1)
	v_fmac_f32_e32 v62, v56, v48
	s_waitcnt lgkmcnt(2)
	v_fmac_f32_e32 v62, v57, v49
	s_waitcnt vmcnt(1)
	s_delay_alu instid0(VALU_DEP_1) | instskip(SKIP_1) | instid1(VALU_DEP_1)
	v_fmac_f32_e32 v62, v58, v50
	s_waitcnt lgkmcnt(1)
	v_fmac_f32_e32 v62, v59, v51
	s_delay_alu instid0(VALU_DEP_1) | instskip(SKIP_1) | instid1(VALU_DEP_1)
	v_fmac_f32_e32 v62, v60, v52
	s_waitcnt lgkmcnt(0)
	v_fmac_f32_e32 v62, v61, v2
	s_waitcnt vmcnt(0)
	s_delay_alu instid0(VALU_DEP_1) | instskip(NEXT) | instid1(VALU_DEP_1)
	v_fmac_f32_e32 v62, v70, v3
	v_sub_f32_e32 v2, v46, v62
	scratch_store_b32 off, v2, off offset:16
	v_cmpx_lt_u32_e32 3, v0
	s_cbranch_execz .LBB84_127
; %bb.126:
	scratch_load_b32 v2, off, off offset:12
	v_mov_b32_e32 v3, 0
	scratch_store_b32 off, v3, off offset:12
	s_waitcnt vmcnt(0)
	ds_store_b32 v1, v2
.LBB84_127:
	s_or_b32 exec_lo, exec_lo, s0
	s_waitcnt lgkmcnt(0)
	s_waitcnt_vscnt null, 0x0
	s_barrier
	buffer_gl0_inv
	s_clause 0x4
	scratch_load_b128 v[46:49], off, off offset:12
	scratch_load_b128 v[50:53], off, off offset:28
	;; [unrolled: 1-line block ×4, first 2 shown]
	scratch_load_b64 v[70:71], off, off offset:76
	v_mov_b32_e32 v2, 0
	ds_load_b128 v[62:65], v2 offset:112
	ds_load_b128 v[66:69], v2 offset:128
	s_mov_b32 s0, exec_lo
	s_waitcnt vmcnt(4) lgkmcnt(1)
	v_fma_f32 v3, v47, v62, 0
	s_delay_alu instid0(VALU_DEP_1) | instskip(NEXT) | instid1(VALU_DEP_1)
	v_fmac_f32_e32 v3, v48, v63
	v_fmac_f32_e32 v3, v49, v64
	s_waitcnt vmcnt(3)
	s_delay_alu instid0(VALU_DEP_1) | instskip(SKIP_3) | instid1(VALU_DEP_1)
	v_fmac_f32_e32 v3, v50, v65
	ds_load_b128 v[47:50], v2 offset:144
	s_waitcnt lgkmcnt(1)
	v_fmac_f32_e32 v3, v51, v66
	v_fmac_f32_e32 v3, v52, v67
	s_delay_alu instid0(VALU_DEP_1) | instskip(SKIP_1) | instid1(VALU_DEP_1)
	v_fmac_f32_e32 v3, v53, v68
	s_waitcnt vmcnt(2)
	v_fmac_f32_e32 v3, v54, v69
	ds_load_b128 v[51:54], v2 offset:160
	s_waitcnt lgkmcnt(1)
	v_fmac_f32_e32 v3, v55, v47
	ds_load_b32 v47, v2 offset:176
	v_fmac_f32_e32 v3, v56, v48
	s_delay_alu instid0(VALU_DEP_1) | instskip(SKIP_1) | instid1(VALU_DEP_1)
	v_fmac_f32_e32 v3, v57, v49
	s_waitcnt vmcnt(1)
	v_fmac_f32_e32 v3, v58, v50
	s_waitcnt lgkmcnt(1)
	s_delay_alu instid0(VALU_DEP_1) | instskip(NEXT) | instid1(VALU_DEP_1)
	v_fmac_f32_e32 v3, v59, v51
	v_fmac_f32_e32 v3, v60, v52
	s_delay_alu instid0(VALU_DEP_1) | instskip(SKIP_1) | instid1(VALU_DEP_1)
	v_fmac_f32_e32 v3, v61, v53
	s_waitcnt vmcnt(0)
	v_fmac_f32_e32 v3, v70, v54
	s_waitcnt lgkmcnt(0)
	s_delay_alu instid0(VALU_DEP_1) | instskip(NEXT) | instid1(VALU_DEP_1)
	v_fmac_f32_e32 v3, v71, v47
	v_sub_f32_e32 v3, v46, v3
	scratch_store_b32 off, v3, off offset:12
	v_cmpx_lt_u32_e32 2, v0
	s_cbranch_execz .LBB84_129
; %bb.128:
	scratch_load_b32 v3, off, off offset:8
	scratch_store_b32 off, v2, off offset:8
	s_waitcnt vmcnt(0)
	ds_store_b32 v1, v3
.LBB84_129:
	s_or_b32 exec_lo, exec_lo, s0
	s_waitcnt lgkmcnt(0)
	s_waitcnt_vscnt null, 0x0
	s_barrier
	buffer_gl0_inv
	s_clause 0x4
	scratch_load_b128 v[46:49], off, off offset:8
	scratch_load_b128 v[50:53], off, off offset:24
	;; [unrolled: 1-line block ×4, first 2 shown]
	scratch_load_b96 v[62:64], off, off offset:72
	ds_load_2addr_b32 v[65:66], v2 offset0:27 offset1:28
	ds_load_2addr_b32 v[67:68], v2 offset0:29 offset1:30
	;; [unrolled: 1-line block ×4, first 2 shown]
	s_mov_b32 s0, exec_lo
	s_waitcnt vmcnt(4) lgkmcnt(3)
	v_fma_f32 v65, v47, v65, 0
	s_delay_alu instid0(VALU_DEP_1) | instskip(SKIP_4) | instid1(VALU_DEP_1)
	v_fmac_f32_e32 v65, v48, v66
	ds_load_2addr_b32 v[47:48], v2 offset0:35 offset1:36
	s_waitcnt lgkmcnt(3)
	v_fmac_f32_e32 v65, v49, v67
	s_waitcnt vmcnt(3)
	v_fmac_f32_e32 v65, v50, v68
	ds_load_2addr_b32 v[49:50], v2 offset0:37 offset1:38
	s_waitcnt lgkmcnt(3)
	v_fmac_f32_e32 v65, v51, v69
	s_delay_alu instid0(VALU_DEP_1) | instskip(SKIP_1) | instid1(VALU_DEP_1)
	v_fmac_f32_e32 v65, v52, v70
	s_waitcnt lgkmcnt(2)
	v_fmac_f32_e32 v65, v53, v71
	s_waitcnt vmcnt(2)
	s_delay_alu instid0(VALU_DEP_1)
	v_fmac_f32_e32 v65, v54, v72
	ds_load_2addr_b32 v[51:52], v2 offset0:39 offset1:40
	ds_load_2addr_b32 v[53:54], v2 offset0:41 offset1:42
	;; [unrolled: 1-line block ×3, first 2 shown]
	s_waitcnt lgkmcnt(4)
	v_fmac_f32_e32 v65, v55, v47
	s_delay_alu instid0(VALU_DEP_1) | instskip(SKIP_1) | instid1(VALU_DEP_1)
	v_fmac_f32_e32 v65, v56, v48
	s_waitcnt lgkmcnt(3)
	v_fmac_f32_e32 v65, v57, v49
	s_waitcnt vmcnt(1)
	s_delay_alu instid0(VALU_DEP_1) | instskip(SKIP_1) | instid1(VALU_DEP_1)
	v_fmac_f32_e32 v65, v58, v50
	s_waitcnt lgkmcnt(2)
	v_fmac_f32_e32 v65, v59, v51
	s_delay_alu instid0(VALU_DEP_1) | instskip(SKIP_1) | instid1(VALU_DEP_1)
	v_fmac_f32_e32 v65, v60, v52
	s_waitcnt lgkmcnt(1)
	v_fmac_f32_e32 v65, v61, v53
	s_waitcnt vmcnt(0)
	s_delay_alu instid0(VALU_DEP_1) | instskip(SKIP_1) | instid1(VALU_DEP_1)
	v_fmac_f32_e32 v65, v62, v54
	s_waitcnt lgkmcnt(0)
	v_fmac_f32_e32 v65, v63, v2
	s_delay_alu instid0(VALU_DEP_1) | instskip(NEXT) | instid1(VALU_DEP_1)
	v_fmac_f32_e32 v65, v64, v3
	v_sub_f32_e32 v2, v46, v65
	scratch_store_b32 off, v2, off offset:8
	v_cmpx_lt_u32_e32 1, v0
	s_cbranch_execz .LBB84_131
; %bb.130:
	scratch_load_b32 v2, off, off offset:4
	v_mov_b32_e32 v3, 0
	scratch_store_b32 off, v3, off offset:4
	s_waitcnt vmcnt(0)
	ds_store_b32 v1, v2
.LBB84_131:
	s_or_b32 exec_lo, exec_lo, s0
	s_waitcnt lgkmcnt(0)
	s_waitcnt_vscnt null, 0x0
	s_barrier
	buffer_gl0_inv
	s_clause 0x4
	scratch_load_b128 v[47:50], off, off offset:4
	scratch_load_b128 v[51:54], off, off offset:20
	;; [unrolled: 1-line block ×5, first 2 shown]
	v_mov_b32_e32 v46, 0
	ds_load_2addr_b64 v[67:70], v46 offset0:13 offset1:14
	ds_load_2addr_b64 v[71:74], v46 offset0:15 offset1:16
	s_mov_b32 s0, exec_lo
	s_waitcnt vmcnt(4) lgkmcnt(1)
	v_fma_f32 v67, v48, v67, 0
	s_delay_alu instid0(VALU_DEP_1) | instskip(SKIP_3) | instid1(VALU_DEP_1)
	v_fmac_f32_e32 v67, v49, v68
	ds_load_b64 v[2:3], v46 offset:168
	v_fmac_f32_e32 v67, v50, v69
	s_waitcnt vmcnt(3)
	v_fmac_f32_e32 v67, v51, v70
	ds_load_2addr_b64 v[48:51], v46 offset0:17 offset1:18
	s_waitcnt lgkmcnt(2)
	v_fmac_f32_e32 v67, v52, v71
	s_delay_alu instid0(VALU_DEP_1) | instskip(NEXT) | instid1(VALU_DEP_1)
	v_fmac_f32_e32 v67, v53, v72
	v_fmac_f32_e32 v67, v54, v73
	s_waitcnt vmcnt(2)
	s_delay_alu instid0(VALU_DEP_1)
	v_fmac_f32_e32 v67, v55, v74
	ds_load_2addr_b64 v[52:55], v46 offset0:19 offset1:20
	s_waitcnt lgkmcnt(1)
	v_fmac_f32_e32 v67, v56, v48
	ds_load_b32 v48, v46 offset:176
	v_fmac_f32_e32 v67, v57, v49
	s_delay_alu instid0(VALU_DEP_1) | instskip(SKIP_1) | instid1(VALU_DEP_1)
	v_fmac_f32_e32 v67, v58, v50
	s_waitcnt vmcnt(1)
	v_fmac_f32_e32 v67, v59, v51
	s_waitcnt lgkmcnt(1)
	s_delay_alu instid0(VALU_DEP_1) | instskip(NEXT) | instid1(VALU_DEP_1)
	v_fmac_f32_e32 v67, v60, v52
	v_fmac_f32_e32 v67, v61, v53
	s_delay_alu instid0(VALU_DEP_1) | instskip(SKIP_1) | instid1(VALU_DEP_1)
	v_fmac_f32_e32 v67, v62, v54
	s_waitcnt vmcnt(0)
	v_fmac_f32_e32 v67, v63, v55
	s_delay_alu instid0(VALU_DEP_1) | instskip(NEXT) | instid1(VALU_DEP_1)
	v_fmac_f32_e32 v67, v64, v2
	v_fmac_f32_e32 v67, v65, v3
	s_waitcnt lgkmcnt(0)
	s_delay_alu instid0(VALU_DEP_1) | instskip(NEXT) | instid1(VALU_DEP_1)
	v_fmac_f32_e32 v67, v66, v48
	v_sub_f32_e32 v2, v47, v67
	scratch_store_b32 off, v2, off offset:4
	v_cmpx_ne_u32_e32 0, v0
	s_cbranch_execz .LBB84_133
; %bb.132:
	scratch_load_b32 v0, off, off
	scratch_store_b32 off, v46, off
	s_waitcnt vmcnt(0)
	ds_store_b32 v1, v0
.LBB84_133:
	s_or_b32 exec_lo, exec_lo, s0
	s_waitcnt lgkmcnt(0)
	s_waitcnt_vscnt null, 0x0
	s_barrier
	buffer_gl0_inv
	s_clause 0x5
	scratch_load_b128 v[47:50], off, off
	scratch_load_b128 v[51:54], off, off offset:16
	scratch_load_b128 v[55:58], off, off offset:32
	;; [unrolled: 1-line block ×4, first 2 shown]
	scratch_load_b32 v71, off, off offset:80
	ds_load_2addr_b32 v[63:64], v46 offset0:25 offset1:26
	ds_load_2addr_b32 v[65:66], v46 offset0:27 offset1:28
	;; [unrolled: 1-line block ×4, first 2 shown]
	s_and_b32 vcc_lo, exec_lo, s12
	s_waitcnt vmcnt(5) lgkmcnt(3)
	v_fma_f32 v63, v48, v63, 0
	s_delay_alu instid0(VALU_DEP_1) | instskip(SKIP_4) | instid1(VALU_DEP_1)
	v_fmac_f32_e32 v63, v49, v64
	ds_load_2addr_b32 v[48:49], v46 offset0:33 offset1:34
	s_waitcnt lgkmcnt(3)
	v_fmac_f32_e32 v63, v50, v65
	s_waitcnt vmcnt(4)
	v_fmac_f32_e32 v63, v51, v66
	ds_load_2addr_b32 v[50:51], v46 offset0:35 offset1:36
	s_waitcnt lgkmcnt(3)
	v_fmac_f32_e32 v63, v52, v67
	s_delay_alu instid0(VALU_DEP_1) | instskip(SKIP_1) | instid1(VALU_DEP_1)
	v_fmac_f32_e32 v63, v53, v68
	s_waitcnt lgkmcnt(2)
	v_fmac_f32_e32 v63, v54, v69
	s_waitcnt vmcnt(3)
	s_delay_alu instid0(VALU_DEP_1) | instskip(SKIP_4) | instid1(VALU_DEP_1)
	v_fmac_f32_e32 v63, v55, v70
	ds_load_2addr_b32 v[52:53], v46 offset0:37 offset1:38
	ds_load_2addr_b32 v[54:55], v46 offset0:39 offset1:40
	s_waitcnt lgkmcnt(3)
	v_fmac_f32_e32 v63, v56, v48
	v_fmac_f32_e32 v63, v57, v49
	ds_load_2addr_b32 v[48:49], v46 offset0:41 offset1:42
	s_waitcnt lgkmcnt(3)
	v_fmac_f32_e32 v63, v58, v50
	s_waitcnt vmcnt(2)
	s_delay_alu instid0(VALU_DEP_1) | instskip(SKIP_3) | instid1(VALU_DEP_1)
	v_fmac_f32_e32 v63, v59, v51
	ds_load_2addr_b32 v[50:51], v46 offset0:43 offset1:44
	s_waitcnt lgkmcnt(3)
	v_fmac_f32_e32 v63, v60, v52
	v_fmac_f32_e32 v63, v61, v53
	s_waitcnt lgkmcnt(2)
	s_delay_alu instid0(VALU_DEP_1) | instskip(SKIP_1) | instid1(VALU_DEP_1)
	v_fmac_f32_e32 v63, v62, v54
	s_waitcnt vmcnt(1)
	v_fmac_f32_e32 v63, v0, v55
	s_waitcnt lgkmcnt(1)
	s_delay_alu instid0(VALU_DEP_1) | instskip(NEXT) | instid1(VALU_DEP_1)
	v_fmac_f32_e32 v63, v1, v48
	v_fmac_f32_e32 v63, v2, v49
	s_waitcnt lgkmcnt(0)
	s_delay_alu instid0(VALU_DEP_1) | instskip(SKIP_1) | instid1(VALU_DEP_1)
	v_fmac_f32_e32 v63, v3, v50
	s_waitcnt vmcnt(0)
	v_fmac_f32_e32 v63, v71, v51
	s_delay_alu instid0(VALU_DEP_1)
	v_sub_f32_e32 v0, v47, v63
	scratch_store_b32 off, v0, off
	s_cbranch_vccz .LBB84_175
; %bb.134:
	v_dual_mov_b32 v0, s2 :: v_dual_mov_b32 v1, s3
	s_mov_b32 s0, exec_lo
	flat_load_b32 v0, v[0:1] offset:76
	s_waitcnt vmcnt(0) lgkmcnt(0)
	v_cmpx_ne_u32_e32 20, v0
	s_cbranch_execz .LBB84_136
; %bb.135:
	v_lshl_add_u32 v0, v0, 2, 0
	scratch_load_b32 v1, v0, off offset:-4
	s_waitcnt vmcnt(0)
	scratch_store_b32 off, v1, off offset:76
	scratch_store_b32 v0, v3, off offset:-4
.LBB84_136:
	s_or_b32 exec_lo, exec_lo, s0
	v_dual_mov_b32 v0, s2 :: v_dual_mov_b32 v1, s3
	s_mov_b32 s0, exec_lo
	flat_load_b32 v0, v[0:1] offset:72
	s_waitcnt vmcnt(0) lgkmcnt(0)
	v_cmpx_ne_u32_e32 19, v0
	s_cbranch_execz .LBB84_138
; %bb.137:
	v_lshl_add_u32 v0, v0, 2, 0
	scratch_load_b32 v1, v0, off offset:-4
	scratch_load_b32 v2, off, off offset:72
	s_waitcnt vmcnt(1)
	scratch_store_b32 off, v1, off offset:72
	s_waitcnt vmcnt(0)
	scratch_store_b32 v0, v2, off offset:-4
.LBB84_138:
	s_or_b32 exec_lo, exec_lo, s0
	v_dual_mov_b32 v0, s2 :: v_dual_mov_b32 v1, s3
	s_mov_b32 s0, exec_lo
	flat_load_b32 v0, v[0:1] offset:68
	s_waitcnt vmcnt(0) lgkmcnt(0)
	v_cmpx_ne_u32_e32 18, v0
	s_cbranch_execz .LBB84_140
; %bb.139:
	v_lshl_add_u32 v0, v0, 2, 0
	scratch_load_b32 v1, v0, off offset:-4
	scratch_load_b32 v2, off, off offset:68
	s_waitcnt vmcnt(1)
	scratch_store_b32 off, v1, off offset:68
	s_waitcnt vmcnt(0)
	scratch_store_b32 v0, v2, off offset:-4
.LBB84_140:
	;; [unrolled: 16-line block ×18, first 2 shown]
	s_or_b32 exec_lo, exec_lo, s0
	v_dual_mov_b32 v0, s2 :: v_dual_mov_b32 v1, s3
	s_mov_b32 s0, exec_lo
	flat_load_b32 v1, v[0:1]
	scratch_load_b32 v0, off, off
	s_waitcnt vmcnt(1) lgkmcnt(0)
	v_cmpx_ne_u32_e32 1, v1
	s_cbranch_execz .LBB84_174
; %bb.173:
	v_lshl_add_u32 v1, v1, 2, 0
	scratch_load_b32 v2, v1, off offset:-4
	s_waitcnt vmcnt(0)
	scratch_store_b32 off, v2, off
	scratch_store_b32 v1, v0, off offset:-4
	scratch_load_b32 v0, off, off
.LBB84_174:
	s_or_b32 exec_lo, exec_lo, s0
.LBB84_175:
	s_clause 0x4
	scratch_load_b128 v[46:49], off, off offset:4
	scratch_load_b128 v[50:53], off, off offset:20
	;; [unrolled: 1-line block ×5, first 2 shown]
	s_waitcnt vmcnt(5)
	global_store_b32 v[4:5], v0, off
	s_waitcnt vmcnt(4)
	s_clause 0x3
	global_store_b32 v[6:7], v46, off
	global_store_b32 v[8:9], v47, off
	global_store_b32 v[10:11], v48, off
	global_store_b32 v[12:13], v49, off
	s_waitcnt vmcnt(3)
	s_clause 0x3
	global_store_b32 v[14:15], v50, off
	global_store_b32 v[16:17], v51, off
	global_store_b32 v[18:19], v52, off
	;; [unrolled: 6-line block ×5, first 2 shown]
	global_store_b32 v[44:45], v65, off
	s_endpgm
	.section	.rodata,"a",@progbits
	.p2align	6, 0x0
	.amdhsa_kernel _ZN9rocsolver6v33100L18getri_kernel_smallILi21EfPKPfEEvT1_iilPiilS6_bb
		.amdhsa_group_segment_fixed_size 180
		.amdhsa_private_segment_fixed_size 96
		.amdhsa_kernarg_size 60
		.amdhsa_user_sgpr_count 15
		.amdhsa_user_sgpr_dispatch_ptr 0
		.amdhsa_user_sgpr_queue_ptr 0
		.amdhsa_user_sgpr_kernarg_segment_ptr 1
		.amdhsa_user_sgpr_dispatch_id 0
		.amdhsa_user_sgpr_private_segment_size 0
		.amdhsa_wavefront_size32 1
		.amdhsa_uses_dynamic_stack 0
		.amdhsa_enable_private_segment 1
		.amdhsa_system_sgpr_workgroup_id_x 1
		.amdhsa_system_sgpr_workgroup_id_y 0
		.amdhsa_system_sgpr_workgroup_id_z 0
		.amdhsa_system_sgpr_workgroup_info 0
		.amdhsa_system_vgpr_workitem_id 0
		.amdhsa_next_free_vgpr 75
		.amdhsa_next_free_sgpr 17
		.amdhsa_reserve_vcc 1
		.amdhsa_float_round_mode_32 0
		.amdhsa_float_round_mode_16_64 0
		.amdhsa_float_denorm_mode_32 3
		.amdhsa_float_denorm_mode_16_64 3
		.amdhsa_dx10_clamp 1
		.amdhsa_ieee_mode 1
		.amdhsa_fp16_overflow 0
		.amdhsa_workgroup_processor_mode 1
		.amdhsa_memory_ordered 1
		.amdhsa_forward_progress 0
		.amdhsa_shared_vgpr_count 0
		.amdhsa_exception_fp_ieee_invalid_op 0
		.amdhsa_exception_fp_denorm_src 0
		.amdhsa_exception_fp_ieee_div_zero 0
		.amdhsa_exception_fp_ieee_overflow 0
		.amdhsa_exception_fp_ieee_underflow 0
		.amdhsa_exception_fp_ieee_inexact 0
		.amdhsa_exception_int_div_zero 0
	.end_amdhsa_kernel
	.section	.text._ZN9rocsolver6v33100L18getri_kernel_smallILi21EfPKPfEEvT1_iilPiilS6_bb,"axG",@progbits,_ZN9rocsolver6v33100L18getri_kernel_smallILi21EfPKPfEEvT1_iilPiilS6_bb,comdat
.Lfunc_end84:
	.size	_ZN9rocsolver6v33100L18getri_kernel_smallILi21EfPKPfEEvT1_iilPiilS6_bb, .Lfunc_end84-_ZN9rocsolver6v33100L18getri_kernel_smallILi21EfPKPfEEvT1_iilPiilS6_bb
                                        ; -- End function
	.section	.AMDGPU.csdata,"",@progbits
; Kernel info:
; codeLenInByte = 11756
; NumSgprs: 19
; NumVgprs: 75
; ScratchSize: 96
; MemoryBound: 0
; FloatMode: 240
; IeeeMode: 1
; LDSByteSize: 180 bytes/workgroup (compile time only)
; SGPRBlocks: 2
; VGPRBlocks: 9
; NumSGPRsForWavesPerEU: 19
; NumVGPRsForWavesPerEU: 75
; Occupancy: 16
; WaveLimiterHint : 1
; COMPUTE_PGM_RSRC2:SCRATCH_EN: 1
; COMPUTE_PGM_RSRC2:USER_SGPR: 15
; COMPUTE_PGM_RSRC2:TRAP_HANDLER: 0
; COMPUTE_PGM_RSRC2:TGID_X_EN: 1
; COMPUTE_PGM_RSRC2:TGID_Y_EN: 0
; COMPUTE_PGM_RSRC2:TGID_Z_EN: 0
; COMPUTE_PGM_RSRC2:TIDIG_COMP_CNT: 0
	.section	.text._ZN9rocsolver6v33100L18getri_kernel_smallILi22EfPKPfEEvT1_iilPiilS6_bb,"axG",@progbits,_ZN9rocsolver6v33100L18getri_kernel_smallILi22EfPKPfEEvT1_iilPiilS6_bb,comdat
	.globl	_ZN9rocsolver6v33100L18getri_kernel_smallILi22EfPKPfEEvT1_iilPiilS6_bb ; -- Begin function _ZN9rocsolver6v33100L18getri_kernel_smallILi22EfPKPfEEvT1_iilPiilS6_bb
	.p2align	8
	.type	_ZN9rocsolver6v33100L18getri_kernel_smallILi22EfPKPfEEvT1_iilPiilS6_bb,@function
_ZN9rocsolver6v33100L18getri_kernel_smallILi22EfPKPfEEvT1_iilPiilS6_bb: ; @_ZN9rocsolver6v33100L18getri_kernel_smallILi22EfPKPfEEvT1_iilPiilS6_bb
; %bb.0:
	s_mov_b32 s2, exec_lo
	v_cmpx_gt_u32_e32 22, v0
	s_cbranch_execz .LBB85_96
; %bb.1:
	s_clause 0x1
	s_load_b32 s13, s[0:1], 0x38
	s_load_b64 s[2:3], s[0:1], 0x0
	s_mov_b32 s8, s15
	s_load_b128 s[4:7], s[0:1], 0x28
	s_waitcnt lgkmcnt(0)
	s_bitcmp1_b32 s13, 8
	s_cselect_b32 s12, -1, 0
	s_ashr_i32 s9, s15, 31
	s_delay_alu instid0(SALU_CYCLE_1) | instskip(NEXT) | instid1(SALU_CYCLE_1)
	s_lshl_b64 s[10:11], s[8:9], 3
	s_add_u32 s2, s2, s10
	s_addc_u32 s3, s3, s11
	s_load_b64 s[10:11], s[2:3], 0x0
	s_bfe_u32 s2, s13, 0x10008
	s_delay_alu instid0(SALU_CYCLE_1)
	s_cmp_eq_u32 s2, 0
                                        ; implicit-def: $sgpr2_sgpr3
	s_cbranch_scc1 .LBB85_3
; %bb.2:
	s_clause 0x1
	s_load_b32 s2, s[0:1], 0x20
	s_load_b64 s[14:15], s[0:1], 0x18
	s_mul_i32 s3, s8, s5
	s_mul_hi_u32 s5, s8, s4
	s_mul_i32 s16, s9, s4
	s_add_i32 s3, s5, s3
	s_mul_i32 s4, s8, s4
	s_add_i32 s5, s3, s16
	s_delay_alu instid0(SALU_CYCLE_1)
	s_lshl_b64 s[4:5], s[4:5], 2
	s_waitcnt lgkmcnt(0)
	s_ashr_i32 s3, s2, 31
	s_add_u32 s4, s14, s4
	s_addc_u32 s5, s15, s5
	s_lshl_b64 s[2:3], s[2:3], 2
	s_delay_alu instid0(SALU_CYCLE_1)
	s_add_u32 s2, s4, s2
	s_addc_u32 s3, s5, s3
.LBB85_3:
	s_load_b64 s[0:1], s[0:1], 0x8
	v_lshlrev_b32_e32 v45, 2, v0
	s_waitcnt lgkmcnt(0)
	v_add3_u32 v3, s1, s1, v0
	s_ashr_i32 s5, s0, 31
	s_mov_b32 s4, s0
	s_mov_b32 s14, s1
	s_lshl_b64 s[4:5], s[4:5], 2
	v_add_nc_u32_e32 v5, s1, v3
	v_ashrrev_i32_e32 v4, 31, v3
	s_add_u32 s4, s10, s4
	s_addc_u32 s5, s11, s5
	v_add_co_u32 v1, s0, s4, v45
	v_add_nc_u32_e32 v9, s1, v5
	v_ashrrev_i32_e32 v6, 31, v5
	s_ashr_i32 s15, s1, 31
	v_add_co_ci_u32_e64 v2, null, s5, 0, s0
	v_lshlrev_b64 v[7:8], 2, v[3:4]
	s_lshl_b64 s[10:11], s[14:15], 2
	v_add_nc_u32_e32 v13, s1, v9
	v_add_co_u32 v3, vcc_lo, v1, s10
	v_lshlrev_b64 v[11:12], 2, v[5:6]
	v_add_co_ci_u32_e32 v4, vcc_lo, s11, v2, vcc_lo
	v_add_co_u32 v5, vcc_lo, s4, v7
	v_ashrrev_i32_e32 v14, 31, v13
	v_add_nc_u32_e32 v15, s1, v13
	v_ashrrev_i32_e32 v10, 31, v9
	v_add_co_ci_u32_e32 v6, vcc_lo, s5, v8, vcc_lo
	v_add_co_u32 v7, vcc_lo, s4, v11
	v_add_co_ci_u32_e32 v8, vcc_lo, s5, v12, vcc_lo
	v_lshlrev_b64 v[11:12], 2, v[13:14]
	v_add_nc_u32_e32 v13, s1, v15
	v_lshlrev_b64 v[9:10], 2, v[9:10]
	v_ashrrev_i32_e32 v16, 31, v15
	global_load_b32 v46, v45, s[4:5]
	s_bitcmp0_b32 s13, 0
	v_ashrrev_i32_e32 v14, 31, v13
	v_add_nc_u32_e32 v17, s1, v13
	v_add_co_u32 v9, vcc_lo, s4, v9
	v_lshlrev_b64 v[15:16], 2, v[15:16]
	v_add_co_ci_u32_e32 v10, vcc_lo, s5, v10, vcc_lo
	v_add_co_u32 v11, vcc_lo, s4, v11
	v_lshlrev_b64 v[19:20], 2, v[13:14]
	v_add_nc_u32_e32 v21, s1, v17
	v_add_co_ci_u32_e32 v12, vcc_lo, s5, v12, vcc_lo
	v_add_co_u32 v13, vcc_lo, s4, v15
	v_add_co_ci_u32_e32 v14, vcc_lo, s5, v16, vcc_lo
	v_add_co_u32 v15, vcc_lo, s4, v19
	v_add_nc_u32_e32 v19, s1, v21
	v_ashrrev_i32_e32 v18, 31, v17
	v_ashrrev_i32_e32 v22, 31, v21
	v_add_co_ci_u32_e32 v16, vcc_lo, s5, v20, vcc_lo
	s_delay_alu instid0(VALU_DEP_4) | instskip(NEXT) | instid1(VALU_DEP_4)
	v_add_nc_u32_e32 v23, s1, v19
	v_lshlrev_b64 v[17:18], 2, v[17:18]
	v_ashrrev_i32_e32 v20, 31, v19
	v_lshlrev_b64 v[21:22], 2, v[21:22]
	s_delay_alu instid0(VALU_DEP_4)
	v_add_nc_u32_e32 v27, s1, v23
	v_ashrrev_i32_e32 v24, 31, v23
	v_add_co_u32 v17, vcc_lo, s4, v17
	v_lshlrev_b64 v[25:26], 2, v[19:20]
	v_add_co_ci_u32_e32 v18, vcc_lo, s5, v18, vcc_lo
	v_add_co_u32 v19, vcc_lo, s4, v21
	v_ashrrev_i32_e32 v28, 31, v27
	v_add_nc_u32_e32 v29, s1, v27
	v_add_co_ci_u32_e32 v20, vcc_lo, s5, v22, vcc_lo
	v_add_co_u32 v21, vcc_lo, s4, v25
	v_add_co_ci_u32_e32 v22, vcc_lo, s5, v26, vcc_lo
	v_lshlrev_b64 v[25:26], 2, v[27:28]
	v_add_nc_u32_e32 v27, s1, v29
	v_lshlrev_b64 v[23:24], 2, v[23:24]
	v_ashrrev_i32_e32 v30, 31, v29
	s_clause 0x7
	global_load_b32 v47, v[3:4], off
	global_load_b32 v48, v[5:6], off
	;; [unrolled: 1-line block ×8, first 2 shown]
	v_add_nc_u32_e32 v31, s1, v27
	v_ashrrev_i32_e32 v28, 31, v27
	v_add_co_u32 v23, vcc_lo, s4, v23
	v_lshlrev_b64 v[29:30], 2, v[29:30]
	s_delay_alu instid0(VALU_DEP_4)
	v_add_nc_u32_e32 v35, s1, v31
	v_add_co_ci_u32_e32 v24, vcc_lo, s5, v24, vcc_lo
	v_add_co_u32 v25, vcc_lo, s4, v25
	v_lshlrev_b64 v[33:34], 2, v[27:28]
	v_add_co_ci_u32_e32 v26, vcc_lo, s5, v26, vcc_lo
	v_add_co_u32 v27, vcc_lo, s4, v29
	v_ashrrev_i32_e32 v36, 31, v35
	v_add_co_ci_u32_e32 v28, vcc_lo, s5, v30, vcc_lo
	v_add_co_u32 v29, vcc_lo, s4, v33
	v_add_co_ci_u32_e32 v30, vcc_lo, s5, v34, vcc_lo
	s_delay_alu instid0(VALU_DEP_4) | instskip(SKIP_2) | instid1(VALU_DEP_2)
	v_lshlrev_b64 v[33:34], 2, v[35:36]
	v_add_nc_u32_e32 v35, s1, v35
	v_ashrrev_i32_e32 v32, 31, v31
	v_add_nc_u32_e32 v37, s1, v35
	s_delay_alu instid0(VALU_DEP_2) | instskip(SKIP_1) | instid1(VALU_DEP_3)
	v_lshlrev_b64 v[31:32], 2, v[31:32]
	v_ashrrev_i32_e32 v36, 31, v35
	v_add_nc_u32_e32 v39, s1, v37
	v_ashrrev_i32_e32 v38, 31, v37
	s_delay_alu instid0(VALU_DEP_4) | instskip(NEXT) | instid1(VALU_DEP_4)
	v_add_co_u32 v31, vcc_lo, s4, v31
	v_lshlrev_b64 v[35:36], 2, v[35:36]
	s_delay_alu instid0(VALU_DEP_4) | instskip(SKIP_3) | instid1(VALU_DEP_4)
	v_add_nc_u32_e32 v41, s1, v39
	v_ashrrev_i32_e32 v40, 31, v39
	v_add_co_ci_u32_e32 v32, vcc_lo, s5, v32, vcc_lo
	v_add_co_u32 v33, vcc_lo, s4, v33
	v_add_nc_u32_e32 v43, s1, v41
	v_lshlrev_b64 v[37:38], 2, v[37:38]
	v_ashrrev_i32_e32 v42, 31, v41
	v_add_co_ci_u32_e32 v34, vcc_lo, s5, v34, vcc_lo
	v_add_co_u32 v35, vcc_lo, s4, v35
	v_lshlrev_b64 v[39:40], 2, v[39:40]
	v_ashrrev_i32_e32 v44, 31, v43
	v_add_co_ci_u32_e32 v36, vcc_lo, s5, v36, vcc_lo
	v_add_co_u32 v37, vcc_lo, s4, v37
	v_lshlrev_b64 v[41:42], 2, v[41:42]
	v_add_co_ci_u32_e32 v38, vcc_lo, s5, v38, vcc_lo
	v_add_co_u32 v39, vcc_lo, s4, v39
	v_lshlrev_b64 v[43:44], 2, v[43:44]
	v_add_co_ci_u32_e32 v40, vcc_lo, s5, v40, vcc_lo
	v_add_co_u32 v41, vcc_lo, s4, v41
	v_add_co_ci_u32_e32 v42, vcc_lo, s5, v42, vcc_lo
	s_delay_alu instid0(VALU_DEP_4)
	v_add_co_u32 v43, vcc_lo, s4, v43
	v_add_co_ci_u32_e32 v44, vcc_lo, s5, v44, vcc_lo
	s_clause 0xc
	global_load_b32 v55, v[19:20], off
	global_load_b32 v56, v[21:22], off
	;; [unrolled: 1-line block ×13, first 2 shown]
	s_mov_b32 s1, -1
	s_waitcnt vmcnt(18)
	scratch_store_b128 off, v[46:49], off
	s_waitcnt vmcnt(14)
	scratch_store_b128 off, v[50:53], off offset:16
	s_waitcnt vmcnt(10)
	scratch_store_b128 off, v[54:57], off offset:32
	;; [unrolled: 2-line block ×4, first 2 shown]
	s_waitcnt vmcnt(0)
	scratch_store_b64 off, v[66:67], off offset:80
	s_cbranch_scc1 .LBB85_94
; %bb.4:
	v_cmp_eq_u32_e64 s0, 0, v0
	s_delay_alu instid0(VALU_DEP_1)
	s_and_saveexec_b32 s1, s0
	s_cbranch_execz .LBB85_6
; %bb.5:
	v_mov_b32_e32 v46, 0
	ds_store_b32 v46, v46 offset:88
.LBB85_6:
	s_or_b32 exec_lo, exec_lo, s1
	s_waitcnt lgkmcnt(0)
	s_waitcnt_vscnt null, 0x0
	s_barrier
	buffer_gl0_inv
	scratch_load_b32 v46, v45, off
	s_mov_b32 s4, exec_lo
	s_waitcnt vmcnt(0)
	v_cmpx_eq_f32_e32 0, v46
	s_cbranch_execz .LBB85_10
; %bb.7:
	v_mov_b32_e32 v46, 0
	s_mov_b32 s5, 0
	ds_load_b32 v47, v46 offset:88
	s_waitcnt lgkmcnt(0)
	v_readfirstlane_b32 s1, v47
	v_add_nc_u32_e32 v47, 1, v0
	s_delay_alu instid0(VALU_DEP_2) | instskip(NEXT) | instid1(VALU_DEP_1)
	s_cmp_eq_u32 s1, 0
	v_cmp_gt_i32_e32 vcc_lo, s1, v47
	s_cselect_b32 s10, -1, 0
	s_delay_alu instid0(SALU_CYCLE_1) | instskip(NEXT) | instid1(SALU_CYCLE_1)
	s_or_b32 s10, s10, vcc_lo
	s_and_b32 exec_lo, exec_lo, s10
	s_cbranch_execz .LBB85_10
; %bb.8:
	v_mov_b32_e32 v48, s1
.LBB85_9:                               ; =>This Inner Loop Header: Depth=1
	ds_cmpstore_rtn_b32 v48, v46, v47, v48 offset:88
	s_waitcnt lgkmcnt(0)
	v_cmp_ne_u32_e32 vcc_lo, 0, v48
	v_cmp_le_i32_e64 s1, v48, v47
	s_delay_alu instid0(VALU_DEP_1) | instskip(NEXT) | instid1(SALU_CYCLE_1)
	s_and_b32 s1, vcc_lo, s1
	s_and_b32 s1, exec_lo, s1
	s_delay_alu instid0(SALU_CYCLE_1) | instskip(NEXT) | instid1(SALU_CYCLE_1)
	s_or_b32 s5, s1, s5
	s_and_not1_b32 exec_lo, exec_lo, s5
	s_cbranch_execnz .LBB85_9
.LBB85_10:
	s_or_b32 exec_lo, exec_lo, s4
	v_mov_b32_e32 v46, 0
	s_barrier
	buffer_gl0_inv
	ds_load_b32 v47, v46 offset:88
	s_and_saveexec_b32 s1, s0
	s_cbranch_execz .LBB85_12
; %bb.11:
	s_lshl_b64 s[4:5], s[8:9], 2
	s_delay_alu instid0(SALU_CYCLE_1)
	s_add_u32 s4, s6, s4
	s_addc_u32 s5, s7, s5
	s_waitcnt lgkmcnt(0)
	global_store_b32 v46, v47, s[4:5]
.LBB85_12:
	s_or_b32 exec_lo, exec_lo, s1
	s_waitcnt lgkmcnt(0)
	v_cmp_ne_u32_e32 vcc_lo, 0, v47
	s_mov_b32 s1, 0
	s_cbranch_vccnz .LBB85_94
; %bb.13:
	v_add_nc_u32_e32 v46, 0, v45
	scratch_load_b32 v47, v46, off
	s_waitcnt vmcnt(0)
	v_div_scale_f32 v48, null, v47, v47, 1.0
	v_div_scale_f32 v51, vcc_lo, 1.0, v47, 1.0
	s_delay_alu instid0(VALU_DEP_2) | instskip(SKIP_2) | instid1(VALU_DEP_1)
	v_rcp_f32_e32 v49, v48
	s_waitcnt_depctr 0xfff
	v_fma_f32 v50, -v48, v49, 1.0
	v_fmac_f32_e32 v49, v50, v49
	s_delay_alu instid0(VALU_DEP_1) | instskip(NEXT) | instid1(VALU_DEP_1)
	v_mul_f32_e32 v50, v51, v49
	v_fma_f32 v52, -v48, v50, v51
	s_delay_alu instid0(VALU_DEP_1) | instskip(NEXT) | instid1(VALU_DEP_1)
	v_fmac_f32_e32 v50, v52, v49
	v_fma_f32 v48, -v48, v50, v51
	s_delay_alu instid0(VALU_DEP_1) | instskip(NEXT) | instid1(VALU_DEP_1)
	v_div_fmas_f32 v48, v48, v49, v50
	v_div_fixup_f32 v47, v48, v47, 1.0
	scratch_store_b32 v46, v47, off
	scratch_load_b32 v48, off, off offset:4
	v_xor_b32_e32 v49, 0x80000000, v47
	v_add_nc_u32_e32 v47, 0x60, v45
	s_waitcnt vmcnt(0)
	ds_store_2addr_b32 v45, v49, v48 offset1:24
	s_waitcnt lgkmcnt(0)
	s_waitcnt_vscnt null, 0x0
	s_barrier
	buffer_gl0_inv
	s_and_saveexec_b32 s1, s0
	s_cbranch_execz .LBB85_15
; %bb.14:
	scratch_load_b32 v48, v46, off
	ds_load_b32 v49, v47
	v_mov_b32_e32 v50, 0
	ds_load_b32 v50, v50 offset:4
	s_waitcnt vmcnt(0) lgkmcnt(1)
	v_fma_f32 v48, v48, v49, 0
	s_waitcnt lgkmcnt(0)
	s_delay_alu instid0(VALU_DEP_1)
	v_mul_f32_e32 v48, v48, v50
	scratch_store_b32 off, v48, off offset:4
.LBB85_15:
	s_or_b32 exec_lo, exec_lo, s1
	s_waitcnt_vscnt null, 0x0
	s_barrier
	buffer_gl0_inv
	scratch_load_b32 v48, off, off offset:8
	s_mov_b32 s1, exec_lo
	s_waitcnt vmcnt(0)
	ds_store_b32 v47, v48
	s_waitcnt lgkmcnt(0)
	s_barrier
	buffer_gl0_inv
	v_cmpx_gt_u32_e32 2, v0
	s_cbranch_execz .LBB85_17
; %bb.16:
	scratch_load_b32 v50, v46, off
	scratch_load_b32 v51, off, off offset:4
	ds_load_b32 v52, v47
	v_mov_b32_e32 v48, 0
	ds_load_2addr_b32 v[48:49], v48 offset0:2 offset1:25
	s_waitcnt vmcnt(1) lgkmcnt(1)
	v_fma_f32 v50, v50, v52, 0
	s_waitcnt vmcnt(0) lgkmcnt(0)
	s_delay_alu instid0(VALU_DEP_1) | instskip(NEXT) | instid1(VALU_DEP_1)
	v_fma_f32 v49, v51, v49, v50
	v_cndmask_b32_e64 v49, v50, v49, s0
	s_delay_alu instid0(VALU_DEP_1)
	v_mul_f32_e32 v48, v49, v48
	scratch_store_b32 off, v48, off offset:8
.LBB85_17:
	s_or_b32 exec_lo, exec_lo, s1
	s_waitcnt_vscnt null, 0x0
	s_barrier
	buffer_gl0_inv
	scratch_load_b32 v49, off, off offset:12
	v_add_nc_u32_e32 v48, -1, v0
	s_mov_b32 s0, exec_lo
	s_waitcnt vmcnt(0)
	ds_store_b32 v47, v49
	s_waitcnt lgkmcnt(0)
	s_barrier
	buffer_gl0_inv
	v_cmpx_gt_u32_e32 3, v0
	s_cbranch_execz .LBB85_21
; %bb.18:
	v_dual_mov_b32 v49, 0 :: v_dual_add_nc_u32 v50, -1, v0
	v_add_nc_u32_e32 v51, 0x60, v45
	v_add_nc_u32_e32 v52, 0, v45
	s_mov_b32 s1, 0
.LBB85_19:                              ; =>This Inner Loop Header: Depth=1
	scratch_load_b32 v53, v52, off
	ds_load_b32 v54, v51
	v_add_nc_u32_e32 v50, 1, v50
	v_add_nc_u32_e32 v51, 4, v51
	v_add_nc_u32_e32 v52, 4, v52
	s_delay_alu instid0(VALU_DEP_3)
	v_cmp_lt_u32_e32 vcc_lo, 1, v50
	s_or_b32 s1, vcc_lo, s1
	s_waitcnt vmcnt(0) lgkmcnt(0)
	v_fmac_f32_e32 v49, v53, v54
	s_and_not1_b32 exec_lo, exec_lo, s1
	s_cbranch_execnz .LBB85_19
; %bb.20:
	s_or_b32 exec_lo, exec_lo, s1
	v_mov_b32_e32 v50, 0
	ds_load_b32 v50, v50 offset:12
	s_waitcnt lgkmcnt(0)
	v_mul_f32_e32 v49, v49, v50
	scratch_store_b32 off, v49, off offset:12
.LBB85_21:
	s_or_b32 exec_lo, exec_lo, s0
	s_waitcnt_vscnt null, 0x0
	s_barrier
	buffer_gl0_inv
	scratch_load_b32 v49, off, off offset:16
	s_mov_b32 s0, exec_lo
	s_waitcnt vmcnt(0)
	ds_store_b32 v47, v49
	s_waitcnt lgkmcnt(0)
	s_barrier
	buffer_gl0_inv
	v_cmpx_gt_u32_e32 4, v0
	s_cbranch_execz .LBB85_25
; %bb.22:
	v_dual_mov_b32 v49, 0 :: v_dual_add_nc_u32 v50, -1, v0
	v_add_nc_u32_e32 v51, 0x60, v45
	v_add_nc_u32_e32 v52, 0, v45
	s_mov_b32 s1, 0
.LBB85_23:                              ; =>This Inner Loop Header: Depth=1
	scratch_load_b32 v53, v52, off
	ds_load_b32 v54, v51
	v_add_nc_u32_e32 v50, 1, v50
	v_add_nc_u32_e32 v51, 4, v51
	v_add_nc_u32_e32 v52, 4, v52
	s_delay_alu instid0(VALU_DEP_3)
	v_cmp_lt_u32_e32 vcc_lo, 2, v50
	s_or_b32 s1, vcc_lo, s1
	s_waitcnt vmcnt(0) lgkmcnt(0)
	v_fmac_f32_e32 v49, v53, v54
	s_and_not1_b32 exec_lo, exec_lo, s1
	s_cbranch_execnz .LBB85_23
; %bb.24:
	s_or_b32 exec_lo, exec_lo, s1
	v_mov_b32_e32 v50, 0
	ds_load_b32 v50, v50 offset:16
	s_waitcnt lgkmcnt(0)
	v_mul_f32_e32 v49, v49, v50
	scratch_store_b32 off, v49, off offset:16
.LBB85_25:
	s_or_b32 exec_lo, exec_lo, s0
	s_waitcnt_vscnt null, 0x0
	s_barrier
	buffer_gl0_inv
	scratch_load_b32 v49, off, off offset:20
	;; [unrolled: 39-line block ×17, first 2 shown]
	s_mov_b32 s0, exec_lo
	s_waitcnt vmcnt(0)
	ds_store_b32 v47, v49
	s_waitcnt lgkmcnt(0)
	s_barrier
	buffer_gl0_inv
	v_cmpx_gt_u32_e32 20, v0
	s_cbranch_execz .LBB85_89
; %bb.86:
	v_add_nc_u32_e32 v49, -1, v0
	v_add_nc_u32_e32 v50, 0x60, v45
	v_add_nc_u32_e32 v51, 0, v45
	v_mov_b32_e32 v45, 0
	s_mov_b32 s1, 0
.LBB85_87:                              ; =>This Inner Loop Header: Depth=1
	scratch_load_b32 v52, v51, off
	ds_load_b32 v53, v50
	v_add_nc_u32_e32 v49, 1, v49
	v_add_nc_u32_e32 v50, 4, v50
	;; [unrolled: 1-line block ×3, first 2 shown]
	s_delay_alu instid0(VALU_DEP_3)
	v_cmp_lt_u32_e32 vcc_lo, 18, v49
	s_or_b32 s1, vcc_lo, s1
	s_waitcnt vmcnt(0) lgkmcnt(0)
	v_fmac_f32_e32 v45, v52, v53
	s_and_not1_b32 exec_lo, exec_lo, s1
	s_cbranch_execnz .LBB85_87
; %bb.88:
	s_or_b32 exec_lo, exec_lo, s1
	v_mov_b32_e32 v49, 0
	ds_load_b32 v49, v49 offset:80
	s_waitcnt lgkmcnt(0)
	v_mul_f32_e32 v45, v45, v49
	scratch_store_b32 off, v45, off offset:80
.LBB85_89:
	s_or_b32 exec_lo, exec_lo, s0
	s_waitcnt_vscnt null, 0x0
	s_barrier
	buffer_gl0_inv
	scratch_load_b32 v45, off, off offset:84
	s_mov_b32 s0, exec_lo
	s_waitcnt vmcnt(0)
	ds_store_b32 v47, v45
	s_waitcnt lgkmcnt(0)
	s_barrier
	buffer_gl0_inv
	v_cmpx_ne_u32_e32 21, v0
	s_cbranch_execz .LBB85_93
; %bb.90:
	v_mov_b32_e32 v45, 0
	s_mov_b32 s1, 0
.LBB85_91:                              ; =>This Inner Loop Header: Depth=1
	scratch_load_b32 v49, v46, off
	ds_load_b32 v50, v47
	v_add_nc_u32_e32 v48, 1, v48
	v_add_nc_u32_e32 v47, 4, v47
	;; [unrolled: 1-line block ×3, first 2 shown]
	s_waitcnt vmcnt(0) lgkmcnt(0)
	v_fmac_f32_e32 v45, v49, v50
	v_cmp_lt_u32_e32 vcc_lo, 19, v48
	s_or_b32 s1, vcc_lo, s1
	s_delay_alu instid0(SALU_CYCLE_1)
	s_and_not1_b32 exec_lo, exec_lo, s1
	s_cbranch_execnz .LBB85_91
; %bb.92:
	s_or_b32 exec_lo, exec_lo, s1
	v_mov_b32_e32 v46, 0
	ds_load_b32 v46, v46 offset:84
	s_waitcnt lgkmcnt(0)
	v_mul_f32_e32 v45, v45, v46
	scratch_store_b32 off, v45, off offset:84
.LBB85_93:
	s_or_b32 exec_lo, exec_lo, s0
	s_mov_b32 s1, -1
	s_waitcnt_vscnt null, 0x0
	s_barrier
	buffer_gl0_inv
.LBB85_94:
	s_and_b32 vcc_lo, exec_lo, s1
	s_cbranch_vccz .LBB85_96
; %bb.95:
	s_lshl_b64 s[0:1], s[8:9], 2
	v_mov_b32_e32 v45, 0
	s_add_u32 s0, s6, s0
	s_addc_u32 s1, s7, s1
	global_load_b32 v45, v45, s[0:1]
	s_waitcnt vmcnt(0)
	v_cmp_ne_u32_e32 vcc_lo, 0, v45
	s_cbranch_vccz .LBB85_97
.LBB85_96:
	s_endpgm
.LBB85_97:
	v_lshl_add_u32 v45, v0, 2, 0x60
	s_mov_b32 s0, exec_lo
	v_cmpx_eq_u32_e32 21, v0
	s_cbranch_execz .LBB85_99
; %bb.98:
	scratch_load_b32 v46, off, off offset:80
	v_mov_b32_e32 v47, 0
	scratch_store_b32 off, v47, off offset:80
	s_waitcnt vmcnt(0)
	ds_store_b32 v45, v46
.LBB85_99:
	s_or_b32 exec_lo, exec_lo, s0
	s_waitcnt lgkmcnt(0)
	s_waitcnt_vscnt null, 0x0
	s_barrier
	buffer_gl0_inv
	scratch_load_b64 v[47:48], off, off offset:80
	v_mov_b32_e32 v46, 0
	s_mov_b32 s0, exec_lo
	ds_load_b32 v49, v46 offset:180
	s_waitcnt vmcnt(0) lgkmcnt(0)
	v_fma_f32 v48, v48, v49, 0
	s_delay_alu instid0(VALU_DEP_1)
	v_sub_f32_e32 v47, v47, v48
	scratch_store_b32 off, v47, off offset:80
	v_cmpx_lt_u32_e32 19, v0
	s_cbranch_execz .LBB85_101
; %bb.100:
	scratch_load_b32 v47, off, off offset:76
	scratch_store_b32 off, v46, off offset:76
	s_waitcnt vmcnt(0)
	ds_store_b32 v45, v47
.LBB85_101:
	s_or_b32 exec_lo, exec_lo, s0
	s_waitcnt lgkmcnt(0)
	s_waitcnt_vscnt null, 0x0
	s_barrier
	buffer_gl0_inv
	scratch_load_b96 v[47:49], off, off offset:76
	ds_load_b64 v[50:51], v46 offset:176
	s_mov_b32 s0, exec_lo
	s_waitcnt vmcnt(0) lgkmcnt(0)
	v_fma_f32 v46, v48, v50, 0
	s_delay_alu instid0(VALU_DEP_1) | instskip(NEXT) | instid1(VALU_DEP_1)
	v_fmac_f32_e32 v46, v49, v51
	v_sub_f32_e32 v46, v47, v46
	scratch_store_b32 off, v46, off offset:76
	v_cmpx_lt_u32_e32 18, v0
	s_cbranch_execz .LBB85_103
; %bb.102:
	scratch_load_b32 v46, off, off offset:72
	v_mov_b32_e32 v47, 0
	scratch_store_b32 off, v47, off offset:72
	s_waitcnt vmcnt(0)
	ds_store_b32 v45, v46
.LBB85_103:
	s_or_b32 exec_lo, exec_lo, s0
	s_waitcnt lgkmcnt(0)
	s_waitcnt_vscnt null, 0x0
	s_barrier
	buffer_gl0_inv
	scratch_load_b128 v[47:50], off, off offset:72
	v_mov_b32_e32 v46, 0
	ds_load_2addr_b32 v[51:52], v46 offset0:43 offset1:44
	ds_load_b32 v53, v46 offset:180
	s_mov_b32 s0, exec_lo
	s_waitcnt vmcnt(0) lgkmcnt(1)
	v_fma_f32 v48, v48, v51, 0
	s_delay_alu instid0(VALU_DEP_1) | instskip(SKIP_1) | instid1(VALU_DEP_1)
	v_fmac_f32_e32 v48, v49, v52
	s_waitcnt lgkmcnt(0)
	v_fmac_f32_e32 v48, v50, v53
	s_delay_alu instid0(VALU_DEP_1)
	v_sub_f32_e32 v47, v47, v48
	scratch_store_b32 off, v47, off offset:72
	v_cmpx_lt_u32_e32 17, v0
	s_cbranch_execz .LBB85_105
; %bb.104:
	scratch_load_b32 v47, off, off offset:68
	scratch_store_b32 off, v46, off offset:68
	s_waitcnt vmcnt(0)
	ds_store_b32 v45, v47
.LBB85_105:
	s_or_b32 exec_lo, exec_lo, s0
	s_waitcnt lgkmcnt(0)
	s_waitcnt_vscnt null, 0x0
	s_barrier
	buffer_gl0_inv
	s_clause 0x1
	scratch_load_b128 v[47:50], off, off offset:68
	scratch_load_b32 v55, off, off offset:84
	ds_load_2addr_b64 v[51:54], v46 offset0:21 offset1:22
	s_mov_b32 s0, exec_lo
	s_waitcnt vmcnt(1) lgkmcnt(0)
	v_fma_f32 v46, v48, v51, 0
	s_delay_alu instid0(VALU_DEP_1) | instskip(NEXT) | instid1(VALU_DEP_1)
	v_fmac_f32_e32 v46, v49, v52
	v_fmac_f32_e32 v46, v50, v53
	s_waitcnt vmcnt(0)
	s_delay_alu instid0(VALU_DEP_1) | instskip(NEXT) | instid1(VALU_DEP_1)
	v_fmac_f32_e32 v46, v55, v54
	v_sub_f32_e32 v46, v47, v46
	scratch_store_b32 off, v46, off offset:68
	v_cmpx_lt_u32_e32 16, v0
	s_cbranch_execz .LBB85_107
; %bb.106:
	scratch_load_b32 v46, off, off offset:64
	v_mov_b32_e32 v47, 0
	scratch_store_b32 off, v47, off offset:64
	s_waitcnt vmcnt(0)
	ds_store_b32 v45, v46
.LBB85_107:
	s_or_b32 exec_lo, exec_lo, s0
	s_waitcnt lgkmcnt(0)
	s_waitcnt_vscnt null, 0x0
	s_barrier
	buffer_gl0_inv
	s_clause 0x1
	scratch_load_b128 v[47:50], off, off offset:64
	scratch_load_b64 v[51:52], off, off offset:80
	v_mov_b32_e32 v46, 0
	ds_load_2addr_b32 v[53:54], v46 offset0:41 offset1:42
	ds_load_2addr_b32 v[55:56], v46 offset0:43 offset1:44
	ds_load_b32 v57, v46 offset:180
	s_mov_b32 s0, exec_lo
	s_waitcnt vmcnt(1) lgkmcnt(2)
	v_fma_f32 v48, v48, v53, 0
	s_delay_alu instid0(VALU_DEP_1) | instskip(SKIP_1) | instid1(VALU_DEP_1)
	v_fmac_f32_e32 v48, v49, v54
	s_waitcnt lgkmcnt(1)
	v_fmac_f32_e32 v48, v50, v55
	s_waitcnt vmcnt(0)
	s_delay_alu instid0(VALU_DEP_1) | instskip(SKIP_1) | instid1(VALU_DEP_1)
	v_fmac_f32_e32 v48, v51, v56
	s_waitcnt lgkmcnt(0)
	v_fmac_f32_e32 v48, v52, v57
	s_delay_alu instid0(VALU_DEP_1)
	v_sub_f32_e32 v47, v47, v48
	scratch_store_b32 off, v47, off offset:64
	v_cmpx_lt_u32_e32 15, v0
	s_cbranch_execz .LBB85_109
; %bb.108:
	scratch_load_b32 v47, off, off offset:60
	scratch_store_b32 off, v46, off offset:60
	s_waitcnt vmcnt(0)
	ds_store_b32 v45, v47
.LBB85_109:
	s_or_b32 exec_lo, exec_lo, s0
	s_waitcnt lgkmcnt(0)
	s_waitcnt_vscnt null, 0x0
	s_barrier
	buffer_gl0_inv
	s_clause 0x1
	scratch_load_b128 v[47:50], off, off offset:60
	scratch_load_b96 v[55:57], off, off offset:76
	ds_load_b128 v[51:54], v46 offset:160
	ds_load_b64 v[58:59], v46 offset:176
	s_mov_b32 s0, exec_lo
	s_waitcnt vmcnt(1) lgkmcnt(1)
	v_fma_f32 v46, v48, v51, 0
	s_delay_alu instid0(VALU_DEP_1) | instskip(NEXT) | instid1(VALU_DEP_1)
	v_fmac_f32_e32 v46, v49, v52
	v_fmac_f32_e32 v46, v50, v53
	s_waitcnt vmcnt(0)
	s_delay_alu instid0(VALU_DEP_1) | instskip(SKIP_1) | instid1(VALU_DEP_1)
	v_fmac_f32_e32 v46, v55, v54
	s_waitcnt lgkmcnt(0)
	v_fmac_f32_e32 v46, v56, v58
	s_delay_alu instid0(VALU_DEP_1) | instskip(NEXT) | instid1(VALU_DEP_1)
	v_fmac_f32_e32 v46, v57, v59
	v_sub_f32_e32 v46, v47, v46
	scratch_store_b32 off, v46, off offset:60
	v_cmpx_lt_u32_e32 14, v0
	s_cbranch_execz .LBB85_111
; %bb.110:
	scratch_load_b32 v46, off, off offset:56
	v_mov_b32_e32 v47, 0
	scratch_store_b32 off, v47, off offset:56
	s_waitcnt vmcnt(0)
	ds_store_b32 v45, v46
.LBB85_111:
	s_or_b32 exec_lo, exec_lo, s0
	s_waitcnt lgkmcnt(0)
	s_waitcnt_vscnt null, 0x0
	s_barrier
	buffer_gl0_inv
	s_clause 0x1
	scratch_load_b128 v[47:50], off, off offset:56
	scratch_load_b128 v[51:54], off, off offset:72
	v_mov_b32_e32 v46, 0
	ds_load_2addr_b32 v[55:56], v46 offset0:39 offset1:40
	ds_load_2addr_b32 v[57:58], v46 offset0:41 offset1:42
	;; [unrolled: 1-line block ×3, first 2 shown]
	ds_load_b32 v61, v46 offset:180
	s_mov_b32 s0, exec_lo
	s_waitcnt vmcnt(1) lgkmcnt(3)
	v_fma_f32 v48, v48, v55, 0
	s_delay_alu instid0(VALU_DEP_1) | instskip(SKIP_1) | instid1(VALU_DEP_1)
	v_fmac_f32_e32 v48, v49, v56
	s_waitcnt lgkmcnt(2)
	v_fmac_f32_e32 v48, v50, v57
	s_waitcnt vmcnt(0)
	s_delay_alu instid0(VALU_DEP_1) | instskip(SKIP_1) | instid1(VALU_DEP_1)
	v_fmac_f32_e32 v48, v51, v58
	s_waitcnt lgkmcnt(1)
	v_fmac_f32_e32 v48, v52, v59
	s_delay_alu instid0(VALU_DEP_1) | instskip(SKIP_1) | instid1(VALU_DEP_1)
	v_fmac_f32_e32 v48, v53, v60
	s_waitcnt lgkmcnt(0)
	v_fmac_f32_e32 v48, v54, v61
	s_delay_alu instid0(VALU_DEP_1)
	v_sub_f32_e32 v47, v47, v48
	scratch_store_b32 off, v47, off offset:56
	v_cmpx_lt_u32_e32 13, v0
	s_cbranch_execz .LBB85_113
; %bb.112:
	scratch_load_b32 v47, off, off offset:52
	scratch_store_b32 off, v46, off offset:52
	s_waitcnt vmcnt(0)
	ds_store_b32 v45, v47
.LBB85_113:
	s_or_b32 exec_lo, exec_lo, s0
	s_waitcnt lgkmcnt(0)
	s_waitcnt_vscnt null, 0x0
	s_barrier
	buffer_gl0_inv
	s_clause 0x2
	scratch_load_b128 v[47:50], off, off offset:52
	scratch_load_b128 v[51:54], off, off offset:68
	scratch_load_b32 v63, off, off offset:84
	ds_load_2addr_b64 v[55:58], v46 offset0:19 offset1:20
	ds_load_2addr_b64 v[59:62], v46 offset0:21 offset1:22
	s_mov_b32 s0, exec_lo
	s_waitcnt vmcnt(2) lgkmcnt(1)
	v_fma_f32 v46, v48, v55, 0
	s_delay_alu instid0(VALU_DEP_1) | instskip(NEXT) | instid1(VALU_DEP_1)
	v_fmac_f32_e32 v46, v49, v56
	v_fmac_f32_e32 v46, v50, v57
	s_waitcnt vmcnt(1)
	s_delay_alu instid0(VALU_DEP_1) | instskip(SKIP_1) | instid1(VALU_DEP_1)
	v_fmac_f32_e32 v46, v51, v58
	s_waitcnt lgkmcnt(0)
	v_fmac_f32_e32 v46, v52, v59
	s_delay_alu instid0(VALU_DEP_1) | instskip(NEXT) | instid1(VALU_DEP_1)
	v_fmac_f32_e32 v46, v53, v60
	v_fmac_f32_e32 v46, v54, v61
	s_waitcnt vmcnt(0)
	s_delay_alu instid0(VALU_DEP_1) | instskip(NEXT) | instid1(VALU_DEP_1)
	v_fmac_f32_e32 v46, v63, v62
	v_sub_f32_e32 v46, v47, v46
	scratch_store_b32 off, v46, off offset:52
	v_cmpx_lt_u32_e32 12, v0
	s_cbranch_execz .LBB85_115
; %bb.114:
	scratch_load_b32 v46, off, off offset:48
	v_mov_b32_e32 v47, 0
	scratch_store_b32 off, v47, off offset:48
	s_waitcnt vmcnt(0)
	ds_store_b32 v45, v46
.LBB85_115:
	s_or_b32 exec_lo, exec_lo, s0
	s_waitcnt lgkmcnt(0)
	s_waitcnt_vscnt null, 0x0
	s_barrier
	buffer_gl0_inv
	s_clause 0x2
	scratch_load_b128 v[47:50], off, off offset:48
	scratch_load_b128 v[51:54], off, off offset:64
	scratch_load_b64 v[55:56], off, off offset:80
	v_mov_b32_e32 v46, 0
	ds_load_2addr_b32 v[57:58], v46 offset0:37 offset1:38
	ds_load_2addr_b32 v[59:60], v46 offset0:39 offset1:40
	;; [unrolled: 1-line block ×4, first 2 shown]
	s_mov_b32 s0, exec_lo
	s_waitcnt vmcnt(2) lgkmcnt(3)
	v_fma_f32 v48, v48, v57, 0
	s_delay_alu instid0(VALU_DEP_1) | instskip(SKIP_4) | instid1(VALU_DEP_1)
	v_fmac_f32_e32 v48, v49, v58
	ds_load_b32 v49, v46 offset:180
	s_waitcnt lgkmcnt(3)
	v_fmac_f32_e32 v48, v50, v59
	s_waitcnt vmcnt(1)
	v_fmac_f32_e32 v48, v51, v60
	s_waitcnt lgkmcnt(2)
	s_delay_alu instid0(VALU_DEP_1) | instskip(NEXT) | instid1(VALU_DEP_1)
	v_fmac_f32_e32 v48, v52, v61
	v_fmac_f32_e32 v48, v53, v62
	s_waitcnt lgkmcnt(1)
	s_delay_alu instid0(VALU_DEP_1) | instskip(SKIP_1) | instid1(VALU_DEP_1)
	v_fmac_f32_e32 v48, v54, v63
	s_waitcnt vmcnt(0)
	v_fmac_f32_e32 v48, v55, v64
	s_waitcnt lgkmcnt(0)
	s_delay_alu instid0(VALU_DEP_1) | instskip(NEXT) | instid1(VALU_DEP_1)
	v_fmac_f32_e32 v48, v56, v49
	v_sub_f32_e32 v47, v47, v48
	scratch_store_b32 off, v47, off offset:48
	v_cmpx_lt_u32_e32 11, v0
	s_cbranch_execz .LBB85_117
; %bb.116:
	scratch_load_b32 v47, off, off offset:44
	scratch_store_b32 off, v46, off offset:44
	s_waitcnt vmcnt(0)
	ds_store_b32 v45, v47
.LBB85_117:
	s_or_b32 exec_lo, exec_lo, s0
	s_waitcnt lgkmcnt(0)
	s_waitcnt_vscnt null, 0x0
	s_barrier
	buffer_gl0_inv
	s_clause 0x2
	scratch_load_b128 v[47:50], off, off offset:44
	scratch_load_b128 v[51:54], off, off offset:60
	scratch_load_b96 v[63:65], off, off offset:76
	ds_load_b128 v[55:58], v46 offset:144
	ds_load_b128 v[59:62], v46 offset:160
	s_mov_b32 s0, exec_lo
	s_waitcnt vmcnt(2) lgkmcnt(1)
	v_fma_f32 v55, v48, v55, 0
	s_delay_alu instid0(VALU_DEP_1) | instskip(SKIP_3) | instid1(VALU_DEP_1)
	v_fmac_f32_e32 v55, v49, v56
	ds_load_b64 v[48:49], v46 offset:176
	v_fmac_f32_e32 v55, v50, v57
	s_waitcnt vmcnt(1)
	v_fmac_f32_e32 v55, v51, v58
	s_waitcnt lgkmcnt(1)
	s_delay_alu instid0(VALU_DEP_1) | instskip(NEXT) | instid1(VALU_DEP_1)
	v_fmac_f32_e32 v55, v52, v59
	v_fmac_f32_e32 v55, v53, v60
	s_delay_alu instid0(VALU_DEP_1) | instskip(SKIP_1) | instid1(VALU_DEP_1)
	v_fmac_f32_e32 v55, v54, v61
	s_waitcnt vmcnt(0)
	v_fmac_f32_e32 v55, v63, v62
	s_waitcnt lgkmcnt(0)
	s_delay_alu instid0(VALU_DEP_1) | instskip(NEXT) | instid1(VALU_DEP_1)
	v_fmac_f32_e32 v55, v64, v48
	v_fmac_f32_e32 v55, v65, v49
	s_delay_alu instid0(VALU_DEP_1)
	v_sub_f32_e32 v46, v47, v55
	scratch_store_b32 off, v46, off offset:44
	v_cmpx_lt_u32_e32 10, v0
	s_cbranch_execz .LBB85_119
; %bb.118:
	scratch_load_b32 v46, off, off offset:40
	v_mov_b32_e32 v47, 0
	scratch_store_b32 off, v47, off offset:40
	s_waitcnt vmcnt(0)
	ds_store_b32 v45, v46
.LBB85_119:
	s_or_b32 exec_lo, exec_lo, s0
	s_waitcnt lgkmcnt(0)
	s_waitcnt_vscnt null, 0x0
	s_barrier
	buffer_gl0_inv
	s_clause 0x2
	scratch_load_b128 v[47:50], off, off offset:40
	scratch_load_b128 v[51:54], off, off offset:56
	;; [unrolled: 1-line block ×3, first 2 shown]
	v_mov_b32_e32 v46, 0
	ds_load_2addr_b32 v[59:60], v46 offset0:35 offset1:36
	ds_load_2addr_b32 v[61:62], v46 offset0:37 offset1:38
	;; [unrolled: 1-line block ×4, first 2 shown]
	s_mov_b32 s0, exec_lo
	s_waitcnt vmcnt(2) lgkmcnt(3)
	v_fma_f32 v59, v48, v59, 0
	s_delay_alu instid0(VALU_DEP_1)
	v_fmac_f32_e32 v59, v49, v60
	ds_load_2addr_b32 v[48:49], v46 offset0:43 offset1:44
	s_waitcnt lgkmcnt(3)
	v_fmac_f32_e32 v59, v50, v61
	ds_load_b32 v50, v46 offset:180
	s_waitcnt vmcnt(1)
	v_fmac_f32_e32 v59, v51, v62
	s_waitcnt lgkmcnt(3)
	s_delay_alu instid0(VALU_DEP_1) | instskip(NEXT) | instid1(VALU_DEP_1)
	v_fmac_f32_e32 v59, v52, v63
	v_fmac_f32_e32 v59, v53, v64
	s_waitcnt lgkmcnt(2)
	s_delay_alu instid0(VALU_DEP_1) | instskip(SKIP_1) | instid1(VALU_DEP_1)
	v_fmac_f32_e32 v59, v54, v65
	s_waitcnt vmcnt(0)
	v_fmac_f32_e32 v59, v55, v66
	s_waitcnt lgkmcnt(1)
	s_delay_alu instid0(VALU_DEP_1) | instskip(NEXT) | instid1(VALU_DEP_1)
	v_fmac_f32_e32 v59, v56, v48
	v_fmac_f32_e32 v59, v57, v49
	s_waitcnt lgkmcnt(0)
	s_delay_alu instid0(VALU_DEP_1) | instskip(NEXT) | instid1(VALU_DEP_1)
	v_fmac_f32_e32 v59, v58, v50
	v_sub_f32_e32 v47, v47, v59
	scratch_store_b32 off, v47, off offset:40
	v_cmpx_lt_u32_e32 9, v0
	s_cbranch_execz .LBB85_121
; %bb.120:
	scratch_load_b32 v47, off, off offset:36
	scratch_store_b32 off, v46, off offset:36
	s_waitcnt vmcnt(0)
	ds_store_b32 v45, v47
.LBB85_121:
	s_or_b32 exec_lo, exec_lo, s0
	s_waitcnt lgkmcnt(0)
	s_waitcnt_vscnt null, 0x0
	s_barrier
	buffer_gl0_inv
	s_clause 0x3
	scratch_load_b128 v[47:50], off, off offset:36
	scratch_load_b128 v[51:54], off, off offset:52
	;; [unrolled: 1-line block ×3, first 2 shown]
	scratch_load_b32 v67, off, off offset:84
	ds_load_2addr_b64 v[59:62], v46 offset0:17 offset1:18
	ds_load_2addr_b64 v[63:66], v46 offset0:19 offset1:20
	s_mov_b32 s0, exec_lo
	s_waitcnt vmcnt(3) lgkmcnt(1)
	v_fma_f32 v59, v48, v59, 0
	s_delay_alu instid0(VALU_DEP_1) | instskip(NEXT) | instid1(VALU_DEP_1)
	v_fmac_f32_e32 v59, v49, v60
	v_fmac_f32_e32 v59, v50, v61
	s_waitcnt vmcnt(2)
	s_delay_alu instid0(VALU_DEP_1) | instskip(SKIP_3) | instid1(VALU_DEP_1)
	v_fmac_f32_e32 v59, v51, v62
	ds_load_2addr_b64 v[48:51], v46 offset0:21 offset1:22
	s_waitcnt lgkmcnt(1)
	v_fmac_f32_e32 v59, v52, v63
	v_fmac_f32_e32 v59, v53, v64
	s_delay_alu instid0(VALU_DEP_1) | instskip(SKIP_1) | instid1(VALU_DEP_1)
	v_fmac_f32_e32 v59, v54, v65
	s_waitcnt vmcnt(1)
	v_fmac_f32_e32 v59, v55, v66
	s_waitcnt lgkmcnt(0)
	s_delay_alu instid0(VALU_DEP_1) | instskip(NEXT) | instid1(VALU_DEP_1)
	v_fmac_f32_e32 v59, v56, v48
	v_fmac_f32_e32 v59, v57, v49
	s_delay_alu instid0(VALU_DEP_1) | instskip(SKIP_1) | instid1(VALU_DEP_1)
	v_fmac_f32_e32 v59, v58, v50
	s_waitcnt vmcnt(0)
	v_fmac_f32_e32 v59, v67, v51
	s_delay_alu instid0(VALU_DEP_1)
	v_sub_f32_e32 v46, v47, v59
	scratch_store_b32 off, v46, off offset:36
	v_cmpx_lt_u32_e32 8, v0
	s_cbranch_execz .LBB85_123
; %bb.122:
	scratch_load_b32 v46, off, off offset:32
	v_mov_b32_e32 v47, 0
	scratch_store_b32 off, v47, off offset:32
	s_waitcnt vmcnt(0)
	ds_store_b32 v45, v46
.LBB85_123:
	s_or_b32 exec_lo, exec_lo, s0
	s_waitcnt lgkmcnt(0)
	s_waitcnt_vscnt null, 0x0
	s_barrier
	buffer_gl0_inv
	s_clause 0x3
	scratch_load_b128 v[47:50], off, off offset:32
	scratch_load_b128 v[51:54], off, off offset:48
	;; [unrolled: 1-line block ×3, first 2 shown]
	scratch_load_b64 v[59:60], off, off offset:80
	v_mov_b32_e32 v46, 0
	ds_load_2addr_b32 v[61:62], v46 offset0:33 offset1:34
	ds_load_2addr_b32 v[63:64], v46 offset0:35 offset1:36
	;; [unrolled: 1-line block ×4, first 2 shown]
	s_mov_b32 s0, exec_lo
	s_waitcnt vmcnt(3) lgkmcnt(3)
	v_fma_f32 v61, v48, v61, 0
	s_delay_alu instid0(VALU_DEP_1) | instskip(SKIP_4) | instid1(VALU_DEP_1)
	v_fmac_f32_e32 v61, v49, v62
	ds_load_2addr_b32 v[48:49], v46 offset0:41 offset1:42
	s_waitcnt lgkmcnt(3)
	v_fmac_f32_e32 v61, v50, v63
	s_waitcnt vmcnt(2)
	v_fmac_f32_e32 v61, v51, v64
	ds_load_2addr_b32 v[50:51], v46 offset0:43 offset1:44
	s_waitcnt lgkmcnt(3)
	v_fmac_f32_e32 v61, v52, v65
	ds_load_b32 v52, v46 offset:180
	v_fmac_f32_e32 v61, v53, v66
	s_waitcnt lgkmcnt(3)
	s_delay_alu instid0(VALU_DEP_1) | instskip(SKIP_1) | instid1(VALU_DEP_1)
	v_fmac_f32_e32 v61, v54, v67
	s_waitcnt vmcnt(1)
	v_fmac_f32_e32 v61, v55, v68
	s_waitcnt lgkmcnt(2)
	s_delay_alu instid0(VALU_DEP_1) | instskip(NEXT) | instid1(VALU_DEP_1)
	v_fmac_f32_e32 v61, v56, v48
	v_fmac_f32_e32 v61, v57, v49
	s_waitcnt lgkmcnt(1)
	s_delay_alu instid0(VALU_DEP_1) | instskip(SKIP_1) | instid1(VALU_DEP_1)
	v_fmac_f32_e32 v61, v58, v50
	s_waitcnt vmcnt(0)
	v_fmac_f32_e32 v61, v59, v51
	s_waitcnt lgkmcnt(0)
	s_delay_alu instid0(VALU_DEP_1) | instskip(NEXT) | instid1(VALU_DEP_1)
	v_fmac_f32_e32 v61, v60, v52
	v_sub_f32_e32 v47, v47, v61
	scratch_store_b32 off, v47, off offset:32
	v_cmpx_lt_u32_e32 7, v0
	s_cbranch_execz .LBB85_125
; %bb.124:
	scratch_load_b32 v47, off, off offset:28
	scratch_store_b32 off, v46, off offset:28
	s_waitcnt vmcnt(0)
	ds_store_b32 v45, v47
.LBB85_125:
	s_or_b32 exec_lo, exec_lo, s0
	s_waitcnt lgkmcnt(0)
	s_waitcnt_vscnt null, 0x0
	s_barrier
	buffer_gl0_inv
	s_clause 0x3
	scratch_load_b128 v[47:50], off, off offset:28
	scratch_load_b128 v[51:54], off, off offset:44
	;; [unrolled: 1-line block ×3, first 2 shown]
	scratch_load_b96 v[67:69], off, off offset:76
	ds_load_b128 v[59:62], v46 offset:128
	ds_load_b128 v[63:66], v46 offset:144
	s_mov_b32 s0, exec_lo
	s_waitcnt vmcnt(3) lgkmcnt(1)
	v_fma_f32 v59, v48, v59, 0
	s_delay_alu instid0(VALU_DEP_1) | instskip(NEXT) | instid1(VALU_DEP_1)
	v_fmac_f32_e32 v59, v49, v60
	v_fmac_f32_e32 v59, v50, v61
	s_waitcnt vmcnt(2)
	s_delay_alu instid0(VALU_DEP_1) | instskip(SKIP_3) | instid1(VALU_DEP_1)
	v_fmac_f32_e32 v59, v51, v62
	ds_load_b128 v[48:51], v46 offset:160
	s_waitcnt lgkmcnt(1)
	v_fmac_f32_e32 v59, v52, v63
	v_fmac_f32_e32 v59, v53, v64
	ds_load_b64 v[52:53], v46 offset:176
	v_fmac_f32_e32 v59, v54, v65
	s_waitcnt vmcnt(1)
	s_delay_alu instid0(VALU_DEP_1) | instskip(SKIP_1) | instid1(VALU_DEP_1)
	v_fmac_f32_e32 v59, v55, v66
	s_waitcnt lgkmcnt(1)
	v_fmac_f32_e32 v59, v56, v48
	s_delay_alu instid0(VALU_DEP_1) | instskip(NEXT) | instid1(VALU_DEP_1)
	v_fmac_f32_e32 v59, v57, v49
	v_fmac_f32_e32 v59, v58, v50
	s_waitcnt vmcnt(0)
	s_delay_alu instid0(VALU_DEP_1) | instskip(SKIP_1) | instid1(VALU_DEP_1)
	v_fmac_f32_e32 v59, v67, v51
	s_waitcnt lgkmcnt(0)
	v_fmac_f32_e32 v59, v68, v52
	s_delay_alu instid0(VALU_DEP_1) | instskip(NEXT) | instid1(VALU_DEP_1)
	v_fmac_f32_e32 v59, v69, v53
	v_sub_f32_e32 v46, v47, v59
	scratch_store_b32 off, v46, off offset:28
	v_cmpx_lt_u32_e32 6, v0
	s_cbranch_execz .LBB85_127
; %bb.126:
	scratch_load_b32 v46, off, off offset:24
	v_mov_b32_e32 v47, 0
	scratch_store_b32 off, v47, off offset:24
	s_waitcnt vmcnt(0)
	ds_store_b32 v45, v46
.LBB85_127:
	s_or_b32 exec_lo, exec_lo, s0
	s_waitcnt lgkmcnt(0)
	s_waitcnt_vscnt null, 0x0
	s_barrier
	buffer_gl0_inv
	s_clause 0x3
	scratch_load_b128 v[47:50], off, off offset:24
	scratch_load_b128 v[51:54], off, off offset:40
	;; [unrolled: 1-line block ×4, first 2 shown]
	v_mov_b32_e32 v46, 0
	ds_load_2addr_b32 v[63:64], v46 offset0:31 offset1:32
	ds_load_2addr_b32 v[65:66], v46 offset0:33 offset1:34
	;; [unrolled: 1-line block ×4, first 2 shown]
	s_mov_b32 s0, exec_lo
	s_waitcnt vmcnt(3) lgkmcnt(3)
	v_fma_f32 v63, v48, v63, 0
	s_delay_alu instid0(VALU_DEP_1) | instskip(SKIP_4) | instid1(VALU_DEP_1)
	v_fmac_f32_e32 v63, v49, v64
	ds_load_2addr_b32 v[48:49], v46 offset0:39 offset1:40
	s_waitcnt lgkmcnt(3)
	v_fmac_f32_e32 v63, v50, v65
	s_waitcnt vmcnt(2)
	v_fmac_f32_e32 v63, v51, v66
	ds_load_2addr_b32 v[50:51], v46 offset0:41 offset1:42
	s_waitcnt lgkmcnt(3)
	v_fmac_f32_e32 v63, v52, v67
	s_delay_alu instid0(VALU_DEP_1) | instskip(SKIP_1) | instid1(VALU_DEP_1)
	v_fmac_f32_e32 v63, v53, v68
	s_waitcnt lgkmcnt(2)
	v_fmac_f32_e32 v63, v54, v69
	ds_load_2addr_b32 v[52:53], v46 offset0:43 offset1:44
	ds_load_b32 v54, v46 offset:180
	s_waitcnt vmcnt(1)
	v_fmac_f32_e32 v63, v55, v70
	s_waitcnt lgkmcnt(3)
	s_delay_alu instid0(VALU_DEP_1) | instskip(NEXT) | instid1(VALU_DEP_1)
	v_fmac_f32_e32 v63, v56, v48
	v_fmac_f32_e32 v63, v57, v49
	s_waitcnt lgkmcnt(2)
	s_delay_alu instid0(VALU_DEP_1) | instskip(SKIP_1) | instid1(VALU_DEP_1)
	v_fmac_f32_e32 v63, v58, v50
	s_waitcnt vmcnt(0)
	v_fmac_f32_e32 v63, v59, v51
	s_waitcnt lgkmcnt(1)
	s_delay_alu instid0(VALU_DEP_1) | instskip(NEXT) | instid1(VALU_DEP_1)
	v_fmac_f32_e32 v63, v60, v52
	v_fmac_f32_e32 v63, v61, v53
	s_waitcnt lgkmcnt(0)
	s_delay_alu instid0(VALU_DEP_1) | instskip(NEXT) | instid1(VALU_DEP_1)
	v_fmac_f32_e32 v63, v62, v54
	v_sub_f32_e32 v47, v47, v63
	scratch_store_b32 off, v47, off offset:24
	v_cmpx_lt_u32_e32 5, v0
	s_cbranch_execz .LBB85_129
; %bb.128:
	scratch_load_b32 v47, off, off offset:20
	scratch_store_b32 off, v46, off offset:20
	s_waitcnt vmcnt(0)
	ds_store_b32 v45, v47
.LBB85_129:
	s_or_b32 exec_lo, exec_lo, s0
	s_waitcnt lgkmcnt(0)
	s_waitcnt_vscnt null, 0x0
	s_barrier
	buffer_gl0_inv
	s_clause 0x4
	scratch_load_b128 v[47:50], off, off offset:20
	scratch_load_b128 v[51:54], off, off offset:36
	;; [unrolled: 1-line block ×4, first 2 shown]
	scratch_load_b32 v71, off, off offset:84
	ds_load_2addr_b64 v[63:66], v46 offset0:15 offset1:16
	ds_load_2addr_b64 v[67:70], v46 offset0:17 offset1:18
	s_mov_b32 s0, exec_lo
	s_waitcnt vmcnt(4) lgkmcnt(1)
	v_fma_f32 v63, v48, v63, 0
	s_delay_alu instid0(VALU_DEP_1) | instskip(NEXT) | instid1(VALU_DEP_1)
	v_fmac_f32_e32 v63, v49, v64
	v_fmac_f32_e32 v63, v50, v65
	s_waitcnt vmcnt(3)
	s_delay_alu instid0(VALU_DEP_1) | instskip(SKIP_3) | instid1(VALU_DEP_1)
	v_fmac_f32_e32 v63, v51, v66
	ds_load_2addr_b64 v[48:51], v46 offset0:19 offset1:20
	s_waitcnt lgkmcnt(1)
	v_fmac_f32_e32 v63, v52, v67
	v_fmac_f32_e32 v63, v53, v68
	s_delay_alu instid0(VALU_DEP_1) | instskip(SKIP_1) | instid1(VALU_DEP_1)
	v_fmac_f32_e32 v63, v54, v69
	s_waitcnt vmcnt(2)
	v_fmac_f32_e32 v63, v55, v70
	ds_load_2addr_b64 v[52:55], v46 offset0:21 offset1:22
	s_waitcnt lgkmcnt(1)
	v_fmac_f32_e32 v63, v56, v48
	s_delay_alu instid0(VALU_DEP_1) | instskip(NEXT) | instid1(VALU_DEP_1)
	v_fmac_f32_e32 v63, v57, v49
	v_fmac_f32_e32 v63, v58, v50
	s_waitcnt vmcnt(1)
	s_delay_alu instid0(VALU_DEP_1) | instskip(SKIP_1) | instid1(VALU_DEP_1)
	v_fmac_f32_e32 v63, v59, v51
	s_waitcnt lgkmcnt(0)
	v_fmac_f32_e32 v63, v60, v52
	s_delay_alu instid0(VALU_DEP_1) | instskip(NEXT) | instid1(VALU_DEP_1)
	v_fmac_f32_e32 v63, v61, v53
	v_fmac_f32_e32 v63, v62, v54
	s_waitcnt vmcnt(0)
	s_delay_alu instid0(VALU_DEP_1) | instskip(NEXT) | instid1(VALU_DEP_1)
	v_fmac_f32_e32 v63, v71, v55
	v_sub_f32_e32 v46, v47, v63
	scratch_store_b32 off, v46, off offset:20
	v_cmpx_lt_u32_e32 4, v0
	s_cbranch_execz .LBB85_131
; %bb.130:
	scratch_load_b32 v46, off, off offset:16
	v_mov_b32_e32 v47, 0
	scratch_store_b32 off, v47, off offset:16
	s_waitcnt vmcnt(0)
	ds_store_b32 v45, v46
.LBB85_131:
	s_or_b32 exec_lo, exec_lo, s0
	s_waitcnt lgkmcnt(0)
	s_waitcnt_vscnt null, 0x0
	s_barrier
	buffer_gl0_inv
	s_clause 0x4
	scratch_load_b128 v[47:50], off, off offset:16
	scratch_load_b128 v[51:54], off, off offset:32
	;; [unrolled: 1-line block ×4, first 2 shown]
	scratch_load_b64 v[63:64], off, off offset:80
	v_mov_b32_e32 v46, 0
	ds_load_2addr_b32 v[65:66], v46 offset0:29 offset1:30
	ds_load_2addr_b32 v[67:68], v46 offset0:31 offset1:32
	ds_load_2addr_b32 v[69:70], v46 offset0:33 offset1:34
	ds_load_2addr_b32 v[71:72], v46 offset0:35 offset1:36
	s_mov_b32 s0, exec_lo
	s_waitcnt vmcnt(4) lgkmcnt(3)
	v_fma_f32 v65, v48, v65, 0
	s_delay_alu instid0(VALU_DEP_1) | instskip(SKIP_4) | instid1(VALU_DEP_1)
	v_fmac_f32_e32 v65, v49, v66
	ds_load_2addr_b32 v[48:49], v46 offset0:37 offset1:38
	s_waitcnt lgkmcnt(3)
	v_fmac_f32_e32 v65, v50, v67
	s_waitcnt vmcnt(3)
	v_fmac_f32_e32 v65, v51, v68
	ds_load_2addr_b32 v[50:51], v46 offset0:39 offset1:40
	s_waitcnt lgkmcnt(3)
	v_fmac_f32_e32 v65, v52, v69
	s_delay_alu instid0(VALU_DEP_1) | instskip(SKIP_1) | instid1(VALU_DEP_1)
	v_fmac_f32_e32 v65, v53, v70
	s_waitcnt lgkmcnt(2)
	v_fmac_f32_e32 v65, v54, v71
	s_waitcnt vmcnt(2)
	s_delay_alu instid0(VALU_DEP_1)
	v_fmac_f32_e32 v65, v55, v72
	ds_load_2addr_b32 v[52:53], v46 offset0:41 offset1:42
	ds_load_2addr_b32 v[54:55], v46 offset0:43 offset1:44
	s_waitcnt lgkmcnt(3)
	v_fmac_f32_e32 v65, v56, v48
	ds_load_b32 v48, v46 offset:180
	v_fmac_f32_e32 v65, v57, v49
	s_waitcnt lgkmcnt(3)
	s_delay_alu instid0(VALU_DEP_1) | instskip(SKIP_1) | instid1(VALU_DEP_1)
	v_fmac_f32_e32 v65, v58, v50
	s_waitcnt vmcnt(1)
	v_fmac_f32_e32 v65, v59, v51
	s_waitcnt lgkmcnt(2)
	s_delay_alu instid0(VALU_DEP_1) | instskip(NEXT) | instid1(VALU_DEP_1)
	v_fmac_f32_e32 v65, v60, v52
	v_fmac_f32_e32 v65, v61, v53
	s_waitcnt lgkmcnt(1)
	s_delay_alu instid0(VALU_DEP_1) | instskip(SKIP_1) | instid1(VALU_DEP_1)
	v_fmac_f32_e32 v65, v62, v54
	s_waitcnt vmcnt(0)
	v_fmac_f32_e32 v65, v63, v55
	s_waitcnt lgkmcnt(0)
	s_delay_alu instid0(VALU_DEP_1) | instskip(NEXT) | instid1(VALU_DEP_1)
	v_fmac_f32_e32 v65, v64, v48
	v_sub_f32_e32 v47, v47, v65
	scratch_store_b32 off, v47, off offset:16
	v_cmpx_lt_u32_e32 3, v0
	s_cbranch_execz .LBB85_133
; %bb.132:
	scratch_load_b32 v47, off, off offset:12
	scratch_store_b32 off, v46, off offset:12
	s_waitcnt vmcnt(0)
	ds_store_b32 v45, v47
.LBB85_133:
	s_or_b32 exec_lo, exec_lo, s0
	s_waitcnt lgkmcnt(0)
	s_waitcnt_vscnt null, 0x0
	s_barrier
	buffer_gl0_inv
	s_clause 0x4
	scratch_load_b128 v[47:50], off, off offset:12
	scratch_load_b128 v[51:54], off, off offset:28
	;; [unrolled: 1-line block ×4, first 2 shown]
	scratch_load_b96 v[71:73], off, off offset:76
	ds_load_b128 v[63:66], v46 offset:112
	ds_load_b128 v[67:70], v46 offset:128
	s_mov_b32 s0, exec_lo
	s_waitcnt vmcnt(4) lgkmcnt(1)
	v_fma_f32 v63, v48, v63, 0
	s_delay_alu instid0(VALU_DEP_1) | instskip(NEXT) | instid1(VALU_DEP_1)
	v_fmac_f32_e32 v63, v49, v64
	v_fmac_f32_e32 v63, v50, v65
	s_waitcnt vmcnt(3)
	s_delay_alu instid0(VALU_DEP_1) | instskip(SKIP_3) | instid1(VALU_DEP_1)
	v_fmac_f32_e32 v63, v51, v66
	ds_load_b128 v[48:51], v46 offset:144
	s_waitcnt lgkmcnt(1)
	v_fmac_f32_e32 v63, v52, v67
	v_fmac_f32_e32 v63, v53, v68
	s_delay_alu instid0(VALU_DEP_1) | instskip(SKIP_1) | instid1(VALU_DEP_1)
	v_fmac_f32_e32 v63, v54, v69
	s_waitcnt vmcnt(2)
	v_fmac_f32_e32 v63, v55, v70
	ds_load_b128 v[52:55], v46 offset:160
	s_waitcnt lgkmcnt(1)
	v_fmac_f32_e32 v63, v56, v48
	s_delay_alu instid0(VALU_DEP_1) | instskip(SKIP_3) | instid1(VALU_DEP_1)
	v_fmac_f32_e32 v63, v57, v49
	ds_load_b64 v[48:49], v46 offset:176
	v_fmac_f32_e32 v63, v58, v50
	s_waitcnt vmcnt(1)
	v_fmac_f32_e32 v63, v59, v51
	s_waitcnt lgkmcnt(1)
	s_delay_alu instid0(VALU_DEP_1) | instskip(NEXT) | instid1(VALU_DEP_1)
	v_fmac_f32_e32 v63, v60, v52
	v_fmac_f32_e32 v63, v61, v53
	s_delay_alu instid0(VALU_DEP_1) | instskip(SKIP_1) | instid1(VALU_DEP_1)
	v_fmac_f32_e32 v63, v62, v54
	s_waitcnt vmcnt(0)
	v_fmac_f32_e32 v63, v71, v55
	s_waitcnt lgkmcnt(0)
	s_delay_alu instid0(VALU_DEP_1) | instskip(NEXT) | instid1(VALU_DEP_1)
	v_fmac_f32_e32 v63, v72, v48
	v_fmac_f32_e32 v63, v73, v49
	s_delay_alu instid0(VALU_DEP_1)
	v_sub_f32_e32 v46, v47, v63
	scratch_store_b32 off, v46, off offset:12
	v_cmpx_lt_u32_e32 2, v0
	s_cbranch_execz .LBB85_135
; %bb.134:
	scratch_load_b32 v46, off, off offset:8
	v_mov_b32_e32 v47, 0
	scratch_store_b32 off, v47, off offset:8
	s_waitcnt vmcnt(0)
	ds_store_b32 v45, v46
.LBB85_135:
	s_or_b32 exec_lo, exec_lo, s0
	s_waitcnt lgkmcnt(0)
	s_waitcnt_vscnt null, 0x0
	s_barrier
	buffer_gl0_inv
	s_clause 0x4
	scratch_load_b128 v[47:50], off, off offset:8
	scratch_load_b128 v[51:54], off, off offset:24
	;; [unrolled: 1-line block ×5, first 2 shown]
	v_mov_b32_e32 v46, 0
	ds_load_2addr_b32 v[67:68], v46 offset0:27 offset1:28
	ds_load_2addr_b32 v[69:70], v46 offset0:29 offset1:30
	;; [unrolled: 1-line block ×4, first 2 shown]
	s_mov_b32 s0, exec_lo
	s_waitcnt vmcnt(4) lgkmcnt(3)
	v_fma_f32 v67, v48, v67, 0
	s_delay_alu instid0(VALU_DEP_1) | instskip(SKIP_4) | instid1(VALU_DEP_1)
	v_fmac_f32_e32 v67, v49, v68
	ds_load_2addr_b32 v[48:49], v46 offset0:35 offset1:36
	s_waitcnt lgkmcnt(3)
	v_fmac_f32_e32 v67, v50, v69
	s_waitcnt vmcnt(3)
	v_fmac_f32_e32 v67, v51, v70
	ds_load_2addr_b32 v[50:51], v46 offset0:37 offset1:38
	s_waitcnt lgkmcnt(3)
	v_fmac_f32_e32 v67, v52, v71
	s_delay_alu instid0(VALU_DEP_1) | instskip(SKIP_1) | instid1(VALU_DEP_1)
	v_fmac_f32_e32 v67, v53, v72
	s_waitcnt lgkmcnt(2)
	v_fmac_f32_e32 v67, v54, v73
	s_waitcnt vmcnt(2)
	s_delay_alu instid0(VALU_DEP_1) | instskip(SKIP_4) | instid1(VALU_DEP_1)
	v_fmac_f32_e32 v67, v55, v74
	ds_load_2addr_b32 v[52:53], v46 offset0:39 offset1:40
	ds_load_2addr_b32 v[54:55], v46 offset0:41 offset1:42
	s_waitcnt lgkmcnt(3)
	v_fmac_f32_e32 v67, v56, v48
	v_fmac_f32_e32 v67, v57, v49
	ds_load_2addr_b32 v[48:49], v46 offset0:43 offset1:44
	s_waitcnt lgkmcnt(3)
	v_fmac_f32_e32 v67, v58, v50
	ds_load_b32 v50, v46 offset:180
	s_waitcnt vmcnt(1)
	v_fmac_f32_e32 v67, v59, v51
	s_waitcnt lgkmcnt(3)
	s_delay_alu instid0(VALU_DEP_1) | instskip(NEXT) | instid1(VALU_DEP_1)
	v_fmac_f32_e32 v67, v60, v52
	v_fmac_f32_e32 v67, v61, v53
	s_waitcnt lgkmcnt(2)
	s_delay_alu instid0(VALU_DEP_1) | instskip(SKIP_1) | instid1(VALU_DEP_1)
	v_fmac_f32_e32 v67, v62, v54
	s_waitcnt vmcnt(0)
	v_fmac_f32_e32 v67, v63, v55
	s_waitcnt lgkmcnt(1)
	s_delay_alu instid0(VALU_DEP_1) | instskip(NEXT) | instid1(VALU_DEP_1)
	v_fmac_f32_e32 v67, v64, v48
	v_fmac_f32_e32 v67, v65, v49
	s_waitcnt lgkmcnt(0)
	s_delay_alu instid0(VALU_DEP_1) | instskip(NEXT) | instid1(VALU_DEP_1)
	v_fmac_f32_e32 v67, v66, v50
	v_sub_f32_e32 v47, v47, v67
	scratch_store_b32 off, v47, off offset:8
	v_cmpx_lt_u32_e32 1, v0
	s_cbranch_execz .LBB85_137
; %bb.136:
	scratch_load_b32 v47, off, off offset:4
	scratch_store_b32 off, v46, off offset:4
	s_waitcnt vmcnt(0)
	ds_store_b32 v45, v47
.LBB85_137:
	s_or_b32 exec_lo, exec_lo, s0
	s_waitcnt lgkmcnt(0)
	s_waitcnt_vscnt null, 0x0
	s_barrier
	buffer_gl0_inv
	s_clause 0x5
	scratch_load_b128 v[47:50], off, off offset:4
	scratch_load_b128 v[51:54], off, off offset:20
	;; [unrolled: 1-line block ×5, first 2 shown]
	scratch_load_b32 v75, off, off offset:84
	ds_load_2addr_b64 v[67:70], v46 offset0:13 offset1:14
	ds_load_2addr_b64 v[71:74], v46 offset0:15 offset1:16
	s_mov_b32 s0, exec_lo
	s_waitcnt vmcnt(5) lgkmcnt(1)
	v_fma_f32 v67, v48, v67, 0
	s_delay_alu instid0(VALU_DEP_1) | instskip(NEXT) | instid1(VALU_DEP_1)
	v_fmac_f32_e32 v67, v49, v68
	v_fmac_f32_e32 v67, v50, v69
	s_waitcnt vmcnt(4)
	s_delay_alu instid0(VALU_DEP_1) | instskip(SKIP_3) | instid1(VALU_DEP_1)
	v_fmac_f32_e32 v67, v51, v70
	ds_load_2addr_b64 v[48:51], v46 offset0:17 offset1:18
	s_waitcnt lgkmcnt(1)
	v_fmac_f32_e32 v67, v52, v71
	v_fmac_f32_e32 v67, v53, v72
	s_delay_alu instid0(VALU_DEP_1) | instskip(SKIP_1) | instid1(VALU_DEP_1)
	v_fmac_f32_e32 v67, v54, v73
	s_waitcnt vmcnt(3)
	v_fmac_f32_e32 v67, v55, v74
	ds_load_2addr_b64 v[52:55], v46 offset0:19 offset1:20
	s_waitcnt lgkmcnt(1)
	v_fmac_f32_e32 v67, v56, v48
	s_delay_alu instid0(VALU_DEP_1) | instskip(NEXT) | instid1(VALU_DEP_1)
	v_fmac_f32_e32 v67, v57, v49
	v_fmac_f32_e32 v67, v58, v50
	s_waitcnt vmcnt(2)
	s_delay_alu instid0(VALU_DEP_1) | instskip(SKIP_3) | instid1(VALU_DEP_1)
	v_fmac_f32_e32 v67, v59, v51
	ds_load_2addr_b64 v[48:51], v46 offset0:21 offset1:22
	s_waitcnt lgkmcnt(1)
	v_fmac_f32_e32 v67, v60, v52
	v_fmac_f32_e32 v67, v61, v53
	s_delay_alu instid0(VALU_DEP_1) | instskip(SKIP_1) | instid1(VALU_DEP_1)
	v_fmac_f32_e32 v67, v62, v54
	s_waitcnt vmcnt(1)
	v_fmac_f32_e32 v67, v63, v55
	s_waitcnt lgkmcnt(0)
	s_delay_alu instid0(VALU_DEP_1) | instskip(NEXT) | instid1(VALU_DEP_1)
	v_fmac_f32_e32 v67, v64, v48
	v_fmac_f32_e32 v67, v65, v49
	s_delay_alu instid0(VALU_DEP_1) | instskip(SKIP_1) | instid1(VALU_DEP_1)
	v_fmac_f32_e32 v67, v66, v50
	s_waitcnt vmcnt(0)
	v_fmac_f32_e32 v67, v75, v51
	s_delay_alu instid0(VALU_DEP_1)
	v_sub_f32_e32 v46, v47, v67
	scratch_store_b32 off, v46, off offset:4
	v_cmpx_ne_u32_e32 0, v0
	s_cbranch_execz .LBB85_139
; %bb.138:
	scratch_load_b32 v0, off, off
	v_mov_b32_e32 v46, 0
	scratch_store_b32 off, v46, off
	s_waitcnt vmcnt(0)
	ds_store_b32 v45, v0
.LBB85_139:
	s_or_b32 exec_lo, exec_lo, s0
	s_waitcnt lgkmcnt(0)
	s_waitcnt_vscnt null, 0x0
	s_barrier
	buffer_gl0_inv
	s_clause 0x5
	scratch_load_b128 v[47:50], off, off
	scratch_load_b128 v[51:54], off, off offset:16
	scratch_load_b128 v[55:58], off, off offset:32
	;; [unrolled: 1-line block ×4, first 2 shown]
	scratch_load_b64 v[45:46], off, off offset:80
	v_mov_b32_e32 v0, 0
	ds_load_2addr_b32 v[67:68], v0 offset0:25 offset1:26
	ds_load_2addr_b32 v[69:70], v0 offset0:27 offset1:28
	ds_load_2addr_b32 v[71:72], v0 offset0:29 offset1:30
	ds_load_2addr_b32 v[73:74], v0 offset0:31 offset1:32
	s_and_b32 vcc_lo, exec_lo, s12
	s_waitcnt vmcnt(5) lgkmcnt(3)
	v_fma_f32 v67, v48, v67, 0
	s_delay_alu instid0(VALU_DEP_1) | instskip(SKIP_4) | instid1(VALU_DEP_1)
	v_fmac_f32_e32 v67, v49, v68
	ds_load_2addr_b32 v[48:49], v0 offset0:33 offset1:34
	s_waitcnt lgkmcnt(3)
	v_fmac_f32_e32 v67, v50, v69
	s_waitcnt vmcnt(4)
	v_fmac_f32_e32 v67, v51, v70
	ds_load_2addr_b32 v[50:51], v0 offset0:35 offset1:36
	s_waitcnt lgkmcnt(3)
	v_fmac_f32_e32 v67, v52, v71
	s_delay_alu instid0(VALU_DEP_1) | instskip(SKIP_1) | instid1(VALU_DEP_1)
	v_fmac_f32_e32 v67, v53, v72
	s_waitcnt lgkmcnt(2)
	v_fmac_f32_e32 v67, v54, v73
	s_waitcnt vmcnt(3)
	s_delay_alu instid0(VALU_DEP_1) | instskip(SKIP_4) | instid1(VALU_DEP_1)
	v_fmac_f32_e32 v67, v55, v74
	ds_load_2addr_b32 v[52:53], v0 offset0:37 offset1:38
	ds_load_2addr_b32 v[54:55], v0 offset0:39 offset1:40
	s_waitcnt lgkmcnt(3)
	v_fmac_f32_e32 v67, v56, v48
	v_fmac_f32_e32 v67, v57, v49
	ds_load_2addr_b32 v[48:49], v0 offset0:41 offset1:42
	s_waitcnt lgkmcnt(3)
	v_fmac_f32_e32 v67, v58, v50
	s_waitcnt vmcnt(2)
	s_delay_alu instid0(VALU_DEP_1) | instskip(SKIP_4) | instid1(VALU_DEP_1)
	v_fmac_f32_e32 v67, v59, v51
	ds_load_2addr_b32 v[50:51], v0 offset0:43 offset1:44
	ds_load_b32 v0, v0 offset:180
	s_waitcnt lgkmcnt(4)
	v_fmac_f32_e32 v67, v60, v52
	v_fmac_f32_e32 v67, v61, v53
	s_waitcnt lgkmcnt(3)
	s_delay_alu instid0(VALU_DEP_1) | instskip(SKIP_1) | instid1(VALU_DEP_1)
	v_fmac_f32_e32 v67, v62, v54
	s_waitcnt vmcnt(1)
	v_fmac_f32_e32 v67, v63, v55
	s_waitcnt lgkmcnt(2)
	s_delay_alu instid0(VALU_DEP_1) | instskip(NEXT) | instid1(VALU_DEP_1)
	v_fmac_f32_e32 v67, v64, v48
	v_fmac_f32_e32 v67, v65, v49
	s_waitcnt lgkmcnt(1)
	s_delay_alu instid0(VALU_DEP_1) | instskip(SKIP_1) | instid1(VALU_DEP_1)
	v_fmac_f32_e32 v67, v66, v50
	s_waitcnt vmcnt(0)
	v_fmac_f32_e32 v67, v45, v51
	s_waitcnt lgkmcnt(0)
	s_delay_alu instid0(VALU_DEP_1) | instskip(NEXT) | instid1(VALU_DEP_1)
	v_fmac_f32_e32 v67, v46, v0
	v_sub_f32_e32 v0, v47, v67
	scratch_store_b32 off, v0, off
	s_cbranch_vccz .LBB85_183
; %bb.140:
	v_dual_mov_b32 v47, s3 :: v_dual_mov_b32 v46, s2
	s_mov_b32 s0, exec_lo
	flat_load_b32 v0, v[46:47] offset:80
	s_waitcnt vmcnt(0) lgkmcnt(0)
	v_cmpx_ne_u32_e32 21, v0
	s_cbranch_execz .LBB85_142
; %bb.141:
	v_lshl_add_u32 v0, v0, 2, 0
	scratch_load_b32 v46, v0, off offset:-4
	s_waitcnt vmcnt(0)
	scratch_store_b32 off, v46, off offset:80
	scratch_store_b32 v0, v45, off offset:-4
.LBB85_142:
	s_or_b32 exec_lo, exec_lo, s0
	v_dual_mov_b32 v46, s3 :: v_dual_mov_b32 v45, s2
	s_mov_b32 s0, exec_lo
	flat_load_b32 v0, v[45:46] offset:76
	s_waitcnt vmcnt(0) lgkmcnt(0)
	v_cmpx_ne_u32_e32 20, v0
	s_cbranch_execz .LBB85_144
; %bb.143:
	v_lshl_add_u32 v0, v0, 2, 0
	scratch_load_b32 v45, v0, off offset:-4
	scratch_load_b32 v46, off, off offset:76
	s_waitcnt vmcnt(1)
	scratch_store_b32 off, v45, off offset:76
	s_waitcnt vmcnt(0)
	scratch_store_b32 v0, v46, off offset:-4
.LBB85_144:
	s_or_b32 exec_lo, exec_lo, s0
	v_dual_mov_b32 v46, s3 :: v_dual_mov_b32 v45, s2
	s_mov_b32 s0, exec_lo
	flat_load_b32 v0, v[45:46] offset:72
	s_waitcnt vmcnt(0) lgkmcnt(0)
	v_cmpx_ne_u32_e32 19, v0
	s_cbranch_execz .LBB85_146
; %bb.145:
	v_lshl_add_u32 v0, v0, 2, 0
	scratch_load_b32 v45, v0, off offset:-4
	scratch_load_b32 v46, off, off offset:72
	s_waitcnt vmcnt(1)
	scratch_store_b32 off, v45, off offset:72
	s_waitcnt vmcnt(0)
	scratch_store_b32 v0, v46, off offset:-4
.LBB85_146:
	;; [unrolled: 16-line block ×19, first 2 shown]
	s_or_b32 exec_lo, exec_lo, s0
	v_dual_mov_b32 v46, s3 :: v_dual_mov_b32 v45, s2
	s_mov_b32 s0, exec_lo
	flat_load_b32 v45, v[45:46]
	scratch_load_b32 v0, off, off
	s_waitcnt vmcnt(1) lgkmcnt(0)
	v_cmpx_ne_u32_e32 1, v45
	s_cbranch_execz .LBB85_182
; %bb.181:
	v_lshl_add_u32 v45, v45, 2, 0
	scratch_load_b32 v46, v45, off offset:-4
	s_waitcnt vmcnt(0)
	scratch_store_b32 off, v46, off
	scratch_store_b32 v45, v0, off offset:-4
	scratch_load_b32 v0, off, off
.LBB85_182:
	s_or_b32 exec_lo, exec_lo, s0
.LBB85_183:
	s_clause 0x5
	scratch_load_b128 v[45:48], off, off offset:4
	scratch_load_b128 v[49:52], off, off offset:20
	;; [unrolled: 1-line block ×5, first 2 shown]
	scratch_load_b32 v65, off, off offset:84
	s_waitcnt vmcnt(6)
	global_store_b32 v[1:2], v0, off
	s_waitcnt vmcnt(5)
	s_clause 0x3
	global_store_b32 v[3:4], v45, off
	global_store_b32 v[5:6], v46, off
	global_store_b32 v[7:8], v47, off
	global_store_b32 v[9:10], v48, off
	s_waitcnt vmcnt(4)
	s_clause 0x3
	global_store_b32 v[11:12], v49, off
	global_store_b32 v[13:14], v50, off
	global_store_b32 v[15:16], v51, off
	;; [unrolled: 6-line block ×5, first 2 shown]
	global_store_b32 v[41:42], v64, off
	s_waitcnt vmcnt(0)
	global_store_b32 v[43:44], v65, off
	s_endpgm
	.section	.rodata,"a",@progbits
	.p2align	6, 0x0
	.amdhsa_kernel _ZN9rocsolver6v33100L18getri_kernel_smallILi22EfPKPfEEvT1_iilPiilS6_bb
		.amdhsa_group_segment_fixed_size 184
		.amdhsa_private_segment_fixed_size 96
		.amdhsa_kernarg_size 60
		.amdhsa_user_sgpr_count 15
		.amdhsa_user_sgpr_dispatch_ptr 0
		.amdhsa_user_sgpr_queue_ptr 0
		.amdhsa_user_sgpr_kernarg_segment_ptr 1
		.amdhsa_user_sgpr_dispatch_id 0
		.amdhsa_user_sgpr_private_segment_size 0
		.amdhsa_wavefront_size32 1
		.amdhsa_uses_dynamic_stack 0
		.amdhsa_enable_private_segment 1
		.amdhsa_system_sgpr_workgroup_id_x 1
		.amdhsa_system_sgpr_workgroup_id_y 0
		.amdhsa_system_sgpr_workgroup_id_z 0
		.amdhsa_system_sgpr_workgroup_info 0
		.amdhsa_system_vgpr_workitem_id 0
		.amdhsa_next_free_vgpr 76
		.amdhsa_next_free_sgpr 17
		.amdhsa_reserve_vcc 1
		.amdhsa_float_round_mode_32 0
		.amdhsa_float_round_mode_16_64 0
		.amdhsa_float_denorm_mode_32 3
		.amdhsa_float_denorm_mode_16_64 3
		.amdhsa_dx10_clamp 1
		.amdhsa_ieee_mode 1
		.amdhsa_fp16_overflow 0
		.amdhsa_workgroup_processor_mode 1
		.amdhsa_memory_ordered 1
		.amdhsa_forward_progress 0
		.amdhsa_shared_vgpr_count 0
		.amdhsa_exception_fp_ieee_invalid_op 0
		.amdhsa_exception_fp_denorm_src 0
		.amdhsa_exception_fp_ieee_div_zero 0
		.amdhsa_exception_fp_ieee_overflow 0
		.amdhsa_exception_fp_ieee_underflow 0
		.amdhsa_exception_fp_ieee_inexact 0
		.amdhsa_exception_int_div_zero 0
	.end_amdhsa_kernel
	.section	.text._ZN9rocsolver6v33100L18getri_kernel_smallILi22EfPKPfEEvT1_iilPiilS6_bb,"axG",@progbits,_ZN9rocsolver6v33100L18getri_kernel_smallILi22EfPKPfEEvT1_iilPiilS6_bb,comdat
.Lfunc_end85:
	.size	_ZN9rocsolver6v33100L18getri_kernel_smallILi22EfPKPfEEvT1_iilPiilS6_bb, .Lfunc_end85-_ZN9rocsolver6v33100L18getri_kernel_smallILi22EfPKPfEEvT1_iilPiilS6_bb
                                        ; -- End function
	.section	.AMDGPU.csdata,"",@progbits
; Kernel info:
; codeLenInByte = 12436
; NumSgprs: 19
; NumVgprs: 76
; ScratchSize: 96
; MemoryBound: 0
; FloatMode: 240
; IeeeMode: 1
; LDSByteSize: 184 bytes/workgroup (compile time only)
; SGPRBlocks: 2
; VGPRBlocks: 9
; NumSGPRsForWavesPerEU: 19
; NumVGPRsForWavesPerEU: 76
; Occupancy: 16
; WaveLimiterHint : 1
; COMPUTE_PGM_RSRC2:SCRATCH_EN: 1
; COMPUTE_PGM_RSRC2:USER_SGPR: 15
; COMPUTE_PGM_RSRC2:TRAP_HANDLER: 0
; COMPUTE_PGM_RSRC2:TGID_X_EN: 1
; COMPUTE_PGM_RSRC2:TGID_Y_EN: 0
; COMPUTE_PGM_RSRC2:TGID_Z_EN: 0
; COMPUTE_PGM_RSRC2:TIDIG_COMP_CNT: 0
	.section	.text._ZN9rocsolver6v33100L18getri_kernel_smallILi23EfPKPfEEvT1_iilPiilS6_bb,"axG",@progbits,_ZN9rocsolver6v33100L18getri_kernel_smallILi23EfPKPfEEvT1_iilPiilS6_bb,comdat
	.globl	_ZN9rocsolver6v33100L18getri_kernel_smallILi23EfPKPfEEvT1_iilPiilS6_bb ; -- Begin function _ZN9rocsolver6v33100L18getri_kernel_smallILi23EfPKPfEEvT1_iilPiilS6_bb
	.p2align	8
	.type	_ZN9rocsolver6v33100L18getri_kernel_smallILi23EfPKPfEEvT1_iilPiilS6_bb,@function
_ZN9rocsolver6v33100L18getri_kernel_smallILi23EfPKPfEEvT1_iilPiilS6_bb: ; @_ZN9rocsolver6v33100L18getri_kernel_smallILi23EfPKPfEEvT1_iilPiilS6_bb
; %bb.0:
	s_mov_b32 s2, exec_lo
	v_cmpx_gt_u32_e32 23, v0
	s_cbranch_execz .LBB86_100
; %bb.1:
	s_clause 0x1
	s_load_b32 s13, s[0:1], 0x38
	s_load_b64 s[2:3], s[0:1], 0x0
	s_mov_b32 s8, s15
	s_load_b128 s[4:7], s[0:1], 0x28
	s_waitcnt lgkmcnt(0)
	s_bitcmp1_b32 s13, 8
	s_cselect_b32 s12, -1, 0
	s_ashr_i32 s9, s15, 31
	s_delay_alu instid0(SALU_CYCLE_1) | instskip(NEXT) | instid1(SALU_CYCLE_1)
	s_lshl_b64 s[10:11], s[8:9], 3
	s_add_u32 s2, s2, s10
	s_addc_u32 s3, s3, s11
	s_load_b64 s[10:11], s[2:3], 0x0
	s_bfe_u32 s2, s13, 0x10008
	s_delay_alu instid0(SALU_CYCLE_1)
	s_cmp_eq_u32 s2, 0
                                        ; implicit-def: $sgpr2_sgpr3
	s_cbranch_scc1 .LBB86_3
; %bb.2:
	s_clause 0x1
	s_load_b32 s2, s[0:1], 0x20
	s_load_b64 s[14:15], s[0:1], 0x18
	s_mul_i32 s3, s8, s5
	s_mul_hi_u32 s5, s8, s4
	s_mul_i32 s16, s9, s4
	s_add_i32 s3, s5, s3
	s_mul_i32 s4, s8, s4
	s_add_i32 s5, s3, s16
	s_delay_alu instid0(SALU_CYCLE_1)
	s_lshl_b64 s[4:5], s[4:5], 2
	s_waitcnt lgkmcnt(0)
	s_ashr_i32 s3, s2, 31
	s_add_u32 s4, s14, s4
	s_addc_u32 s5, s15, s5
	s_lshl_b64 s[2:3], s[2:3], 2
	s_delay_alu instid0(SALU_CYCLE_1)
	s_add_u32 s2, s4, s2
	s_addc_u32 s3, s5, s3
.LBB86_3:
	s_load_b64 s[0:1], s[0:1], 0x8
	v_lshlrev_b32_e32 v1, 2, v0
	s_waitcnt lgkmcnt(0)
	v_add3_u32 v5, s1, s1, v0
	s_ashr_i32 s5, s0, 31
	s_mov_b32 s4, s0
	s_mov_b32 s14, s1
	s_lshl_b64 s[4:5], s[4:5], 2
	v_add_nc_u32_e32 v7, s1, v5
	v_ashrrev_i32_e32 v6, 31, v5
	s_add_u32 s4, s10, s4
	s_addc_u32 s5, s11, s5
	v_add_co_u32 v3, s0, s4, v1
	v_add_nc_u32_e32 v11, s1, v7
	v_ashrrev_i32_e32 v8, 31, v7
	s_ashr_i32 s15, s1, 31
	v_add_co_ci_u32_e64 v4, null, s5, 0, s0
	v_lshlrev_b64 v[9:10], 2, v[5:6]
	s_lshl_b64 s[10:11], s[14:15], 2
	v_add_nc_u32_e32 v15, s1, v11
	v_add_co_u32 v5, vcc_lo, v3, s10
	v_lshlrev_b64 v[13:14], 2, v[7:8]
	v_add_co_ci_u32_e32 v6, vcc_lo, s11, v4, vcc_lo
	v_add_co_u32 v7, vcc_lo, s4, v9
	v_ashrrev_i32_e32 v16, 31, v15
	v_add_nc_u32_e32 v17, s1, v15
	v_ashrrev_i32_e32 v12, 31, v11
	v_add_co_ci_u32_e32 v8, vcc_lo, s5, v10, vcc_lo
	v_add_co_u32 v9, vcc_lo, s4, v13
	v_add_co_ci_u32_e32 v10, vcc_lo, s5, v14, vcc_lo
	v_lshlrev_b64 v[13:14], 2, v[15:16]
	v_add_nc_u32_e32 v15, s1, v17
	v_lshlrev_b64 v[11:12], 2, v[11:12]
	v_ashrrev_i32_e32 v18, 31, v17
	global_load_b32 v49, v1, s[4:5]
	s_bitcmp0_b32 s13, 0
	v_ashrrev_i32_e32 v16, 31, v15
	v_add_nc_u32_e32 v19, s1, v15
	v_add_co_u32 v11, vcc_lo, s4, v11
	v_lshlrev_b64 v[17:18], 2, v[17:18]
	v_add_co_ci_u32_e32 v12, vcc_lo, s5, v12, vcc_lo
	v_add_co_u32 v13, vcc_lo, s4, v13
	v_lshlrev_b64 v[21:22], 2, v[15:16]
	v_add_nc_u32_e32 v23, s1, v19
	v_add_co_ci_u32_e32 v14, vcc_lo, s5, v14, vcc_lo
	v_add_co_u32 v15, vcc_lo, s4, v17
	v_add_co_ci_u32_e32 v16, vcc_lo, s5, v18, vcc_lo
	v_add_co_u32 v17, vcc_lo, s4, v21
	v_add_nc_u32_e32 v21, s1, v23
	v_ashrrev_i32_e32 v20, 31, v19
	v_ashrrev_i32_e32 v24, 31, v23
	v_add_co_ci_u32_e32 v18, vcc_lo, s5, v22, vcc_lo
	s_delay_alu instid0(VALU_DEP_4) | instskip(NEXT) | instid1(VALU_DEP_4)
	v_add_nc_u32_e32 v25, s1, v21
	v_lshlrev_b64 v[19:20], 2, v[19:20]
	v_ashrrev_i32_e32 v22, 31, v21
	v_lshlrev_b64 v[23:24], 2, v[23:24]
	s_delay_alu instid0(VALU_DEP_4)
	v_add_nc_u32_e32 v29, s1, v25
	v_ashrrev_i32_e32 v26, 31, v25
	v_add_co_u32 v19, vcc_lo, s4, v19
	v_lshlrev_b64 v[27:28], 2, v[21:22]
	v_add_co_ci_u32_e32 v20, vcc_lo, s5, v20, vcc_lo
	v_add_co_u32 v21, vcc_lo, s4, v23
	v_ashrrev_i32_e32 v30, 31, v29
	v_add_nc_u32_e32 v31, s1, v29
	v_add_co_ci_u32_e32 v22, vcc_lo, s5, v24, vcc_lo
	v_add_co_u32 v23, vcc_lo, s4, v27
	v_add_co_ci_u32_e32 v24, vcc_lo, s5, v28, vcc_lo
	v_lshlrev_b64 v[27:28], 2, v[29:30]
	v_add_nc_u32_e32 v29, s1, v31
	v_lshlrev_b64 v[25:26], 2, v[25:26]
	v_ashrrev_i32_e32 v32, 31, v31
	s_clause 0x7
	global_load_b32 v50, v[5:6], off
	global_load_b32 v51, v[7:8], off
	;; [unrolled: 1-line block ×8, first 2 shown]
	v_add_nc_u32_e32 v33, s1, v29
	v_ashrrev_i32_e32 v30, 31, v29
	v_add_co_u32 v25, vcc_lo, s4, v25
	v_lshlrev_b64 v[31:32], 2, v[31:32]
	s_delay_alu instid0(VALU_DEP_4)
	v_add_nc_u32_e32 v37, s1, v33
	v_add_co_ci_u32_e32 v26, vcc_lo, s5, v26, vcc_lo
	v_add_co_u32 v27, vcc_lo, s4, v27
	v_lshlrev_b64 v[35:36], 2, v[29:30]
	v_add_co_ci_u32_e32 v28, vcc_lo, s5, v28, vcc_lo
	v_add_co_u32 v29, vcc_lo, s4, v31
	v_ashrrev_i32_e32 v38, 31, v37
	v_add_co_ci_u32_e32 v30, vcc_lo, s5, v32, vcc_lo
	v_add_co_u32 v31, vcc_lo, s4, v35
	v_add_co_ci_u32_e32 v32, vcc_lo, s5, v36, vcc_lo
	s_delay_alu instid0(VALU_DEP_4) | instskip(SKIP_2) | instid1(VALU_DEP_2)
	v_lshlrev_b64 v[35:36], 2, v[37:38]
	v_add_nc_u32_e32 v37, s1, v37
	v_ashrrev_i32_e32 v34, 31, v33
	v_add_nc_u32_e32 v39, s1, v37
	s_delay_alu instid0(VALU_DEP_2) | instskip(SKIP_1) | instid1(VALU_DEP_3)
	v_lshlrev_b64 v[33:34], 2, v[33:34]
	v_ashrrev_i32_e32 v38, 31, v37
	v_add_nc_u32_e32 v41, s1, v39
	v_ashrrev_i32_e32 v40, 31, v39
	s_delay_alu instid0(VALU_DEP_4) | instskip(NEXT) | instid1(VALU_DEP_4)
	v_add_co_u32 v33, vcc_lo, s4, v33
	v_lshlrev_b64 v[37:38], 2, v[37:38]
	s_delay_alu instid0(VALU_DEP_4) | instskip(SKIP_3) | instid1(VALU_DEP_4)
	v_add_nc_u32_e32 v43, s1, v41
	v_ashrrev_i32_e32 v42, 31, v41
	v_add_co_ci_u32_e32 v34, vcc_lo, s5, v34, vcc_lo
	v_add_co_u32 v35, vcc_lo, s4, v35
	v_add_nc_u32_e32 v45, s1, v43
	v_lshlrev_b64 v[39:40], 2, v[39:40]
	v_ashrrev_i32_e32 v44, 31, v43
	v_add_co_ci_u32_e32 v36, vcc_lo, s5, v36, vcc_lo
	s_delay_alu instid0(VALU_DEP_4)
	v_add_nc_u32_e32 v47, s1, v45
	v_add_co_u32 v37, vcc_lo, s4, v37
	v_lshlrev_b64 v[41:42], 2, v[41:42]
	v_ashrrev_i32_e32 v46, 31, v45
	v_add_co_ci_u32_e32 v38, vcc_lo, s5, v38, vcc_lo
	v_add_co_u32 v39, vcc_lo, s4, v39
	v_lshlrev_b64 v[43:44], 2, v[43:44]
	v_ashrrev_i32_e32 v48, 31, v47
	v_add_co_ci_u32_e32 v40, vcc_lo, s5, v40, vcc_lo
	v_add_co_u32 v41, vcc_lo, s4, v41
	v_lshlrev_b64 v[45:46], 2, v[45:46]
	v_add_co_ci_u32_e32 v42, vcc_lo, s5, v42, vcc_lo
	v_add_co_u32 v43, vcc_lo, s4, v43
	v_lshlrev_b64 v[47:48], 2, v[47:48]
	v_add_co_ci_u32_e32 v44, vcc_lo, s5, v44, vcc_lo
	v_add_co_u32 v45, vcc_lo, s4, v45
	v_add_co_ci_u32_e32 v46, vcc_lo, s5, v46, vcc_lo
	s_delay_alu instid0(VALU_DEP_4)
	v_add_co_u32 v47, vcc_lo, s4, v47
	s_clause 0x7
	global_load_b32 v58, v[21:22], off
	global_load_b32 v59, v[23:24], off
	;; [unrolled: 1-line block ×8, first 2 shown]
	v_add_co_ci_u32_e32 v48, vcc_lo, s5, v48, vcc_lo
	s_clause 0x5
	global_load_b32 v66, v[37:38], off
	global_load_b32 v67, v[39:40], off
	;; [unrolled: 1-line block ×6, first 2 shown]
	s_mov_b32 s1, -1
	s_waitcnt vmcnt(19)
	scratch_store_b128 off, v[49:52], off
	s_waitcnt vmcnt(15)
	scratch_store_b128 off, v[53:56], off offset:16
	s_waitcnt vmcnt(11)
	scratch_store_b128 off, v[57:60], off offset:32
	;; [unrolled: 2-line block ×4, first 2 shown]
	s_waitcnt vmcnt(0)
	scratch_store_b96 off, v[69:71], off offset:80
	s_cbranch_scc1 .LBB86_98
; %bb.4:
	v_cmp_eq_u32_e64 s0, 0, v0
	s_delay_alu instid0(VALU_DEP_1)
	s_and_saveexec_b32 s1, s0
	s_cbranch_execz .LBB86_6
; %bb.5:
	v_mov_b32_e32 v2, 0
	ds_store_b32 v2, v2 offset:92
.LBB86_6:
	s_or_b32 exec_lo, exec_lo, s1
	s_waitcnt lgkmcnt(0)
	s_waitcnt_vscnt null, 0x0
	s_barrier
	buffer_gl0_inv
	scratch_load_b32 v2, v1, off
	s_mov_b32 s4, exec_lo
	s_waitcnt vmcnt(0)
	v_cmpx_eq_f32_e32 0, v2
	s_cbranch_execz .LBB86_10
; %bb.7:
	v_mov_b32_e32 v2, 0
	s_mov_b32 s5, 0
	ds_load_b32 v49, v2 offset:92
	s_waitcnt lgkmcnt(0)
	v_readfirstlane_b32 s1, v49
	v_add_nc_u32_e32 v49, 1, v0
	s_delay_alu instid0(VALU_DEP_2) | instskip(NEXT) | instid1(VALU_DEP_1)
	s_cmp_eq_u32 s1, 0
	v_cmp_gt_i32_e32 vcc_lo, s1, v49
	s_cselect_b32 s10, -1, 0
	s_delay_alu instid0(SALU_CYCLE_1) | instskip(NEXT) | instid1(SALU_CYCLE_1)
	s_or_b32 s10, s10, vcc_lo
	s_and_b32 exec_lo, exec_lo, s10
	s_cbranch_execz .LBB86_10
; %bb.8:
	v_mov_b32_e32 v50, s1
.LBB86_9:                               ; =>This Inner Loop Header: Depth=1
	ds_cmpstore_rtn_b32 v50, v2, v49, v50 offset:92
	s_waitcnt lgkmcnt(0)
	v_cmp_ne_u32_e32 vcc_lo, 0, v50
	v_cmp_le_i32_e64 s1, v50, v49
	s_delay_alu instid0(VALU_DEP_1) | instskip(NEXT) | instid1(SALU_CYCLE_1)
	s_and_b32 s1, vcc_lo, s1
	s_and_b32 s1, exec_lo, s1
	s_delay_alu instid0(SALU_CYCLE_1) | instskip(NEXT) | instid1(SALU_CYCLE_1)
	s_or_b32 s5, s1, s5
	s_and_not1_b32 exec_lo, exec_lo, s5
	s_cbranch_execnz .LBB86_9
.LBB86_10:
	s_or_b32 exec_lo, exec_lo, s4
	v_mov_b32_e32 v2, 0
	s_barrier
	buffer_gl0_inv
	ds_load_b32 v49, v2 offset:92
	s_and_saveexec_b32 s1, s0
	s_cbranch_execz .LBB86_12
; %bb.11:
	s_lshl_b64 s[4:5], s[8:9], 2
	s_delay_alu instid0(SALU_CYCLE_1)
	s_add_u32 s4, s6, s4
	s_addc_u32 s5, s7, s5
	s_waitcnt lgkmcnt(0)
	global_store_b32 v2, v49, s[4:5]
.LBB86_12:
	s_or_b32 exec_lo, exec_lo, s1
	s_waitcnt lgkmcnt(0)
	v_cmp_ne_u32_e32 vcc_lo, 0, v49
	s_mov_b32 s1, 0
	s_cbranch_vccnz .LBB86_98
; %bb.13:
	v_add_nc_u32_e32 v2, 0, v1
	scratch_load_b32 v49, v2, off
	s_waitcnt vmcnt(0)
	v_div_scale_f32 v50, null, v49, v49, 1.0
	v_div_scale_f32 v53, vcc_lo, 1.0, v49, 1.0
	s_delay_alu instid0(VALU_DEP_2) | instskip(SKIP_2) | instid1(VALU_DEP_1)
	v_rcp_f32_e32 v51, v50
	s_waitcnt_depctr 0xfff
	v_fma_f32 v52, -v50, v51, 1.0
	v_fmac_f32_e32 v51, v52, v51
	s_delay_alu instid0(VALU_DEP_1) | instskip(NEXT) | instid1(VALU_DEP_1)
	v_mul_f32_e32 v52, v53, v51
	v_fma_f32 v54, -v50, v52, v53
	s_delay_alu instid0(VALU_DEP_1) | instskip(NEXT) | instid1(VALU_DEP_1)
	v_fmac_f32_e32 v52, v54, v51
	v_fma_f32 v50, -v50, v52, v53
	s_delay_alu instid0(VALU_DEP_1) | instskip(NEXT) | instid1(VALU_DEP_1)
	v_div_fmas_f32 v50, v50, v51, v52
	v_div_fixup_f32 v49, v50, v49, 1.0
	scratch_store_b32 v2, v49, off
	scratch_load_b32 v50, off, off offset:4
	v_xor_b32_e32 v51, 0x80000000, v49
	v_add_nc_u32_e32 v49, 0x60, v1
	s_waitcnt vmcnt(0)
	ds_store_2addr_b32 v1, v51, v50 offset1:24
	s_waitcnt lgkmcnt(0)
	s_waitcnt_vscnt null, 0x0
	s_barrier
	buffer_gl0_inv
	s_and_saveexec_b32 s1, s0
	s_cbranch_execz .LBB86_15
; %bb.14:
	scratch_load_b32 v50, v2, off
	ds_load_b32 v51, v49
	v_mov_b32_e32 v52, 0
	ds_load_b32 v52, v52 offset:4
	s_waitcnt vmcnt(0) lgkmcnt(1)
	v_fma_f32 v50, v50, v51, 0
	s_waitcnt lgkmcnt(0)
	s_delay_alu instid0(VALU_DEP_1)
	v_mul_f32_e32 v50, v50, v52
	scratch_store_b32 off, v50, off offset:4
.LBB86_15:
	s_or_b32 exec_lo, exec_lo, s1
	s_waitcnt_vscnt null, 0x0
	s_barrier
	buffer_gl0_inv
	scratch_load_b32 v50, off, off offset:8
	s_mov_b32 s1, exec_lo
	s_waitcnt vmcnt(0)
	ds_store_b32 v49, v50
	s_waitcnt lgkmcnt(0)
	s_barrier
	buffer_gl0_inv
	v_cmpx_gt_u32_e32 2, v0
	s_cbranch_execz .LBB86_17
; %bb.16:
	scratch_load_b32 v52, v2, off
	scratch_load_b32 v53, off, off offset:4
	ds_load_b32 v54, v49
	v_mov_b32_e32 v50, 0
	ds_load_2addr_b32 v[50:51], v50 offset0:2 offset1:25
	s_waitcnt vmcnt(1) lgkmcnt(1)
	v_fma_f32 v52, v52, v54, 0
	s_waitcnt vmcnt(0) lgkmcnt(0)
	s_delay_alu instid0(VALU_DEP_1) | instskip(NEXT) | instid1(VALU_DEP_1)
	v_fma_f32 v51, v53, v51, v52
	v_cndmask_b32_e64 v51, v52, v51, s0
	s_delay_alu instid0(VALU_DEP_1)
	v_mul_f32_e32 v50, v51, v50
	scratch_store_b32 off, v50, off offset:8
.LBB86_17:
	s_or_b32 exec_lo, exec_lo, s1
	s_waitcnt_vscnt null, 0x0
	s_barrier
	buffer_gl0_inv
	scratch_load_b32 v51, off, off offset:12
	v_add_nc_u32_e32 v50, -1, v0
	s_mov_b32 s0, exec_lo
	s_waitcnt vmcnt(0)
	ds_store_b32 v49, v51
	s_waitcnt lgkmcnt(0)
	s_barrier
	buffer_gl0_inv
	v_cmpx_gt_u32_e32 3, v0
	s_cbranch_execz .LBB86_21
; %bb.18:
	v_dual_mov_b32 v51, 0 :: v_dual_add_nc_u32 v52, -1, v0
	v_add_nc_u32_e32 v53, 0x60, v1
	v_add_nc_u32_e32 v54, 0, v1
	s_mov_b32 s1, 0
.LBB86_19:                              ; =>This Inner Loop Header: Depth=1
	scratch_load_b32 v55, v54, off
	ds_load_b32 v56, v53
	v_add_nc_u32_e32 v52, 1, v52
	v_add_nc_u32_e32 v53, 4, v53
	v_add_nc_u32_e32 v54, 4, v54
	s_delay_alu instid0(VALU_DEP_3)
	v_cmp_lt_u32_e32 vcc_lo, 1, v52
	s_or_b32 s1, vcc_lo, s1
	s_waitcnt vmcnt(0) lgkmcnt(0)
	v_fmac_f32_e32 v51, v55, v56
	s_and_not1_b32 exec_lo, exec_lo, s1
	s_cbranch_execnz .LBB86_19
; %bb.20:
	s_or_b32 exec_lo, exec_lo, s1
	v_mov_b32_e32 v52, 0
	ds_load_b32 v52, v52 offset:12
	s_waitcnt lgkmcnt(0)
	v_mul_f32_e32 v51, v51, v52
	scratch_store_b32 off, v51, off offset:12
.LBB86_21:
	s_or_b32 exec_lo, exec_lo, s0
	s_waitcnt_vscnt null, 0x0
	s_barrier
	buffer_gl0_inv
	scratch_load_b32 v51, off, off offset:16
	s_mov_b32 s0, exec_lo
	s_waitcnt vmcnt(0)
	ds_store_b32 v49, v51
	s_waitcnt lgkmcnt(0)
	s_barrier
	buffer_gl0_inv
	v_cmpx_gt_u32_e32 4, v0
	s_cbranch_execz .LBB86_25
; %bb.22:
	v_dual_mov_b32 v51, 0 :: v_dual_add_nc_u32 v52, -1, v0
	v_add_nc_u32_e32 v53, 0x60, v1
	v_add_nc_u32_e32 v54, 0, v1
	s_mov_b32 s1, 0
.LBB86_23:                              ; =>This Inner Loop Header: Depth=1
	scratch_load_b32 v55, v54, off
	ds_load_b32 v56, v53
	v_add_nc_u32_e32 v52, 1, v52
	v_add_nc_u32_e32 v53, 4, v53
	v_add_nc_u32_e32 v54, 4, v54
	s_delay_alu instid0(VALU_DEP_3)
	v_cmp_lt_u32_e32 vcc_lo, 2, v52
	s_or_b32 s1, vcc_lo, s1
	s_waitcnt vmcnt(0) lgkmcnt(0)
	v_fmac_f32_e32 v51, v55, v56
	s_and_not1_b32 exec_lo, exec_lo, s1
	s_cbranch_execnz .LBB86_23
; %bb.24:
	s_or_b32 exec_lo, exec_lo, s1
	v_mov_b32_e32 v52, 0
	ds_load_b32 v52, v52 offset:16
	s_waitcnt lgkmcnt(0)
	v_mul_f32_e32 v51, v51, v52
	scratch_store_b32 off, v51, off offset:16
.LBB86_25:
	s_or_b32 exec_lo, exec_lo, s0
	s_waitcnt_vscnt null, 0x0
	s_barrier
	buffer_gl0_inv
	scratch_load_b32 v51, off, off offset:20
	;; [unrolled: 39-line block ×18, first 2 shown]
	s_mov_b32 s0, exec_lo
	s_waitcnt vmcnt(0)
	ds_store_b32 v49, v51
	s_waitcnt lgkmcnt(0)
	s_barrier
	buffer_gl0_inv
	v_cmpx_gt_u32_e32 21, v0
	s_cbranch_execz .LBB86_93
; %bb.90:
	v_add_nc_u32_e32 v51, -1, v0
	v_add_nc_u32_e32 v52, 0x60, v1
	v_add_nc_u32_e32 v53, 0, v1
	v_mov_b32_e32 v1, 0
	s_mov_b32 s1, 0
.LBB86_91:                              ; =>This Inner Loop Header: Depth=1
	scratch_load_b32 v54, v53, off
	ds_load_b32 v55, v52
	v_add_nc_u32_e32 v51, 1, v51
	v_add_nc_u32_e32 v52, 4, v52
	;; [unrolled: 1-line block ×3, first 2 shown]
	s_delay_alu instid0(VALU_DEP_3)
	v_cmp_lt_u32_e32 vcc_lo, 19, v51
	s_or_b32 s1, vcc_lo, s1
	s_waitcnt vmcnt(0) lgkmcnt(0)
	v_fmac_f32_e32 v1, v54, v55
	s_and_not1_b32 exec_lo, exec_lo, s1
	s_cbranch_execnz .LBB86_91
; %bb.92:
	s_or_b32 exec_lo, exec_lo, s1
	v_mov_b32_e32 v51, 0
	ds_load_b32 v51, v51 offset:84
	s_waitcnt lgkmcnt(0)
	v_mul_f32_e32 v1, v1, v51
	scratch_store_b32 off, v1, off offset:84
.LBB86_93:
	s_or_b32 exec_lo, exec_lo, s0
	s_waitcnt_vscnt null, 0x0
	s_barrier
	buffer_gl0_inv
	scratch_load_b32 v1, off, off offset:88
	s_mov_b32 s0, exec_lo
	s_waitcnt vmcnt(0)
	ds_store_b32 v49, v1
	s_waitcnt lgkmcnt(0)
	s_barrier
	buffer_gl0_inv
	v_cmpx_ne_u32_e32 22, v0
	s_cbranch_execz .LBB86_97
; %bb.94:
	v_mov_b32_e32 v1, 0
	s_mov_b32 s1, 0
.LBB86_95:                              ; =>This Inner Loop Header: Depth=1
	scratch_load_b32 v51, v2, off
	ds_load_b32 v52, v49
	v_add_nc_u32_e32 v50, 1, v50
	v_add_nc_u32_e32 v49, 4, v49
	s_waitcnt vmcnt(0) lgkmcnt(0)
	v_dual_fmac_f32 v1, v51, v52 :: v_dual_add_nc_u32 v2, 4, v2
	s_delay_alu instid0(VALU_DEP_3) | instskip(SKIP_1) | instid1(SALU_CYCLE_1)
	v_cmp_lt_u32_e32 vcc_lo, 20, v50
	s_or_b32 s1, vcc_lo, s1
	s_and_not1_b32 exec_lo, exec_lo, s1
	s_cbranch_execnz .LBB86_95
; %bb.96:
	s_or_b32 exec_lo, exec_lo, s1
	v_mov_b32_e32 v2, 0
	ds_load_b32 v2, v2 offset:88
	s_waitcnt lgkmcnt(0)
	v_mul_f32_e32 v1, v1, v2
	scratch_store_b32 off, v1, off offset:88
.LBB86_97:
	s_or_b32 exec_lo, exec_lo, s0
	s_mov_b32 s1, -1
	s_waitcnt_vscnt null, 0x0
	s_barrier
	buffer_gl0_inv
.LBB86_98:
	s_and_b32 vcc_lo, exec_lo, s1
	s_cbranch_vccz .LBB86_100
; %bb.99:
	s_lshl_b64 s[0:1], s[8:9], 2
	v_mov_b32_e32 v1, 0
	s_add_u32 s0, s6, s0
	s_addc_u32 s1, s7, s1
	global_load_b32 v1, v1, s[0:1]
	s_waitcnt vmcnt(0)
	v_cmp_ne_u32_e32 vcc_lo, 0, v1
	s_cbranch_vccz .LBB86_101
.LBB86_100:
	s_endpgm
.LBB86_101:
	v_lshl_add_u32 v1, v0, 2, 0x60
	s_mov_b32 s0, exec_lo
	v_cmpx_eq_u32_e32 22, v0
	s_cbranch_execz .LBB86_103
; %bb.102:
	scratch_load_b32 v2, off, off offset:84
	v_mov_b32_e32 v49, 0
	scratch_store_b32 off, v49, off offset:84
	s_waitcnt vmcnt(0)
	ds_store_b32 v1, v2
.LBB86_103:
	s_or_b32 exec_lo, exec_lo, s0
	s_waitcnt lgkmcnt(0)
	s_waitcnt_vscnt null, 0x0
	s_barrier
	buffer_gl0_inv
	scratch_load_b64 v[49:50], off, off offset:84
	v_mov_b32_e32 v2, 0
	s_mov_b32 s0, exec_lo
	ds_load_b32 v51, v2 offset:184
	s_waitcnt vmcnt(0) lgkmcnt(0)
	v_fma_f32 v50, v50, v51, 0
	s_delay_alu instid0(VALU_DEP_1)
	v_sub_f32_e32 v49, v49, v50
	scratch_store_b32 off, v49, off offset:84
	v_cmpx_lt_u32_e32 20, v0
	s_cbranch_execz .LBB86_105
; %bb.104:
	scratch_load_b32 v49, off, off offset:80
	scratch_store_b32 off, v2, off offset:80
	s_waitcnt vmcnt(0)
	ds_store_b32 v1, v49
.LBB86_105:
	s_or_b32 exec_lo, exec_lo, s0
	s_waitcnt lgkmcnt(0)
	s_waitcnt_vscnt null, 0x0
	s_barrier
	buffer_gl0_inv
	scratch_load_b96 v[49:51], off, off offset:80
	ds_load_2addr_b32 v[52:53], v2 offset0:45 offset1:46
	s_mov_b32 s0, exec_lo
	s_waitcnt vmcnt(0) lgkmcnt(0)
	v_fma_f32 v2, v50, v52, 0
	s_delay_alu instid0(VALU_DEP_1) | instskip(NEXT) | instid1(VALU_DEP_1)
	v_fmac_f32_e32 v2, v51, v53
	v_sub_f32_e32 v2, v49, v2
	scratch_store_b32 off, v2, off offset:80
	v_cmpx_lt_u32_e32 19, v0
	s_cbranch_execz .LBB86_107
; %bb.106:
	scratch_load_b32 v2, off, off offset:76
	v_mov_b32_e32 v49, 0
	scratch_store_b32 off, v49, off offset:76
	s_waitcnt vmcnt(0)
	ds_store_b32 v1, v2
.LBB86_107:
	s_or_b32 exec_lo, exec_lo, s0
	s_waitcnt lgkmcnt(0)
	s_waitcnt_vscnt null, 0x0
	s_barrier
	buffer_gl0_inv
	scratch_load_b128 v[49:52], off, off offset:76
	v_mov_b32_e32 v2, 0
	s_mov_b32 s0, exec_lo
	ds_load_b96 v[53:55], v2 offset:176
	s_waitcnt vmcnt(0) lgkmcnt(0)
	v_fma_f32 v50, v50, v53, 0
	s_delay_alu instid0(VALU_DEP_1) | instskip(NEXT) | instid1(VALU_DEP_1)
	v_fmac_f32_e32 v50, v51, v54
	v_fmac_f32_e32 v50, v52, v55
	s_delay_alu instid0(VALU_DEP_1)
	v_sub_f32_e32 v49, v49, v50
	scratch_store_b32 off, v49, off offset:76
	v_cmpx_lt_u32_e32 18, v0
	s_cbranch_execz .LBB86_109
; %bb.108:
	scratch_load_b32 v49, off, off offset:72
	scratch_store_b32 off, v2, off offset:72
	s_waitcnt vmcnt(0)
	ds_store_b32 v1, v49
.LBB86_109:
	s_or_b32 exec_lo, exec_lo, s0
	s_waitcnt lgkmcnt(0)
	s_waitcnt_vscnt null, 0x0
	s_barrier
	buffer_gl0_inv
	s_clause 0x1
	scratch_load_b128 v[49:52], off, off offset:72
	scratch_load_b32 v57, off, off offset:88
	ds_load_2addr_b32 v[53:54], v2 offset0:43 offset1:44
	ds_load_2addr_b32 v[55:56], v2 offset0:45 offset1:46
	s_mov_b32 s0, exec_lo
	s_waitcnt vmcnt(1) lgkmcnt(1)
	v_fma_f32 v2, v50, v53, 0
	s_delay_alu instid0(VALU_DEP_1) | instskip(SKIP_1) | instid1(VALU_DEP_1)
	v_fmac_f32_e32 v2, v51, v54
	s_waitcnt lgkmcnt(0)
	v_fmac_f32_e32 v2, v52, v55
	s_waitcnt vmcnt(0)
	s_delay_alu instid0(VALU_DEP_1) | instskip(NEXT) | instid1(VALU_DEP_1)
	v_fmac_f32_e32 v2, v57, v56
	v_sub_f32_e32 v2, v49, v2
	scratch_store_b32 off, v2, off offset:72
	v_cmpx_lt_u32_e32 17, v0
	s_cbranch_execz .LBB86_111
; %bb.110:
	scratch_load_b32 v2, off, off offset:68
	v_mov_b32_e32 v49, 0
	scratch_store_b32 off, v49, off offset:68
	s_waitcnt vmcnt(0)
	ds_store_b32 v1, v2
.LBB86_111:
	s_or_b32 exec_lo, exec_lo, s0
	s_waitcnt lgkmcnt(0)
	s_waitcnt_vscnt null, 0x0
	s_barrier
	buffer_gl0_inv
	s_clause 0x1
	scratch_load_b128 v[49:52], off, off offset:68
	scratch_load_b64 v[57:58], off, off offset:84
	v_mov_b32_e32 v2, 0
	ds_load_2addr_b64 v[53:56], v2 offset0:21 offset1:22
	ds_load_b32 v59, v2 offset:184
	s_mov_b32 s0, exec_lo
	s_waitcnt vmcnt(1) lgkmcnt(1)
	v_fma_f32 v50, v50, v53, 0
	s_delay_alu instid0(VALU_DEP_1) | instskip(NEXT) | instid1(VALU_DEP_1)
	v_fmac_f32_e32 v50, v51, v54
	v_fmac_f32_e32 v50, v52, v55
	s_waitcnt vmcnt(0)
	s_delay_alu instid0(VALU_DEP_1) | instskip(SKIP_1) | instid1(VALU_DEP_1)
	v_fmac_f32_e32 v50, v57, v56
	s_waitcnt lgkmcnt(0)
	v_fmac_f32_e32 v50, v58, v59
	s_delay_alu instid0(VALU_DEP_1)
	v_sub_f32_e32 v49, v49, v50
	scratch_store_b32 off, v49, off offset:68
	v_cmpx_lt_u32_e32 16, v0
	s_cbranch_execz .LBB86_113
; %bb.112:
	scratch_load_b32 v49, off, off offset:64
	scratch_store_b32 off, v2, off offset:64
	s_waitcnt vmcnt(0)
	ds_store_b32 v1, v49
.LBB86_113:
	s_or_b32 exec_lo, exec_lo, s0
	s_waitcnt lgkmcnt(0)
	s_waitcnt_vscnt null, 0x0
	s_barrier
	buffer_gl0_inv
	s_clause 0x1
	scratch_load_b128 v[49:52], off, off offset:64
	scratch_load_b96 v[53:55], off, off offset:80
	ds_load_2addr_b32 v[56:57], v2 offset0:41 offset1:42
	ds_load_2addr_b32 v[58:59], v2 offset0:43 offset1:44
	;; [unrolled: 1-line block ×3, first 2 shown]
	s_mov_b32 s0, exec_lo
	s_waitcnt vmcnt(1) lgkmcnt(2)
	v_fma_f32 v2, v50, v56, 0
	s_delay_alu instid0(VALU_DEP_1) | instskip(SKIP_1) | instid1(VALU_DEP_1)
	v_fmac_f32_e32 v2, v51, v57
	s_waitcnt lgkmcnt(1)
	v_fmac_f32_e32 v2, v52, v58
	s_waitcnt vmcnt(0)
	s_delay_alu instid0(VALU_DEP_1) | instskip(SKIP_1) | instid1(VALU_DEP_1)
	v_fmac_f32_e32 v2, v53, v59
	s_waitcnt lgkmcnt(0)
	v_fmac_f32_e32 v2, v54, v60
	s_delay_alu instid0(VALU_DEP_1) | instskip(NEXT) | instid1(VALU_DEP_1)
	v_fmac_f32_e32 v2, v55, v61
	v_sub_f32_e32 v2, v49, v2
	scratch_store_b32 off, v2, off offset:64
	v_cmpx_lt_u32_e32 15, v0
	s_cbranch_execz .LBB86_115
; %bb.114:
	scratch_load_b32 v2, off, off offset:60
	v_mov_b32_e32 v49, 0
	scratch_store_b32 off, v49, off offset:60
	s_waitcnt vmcnt(0)
	ds_store_b32 v1, v2
.LBB86_115:
	s_or_b32 exec_lo, exec_lo, s0
	s_waitcnt lgkmcnt(0)
	s_waitcnt_vscnt null, 0x0
	s_barrier
	buffer_gl0_inv
	s_clause 0x1
	scratch_load_b128 v[49:52], off, off offset:60
	scratch_load_b128 v[53:56], off, off offset:76
	v_mov_b32_e32 v2, 0
	ds_load_b128 v[57:60], v2 offset:160
	ds_load_b96 v[61:63], v2 offset:176
	s_mov_b32 s0, exec_lo
	s_waitcnt vmcnt(1) lgkmcnt(1)
	v_fma_f32 v50, v50, v57, 0
	s_delay_alu instid0(VALU_DEP_1) | instskip(NEXT) | instid1(VALU_DEP_1)
	v_fmac_f32_e32 v50, v51, v58
	v_fmac_f32_e32 v50, v52, v59
	s_waitcnt vmcnt(0)
	s_delay_alu instid0(VALU_DEP_1) | instskip(SKIP_1) | instid1(VALU_DEP_1)
	v_fmac_f32_e32 v50, v53, v60
	s_waitcnt lgkmcnt(0)
	v_fmac_f32_e32 v50, v54, v61
	s_delay_alu instid0(VALU_DEP_1) | instskip(NEXT) | instid1(VALU_DEP_1)
	v_fmac_f32_e32 v50, v55, v62
	v_fmac_f32_e32 v50, v56, v63
	s_delay_alu instid0(VALU_DEP_1)
	v_sub_f32_e32 v49, v49, v50
	scratch_store_b32 off, v49, off offset:60
	v_cmpx_lt_u32_e32 14, v0
	s_cbranch_execz .LBB86_117
; %bb.116:
	scratch_load_b32 v49, off, off offset:56
	scratch_store_b32 off, v2, off offset:56
	s_waitcnt vmcnt(0)
	ds_store_b32 v1, v49
.LBB86_117:
	s_or_b32 exec_lo, exec_lo, s0
	s_waitcnt lgkmcnt(0)
	s_waitcnt_vscnt null, 0x0
	s_barrier
	buffer_gl0_inv
	s_clause 0x2
	scratch_load_b128 v[49:52], off, off offset:56
	scratch_load_b128 v[53:56], off, off offset:72
	scratch_load_b32 v65, off, off offset:88
	ds_load_2addr_b32 v[57:58], v2 offset0:39 offset1:40
	ds_load_2addr_b32 v[59:60], v2 offset0:41 offset1:42
	;; [unrolled: 1-line block ×4, first 2 shown]
	s_mov_b32 s0, exec_lo
	s_waitcnt vmcnt(2) lgkmcnt(3)
	v_fma_f32 v2, v50, v57, 0
	s_delay_alu instid0(VALU_DEP_1) | instskip(SKIP_1) | instid1(VALU_DEP_1)
	v_fmac_f32_e32 v2, v51, v58
	s_waitcnt lgkmcnt(2)
	v_fmac_f32_e32 v2, v52, v59
	s_waitcnt vmcnt(1)
	s_delay_alu instid0(VALU_DEP_1) | instskip(SKIP_1) | instid1(VALU_DEP_1)
	v_fmac_f32_e32 v2, v53, v60
	s_waitcnt lgkmcnt(1)
	v_fmac_f32_e32 v2, v54, v61
	s_delay_alu instid0(VALU_DEP_1) | instskip(SKIP_1) | instid1(VALU_DEP_1)
	v_fmac_f32_e32 v2, v55, v62
	s_waitcnt lgkmcnt(0)
	v_fmac_f32_e32 v2, v56, v63
	s_waitcnt vmcnt(0)
	s_delay_alu instid0(VALU_DEP_1) | instskip(NEXT) | instid1(VALU_DEP_1)
	v_fmac_f32_e32 v2, v65, v64
	v_sub_f32_e32 v2, v49, v2
	scratch_store_b32 off, v2, off offset:56
	v_cmpx_lt_u32_e32 13, v0
	s_cbranch_execz .LBB86_119
; %bb.118:
	scratch_load_b32 v2, off, off offset:52
	v_mov_b32_e32 v49, 0
	scratch_store_b32 off, v49, off offset:52
	s_waitcnt vmcnt(0)
	ds_store_b32 v1, v2
.LBB86_119:
	s_or_b32 exec_lo, exec_lo, s0
	s_waitcnt lgkmcnt(0)
	s_waitcnt_vscnt null, 0x0
	s_barrier
	buffer_gl0_inv
	s_clause 0x2
	scratch_load_b128 v[49:52], off, off offset:52
	scratch_load_b128 v[53:56], off, off offset:68
	scratch_load_b64 v[65:66], off, off offset:84
	v_mov_b32_e32 v2, 0
	ds_load_2addr_b64 v[57:60], v2 offset0:19 offset1:20
	ds_load_2addr_b64 v[61:64], v2 offset0:21 offset1:22
	s_mov_b32 s0, exec_lo
	s_waitcnt vmcnt(2) lgkmcnt(1)
	v_fma_f32 v50, v50, v57, 0
	s_delay_alu instid0(VALU_DEP_1) | instskip(SKIP_3) | instid1(VALU_DEP_1)
	v_fmac_f32_e32 v50, v51, v58
	ds_load_b32 v51, v2 offset:184
	v_fmac_f32_e32 v50, v52, v59
	s_waitcnt vmcnt(1)
	v_fmac_f32_e32 v50, v53, v60
	s_waitcnt lgkmcnt(1)
	s_delay_alu instid0(VALU_DEP_1) | instskip(NEXT) | instid1(VALU_DEP_1)
	v_fmac_f32_e32 v50, v54, v61
	v_fmac_f32_e32 v50, v55, v62
	s_delay_alu instid0(VALU_DEP_1) | instskip(SKIP_1) | instid1(VALU_DEP_1)
	v_fmac_f32_e32 v50, v56, v63
	s_waitcnt vmcnt(0)
	v_fmac_f32_e32 v50, v65, v64
	s_waitcnt lgkmcnt(0)
	s_delay_alu instid0(VALU_DEP_1) | instskip(NEXT) | instid1(VALU_DEP_1)
	v_fmac_f32_e32 v50, v66, v51
	v_sub_f32_e32 v49, v49, v50
	scratch_store_b32 off, v49, off offset:52
	v_cmpx_lt_u32_e32 12, v0
	s_cbranch_execz .LBB86_121
; %bb.120:
	scratch_load_b32 v49, off, off offset:48
	scratch_store_b32 off, v2, off offset:48
	s_waitcnt vmcnt(0)
	ds_store_b32 v1, v49
.LBB86_121:
	s_or_b32 exec_lo, exec_lo, s0
	s_waitcnt lgkmcnt(0)
	s_waitcnt_vscnt null, 0x0
	s_barrier
	buffer_gl0_inv
	s_clause 0x2
	scratch_load_b128 v[49:52], off, off offset:48
	scratch_load_b128 v[53:56], off, off offset:64
	scratch_load_b96 v[57:59], off, off offset:80
	ds_load_2addr_b32 v[60:61], v2 offset0:37 offset1:38
	ds_load_2addr_b32 v[62:63], v2 offset0:39 offset1:40
	ds_load_2addr_b32 v[64:65], v2 offset0:41 offset1:42
	ds_load_2addr_b32 v[66:67], v2 offset0:43 offset1:44
	s_mov_b32 s0, exec_lo
	s_waitcnt vmcnt(2) lgkmcnt(3)
	v_fma_f32 v60, v50, v60, 0
	s_delay_alu instid0(VALU_DEP_1) | instskip(SKIP_4) | instid1(VALU_DEP_1)
	v_fmac_f32_e32 v60, v51, v61
	ds_load_2addr_b32 v[50:51], v2 offset0:45 offset1:46
	s_waitcnt lgkmcnt(3)
	v_fmac_f32_e32 v60, v52, v62
	s_waitcnt vmcnt(1)
	v_fmac_f32_e32 v60, v53, v63
	s_waitcnt lgkmcnt(2)
	s_delay_alu instid0(VALU_DEP_1) | instskip(NEXT) | instid1(VALU_DEP_1)
	v_fmac_f32_e32 v60, v54, v64
	v_fmac_f32_e32 v60, v55, v65
	s_waitcnt lgkmcnt(1)
	s_delay_alu instid0(VALU_DEP_1) | instskip(SKIP_1) | instid1(VALU_DEP_1)
	v_fmac_f32_e32 v60, v56, v66
	s_waitcnt vmcnt(0)
	v_fmac_f32_e32 v60, v57, v67
	s_waitcnt lgkmcnt(0)
	s_delay_alu instid0(VALU_DEP_1) | instskip(NEXT) | instid1(VALU_DEP_1)
	v_fmac_f32_e32 v60, v58, v50
	v_fmac_f32_e32 v60, v59, v51
	s_delay_alu instid0(VALU_DEP_1)
	v_sub_f32_e32 v2, v49, v60
	scratch_store_b32 off, v2, off offset:48
	v_cmpx_lt_u32_e32 11, v0
	s_cbranch_execz .LBB86_123
; %bb.122:
	scratch_load_b32 v2, off, off offset:44
	v_mov_b32_e32 v49, 0
	scratch_store_b32 off, v49, off offset:44
	s_waitcnt vmcnt(0)
	ds_store_b32 v1, v2
.LBB86_123:
	s_or_b32 exec_lo, exec_lo, s0
	s_waitcnt lgkmcnt(0)
	s_waitcnt_vscnt null, 0x0
	s_barrier
	buffer_gl0_inv
	s_clause 0x2
	scratch_load_b128 v[49:52], off, off offset:44
	scratch_load_b128 v[53:56], off, off offset:60
	;; [unrolled: 1-line block ×3, first 2 shown]
	v_mov_b32_e32 v2, 0
	ds_load_b128 v[61:64], v2 offset:144
	ds_load_b128 v[65:68], v2 offset:160
	s_mov_b32 s0, exec_lo
	s_waitcnt vmcnt(2) lgkmcnt(1)
	v_fma_f32 v61, v50, v61, 0
	s_delay_alu instid0(VALU_DEP_1) | instskip(NEXT) | instid1(VALU_DEP_1)
	v_fmac_f32_e32 v61, v51, v62
	v_fmac_f32_e32 v61, v52, v63
	ds_load_b96 v[50:52], v2 offset:176
	s_waitcnt vmcnt(1)
	v_fmac_f32_e32 v61, v53, v64
	s_waitcnt lgkmcnt(1)
	s_delay_alu instid0(VALU_DEP_1) | instskip(NEXT) | instid1(VALU_DEP_1)
	v_fmac_f32_e32 v61, v54, v65
	v_fmac_f32_e32 v61, v55, v66
	s_delay_alu instid0(VALU_DEP_1) | instskip(SKIP_1) | instid1(VALU_DEP_1)
	v_fmac_f32_e32 v61, v56, v67
	s_waitcnt vmcnt(0)
	v_fmac_f32_e32 v61, v57, v68
	s_waitcnt lgkmcnt(0)
	s_delay_alu instid0(VALU_DEP_1) | instskip(NEXT) | instid1(VALU_DEP_1)
	v_fmac_f32_e32 v61, v58, v50
	v_fmac_f32_e32 v61, v59, v51
	s_delay_alu instid0(VALU_DEP_1) | instskip(NEXT) | instid1(VALU_DEP_1)
	v_fmac_f32_e32 v61, v60, v52
	v_sub_f32_e32 v49, v49, v61
	scratch_store_b32 off, v49, off offset:44
	v_cmpx_lt_u32_e32 10, v0
	s_cbranch_execz .LBB86_125
; %bb.124:
	scratch_load_b32 v49, off, off offset:40
	scratch_store_b32 off, v2, off offset:40
	s_waitcnt vmcnt(0)
	ds_store_b32 v1, v49
.LBB86_125:
	s_or_b32 exec_lo, exec_lo, s0
	s_waitcnt lgkmcnt(0)
	s_waitcnt_vscnt null, 0x0
	s_barrier
	buffer_gl0_inv
	s_clause 0x3
	scratch_load_b128 v[49:52], off, off offset:40
	scratch_load_b128 v[53:56], off, off offset:56
	;; [unrolled: 1-line block ×3, first 2 shown]
	scratch_load_b32 v69, off, off offset:88
	ds_load_2addr_b32 v[61:62], v2 offset0:35 offset1:36
	ds_load_2addr_b32 v[63:64], v2 offset0:37 offset1:38
	;; [unrolled: 1-line block ×4, first 2 shown]
	s_mov_b32 s0, exec_lo
	s_waitcnt vmcnt(3) lgkmcnt(3)
	v_fma_f32 v61, v50, v61, 0
	s_delay_alu instid0(VALU_DEP_1) | instskip(SKIP_4) | instid1(VALU_DEP_1)
	v_fmac_f32_e32 v61, v51, v62
	ds_load_2addr_b32 v[50:51], v2 offset0:43 offset1:44
	s_waitcnt lgkmcnt(3)
	v_fmac_f32_e32 v61, v52, v63
	s_waitcnt vmcnt(2)
	v_fmac_f32_e32 v61, v53, v64
	ds_load_2addr_b32 v[52:53], v2 offset0:45 offset1:46
	s_waitcnt lgkmcnt(3)
	v_fmac_f32_e32 v61, v54, v65
	s_delay_alu instid0(VALU_DEP_1) | instskip(SKIP_1) | instid1(VALU_DEP_1)
	v_fmac_f32_e32 v61, v55, v66
	s_waitcnt lgkmcnt(2)
	v_fmac_f32_e32 v61, v56, v67
	s_waitcnt vmcnt(1)
	s_delay_alu instid0(VALU_DEP_1) | instskip(SKIP_1) | instid1(VALU_DEP_1)
	v_fmac_f32_e32 v61, v57, v68
	s_waitcnt lgkmcnt(1)
	v_fmac_f32_e32 v61, v58, v50
	s_delay_alu instid0(VALU_DEP_1) | instskip(SKIP_1) | instid1(VALU_DEP_1)
	v_fmac_f32_e32 v61, v59, v51
	s_waitcnt lgkmcnt(0)
	v_fmac_f32_e32 v61, v60, v52
	s_waitcnt vmcnt(0)
	s_delay_alu instid0(VALU_DEP_1) | instskip(NEXT) | instid1(VALU_DEP_1)
	v_fmac_f32_e32 v61, v69, v53
	v_sub_f32_e32 v2, v49, v61
	scratch_store_b32 off, v2, off offset:40
	v_cmpx_lt_u32_e32 9, v0
	s_cbranch_execz .LBB86_127
; %bb.126:
	scratch_load_b32 v2, off, off offset:36
	v_mov_b32_e32 v49, 0
	scratch_store_b32 off, v49, off offset:36
	s_waitcnt vmcnt(0)
	ds_store_b32 v1, v2
.LBB86_127:
	s_or_b32 exec_lo, exec_lo, s0
	s_waitcnt lgkmcnt(0)
	s_waitcnt_vscnt null, 0x0
	s_barrier
	buffer_gl0_inv
	s_clause 0x3
	scratch_load_b128 v[49:52], off, off offset:36
	scratch_load_b128 v[53:56], off, off offset:52
	;; [unrolled: 1-line block ×3, first 2 shown]
	scratch_load_b64 v[69:70], off, off offset:84
	v_mov_b32_e32 v2, 0
	ds_load_2addr_b64 v[61:64], v2 offset0:17 offset1:18
	ds_load_2addr_b64 v[65:68], v2 offset0:19 offset1:20
	s_mov_b32 s0, exec_lo
	s_waitcnt vmcnt(3) lgkmcnt(1)
	v_fma_f32 v61, v50, v61, 0
	s_delay_alu instid0(VALU_DEP_1) | instskip(NEXT) | instid1(VALU_DEP_1)
	v_fmac_f32_e32 v61, v51, v62
	v_fmac_f32_e32 v61, v52, v63
	s_waitcnt vmcnt(2)
	s_delay_alu instid0(VALU_DEP_1)
	v_fmac_f32_e32 v61, v53, v64
	ds_load_2addr_b64 v[50:53], v2 offset0:21 offset1:22
	s_waitcnt lgkmcnt(1)
	v_fmac_f32_e32 v61, v54, v65
	ds_load_b32 v54, v2 offset:184
	v_fmac_f32_e32 v61, v55, v66
	s_delay_alu instid0(VALU_DEP_1) | instskip(SKIP_1) | instid1(VALU_DEP_1)
	v_fmac_f32_e32 v61, v56, v67
	s_waitcnt vmcnt(1)
	v_fmac_f32_e32 v61, v57, v68
	s_waitcnt lgkmcnt(1)
	s_delay_alu instid0(VALU_DEP_1) | instskip(NEXT) | instid1(VALU_DEP_1)
	v_fmac_f32_e32 v61, v58, v50
	v_fmac_f32_e32 v61, v59, v51
	s_delay_alu instid0(VALU_DEP_1) | instskip(SKIP_1) | instid1(VALU_DEP_1)
	v_fmac_f32_e32 v61, v60, v52
	s_waitcnt vmcnt(0)
	v_fmac_f32_e32 v61, v69, v53
	s_waitcnt lgkmcnt(0)
	s_delay_alu instid0(VALU_DEP_1) | instskip(NEXT) | instid1(VALU_DEP_1)
	v_fmac_f32_e32 v61, v70, v54
	v_sub_f32_e32 v49, v49, v61
	scratch_store_b32 off, v49, off offset:36
	v_cmpx_lt_u32_e32 8, v0
	s_cbranch_execz .LBB86_129
; %bb.128:
	scratch_load_b32 v49, off, off offset:32
	scratch_store_b32 off, v2, off offset:32
	s_waitcnt vmcnt(0)
	ds_store_b32 v1, v49
.LBB86_129:
	s_or_b32 exec_lo, exec_lo, s0
	s_waitcnt lgkmcnt(0)
	s_waitcnt_vscnt null, 0x0
	s_barrier
	buffer_gl0_inv
	s_clause 0x3
	scratch_load_b128 v[49:52], off, off offset:32
	scratch_load_b128 v[53:56], off, off offset:48
	;; [unrolled: 1-line block ×3, first 2 shown]
	scratch_load_b96 v[61:63], off, off offset:80
	ds_load_2addr_b32 v[64:65], v2 offset0:33 offset1:34
	ds_load_2addr_b32 v[66:67], v2 offset0:35 offset1:36
	;; [unrolled: 1-line block ×4, first 2 shown]
	s_mov_b32 s0, exec_lo
	s_waitcnt vmcnt(3) lgkmcnt(3)
	v_fma_f32 v64, v50, v64, 0
	s_delay_alu instid0(VALU_DEP_1) | instskip(SKIP_4) | instid1(VALU_DEP_1)
	v_fmac_f32_e32 v64, v51, v65
	ds_load_2addr_b32 v[50:51], v2 offset0:41 offset1:42
	s_waitcnt lgkmcnt(3)
	v_fmac_f32_e32 v64, v52, v66
	s_waitcnt vmcnt(2)
	v_fmac_f32_e32 v64, v53, v67
	ds_load_2addr_b32 v[52:53], v2 offset0:43 offset1:44
	s_waitcnt lgkmcnt(3)
	v_fmac_f32_e32 v64, v54, v68
	s_delay_alu instid0(VALU_DEP_1) | instskip(SKIP_4) | instid1(VALU_DEP_1)
	v_fmac_f32_e32 v64, v55, v69
	ds_load_2addr_b32 v[54:55], v2 offset0:45 offset1:46
	s_waitcnt lgkmcnt(3)
	v_fmac_f32_e32 v64, v56, v70
	s_waitcnt vmcnt(1)
	v_fmac_f32_e32 v64, v57, v71
	s_waitcnt lgkmcnt(2)
	s_delay_alu instid0(VALU_DEP_1) | instskip(NEXT) | instid1(VALU_DEP_1)
	v_fmac_f32_e32 v64, v58, v50
	v_fmac_f32_e32 v64, v59, v51
	s_waitcnt lgkmcnt(1)
	s_delay_alu instid0(VALU_DEP_1) | instskip(SKIP_1) | instid1(VALU_DEP_1)
	v_fmac_f32_e32 v64, v60, v52
	s_waitcnt vmcnt(0)
	v_fmac_f32_e32 v64, v61, v53
	s_waitcnt lgkmcnt(0)
	s_delay_alu instid0(VALU_DEP_1) | instskip(NEXT) | instid1(VALU_DEP_1)
	v_fmac_f32_e32 v64, v62, v54
	v_fmac_f32_e32 v64, v63, v55
	s_delay_alu instid0(VALU_DEP_1)
	v_sub_f32_e32 v2, v49, v64
	scratch_store_b32 off, v2, off offset:32
	v_cmpx_lt_u32_e32 7, v0
	s_cbranch_execz .LBB86_131
; %bb.130:
	scratch_load_b32 v2, off, off offset:28
	v_mov_b32_e32 v49, 0
	scratch_store_b32 off, v49, off offset:28
	s_waitcnt vmcnt(0)
	ds_store_b32 v1, v2
.LBB86_131:
	s_or_b32 exec_lo, exec_lo, s0
	s_waitcnt lgkmcnt(0)
	s_waitcnt_vscnt null, 0x0
	s_barrier
	buffer_gl0_inv
	s_clause 0x3
	scratch_load_b128 v[49:52], off, off offset:28
	scratch_load_b128 v[53:56], off, off offset:44
	;; [unrolled: 1-line block ×4, first 2 shown]
	v_mov_b32_e32 v2, 0
	ds_load_b128 v[65:68], v2 offset:128
	ds_load_b128 v[69:72], v2 offset:144
	s_mov_b32 s0, exec_lo
	s_waitcnt vmcnt(3) lgkmcnt(1)
	v_fma_f32 v65, v50, v65, 0
	s_delay_alu instid0(VALU_DEP_1) | instskip(NEXT) | instid1(VALU_DEP_1)
	v_fmac_f32_e32 v65, v51, v66
	v_fmac_f32_e32 v65, v52, v67
	s_waitcnt vmcnt(2)
	s_delay_alu instid0(VALU_DEP_1) | instskip(SKIP_3) | instid1(VALU_DEP_1)
	v_fmac_f32_e32 v65, v53, v68
	ds_load_b128 v[50:53], v2 offset:160
	s_waitcnt lgkmcnt(1)
	v_fmac_f32_e32 v65, v54, v69
	v_fmac_f32_e32 v65, v55, v70
	s_delay_alu instid0(VALU_DEP_1) | instskip(SKIP_4) | instid1(VALU_DEP_1)
	v_fmac_f32_e32 v65, v56, v71
	ds_load_b96 v[54:56], v2 offset:176
	s_waitcnt vmcnt(1)
	v_fmac_f32_e32 v65, v57, v72
	s_waitcnt lgkmcnt(1)
	v_fmac_f32_e32 v65, v58, v50
	s_delay_alu instid0(VALU_DEP_1) | instskip(NEXT) | instid1(VALU_DEP_1)
	v_fmac_f32_e32 v65, v59, v51
	v_fmac_f32_e32 v65, v60, v52
	s_waitcnt vmcnt(0)
	s_delay_alu instid0(VALU_DEP_1) | instskip(SKIP_1) | instid1(VALU_DEP_1)
	v_fmac_f32_e32 v65, v61, v53
	s_waitcnt lgkmcnt(0)
	v_fmac_f32_e32 v65, v62, v54
	s_delay_alu instid0(VALU_DEP_1) | instskip(NEXT) | instid1(VALU_DEP_1)
	v_fmac_f32_e32 v65, v63, v55
	v_fmac_f32_e32 v65, v64, v56
	s_delay_alu instid0(VALU_DEP_1)
	v_sub_f32_e32 v49, v49, v65
	scratch_store_b32 off, v49, off offset:28
	v_cmpx_lt_u32_e32 6, v0
	s_cbranch_execz .LBB86_133
; %bb.132:
	scratch_load_b32 v49, off, off offset:24
	scratch_store_b32 off, v2, off offset:24
	s_waitcnt vmcnt(0)
	ds_store_b32 v1, v49
.LBB86_133:
	s_or_b32 exec_lo, exec_lo, s0
	s_waitcnt lgkmcnt(0)
	s_waitcnt_vscnt null, 0x0
	s_barrier
	buffer_gl0_inv
	s_clause 0x4
	scratch_load_b128 v[49:52], off, off offset:24
	scratch_load_b128 v[53:56], off, off offset:40
	;; [unrolled: 1-line block ×4, first 2 shown]
	scratch_load_b32 v73, off, off offset:88
	ds_load_2addr_b32 v[65:66], v2 offset0:31 offset1:32
	ds_load_2addr_b32 v[67:68], v2 offset0:33 offset1:34
	;; [unrolled: 1-line block ×4, first 2 shown]
	s_mov_b32 s0, exec_lo
	s_waitcnt vmcnt(4) lgkmcnt(3)
	v_fma_f32 v65, v50, v65, 0
	s_delay_alu instid0(VALU_DEP_1) | instskip(SKIP_4) | instid1(VALU_DEP_1)
	v_fmac_f32_e32 v65, v51, v66
	ds_load_2addr_b32 v[50:51], v2 offset0:39 offset1:40
	s_waitcnt lgkmcnt(3)
	v_fmac_f32_e32 v65, v52, v67
	s_waitcnt vmcnt(3)
	v_fmac_f32_e32 v65, v53, v68
	ds_load_2addr_b32 v[52:53], v2 offset0:41 offset1:42
	s_waitcnt lgkmcnt(3)
	v_fmac_f32_e32 v65, v54, v69
	s_delay_alu instid0(VALU_DEP_1) | instskip(SKIP_1) | instid1(VALU_DEP_1)
	v_fmac_f32_e32 v65, v55, v70
	s_waitcnt lgkmcnt(2)
	v_fmac_f32_e32 v65, v56, v71
	s_waitcnt vmcnt(2)
	s_delay_alu instid0(VALU_DEP_1) | instskip(SKIP_4) | instid1(VALU_DEP_1)
	v_fmac_f32_e32 v65, v57, v72
	ds_load_2addr_b32 v[54:55], v2 offset0:43 offset1:44
	ds_load_2addr_b32 v[56:57], v2 offset0:45 offset1:46
	s_waitcnt lgkmcnt(3)
	v_fmac_f32_e32 v65, v58, v50
	v_fmac_f32_e32 v65, v59, v51
	s_waitcnt lgkmcnt(2)
	s_delay_alu instid0(VALU_DEP_1) | instskip(SKIP_1) | instid1(VALU_DEP_1)
	v_fmac_f32_e32 v65, v60, v52
	s_waitcnt vmcnt(1)
	v_fmac_f32_e32 v65, v61, v53
	s_waitcnt lgkmcnt(1)
	s_delay_alu instid0(VALU_DEP_1) | instskip(NEXT) | instid1(VALU_DEP_1)
	v_fmac_f32_e32 v65, v62, v54
	v_fmac_f32_e32 v65, v63, v55
	s_waitcnt lgkmcnt(0)
	s_delay_alu instid0(VALU_DEP_1) | instskip(SKIP_1) | instid1(VALU_DEP_1)
	v_fmac_f32_e32 v65, v64, v56
	s_waitcnt vmcnt(0)
	v_fmac_f32_e32 v65, v73, v57
	s_delay_alu instid0(VALU_DEP_1)
	v_sub_f32_e32 v2, v49, v65
	scratch_store_b32 off, v2, off offset:24
	v_cmpx_lt_u32_e32 5, v0
	s_cbranch_execz .LBB86_135
; %bb.134:
	scratch_load_b32 v2, off, off offset:20
	v_mov_b32_e32 v49, 0
	scratch_store_b32 off, v49, off offset:20
	s_waitcnt vmcnt(0)
	ds_store_b32 v1, v2
.LBB86_135:
	s_or_b32 exec_lo, exec_lo, s0
	s_waitcnt lgkmcnt(0)
	s_waitcnt_vscnt null, 0x0
	s_barrier
	buffer_gl0_inv
	s_clause 0x4
	scratch_load_b128 v[49:52], off, off offset:20
	scratch_load_b128 v[53:56], off, off offset:36
	;; [unrolled: 1-line block ×4, first 2 shown]
	scratch_load_b64 v[73:74], off, off offset:84
	v_mov_b32_e32 v2, 0
	ds_load_2addr_b64 v[65:68], v2 offset0:15 offset1:16
	ds_load_2addr_b64 v[69:72], v2 offset0:17 offset1:18
	s_mov_b32 s0, exec_lo
	s_waitcnt vmcnt(4) lgkmcnt(1)
	v_fma_f32 v65, v50, v65, 0
	s_delay_alu instid0(VALU_DEP_1) | instskip(NEXT) | instid1(VALU_DEP_1)
	v_fmac_f32_e32 v65, v51, v66
	v_fmac_f32_e32 v65, v52, v67
	s_waitcnt vmcnt(3)
	s_delay_alu instid0(VALU_DEP_1) | instskip(SKIP_3) | instid1(VALU_DEP_1)
	v_fmac_f32_e32 v65, v53, v68
	ds_load_2addr_b64 v[50:53], v2 offset0:19 offset1:20
	s_waitcnt lgkmcnt(1)
	v_fmac_f32_e32 v65, v54, v69
	v_fmac_f32_e32 v65, v55, v70
	s_delay_alu instid0(VALU_DEP_1) | instskip(SKIP_1) | instid1(VALU_DEP_1)
	v_fmac_f32_e32 v65, v56, v71
	s_waitcnt vmcnt(2)
	v_fmac_f32_e32 v65, v57, v72
	ds_load_2addr_b64 v[54:57], v2 offset0:21 offset1:22
	s_waitcnt lgkmcnt(1)
	v_fmac_f32_e32 v65, v58, v50
	ds_load_b32 v50, v2 offset:184
	v_fmac_f32_e32 v65, v59, v51
	s_delay_alu instid0(VALU_DEP_1) | instskip(SKIP_1) | instid1(VALU_DEP_1)
	v_fmac_f32_e32 v65, v60, v52
	s_waitcnt vmcnt(1)
	v_fmac_f32_e32 v65, v61, v53
	s_waitcnt lgkmcnt(1)
	s_delay_alu instid0(VALU_DEP_1) | instskip(NEXT) | instid1(VALU_DEP_1)
	v_fmac_f32_e32 v65, v62, v54
	v_fmac_f32_e32 v65, v63, v55
	s_delay_alu instid0(VALU_DEP_1) | instskip(SKIP_1) | instid1(VALU_DEP_1)
	v_fmac_f32_e32 v65, v64, v56
	s_waitcnt vmcnt(0)
	v_fmac_f32_e32 v65, v73, v57
	s_waitcnt lgkmcnt(0)
	s_delay_alu instid0(VALU_DEP_1) | instskip(NEXT) | instid1(VALU_DEP_1)
	v_fmac_f32_e32 v65, v74, v50
	v_sub_f32_e32 v49, v49, v65
	scratch_store_b32 off, v49, off offset:20
	v_cmpx_lt_u32_e32 4, v0
	s_cbranch_execz .LBB86_137
; %bb.136:
	scratch_load_b32 v49, off, off offset:16
	scratch_store_b32 off, v2, off offset:16
	s_waitcnt vmcnt(0)
	ds_store_b32 v1, v49
.LBB86_137:
	s_or_b32 exec_lo, exec_lo, s0
	s_waitcnt lgkmcnt(0)
	s_waitcnt_vscnt null, 0x0
	s_barrier
	buffer_gl0_inv
	s_clause 0x4
	scratch_load_b128 v[49:52], off, off offset:16
	scratch_load_b128 v[53:56], off, off offset:32
	;; [unrolled: 1-line block ×4, first 2 shown]
	scratch_load_b96 v[65:67], off, off offset:80
	ds_load_2addr_b32 v[68:69], v2 offset0:29 offset1:30
	ds_load_2addr_b32 v[70:71], v2 offset0:31 offset1:32
	;; [unrolled: 1-line block ×4, first 2 shown]
	s_mov_b32 s0, exec_lo
	s_waitcnt vmcnt(4) lgkmcnt(3)
	v_fma_f32 v68, v50, v68, 0
	s_delay_alu instid0(VALU_DEP_1) | instskip(SKIP_4) | instid1(VALU_DEP_1)
	v_fmac_f32_e32 v68, v51, v69
	ds_load_2addr_b32 v[50:51], v2 offset0:37 offset1:38
	s_waitcnt lgkmcnt(3)
	v_fmac_f32_e32 v68, v52, v70
	s_waitcnt vmcnt(3)
	v_fmac_f32_e32 v68, v53, v71
	ds_load_2addr_b32 v[52:53], v2 offset0:39 offset1:40
	s_waitcnt lgkmcnt(3)
	v_fmac_f32_e32 v68, v54, v72
	s_delay_alu instid0(VALU_DEP_1) | instskip(SKIP_1) | instid1(VALU_DEP_1)
	v_fmac_f32_e32 v68, v55, v73
	s_waitcnt lgkmcnt(2)
	v_fmac_f32_e32 v68, v56, v74
	s_waitcnt vmcnt(2)
	s_delay_alu instid0(VALU_DEP_1) | instskip(SKIP_4) | instid1(VALU_DEP_1)
	v_fmac_f32_e32 v68, v57, v75
	ds_load_2addr_b32 v[54:55], v2 offset0:41 offset1:42
	ds_load_2addr_b32 v[56:57], v2 offset0:43 offset1:44
	s_waitcnt lgkmcnt(3)
	v_fmac_f32_e32 v68, v58, v50
	v_fmac_f32_e32 v68, v59, v51
	ds_load_2addr_b32 v[50:51], v2 offset0:45 offset1:46
	s_waitcnt lgkmcnt(3)
	v_fmac_f32_e32 v68, v60, v52
	s_waitcnt vmcnt(1)
	s_delay_alu instid0(VALU_DEP_1) | instskip(SKIP_1) | instid1(VALU_DEP_1)
	v_fmac_f32_e32 v68, v61, v53
	s_waitcnt lgkmcnt(2)
	v_fmac_f32_e32 v68, v62, v54
	s_delay_alu instid0(VALU_DEP_1) | instskip(SKIP_1) | instid1(VALU_DEP_1)
	v_fmac_f32_e32 v68, v63, v55
	s_waitcnt lgkmcnt(1)
	v_fmac_f32_e32 v68, v64, v56
	s_waitcnt vmcnt(0)
	s_delay_alu instid0(VALU_DEP_1) | instskip(SKIP_1) | instid1(VALU_DEP_1)
	v_fmac_f32_e32 v68, v65, v57
	s_waitcnt lgkmcnt(0)
	v_fmac_f32_e32 v68, v66, v50
	s_delay_alu instid0(VALU_DEP_1) | instskip(NEXT) | instid1(VALU_DEP_1)
	v_fmac_f32_e32 v68, v67, v51
	v_sub_f32_e32 v2, v49, v68
	scratch_store_b32 off, v2, off offset:16
	v_cmpx_lt_u32_e32 3, v0
	s_cbranch_execz .LBB86_139
; %bb.138:
	scratch_load_b32 v2, off, off offset:12
	v_mov_b32_e32 v49, 0
	scratch_store_b32 off, v49, off offset:12
	s_waitcnt vmcnt(0)
	ds_store_b32 v1, v2
.LBB86_139:
	s_or_b32 exec_lo, exec_lo, s0
	s_waitcnt lgkmcnt(0)
	s_waitcnt_vscnt null, 0x0
	s_barrier
	buffer_gl0_inv
	s_clause 0x4
	scratch_load_b128 v[49:52], off, off offset:12
	scratch_load_b128 v[53:56], off, off offset:28
	;; [unrolled: 1-line block ×5, first 2 shown]
	v_mov_b32_e32 v2, 0
	ds_load_b128 v[69:72], v2 offset:112
	ds_load_b128 v[73:76], v2 offset:128
	s_mov_b32 s0, exec_lo
	s_waitcnt vmcnt(4) lgkmcnt(1)
	v_fma_f32 v69, v50, v69, 0
	s_delay_alu instid0(VALU_DEP_1) | instskip(NEXT) | instid1(VALU_DEP_1)
	v_fmac_f32_e32 v69, v51, v70
	v_fmac_f32_e32 v69, v52, v71
	s_waitcnt vmcnt(3)
	s_delay_alu instid0(VALU_DEP_1) | instskip(SKIP_3) | instid1(VALU_DEP_1)
	v_fmac_f32_e32 v69, v53, v72
	ds_load_b128 v[50:53], v2 offset:144
	s_waitcnt lgkmcnt(1)
	v_fmac_f32_e32 v69, v54, v73
	v_fmac_f32_e32 v69, v55, v74
	s_delay_alu instid0(VALU_DEP_1) | instskip(SKIP_1) | instid1(VALU_DEP_1)
	v_fmac_f32_e32 v69, v56, v75
	s_waitcnt vmcnt(2)
	v_fmac_f32_e32 v69, v57, v76
	ds_load_b128 v[54:57], v2 offset:160
	s_waitcnt lgkmcnt(1)
	v_fmac_f32_e32 v69, v58, v50
	s_delay_alu instid0(VALU_DEP_1) | instskip(NEXT) | instid1(VALU_DEP_1)
	v_fmac_f32_e32 v69, v59, v51
	v_fmac_f32_e32 v69, v60, v52
	ds_load_b96 v[50:52], v2 offset:176
	s_waitcnt vmcnt(1)
	v_fmac_f32_e32 v69, v61, v53
	s_waitcnt lgkmcnt(1)
	s_delay_alu instid0(VALU_DEP_1) | instskip(NEXT) | instid1(VALU_DEP_1)
	v_fmac_f32_e32 v69, v62, v54
	v_fmac_f32_e32 v69, v63, v55
	s_delay_alu instid0(VALU_DEP_1) | instskip(SKIP_1) | instid1(VALU_DEP_1)
	v_fmac_f32_e32 v69, v64, v56
	s_waitcnt vmcnt(0)
	v_fmac_f32_e32 v69, v65, v57
	s_waitcnt lgkmcnt(0)
	s_delay_alu instid0(VALU_DEP_1) | instskip(NEXT) | instid1(VALU_DEP_1)
	v_fmac_f32_e32 v69, v66, v50
	v_fmac_f32_e32 v69, v67, v51
	s_delay_alu instid0(VALU_DEP_1) | instskip(NEXT) | instid1(VALU_DEP_1)
	v_fmac_f32_e32 v69, v68, v52
	v_sub_f32_e32 v49, v49, v69
	scratch_store_b32 off, v49, off offset:12
	v_cmpx_lt_u32_e32 2, v0
	s_cbranch_execz .LBB86_141
; %bb.140:
	scratch_load_b32 v49, off, off offset:8
	scratch_store_b32 off, v2, off offset:8
	s_waitcnt vmcnt(0)
	ds_store_b32 v1, v49
.LBB86_141:
	s_or_b32 exec_lo, exec_lo, s0
	s_waitcnt lgkmcnt(0)
	s_waitcnt_vscnt null, 0x0
	s_barrier
	buffer_gl0_inv
	s_clause 0x5
	scratch_load_b128 v[49:52], off, off offset:8
	scratch_load_b128 v[53:56], off, off offset:24
	;; [unrolled: 1-line block ×5, first 2 shown]
	scratch_load_b32 v77, off, off offset:88
	ds_load_2addr_b32 v[69:70], v2 offset0:27 offset1:28
	ds_load_2addr_b32 v[71:72], v2 offset0:29 offset1:30
	;; [unrolled: 1-line block ×4, first 2 shown]
	s_mov_b32 s0, exec_lo
	s_waitcnt vmcnt(5) lgkmcnt(3)
	v_fma_f32 v69, v50, v69, 0
	s_delay_alu instid0(VALU_DEP_1) | instskip(SKIP_4) | instid1(VALU_DEP_1)
	v_fmac_f32_e32 v69, v51, v70
	ds_load_2addr_b32 v[50:51], v2 offset0:35 offset1:36
	s_waitcnt lgkmcnt(3)
	v_fmac_f32_e32 v69, v52, v71
	s_waitcnt vmcnt(4)
	v_fmac_f32_e32 v69, v53, v72
	ds_load_2addr_b32 v[52:53], v2 offset0:37 offset1:38
	s_waitcnt lgkmcnt(3)
	v_fmac_f32_e32 v69, v54, v73
	s_delay_alu instid0(VALU_DEP_1) | instskip(SKIP_1) | instid1(VALU_DEP_1)
	v_fmac_f32_e32 v69, v55, v74
	s_waitcnt lgkmcnt(2)
	v_fmac_f32_e32 v69, v56, v75
	s_waitcnt vmcnt(3)
	s_delay_alu instid0(VALU_DEP_1) | instskip(SKIP_4) | instid1(VALU_DEP_1)
	v_fmac_f32_e32 v69, v57, v76
	ds_load_2addr_b32 v[54:55], v2 offset0:39 offset1:40
	ds_load_2addr_b32 v[56:57], v2 offset0:41 offset1:42
	s_waitcnt lgkmcnt(3)
	v_fmac_f32_e32 v69, v58, v50
	v_fmac_f32_e32 v69, v59, v51
	ds_load_2addr_b32 v[50:51], v2 offset0:43 offset1:44
	s_waitcnt lgkmcnt(3)
	v_fmac_f32_e32 v69, v60, v52
	s_waitcnt vmcnt(2)
	s_delay_alu instid0(VALU_DEP_1) | instskip(SKIP_3) | instid1(VALU_DEP_1)
	v_fmac_f32_e32 v69, v61, v53
	ds_load_2addr_b32 v[52:53], v2 offset0:45 offset1:46
	s_waitcnt lgkmcnt(3)
	v_fmac_f32_e32 v69, v62, v54
	v_fmac_f32_e32 v69, v63, v55
	s_waitcnt lgkmcnt(2)
	s_delay_alu instid0(VALU_DEP_1) | instskip(SKIP_1) | instid1(VALU_DEP_1)
	v_fmac_f32_e32 v69, v64, v56
	s_waitcnt vmcnt(1)
	v_fmac_f32_e32 v69, v65, v57
	s_waitcnt lgkmcnt(1)
	s_delay_alu instid0(VALU_DEP_1) | instskip(NEXT) | instid1(VALU_DEP_1)
	v_fmac_f32_e32 v69, v66, v50
	v_fmac_f32_e32 v69, v67, v51
	s_waitcnt lgkmcnt(0)
	s_delay_alu instid0(VALU_DEP_1) | instskip(SKIP_1) | instid1(VALU_DEP_1)
	v_fmac_f32_e32 v69, v68, v52
	s_waitcnt vmcnt(0)
	v_fmac_f32_e32 v69, v77, v53
	s_delay_alu instid0(VALU_DEP_1)
	v_sub_f32_e32 v2, v49, v69
	scratch_store_b32 off, v2, off offset:8
	v_cmpx_lt_u32_e32 1, v0
	s_cbranch_execz .LBB86_143
; %bb.142:
	scratch_load_b32 v2, off, off offset:4
	v_mov_b32_e32 v49, 0
	scratch_store_b32 off, v49, off offset:4
	s_waitcnt vmcnt(0)
	ds_store_b32 v1, v2
.LBB86_143:
	s_or_b32 exec_lo, exec_lo, s0
	s_waitcnt lgkmcnt(0)
	s_waitcnt_vscnt null, 0x0
	s_barrier
	buffer_gl0_inv
	s_clause 0x5
	scratch_load_b128 v[50:53], off, off offset:4
	scratch_load_b128 v[54:57], off, off offset:20
	;; [unrolled: 1-line block ×5, first 2 shown]
	scratch_load_b64 v[78:79], off, off offset:84
	v_mov_b32_e32 v49, 0
	ds_load_2addr_b64 v[70:73], v49 offset0:13 offset1:14
	ds_load_2addr_b64 v[74:77], v49 offset0:15 offset1:16
	s_mov_b32 s0, exec_lo
	s_waitcnt vmcnt(5) lgkmcnt(1)
	v_fma_f32 v2, v51, v70, 0
	s_delay_alu instid0(VALU_DEP_1) | instskip(NEXT) | instid1(VALU_DEP_1)
	v_fmac_f32_e32 v2, v52, v71
	v_fmac_f32_e32 v2, v53, v72
	s_waitcnt vmcnt(4)
	s_delay_alu instid0(VALU_DEP_1) | instskip(SKIP_3) | instid1(VALU_DEP_1)
	v_fmac_f32_e32 v2, v54, v73
	ds_load_2addr_b64 v[51:54], v49 offset0:17 offset1:18
	s_waitcnt lgkmcnt(1)
	v_fmac_f32_e32 v2, v55, v74
	v_fmac_f32_e32 v2, v56, v75
	s_delay_alu instid0(VALU_DEP_1) | instskip(SKIP_1) | instid1(VALU_DEP_1)
	v_fmac_f32_e32 v2, v57, v76
	s_waitcnt vmcnt(3)
	v_fmac_f32_e32 v2, v58, v77
	ds_load_2addr_b64 v[55:58], v49 offset0:19 offset1:20
	s_waitcnt lgkmcnt(1)
	v_fmac_f32_e32 v2, v59, v51
	s_delay_alu instid0(VALU_DEP_1) | instskip(NEXT) | instid1(VALU_DEP_1)
	v_fmac_f32_e32 v2, v60, v52
	v_fmac_f32_e32 v2, v61, v53
	s_waitcnt vmcnt(2)
	s_delay_alu instid0(VALU_DEP_1)
	v_fmac_f32_e32 v2, v62, v54
	ds_load_2addr_b64 v[51:54], v49 offset0:21 offset1:22
	s_waitcnt lgkmcnt(1)
	v_fmac_f32_e32 v2, v63, v55
	ds_load_b32 v55, v49 offset:184
	v_fmac_f32_e32 v2, v64, v56
	s_delay_alu instid0(VALU_DEP_1) | instskip(SKIP_1) | instid1(VALU_DEP_1)
	v_fmac_f32_e32 v2, v65, v57
	s_waitcnt vmcnt(1)
	v_fmac_f32_e32 v2, v66, v58
	s_waitcnt lgkmcnt(1)
	s_delay_alu instid0(VALU_DEP_1) | instskip(NEXT) | instid1(VALU_DEP_1)
	v_fmac_f32_e32 v2, v67, v51
	v_fmac_f32_e32 v2, v68, v52
	s_delay_alu instid0(VALU_DEP_1) | instskip(SKIP_1) | instid1(VALU_DEP_1)
	v_fmac_f32_e32 v2, v69, v53
	s_waitcnt vmcnt(0)
	v_fmac_f32_e32 v2, v78, v54
	s_waitcnt lgkmcnt(0)
	s_delay_alu instid0(VALU_DEP_1) | instskip(NEXT) | instid1(VALU_DEP_1)
	v_fmac_f32_e32 v2, v79, v55
	v_sub_f32_e32 v2, v50, v2
	scratch_store_b32 off, v2, off offset:4
	v_cmpx_ne_u32_e32 0, v0
	s_cbranch_execz .LBB86_145
; %bb.144:
	scratch_load_b32 v0, off, off
	scratch_store_b32 off, v49, off
	s_waitcnt vmcnt(0)
	ds_store_b32 v1, v0
.LBB86_145:
	s_or_b32 exec_lo, exec_lo, s0
	s_waitcnt lgkmcnt(0)
	s_waitcnt_vscnt null, 0x0
	s_barrier
	buffer_gl0_inv
	s_clause 0x5
	scratch_load_b128 v[50:53], off, off
	scratch_load_b128 v[54:57], off, off offset:16
	scratch_load_b128 v[58:61], off, off offset:32
	;; [unrolled: 1-line block ×4, first 2 shown]
	scratch_load_b96 v[0:2], off, off offset:80
	ds_load_2addr_b32 v[70:71], v49 offset0:25 offset1:26
	ds_load_2addr_b32 v[72:73], v49 offset0:27 offset1:28
	;; [unrolled: 1-line block ×4, first 2 shown]
	s_and_b32 vcc_lo, exec_lo, s12
	s_waitcnt vmcnt(5) lgkmcnt(3)
	v_fma_f32 v70, v51, v70, 0
	s_delay_alu instid0(VALU_DEP_1) | instskip(SKIP_4) | instid1(VALU_DEP_1)
	v_fmac_f32_e32 v70, v52, v71
	ds_load_2addr_b32 v[51:52], v49 offset0:33 offset1:34
	s_waitcnt lgkmcnt(3)
	v_fmac_f32_e32 v70, v53, v72
	s_waitcnt vmcnt(4)
	v_fmac_f32_e32 v70, v54, v73
	ds_load_2addr_b32 v[53:54], v49 offset0:35 offset1:36
	s_waitcnt lgkmcnt(3)
	v_fmac_f32_e32 v70, v55, v74
	s_delay_alu instid0(VALU_DEP_1) | instskip(SKIP_1) | instid1(VALU_DEP_1)
	v_fmac_f32_e32 v70, v56, v75
	s_waitcnt lgkmcnt(2)
	v_fmac_f32_e32 v70, v57, v76
	s_waitcnt vmcnt(3)
	s_delay_alu instid0(VALU_DEP_1) | instskip(SKIP_4) | instid1(VALU_DEP_1)
	v_fmac_f32_e32 v70, v58, v77
	ds_load_2addr_b32 v[55:56], v49 offset0:37 offset1:38
	ds_load_2addr_b32 v[57:58], v49 offset0:39 offset1:40
	s_waitcnt lgkmcnt(3)
	v_fmac_f32_e32 v70, v59, v51
	v_fmac_f32_e32 v70, v60, v52
	ds_load_2addr_b32 v[51:52], v49 offset0:41 offset1:42
	s_waitcnt lgkmcnt(3)
	v_fmac_f32_e32 v70, v61, v53
	s_waitcnt vmcnt(2)
	s_delay_alu instid0(VALU_DEP_1) | instskip(SKIP_3) | instid1(VALU_DEP_1)
	v_fmac_f32_e32 v70, v62, v54
	ds_load_2addr_b32 v[53:54], v49 offset0:43 offset1:44
	s_waitcnt lgkmcnt(3)
	v_fmac_f32_e32 v70, v63, v55
	v_fmac_f32_e32 v70, v64, v56
	ds_load_2addr_b32 v[55:56], v49 offset0:45 offset1:46
	s_waitcnt lgkmcnt(3)
	v_fmac_f32_e32 v70, v65, v57
	s_waitcnt vmcnt(1)
	s_delay_alu instid0(VALU_DEP_1) | instskip(SKIP_1) | instid1(VALU_DEP_1)
	v_fmac_f32_e32 v70, v66, v58
	s_waitcnt lgkmcnt(2)
	v_fmac_f32_e32 v70, v67, v51
	s_delay_alu instid0(VALU_DEP_1) | instskip(SKIP_1) | instid1(VALU_DEP_1)
	v_fmac_f32_e32 v70, v68, v52
	s_waitcnt lgkmcnt(1)
	v_fmac_f32_e32 v70, v69, v53
	s_waitcnt vmcnt(0)
	s_delay_alu instid0(VALU_DEP_1) | instskip(SKIP_1) | instid1(VALU_DEP_1)
	v_fmac_f32_e32 v70, v0, v54
	s_waitcnt lgkmcnt(0)
	v_fmac_f32_e32 v70, v1, v55
	s_delay_alu instid0(VALU_DEP_1) | instskip(NEXT) | instid1(VALU_DEP_1)
	v_fmac_f32_e32 v70, v2, v56
	v_sub_f32_e32 v0, v50, v70
	scratch_store_b32 off, v0, off
	s_cbranch_vccz .LBB86_191
; %bb.146:
	v_dual_mov_b32 v50, s3 :: v_dual_mov_b32 v49, s2
	s_mov_b32 s0, exec_lo
	flat_load_b32 v0, v[49:50] offset:84
	s_waitcnt vmcnt(0) lgkmcnt(0)
	v_cmpx_ne_u32_e32 22, v0
	s_cbranch_execz .LBB86_148
; %bb.147:
	v_lshl_add_u32 v0, v0, 2, 0
	scratch_load_b32 v2, v0, off offset:-4
	s_waitcnt vmcnt(0)
	scratch_store_b32 off, v2, off offset:84
	scratch_store_b32 v0, v1, off offset:-4
.LBB86_148:
	s_or_b32 exec_lo, exec_lo, s0
	v_dual_mov_b32 v0, s2 :: v_dual_mov_b32 v1, s3
	s_mov_b32 s0, exec_lo
	flat_load_b32 v0, v[0:1] offset:80
	s_waitcnt vmcnt(0) lgkmcnt(0)
	v_cmpx_ne_u32_e32 21, v0
	s_cbranch_execz .LBB86_150
; %bb.149:
	v_lshl_add_u32 v0, v0, 2, 0
	scratch_load_b32 v1, v0, off offset:-4
	scratch_load_b32 v2, off, off offset:80
	s_waitcnt vmcnt(1)
	scratch_store_b32 off, v1, off offset:80
	s_waitcnt vmcnt(0)
	scratch_store_b32 v0, v2, off offset:-4
.LBB86_150:
	s_or_b32 exec_lo, exec_lo, s0
	v_dual_mov_b32 v0, s2 :: v_dual_mov_b32 v1, s3
	s_mov_b32 s0, exec_lo
	flat_load_b32 v0, v[0:1] offset:76
	s_waitcnt vmcnt(0) lgkmcnt(0)
	v_cmpx_ne_u32_e32 20, v0
	s_cbranch_execz .LBB86_152
; %bb.151:
	v_lshl_add_u32 v0, v0, 2, 0
	scratch_load_b32 v1, v0, off offset:-4
	scratch_load_b32 v2, off, off offset:76
	s_waitcnt vmcnt(1)
	scratch_store_b32 off, v1, off offset:76
	s_waitcnt vmcnt(0)
	scratch_store_b32 v0, v2, off offset:-4
.LBB86_152:
	;; [unrolled: 16-line block ×20, first 2 shown]
	s_or_b32 exec_lo, exec_lo, s0
	v_dual_mov_b32 v0, s2 :: v_dual_mov_b32 v1, s3
	s_mov_b32 s0, exec_lo
	flat_load_b32 v1, v[0:1]
	scratch_load_b32 v0, off, off
	s_waitcnt vmcnt(1) lgkmcnt(0)
	v_cmpx_ne_u32_e32 1, v1
	s_cbranch_execz .LBB86_190
; %bb.189:
	v_lshl_add_u32 v1, v1, 2, 0
	scratch_load_b32 v2, v1, off offset:-4
	s_waitcnt vmcnt(0)
	scratch_store_b32 off, v2, off
	scratch_store_b32 v1, v0, off offset:-4
	scratch_load_b32 v0, off, off
.LBB86_190:
	s_or_b32 exec_lo, exec_lo, s0
.LBB86_191:
	s_clause 0x5
	scratch_load_b128 v[49:52], off, off offset:4
	scratch_load_b128 v[53:56], off, off offset:20
	;; [unrolled: 1-line block ×5, first 2 shown]
	scratch_load_b64 v[1:2], off, off offset:84
	s_waitcnt vmcnt(6)
	global_store_b32 v[3:4], v0, off
	s_waitcnt vmcnt(5)
	s_clause 0x3
	global_store_b32 v[5:6], v49, off
	global_store_b32 v[7:8], v50, off
	global_store_b32 v[9:10], v51, off
	global_store_b32 v[11:12], v52, off
	s_waitcnt vmcnt(4)
	s_clause 0x3
	global_store_b32 v[13:14], v53, off
	global_store_b32 v[15:16], v54, off
	global_store_b32 v[17:18], v55, off
	;; [unrolled: 6-line block ×5, first 2 shown]
	global_store_b32 v[43:44], v68, off
	s_waitcnt vmcnt(0)
	s_clause 0x1
	global_store_b32 v[45:46], v1, off
	global_store_b32 v[47:48], v2, off
	s_endpgm
	.section	.rodata,"a",@progbits
	.p2align	6, 0x0
	.amdhsa_kernel _ZN9rocsolver6v33100L18getri_kernel_smallILi23EfPKPfEEvT1_iilPiilS6_bb
		.amdhsa_group_segment_fixed_size 188
		.amdhsa_private_segment_fixed_size 96
		.amdhsa_kernarg_size 60
		.amdhsa_user_sgpr_count 15
		.amdhsa_user_sgpr_dispatch_ptr 0
		.amdhsa_user_sgpr_queue_ptr 0
		.amdhsa_user_sgpr_kernarg_segment_ptr 1
		.amdhsa_user_sgpr_dispatch_id 0
		.amdhsa_user_sgpr_private_segment_size 0
		.amdhsa_wavefront_size32 1
		.amdhsa_uses_dynamic_stack 0
		.amdhsa_enable_private_segment 1
		.amdhsa_system_sgpr_workgroup_id_x 1
		.amdhsa_system_sgpr_workgroup_id_y 0
		.amdhsa_system_sgpr_workgroup_id_z 0
		.amdhsa_system_sgpr_workgroup_info 0
		.amdhsa_system_vgpr_workitem_id 0
		.amdhsa_next_free_vgpr 80
		.amdhsa_next_free_sgpr 17
		.amdhsa_reserve_vcc 1
		.amdhsa_float_round_mode_32 0
		.amdhsa_float_round_mode_16_64 0
		.amdhsa_float_denorm_mode_32 3
		.amdhsa_float_denorm_mode_16_64 3
		.amdhsa_dx10_clamp 1
		.amdhsa_ieee_mode 1
		.amdhsa_fp16_overflow 0
		.amdhsa_workgroup_processor_mode 1
		.amdhsa_memory_ordered 1
		.amdhsa_forward_progress 0
		.amdhsa_shared_vgpr_count 0
		.amdhsa_exception_fp_ieee_invalid_op 0
		.amdhsa_exception_fp_denorm_src 0
		.amdhsa_exception_fp_ieee_div_zero 0
		.amdhsa_exception_fp_ieee_overflow 0
		.amdhsa_exception_fp_ieee_underflow 0
		.amdhsa_exception_fp_ieee_inexact 0
		.amdhsa_exception_int_div_zero 0
	.end_amdhsa_kernel
	.section	.text._ZN9rocsolver6v33100L18getri_kernel_smallILi23EfPKPfEEvT1_iilPiilS6_bb,"axG",@progbits,_ZN9rocsolver6v33100L18getri_kernel_smallILi23EfPKPfEEvT1_iilPiilS6_bb,comdat
.Lfunc_end86:
	.size	_ZN9rocsolver6v33100L18getri_kernel_smallILi23EfPKPfEEvT1_iilPiilS6_bb, .Lfunc_end86-_ZN9rocsolver6v33100L18getri_kernel_smallILi23EfPKPfEEvT1_iilPiilS6_bb
                                        ; -- End function
	.section	.AMDGPU.csdata,"",@progbits
; Kernel info:
; codeLenInByte = 13104
; NumSgprs: 19
; NumVgprs: 80
; ScratchSize: 96
; MemoryBound: 0
; FloatMode: 240
; IeeeMode: 1
; LDSByteSize: 188 bytes/workgroup (compile time only)
; SGPRBlocks: 2
; VGPRBlocks: 9
; NumSGPRsForWavesPerEU: 19
; NumVGPRsForWavesPerEU: 80
; Occupancy: 16
; WaveLimiterHint : 1
; COMPUTE_PGM_RSRC2:SCRATCH_EN: 1
; COMPUTE_PGM_RSRC2:USER_SGPR: 15
; COMPUTE_PGM_RSRC2:TRAP_HANDLER: 0
; COMPUTE_PGM_RSRC2:TGID_X_EN: 1
; COMPUTE_PGM_RSRC2:TGID_Y_EN: 0
; COMPUTE_PGM_RSRC2:TGID_Z_EN: 0
; COMPUTE_PGM_RSRC2:TIDIG_COMP_CNT: 0
	.section	.text._ZN9rocsolver6v33100L18getri_kernel_smallILi24EfPKPfEEvT1_iilPiilS6_bb,"axG",@progbits,_ZN9rocsolver6v33100L18getri_kernel_smallILi24EfPKPfEEvT1_iilPiilS6_bb,comdat
	.globl	_ZN9rocsolver6v33100L18getri_kernel_smallILi24EfPKPfEEvT1_iilPiilS6_bb ; -- Begin function _ZN9rocsolver6v33100L18getri_kernel_smallILi24EfPKPfEEvT1_iilPiilS6_bb
	.p2align	8
	.type	_ZN9rocsolver6v33100L18getri_kernel_smallILi24EfPKPfEEvT1_iilPiilS6_bb,@function
_ZN9rocsolver6v33100L18getri_kernel_smallILi24EfPKPfEEvT1_iilPiilS6_bb: ; @_ZN9rocsolver6v33100L18getri_kernel_smallILi24EfPKPfEEvT1_iilPiilS6_bb
; %bb.0:
	s_mov_b32 s2, exec_lo
	v_cmpx_gt_u32_e32 24, v0
	s_cbranch_execz .LBB87_104
; %bb.1:
	s_clause 0x1
	s_load_b32 s13, s[0:1], 0x38
	s_load_b64 s[2:3], s[0:1], 0x0
	s_mov_b32 s8, s15
	s_load_b128 s[4:7], s[0:1], 0x28
	s_waitcnt lgkmcnt(0)
	s_bitcmp1_b32 s13, 8
	s_cselect_b32 s12, -1, 0
	s_ashr_i32 s9, s15, 31
	s_delay_alu instid0(SALU_CYCLE_1) | instskip(NEXT) | instid1(SALU_CYCLE_1)
	s_lshl_b64 s[10:11], s[8:9], 3
	s_add_u32 s2, s2, s10
	s_addc_u32 s3, s3, s11
	s_load_b64 s[10:11], s[2:3], 0x0
	s_bfe_u32 s2, s13, 0x10008
	s_delay_alu instid0(SALU_CYCLE_1)
	s_cmp_eq_u32 s2, 0
                                        ; implicit-def: $sgpr2_sgpr3
	s_cbranch_scc1 .LBB87_3
; %bb.2:
	s_clause 0x1
	s_load_b32 s2, s[0:1], 0x20
	s_load_b64 s[14:15], s[0:1], 0x18
	s_mul_i32 s3, s8, s5
	s_mul_hi_u32 s5, s8, s4
	s_mul_i32 s16, s9, s4
	s_add_i32 s3, s5, s3
	s_mul_i32 s4, s8, s4
	s_add_i32 s5, s3, s16
	s_delay_alu instid0(SALU_CYCLE_1)
	s_lshl_b64 s[4:5], s[4:5], 2
	s_waitcnt lgkmcnt(0)
	s_ashr_i32 s3, s2, 31
	s_add_u32 s4, s14, s4
	s_addc_u32 s5, s15, s5
	s_lshl_b64 s[2:3], s[2:3], 2
	s_delay_alu instid0(SALU_CYCLE_1)
	s_add_u32 s2, s4, s2
	s_addc_u32 s3, s5, s3
.LBB87_3:
	s_load_b64 s[0:1], s[0:1], 0x8
	v_lshlrev_b32_e32 v1, 2, v0
	s_waitcnt lgkmcnt(0)
	v_add3_u32 v2, s1, s1, v0
	s_ashr_i32 s5, s0, 31
	s_mov_b32 s4, s0
	s_mov_b32 s14, s1
	s_lshl_b64 s[4:5], s[4:5], 2
	v_add_nc_u32_e32 v8, s1, v2
	v_ashrrev_i32_e32 v3, 31, v2
	s_add_u32 s4, s10, s4
	s_addc_u32 s5, s11, s5
	v_add_co_u32 v4, s0, s4, v1
	v_add_nc_u32_e32 v10, s1, v8
	s_ashr_i32 s15, s1, 31
	v_add_co_ci_u32_e64 v5, null, s5, 0, s0
	v_lshlrev_b64 v[2:3], 2, v[2:3]
	s_delay_alu instid0(VALU_DEP_3)
	v_add_nc_u32_e32 v14, s1, v10
	v_ashrrev_i32_e32 v9, 31, v8
	s_lshl_b64 s[10:11], s[14:15], 2
	v_ashrrev_i32_e32 v11, 31, v10
	v_add_co_u32 v6, vcc_lo, v4, s10
	v_add_nc_u32_e32 v16, s1, v14
	v_add_co_ci_u32_e32 v7, vcc_lo, s11, v5, vcc_lo
	v_lshlrev_b64 v[12:13], 2, v[8:9]
	v_add_co_u32 v8, vcc_lo, s4, v2
	s_delay_alu instid0(VALU_DEP_4) | instskip(SKIP_3) | instid1(VALU_DEP_4)
	v_add_nc_u32_e32 v18, s1, v16
	v_add_co_ci_u32_e32 v9, vcc_lo, s5, v3, vcc_lo
	v_lshlrev_b64 v[2:3], 2, v[10:11]
	v_ashrrev_i32_e32 v15, 31, v14
	v_add_nc_u32_e32 v20, s1, v18
	v_add_co_u32 v10, vcc_lo, s4, v12
	v_ashrrev_i32_e32 v17, 31, v16
	v_add_co_ci_u32_e32 v11, vcc_lo, s5, v13, vcc_lo
	v_lshlrev_b64 v[14:15], 2, v[14:15]
	v_add_co_u32 v12, vcc_lo, s4, v2
	v_add_nc_u32_e32 v22, s1, v20
	v_add_co_ci_u32_e32 v13, vcc_lo, s5, v3, vcc_lo
	v_lshlrev_b64 v[2:3], 2, v[16:17]
	v_ashrrev_i32_e32 v19, 31, v18
	v_add_co_u32 v14, vcc_lo, s4, v14
	v_ashrrev_i32_e32 v21, 31, v20
	v_add_nc_u32_e32 v24, s1, v22
	v_add_co_ci_u32_e32 v15, vcc_lo, s5, v15, vcc_lo
	v_lshlrev_b64 v[18:19], 2, v[18:19]
	v_add_co_u32 v16, vcc_lo, s4, v2
	v_add_co_ci_u32_e32 v17, vcc_lo, s5, v3, vcc_lo
	v_lshlrev_b64 v[2:3], 2, v[20:21]
	v_add_nc_u32_e32 v26, s1, v24
	v_add_co_u32 v18, vcc_lo, s4, v18
	v_ashrrev_i32_e32 v23, 31, v22
	v_add_co_ci_u32_e32 v19, vcc_lo, s5, v19, vcc_lo
	s_delay_alu instid0(VALU_DEP_4)
	v_add_nc_u32_e32 v28, s1, v26
	v_add_co_u32 v20, vcc_lo, s4, v2
	v_add_co_ci_u32_e32 v21, vcc_lo, s5, v3, vcc_lo
	v_lshlrev_b64 v[2:3], 2, v[22:23]
	v_ashrrev_i32_e32 v25, 31, v24
	v_add_nc_u32_e32 v30, s1, v28
	v_ashrrev_i32_e32 v27, 31, v26
	v_ashrrev_i32_e32 v29, 31, v28
	global_load_b32 v52, v1, s[4:5]
	v_lshlrev_b64 v[24:25], 2, v[24:25]
	v_add_co_u32 v22, vcc_lo, s4, v2
	v_add_nc_u32_e32 v32, s1, v30
	v_add_co_ci_u32_e32 v23, vcc_lo, s5, v3, vcc_lo
	v_lshlrev_b64 v[2:3], 2, v[26:27]
	v_add_co_u32 v24, vcc_lo, s4, v24
	v_ashrrev_i32_e32 v31, 31, v30
	v_add_nc_u32_e32 v34, s1, v32
	v_add_co_ci_u32_e32 v25, vcc_lo, s5, v25, vcc_lo
	v_lshlrev_b64 v[28:29], 2, v[28:29]
	v_add_co_u32 v26, vcc_lo, s4, v2
	v_add_co_ci_u32_e32 v27, vcc_lo, s5, v3, vcc_lo
	v_lshlrev_b64 v[2:3], 2, v[30:31]
	v_ashrrev_i32_e32 v33, 31, v32
	v_add_nc_u32_e32 v36, s1, v34
	v_add_co_u32 v28, vcc_lo, s4, v28
	v_ashrrev_i32_e32 v35, 31, v34
	v_add_co_ci_u32_e32 v29, vcc_lo, s5, v29, vcc_lo
	v_lshlrev_b64 v[32:33], 2, v[32:33]
	v_add_co_u32 v30, vcc_lo, s4, v2
	v_ashrrev_i32_e32 v37, 31, v36
	v_add_co_ci_u32_e32 v31, vcc_lo, s5, v3, vcc_lo
	v_lshlrev_b64 v[2:3], 2, v[34:35]
	v_add_nc_u32_e32 v39, s1, v36
	v_add_co_u32 v32, vcc_lo, s4, v32
	v_lshlrev_b64 v[37:38], 2, v[36:37]
	v_add_co_ci_u32_e32 v33, vcc_lo, s5, v33, vcc_lo
	v_add_co_u32 v34, vcc_lo, s4, v2
	v_ashrrev_i32_e32 v40, 31, v39
	v_add_nc_u32_e32 v2, s1, v39
	v_add_co_ci_u32_e32 v35, vcc_lo, s5, v3, vcc_lo
	v_add_co_u32 v36, vcc_lo, s4, v37
	v_add_co_ci_u32_e32 v37, vcc_lo, s5, v38, vcc_lo
	v_lshlrev_b64 v[38:39], 2, v[39:40]
	v_add_nc_u32_e32 v40, s1, v2
	v_ashrrev_i32_e32 v3, 31, v2
	s_clause 0xf
	global_load_b32 v53, v[6:7], off
	global_load_b32 v54, v[8:9], off
	;; [unrolled: 1-line block ×16, first 2 shown]
	s_bitcmp0_b32 s13, 0
	v_add_nc_u32_e32 v42, s1, v40
	v_lshlrev_b64 v[2:3], 2, v[2:3]
	v_ashrrev_i32_e32 v41, 31, v40
	v_add_co_u32 v38, vcc_lo, s4, v38
	s_delay_alu instid0(VALU_DEP_4) | instskip(SKIP_3) | instid1(VALU_DEP_4)
	v_add_nc_u32_e32 v46, s1, v42
	v_ashrrev_i32_e32 v43, 31, v42
	v_add_co_ci_u32_e32 v39, vcc_lo, s5, v39, vcc_lo
	v_lshlrev_b64 v[44:45], 2, v[40:41]
	v_add_nc_u32_e32 v48, s1, v46
	v_add_co_u32 v40, vcc_lo, s4, v2
	v_add_co_ci_u32_e32 v41, vcc_lo, s5, v3, vcc_lo
	v_lshlrev_b64 v[2:3], 2, v[42:43]
	v_ashrrev_i32_e32 v47, 31, v46
	v_add_nc_u32_e32 v50, s1, v48
	v_add_co_u32 v42, vcc_lo, s4, v44
	v_ashrrev_i32_e32 v49, 31, v48
	v_add_co_ci_u32_e32 v43, vcc_lo, s5, v45, vcc_lo
	v_lshlrev_b64 v[46:47], 2, v[46:47]
	v_add_co_u32 v44, vcc_lo, s4, v2
	v_ashrrev_i32_e32 v51, 31, v50
	v_add_co_ci_u32_e32 v45, vcc_lo, s5, v3, vcc_lo
	v_lshlrev_b64 v[2:3], 2, v[48:49]
	v_add_co_u32 v46, vcc_lo, s4, v46
	s_delay_alu instid0(VALU_DEP_4) | instskip(SKIP_1) | instid1(VALU_DEP_4)
	v_lshlrev_b64 v[50:51], 2, v[50:51]
	v_add_co_ci_u32_e32 v47, vcc_lo, s5, v47, vcc_lo
	v_add_co_u32 v48, vcc_lo, s4, v2
	v_add_co_ci_u32_e32 v49, vcc_lo, s5, v3, vcc_lo
	s_delay_alu instid0(VALU_DEP_4)
	v_add_co_u32 v50, vcc_lo, s4, v50
	v_add_co_ci_u32_e32 v51, vcc_lo, s5, v51, vcc_lo
	s_clause 0x6
	global_load_b32 v69, v[38:39], off
	global_load_b32 v70, v[40:41], off
	;; [unrolled: 1-line block ×7, first 2 shown]
	s_mov_b32 s1, -1
	s_waitcnt vmcnt(20)
	scratch_store_b128 off, v[52:55], off
	s_waitcnt vmcnt(16)
	scratch_store_b128 off, v[56:59], off offset:16
	s_waitcnt vmcnt(12)
	scratch_store_b128 off, v[60:63], off offset:32
	s_waitcnt vmcnt(8)
	scratch_store_b128 off, v[64:67], off offset:48
	s_waitcnt vmcnt(4)
	scratch_store_b128 off, v[68:71], off offset:64
	s_waitcnt vmcnt(0)
	scratch_store_b128 off, v[72:75], off offset:80
	s_cbranch_scc1 .LBB87_102
; %bb.4:
	v_cmp_eq_u32_e64 s0, 0, v0
	s_delay_alu instid0(VALU_DEP_1)
	s_and_saveexec_b32 s1, s0
	s_cbranch_execz .LBB87_6
; %bb.5:
	v_mov_b32_e32 v2, 0
	ds_store_b32 v2, v2 offset:192
.LBB87_6:
	s_or_b32 exec_lo, exec_lo, s1
	s_waitcnt lgkmcnt(0)
	s_waitcnt_vscnt null, 0x0
	s_barrier
	buffer_gl0_inv
	scratch_load_b32 v2, v1, off
	s_mov_b32 s4, exec_lo
	s_waitcnt vmcnt(0)
	v_cmpx_eq_f32_e32 0, v2
	s_cbranch_execz .LBB87_10
; %bb.7:
	v_mov_b32_e32 v2, 0
	s_mov_b32 s5, 0
	ds_load_b32 v3, v2 offset:192
	s_waitcnt lgkmcnt(0)
	v_readfirstlane_b32 s1, v3
	v_add_nc_u32_e32 v3, 1, v0
	s_delay_alu instid0(VALU_DEP_2) | instskip(NEXT) | instid1(VALU_DEP_1)
	s_cmp_eq_u32 s1, 0
	v_cmp_gt_i32_e32 vcc_lo, s1, v3
	s_cselect_b32 s10, -1, 0
	s_delay_alu instid0(SALU_CYCLE_1) | instskip(NEXT) | instid1(SALU_CYCLE_1)
	s_or_b32 s10, s10, vcc_lo
	s_and_b32 exec_lo, exec_lo, s10
	s_cbranch_execz .LBB87_10
; %bb.8:
	v_mov_b32_e32 v52, s1
.LBB87_9:                               ; =>This Inner Loop Header: Depth=1
	ds_cmpstore_rtn_b32 v52, v2, v3, v52 offset:192
	s_waitcnt lgkmcnt(0)
	v_cmp_ne_u32_e32 vcc_lo, 0, v52
	v_cmp_le_i32_e64 s1, v52, v3
	s_delay_alu instid0(VALU_DEP_1) | instskip(NEXT) | instid1(SALU_CYCLE_1)
	s_and_b32 s1, vcc_lo, s1
	s_and_b32 s1, exec_lo, s1
	s_delay_alu instid0(SALU_CYCLE_1) | instskip(NEXT) | instid1(SALU_CYCLE_1)
	s_or_b32 s5, s1, s5
	s_and_not1_b32 exec_lo, exec_lo, s5
	s_cbranch_execnz .LBB87_9
.LBB87_10:
	s_or_b32 exec_lo, exec_lo, s4
	v_mov_b32_e32 v2, 0
	s_barrier
	buffer_gl0_inv
	ds_load_b32 v3, v2 offset:192
	s_and_saveexec_b32 s1, s0
	s_cbranch_execz .LBB87_12
; %bb.11:
	s_lshl_b64 s[4:5], s[8:9], 2
	s_delay_alu instid0(SALU_CYCLE_1)
	s_add_u32 s4, s6, s4
	s_addc_u32 s5, s7, s5
	s_waitcnt lgkmcnt(0)
	global_store_b32 v2, v3, s[4:5]
.LBB87_12:
	s_or_b32 exec_lo, exec_lo, s1
	s_waitcnt lgkmcnt(0)
	v_cmp_ne_u32_e32 vcc_lo, 0, v3
	s_mov_b32 s1, 0
	s_cbranch_vccnz .LBB87_102
; %bb.13:
	v_add_nc_u32_e32 v2, 0, v1
	scratch_load_b32 v3, v2, off
	s_waitcnt vmcnt(0)
	v_div_scale_f32 v52, null, v3, v3, 1.0
	v_div_scale_f32 v55, vcc_lo, 1.0, v3, 1.0
	s_delay_alu instid0(VALU_DEP_2) | instskip(SKIP_2) | instid1(VALU_DEP_1)
	v_rcp_f32_e32 v53, v52
	s_waitcnt_depctr 0xfff
	v_fma_f32 v54, -v52, v53, 1.0
	v_fmac_f32_e32 v53, v54, v53
	s_delay_alu instid0(VALU_DEP_1) | instskip(NEXT) | instid1(VALU_DEP_1)
	v_mul_f32_e32 v54, v55, v53
	v_fma_f32 v56, -v52, v54, v55
	s_delay_alu instid0(VALU_DEP_1) | instskip(NEXT) | instid1(VALU_DEP_1)
	v_fmac_f32_e32 v54, v56, v53
	v_fma_f32 v52, -v52, v54, v55
	s_delay_alu instid0(VALU_DEP_1) | instskip(NEXT) | instid1(VALU_DEP_1)
	v_div_fmas_f32 v52, v52, v53, v54
	v_div_fixup_f32 v3, v52, v3, 1.0
	scratch_store_b32 v2, v3, off
	scratch_load_b32 v52, off, off offset:4
	v_xor_b32_e32 v53, 0x80000000, v3
	v_add_nc_u32_e32 v3, 0x60, v1
	s_waitcnt vmcnt(0)
	ds_store_2addr_b32 v1, v53, v52 offset1:24
	s_waitcnt lgkmcnt(0)
	s_waitcnt_vscnt null, 0x0
	s_barrier
	buffer_gl0_inv
	s_and_saveexec_b32 s1, s0
	s_cbranch_execz .LBB87_15
; %bb.14:
	scratch_load_b32 v52, v2, off
	ds_load_b32 v53, v3
	v_mov_b32_e32 v54, 0
	ds_load_b32 v54, v54 offset:4
	s_waitcnt vmcnt(0) lgkmcnt(1)
	v_fma_f32 v52, v52, v53, 0
	s_waitcnt lgkmcnt(0)
	s_delay_alu instid0(VALU_DEP_1)
	v_mul_f32_e32 v52, v52, v54
	scratch_store_b32 off, v52, off offset:4
.LBB87_15:
	s_or_b32 exec_lo, exec_lo, s1
	s_waitcnt_vscnt null, 0x0
	s_barrier
	buffer_gl0_inv
	scratch_load_b32 v52, off, off offset:8
	s_mov_b32 s1, exec_lo
	s_waitcnt vmcnt(0)
	ds_store_b32 v3, v52
	s_waitcnt lgkmcnt(0)
	s_barrier
	buffer_gl0_inv
	v_cmpx_gt_u32_e32 2, v0
	s_cbranch_execz .LBB87_17
; %bb.16:
	scratch_load_b32 v54, v2, off
	scratch_load_b32 v55, off, off offset:4
	ds_load_b32 v56, v3
	v_mov_b32_e32 v52, 0
	ds_load_2addr_b32 v[52:53], v52 offset0:2 offset1:25
	s_waitcnt vmcnt(1) lgkmcnt(1)
	v_fma_f32 v54, v54, v56, 0
	s_waitcnt vmcnt(0) lgkmcnt(0)
	s_delay_alu instid0(VALU_DEP_1) | instskip(NEXT) | instid1(VALU_DEP_1)
	v_fma_f32 v53, v55, v53, v54
	v_cndmask_b32_e64 v53, v54, v53, s0
	s_delay_alu instid0(VALU_DEP_1)
	v_mul_f32_e32 v52, v53, v52
	scratch_store_b32 off, v52, off offset:8
.LBB87_17:
	s_or_b32 exec_lo, exec_lo, s1
	s_waitcnt_vscnt null, 0x0
	s_barrier
	buffer_gl0_inv
	scratch_load_b32 v53, off, off offset:12
	v_add_nc_u32_e32 v52, -1, v0
	s_mov_b32 s0, exec_lo
	s_waitcnt vmcnt(0)
	ds_store_b32 v3, v53
	s_waitcnt lgkmcnt(0)
	s_barrier
	buffer_gl0_inv
	v_cmpx_gt_u32_e32 3, v0
	s_cbranch_execz .LBB87_21
; %bb.18:
	v_dual_mov_b32 v53, 0 :: v_dual_add_nc_u32 v54, -1, v0
	v_add_nc_u32_e32 v55, 0x60, v1
	v_add_nc_u32_e32 v56, 0, v1
	s_mov_b32 s1, 0
.LBB87_19:                              ; =>This Inner Loop Header: Depth=1
	scratch_load_b32 v57, v56, off
	ds_load_b32 v58, v55
	v_add_nc_u32_e32 v54, 1, v54
	v_add_nc_u32_e32 v55, 4, v55
	v_add_nc_u32_e32 v56, 4, v56
	s_delay_alu instid0(VALU_DEP_3)
	v_cmp_lt_u32_e32 vcc_lo, 1, v54
	s_or_b32 s1, vcc_lo, s1
	s_waitcnt vmcnt(0) lgkmcnt(0)
	v_fmac_f32_e32 v53, v57, v58
	s_and_not1_b32 exec_lo, exec_lo, s1
	s_cbranch_execnz .LBB87_19
; %bb.20:
	s_or_b32 exec_lo, exec_lo, s1
	v_mov_b32_e32 v54, 0
	ds_load_b32 v54, v54 offset:12
	s_waitcnt lgkmcnt(0)
	v_mul_f32_e32 v53, v53, v54
	scratch_store_b32 off, v53, off offset:12
.LBB87_21:
	s_or_b32 exec_lo, exec_lo, s0
	s_waitcnt_vscnt null, 0x0
	s_barrier
	buffer_gl0_inv
	scratch_load_b32 v53, off, off offset:16
	s_mov_b32 s0, exec_lo
	s_waitcnt vmcnt(0)
	ds_store_b32 v3, v53
	s_waitcnt lgkmcnt(0)
	s_barrier
	buffer_gl0_inv
	v_cmpx_gt_u32_e32 4, v0
	s_cbranch_execz .LBB87_25
; %bb.22:
	v_dual_mov_b32 v53, 0 :: v_dual_add_nc_u32 v54, -1, v0
	v_add_nc_u32_e32 v55, 0x60, v1
	v_add_nc_u32_e32 v56, 0, v1
	s_mov_b32 s1, 0
.LBB87_23:                              ; =>This Inner Loop Header: Depth=1
	scratch_load_b32 v57, v56, off
	ds_load_b32 v58, v55
	v_add_nc_u32_e32 v54, 1, v54
	v_add_nc_u32_e32 v55, 4, v55
	v_add_nc_u32_e32 v56, 4, v56
	s_delay_alu instid0(VALU_DEP_3)
	v_cmp_lt_u32_e32 vcc_lo, 2, v54
	s_or_b32 s1, vcc_lo, s1
	s_waitcnt vmcnt(0) lgkmcnt(0)
	v_fmac_f32_e32 v53, v57, v58
	s_and_not1_b32 exec_lo, exec_lo, s1
	s_cbranch_execnz .LBB87_23
; %bb.24:
	s_or_b32 exec_lo, exec_lo, s1
	v_mov_b32_e32 v54, 0
	ds_load_b32 v54, v54 offset:16
	s_waitcnt lgkmcnt(0)
	v_mul_f32_e32 v53, v53, v54
	scratch_store_b32 off, v53, off offset:16
.LBB87_25:
	s_or_b32 exec_lo, exec_lo, s0
	s_waitcnt_vscnt null, 0x0
	s_barrier
	buffer_gl0_inv
	scratch_load_b32 v53, off, off offset:20
	;; [unrolled: 39-line block ×19, first 2 shown]
	s_mov_b32 s0, exec_lo
	s_waitcnt vmcnt(0)
	ds_store_b32 v3, v53
	s_waitcnt lgkmcnt(0)
	s_barrier
	buffer_gl0_inv
	v_cmpx_gt_u32_e32 22, v0
	s_cbranch_execz .LBB87_97
; %bb.94:
	v_add_nc_u32_e32 v53, -1, v0
	v_add_nc_u32_e32 v54, 0x60, v1
	v_add_nc_u32_e32 v55, 0, v1
	v_mov_b32_e32 v1, 0
	s_mov_b32 s1, 0
.LBB87_95:                              ; =>This Inner Loop Header: Depth=1
	scratch_load_b32 v56, v55, off
	ds_load_b32 v57, v54
	v_add_nc_u32_e32 v53, 1, v53
	v_add_nc_u32_e32 v54, 4, v54
	;; [unrolled: 1-line block ×3, first 2 shown]
	s_delay_alu instid0(VALU_DEP_3)
	v_cmp_lt_u32_e32 vcc_lo, 20, v53
	s_or_b32 s1, vcc_lo, s1
	s_waitcnt vmcnt(0) lgkmcnt(0)
	v_fmac_f32_e32 v1, v56, v57
	s_and_not1_b32 exec_lo, exec_lo, s1
	s_cbranch_execnz .LBB87_95
; %bb.96:
	s_or_b32 exec_lo, exec_lo, s1
	v_mov_b32_e32 v53, 0
	ds_load_b32 v53, v53 offset:88
	s_waitcnt lgkmcnt(0)
	v_mul_f32_e32 v1, v1, v53
	scratch_store_b32 off, v1, off offset:88
.LBB87_97:
	s_or_b32 exec_lo, exec_lo, s0
	s_waitcnt_vscnt null, 0x0
	s_barrier
	buffer_gl0_inv
	scratch_load_b32 v1, off, off offset:92
	s_mov_b32 s0, exec_lo
	s_waitcnt vmcnt(0)
	ds_store_b32 v3, v1
	s_waitcnt lgkmcnt(0)
	s_barrier
	buffer_gl0_inv
	v_cmpx_ne_u32_e32 23, v0
	s_cbranch_execz .LBB87_101
; %bb.98:
	v_mov_b32_e32 v1, 0
	s_mov_b32 s1, 0
.LBB87_99:                              ; =>This Inner Loop Header: Depth=1
	scratch_load_b32 v53, v2, off
	ds_load_b32 v54, v3
	v_add_nc_u32_e32 v52, 1, v52
	v_add_nc_u32_e32 v3, 4, v3
	;; [unrolled: 1-line block ×3, first 2 shown]
	s_waitcnt vmcnt(0) lgkmcnt(0)
	v_fmac_f32_e32 v1, v53, v54
	v_cmp_lt_u32_e32 vcc_lo, 21, v52
	s_or_b32 s1, vcc_lo, s1
	s_delay_alu instid0(SALU_CYCLE_1)
	s_and_not1_b32 exec_lo, exec_lo, s1
	s_cbranch_execnz .LBB87_99
; %bb.100:
	s_or_b32 exec_lo, exec_lo, s1
	v_mov_b32_e32 v2, 0
	ds_load_b32 v2, v2 offset:92
	s_waitcnt lgkmcnt(0)
	v_mul_f32_e32 v1, v1, v2
	scratch_store_b32 off, v1, off offset:92
.LBB87_101:
	s_or_b32 exec_lo, exec_lo, s0
	s_mov_b32 s1, -1
	s_waitcnt_vscnt null, 0x0
	s_barrier
	buffer_gl0_inv
.LBB87_102:
	s_and_b32 vcc_lo, exec_lo, s1
	s_cbranch_vccz .LBB87_104
; %bb.103:
	s_lshl_b64 s[0:1], s[8:9], 2
	v_mov_b32_e32 v1, 0
	s_add_u32 s0, s6, s0
	s_addc_u32 s1, s7, s1
	global_load_b32 v1, v1, s[0:1]
	s_waitcnt vmcnt(0)
	v_cmp_ne_u32_e32 vcc_lo, 0, v1
	s_cbranch_vccz .LBB87_105
.LBB87_104:
	s_endpgm
.LBB87_105:
	v_lshl_add_u32 v1, v0, 2, 0x60
	s_mov_b32 s0, exec_lo
	v_cmpx_eq_u32_e32 23, v0
	s_cbranch_execz .LBB87_107
; %bb.106:
	scratch_load_b32 v2, off, off offset:88
	v_mov_b32_e32 v3, 0
	scratch_store_b32 off, v3, off offset:88
	s_waitcnt vmcnt(0)
	ds_store_b32 v1, v2
.LBB87_107:
	s_or_b32 exec_lo, exec_lo, s0
	s_waitcnt lgkmcnt(0)
	s_waitcnt_vscnt null, 0x0
	s_barrier
	buffer_gl0_inv
	scratch_load_b64 v[52:53], off, off offset:88
	v_mov_b32_e32 v2, 0
	s_mov_b32 s0, exec_lo
	ds_load_b32 v3, v2 offset:188
	s_waitcnt vmcnt(0) lgkmcnt(0)
	v_fma_f32 v3, v53, v3, 0
	s_delay_alu instid0(VALU_DEP_1)
	v_sub_f32_e32 v3, v52, v3
	scratch_store_b32 off, v3, off offset:88
	v_cmpx_lt_u32_e32 21, v0
	s_cbranch_execz .LBB87_109
; %bb.108:
	scratch_load_b32 v3, off, off offset:84
	scratch_store_b32 off, v2, off offset:84
	s_waitcnt vmcnt(0)
	ds_store_b32 v1, v3
.LBB87_109:
	s_or_b32 exec_lo, exec_lo, s0
	s_waitcnt lgkmcnt(0)
	s_waitcnt_vscnt null, 0x0
	s_barrier
	buffer_gl0_inv
	scratch_load_b96 v[52:54], off, off offset:84
	ds_load_b64 v[2:3], v2 offset:184
	s_mov_b32 s0, exec_lo
	s_waitcnt vmcnt(0) lgkmcnt(0)
	v_fma_f32 v2, v53, v2, 0
	s_delay_alu instid0(VALU_DEP_1) | instskip(NEXT) | instid1(VALU_DEP_1)
	v_fmac_f32_e32 v2, v54, v3
	v_sub_f32_e32 v2, v52, v2
	scratch_store_b32 off, v2, off offset:84
	v_cmpx_lt_u32_e32 20, v0
	s_cbranch_execz .LBB87_111
; %bb.110:
	scratch_load_b32 v2, off, off offset:80
	v_mov_b32_e32 v3, 0
	scratch_store_b32 off, v3, off offset:80
	s_waitcnt vmcnt(0)
	ds_store_b32 v1, v2
.LBB87_111:
	s_or_b32 exec_lo, exec_lo, s0
	s_waitcnt lgkmcnt(0)
	s_waitcnt_vscnt null, 0x0
	s_barrier
	buffer_gl0_inv
	scratch_load_b128 v[52:55], off, off offset:80
	v_mov_b32_e32 v2, 0
	ds_load_2addr_b32 v[56:57], v2 offset0:45 offset1:46
	ds_load_b32 v3, v2 offset:188
	s_mov_b32 s0, exec_lo
	s_waitcnt vmcnt(0) lgkmcnt(1)
	v_fma_f32 v53, v53, v56, 0
	s_delay_alu instid0(VALU_DEP_1) | instskip(SKIP_1) | instid1(VALU_DEP_1)
	v_fmac_f32_e32 v53, v54, v57
	s_waitcnt lgkmcnt(0)
	v_fmac_f32_e32 v53, v55, v3
	s_delay_alu instid0(VALU_DEP_1)
	v_sub_f32_e32 v3, v52, v53
	scratch_store_b32 off, v3, off offset:80
	v_cmpx_lt_u32_e32 19, v0
	s_cbranch_execz .LBB87_113
; %bb.112:
	scratch_load_b32 v3, off, off offset:76
	scratch_store_b32 off, v2, off offset:76
	s_waitcnt vmcnt(0)
	ds_store_b32 v1, v3
.LBB87_113:
	s_or_b32 exec_lo, exec_lo, s0
	s_waitcnt lgkmcnt(0)
	s_waitcnt_vscnt null, 0x0
	s_barrier
	buffer_gl0_inv
	s_clause 0x1
	scratch_load_b128 v[52:55], off, off offset:76
	scratch_load_b32 v3, off, off offset:92
	ds_load_b128 v[56:59], v2 offset:176
	s_mov_b32 s0, exec_lo
	s_waitcnt vmcnt(1) lgkmcnt(0)
	v_fma_f32 v2, v53, v56, 0
	s_delay_alu instid0(VALU_DEP_1) | instskip(NEXT) | instid1(VALU_DEP_1)
	v_fmac_f32_e32 v2, v54, v57
	v_fmac_f32_e32 v2, v55, v58
	s_waitcnt vmcnt(0)
	s_delay_alu instid0(VALU_DEP_1) | instskip(NEXT) | instid1(VALU_DEP_1)
	v_fmac_f32_e32 v2, v3, v59
	v_sub_f32_e32 v2, v52, v2
	scratch_store_b32 off, v2, off offset:76
	v_cmpx_lt_u32_e32 18, v0
	s_cbranch_execz .LBB87_115
; %bb.114:
	scratch_load_b32 v2, off, off offset:72
	v_mov_b32_e32 v3, 0
	scratch_store_b32 off, v3, off offset:72
	s_waitcnt vmcnt(0)
	ds_store_b32 v1, v2
.LBB87_115:
	s_or_b32 exec_lo, exec_lo, s0
	s_waitcnt lgkmcnt(0)
	s_waitcnt_vscnt null, 0x0
	s_barrier
	buffer_gl0_inv
	s_clause 0x1
	scratch_load_b128 v[52:55], off, off offset:72
	scratch_load_b64 v[56:57], off, off offset:88
	v_mov_b32_e32 v2, 0
	ds_load_2addr_b32 v[58:59], v2 offset0:43 offset1:44
	ds_load_2addr_b32 v[60:61], v2 offset0:45 offset1:46
	ds_load_b32 v3, v2 offset:188
	s_mov_b32 s0, exec_lo
	s_waitcnt vmcnt(1) lgkmcnt(2)
	v_fma_f32 v53, v53, v58, 0
	s_delay_alu instid0(VALU_DEP_1) | instskip(SKIP_1) | instid1(VALU_DEP_1)
	v_fmac_f32_e32 v53, v54, v59
	s_waitcnt lgkmcnt(1)
	v_fmac_f32_e32 v53, v55, v60
	s_waitcnt vmcnt(0)
	s_delay_alu instid0(VALU_DEP_1) | instskip(SKIP_1) | instid1(VALU_DEP_1)
	v_fmac_f32_e32 v53, v56, v61
	s_waitcnt lgkmcnt(0)
	v_fmac_f32_e32 v53, v57, v3
	s_delay_alu instid0(VALU_DEP_1)
	v_sub_f32_e32 v3, v52, v53
	scratch_store_b32 off, v3, off offset:72
	v_cmpx_lt_u32_e32 17, v0
	s_cbranch_execz .LBB87_117
; %bb.116:
	scratch_load_b32 v3, off, off offset:68
	scratch_store_b32 off, v2, off offset:68
	s_waitcnt vmcnt(0)
	ds_store_b32 v1, v3
.LBB87_117:
	s_or_b32 exec_lo, exec_lo, s0
	s_waitcnt lgkmcnt(0)
	s_waitcnt_vscnt null, 0x0
	s_barrier
	buffer_gl0_inv
	s_clause 0x1
	scratch_load_b128 v[52:55], off, off offset:68
	scratch_load_b96 v[60:62], off, off offset:84
	ds_load_2addr_b64 v[56:59], v2 offset0:21 offset1:22
	ds_load_b64 v[2:3], v2 offset:184
	s_mov_b32 s0, exec_lo
	s_waitcnt vmcnt(1) lgkmcnt(1)
	v_fma_f32 v53, v53, v56, 0
	s_delay_alu instid0(VALU_DEP_1) | instskip(NEXT) | instid1(VALU_DEP_1)
	v_fmac_f32_e32 v53, v54, v57
	v_fmac_f32_e32 v53, v55, v58
	s_waitcnt vmcnt(0)
	s_delay_alu instid0(VALU_DEP_1) | instskip(SKIP_1) | instid1(VALU_DEP_1)
	v_fmac_f32_e32 v53, v60, v59
	s_waitcnt lgkmcnt(0)
	v_fmac_f32_e32 v53, v61, v2
	s_delay_alu instid0(VALU_DEP_1) | instskip(NEXT) | instid1(VALU_DEP_1)
	v_fmac_f32_e32 v53, v62, v3
	v_sub_f32_e32 v2, v52, v53
	scratch_store_b32 off, v2, off offset:68
	v_cmpx_lt_u32_e32 16, v0
	s_cbranch_execz .LBB87_119
; %bb.118:
	scratch_load_b32 v2, off, off offset:64
	v_mov_b32_e32 v3, 0
	scratch_store_b32 off, v3, off offset:64
	s_waitcnt vmcnt(0)
	ds_store_b32 v1, v2
.LBB87_119:
	s_or_b32 exec_lo, exec_lo, s0
	s_waitcnt lgkmcnt(0)
	s_waitcnt_vscnt null, 0x0
	s_barrier
	buffer_gl0_inv
	s_clause 0x1
	scratch_load_b128 v[52:55], off, off offset:64
	scratch_load_b128 v[56:59], off, off offset:80
	v_mov_b32_e32 v2, 0
	ds_load_2addr_b32 v[60:61], v2 offset0:41 offset1:42
	ds_load_2addr_b32 v[62:63], v2 offset0:43 offset1:44
	ds_load_2addr_b32 v[64:65], v2 offset0:45 offset1:46
	ds_load_b32 v3, v2 offset:188
	s_mov_b32 s0, exec_lo
	s_waitcnt vmcnt(1) lgkmcnt(3)
	v_fma_f32 v53, v53, v60, 0
	s_delay_alu instid0(VALU_DEP_1) | instskip(SKIP_1) | instid1(VALU_DEP_1)
	v_fmac_f32_e32 v53, v54, v61
	s_waitcnt lgkmcnt(2)
	v_fmac_f32_e32 v53, v55, v62
	s_waitcnt vmcnt(0)
	s_delay_alu instid0(VALU_DEP_1) | instskip(SKIP_1) | instid1(VALU_DEP_1)
	v_fmac_f32_e32 v53, v56, v63
	s_waitcnt lgkmcnt(1)
	v_fmac_f32_e32 v53, v57, v64
	s_delay_alu instid0(VALU_DEP_1) | instskip(SKIP_1) | instid1(VALU_DEP_1)
	v_fmac_f32_e32 v53, v58, v65
	s_waitcnt lgkmcnt(0)
	v_fmac_f32_e32 v53, v59, v3
	s_delay_alu instid0(VALU_DEP_1)
	v_sub_f32_e32 v3, v52, v53
	scratch_store_b32 off, v3, off offset:64
	v_cmpx_lt_u32_e32 15, v0
	s_cbranch_execz .LBB87_121
; %bb.120:
	scratch_load_b32 v3, off, off offset:60
	scratch_store_b32 off, v2, off offset:60
	s_waitcnt vmcnt(0)
	ds_store_b32 v1, v3
.LBB87_121:
	s_or_b32 exec_lo, exec_lo, s0
	s_waitcnt lgkmcnt(0)
	s_waitcnt_vscnt null, 0x0
	s_barrier
	buffer_gl0_inv
	s_clause 0x2
	scratch_load_b128 v[52:55], off, off offset:60
	scratch_load_b128 v[56:59], off, off offset:76
	scratch_load_b32 v3, off, off offset:92
	ds_load_b128 v[60:63], v2 offset:160
	ds_load_b128 v[64:67], v2 offset:176
	s_mov_b32 s0, exec_lo
	s_waitcnt vmcnt(2) lgkmcnt(1)
	v_fma_f32 v2, v53, v60, 0
	s_delay_alu instid0(VALU_DEP_1) | instskip(NEXT) | instid1(VALU_DEP_1)
	v_fmac_f32_e32 v2, v54, v61
	v_fmac_f32_e32 v2, v55, v62
	s_waitcnt vmcnt(1)
	s_delay_alu instid0(VALU_DEP_1) | instskip(SKIP_1) | instid1(VALU_DEP_1)
	v_fmac_f32_e32 v2, v56, v63
	s_waitcnt lgkmcnt(0)
	v_fmac_f32_e32 v2, v57, v64
	s_delay_alu instid0(VALU_DEP_1) | instskip(NEXT) | instid1(VALU_DEP_1)
	v_fmac_f32_e32 v2, v58, v65
	v_fmac_f32_e32 v2, v59, v66
	s_waitcnt vmcnt(0)
	s_delay_alu instid0(VALU_DEP_1) | instskip(NEXT) | instid1(VALU_DEP_1)
	v_fmac_f32_e32 v2, v3, v67
	v_sub_f32_e32 v2, v52, v2
	scratch_store_b32 off, v2, off offset:60
	v_cmpx_lt_u32_e32 14, v0
	s_cbranch_execz .LBB87_123
; %bb.122:
	scratch_load_b32 v2, off, off offset:56
	v_mov_b32_e32 v3, 0
	scratch_store_b32 off, v3, off offset:56
	s_waitcnt vmcnt(0)
	ds_store_b32 v1, v2
.LBB87_123:
	s_or_b32 exec_lo, exec_lo, s0
	s_waitcnt lgkmcnt(0)
	s_waitcnt_vscnt null, 0x0
	s_barrier
	buffer_gl0_inv
	s_clause 0x2
	scratch_load_b128 v[52:55], off, off offset:56
	scratch_load_b128 v[56:59], off, off offset:72
	scratch_load_b64 v[60:61], off, off offset:88
	v_mov_b32_e32 v2, 0
	ds_load_2addr_b32 v[62:63], v2 offset0:39 offset1:40
	ds_load_2addr_b32 v[64:65], v2 offset0:41 offset1:42
	;; [unrolled: 1-line block ×4, first 2 shown]
	s_mov_b32 s0, exec_lo
	s_waitcnt vmcnt(2) lgkmcnt(3)
	v_fma_f32 v3, v53, v62, 0
	s_delay_alu instid0(VALU_DEP_1) | instskip(SKIP_4) | instid1(VALU_DEP_1)
	v_fmac_f32_e32 v3, v54, v63
	ds_load_b32 v53, v2 offset:188
	s_waitcnt lgkmcnt(3)
	v_fmac_f32_e32 v3, v55, v64
	s_waitcnt vmcnt(1)
	v_fmac_f32_e32 v3, v56, v65
	s_waitcnt lgkmcnt(2)
	s_delay_alu instid0(VALU_DEP_1) | instskip(NEXT) | instid1(VALU_DEP_1)
	v_fmac_f32_e32 v3, v57, v66
	v_fmac_f32_e32 v3, v58, v67
	s_waitcnt lgkmcnt(1)
	s_delay_alu instid0(VALU_DEP_1) | instskip(SKIP_1) | instid1(VALU_DEP_1)
	v_fmac_f32_e32 v3, v59, v68
	s_waitcnt vmcnt(0)
	v_fmac_f32_e32 v3, v60, v69
	s_waitcnt lgkmcnt(0)
	s_delay_alu instid0(VALU_DEP_1) | instskip(NEXT) | instid1(VALU_DEP_1)
	v_fmac_f32_e32 v3, v61, v53
	v_sub_f32_e32 v3, v52, v3
	scratch_store_b32 off, v3, off offset:56
	v_cmpx_lt_u32_e32 13, v0
	s_cbranch_execz .LBB87_125
; %bb.124:
	scratch_load_b32 v3, off, off offset:52
	scratch_store_b32 off, v2, off offset:52
	s_waitcnt vmcnt(0)
	ds_store_b32 v1, v3
.LBB87_125:
	s_or_b32 exec_lo, exec_lo, s0
	s_waitcnt lgkmcnt(0)
	s_waitcnt_vscnt null, 0x0
	s_barrier
	buffer_gl0_inv
	s_clause 0x2
	scratch_load_b128 v[52:55], off, off offset:52
	scratch_load_b128 v[56:59], off, off offset:68
	scratch_load_b96 v[68:70], off, off offset:84
	ds_load_2addr_b64 v[60:63], v2 offset0:19 offset1:20
	ds_load_2addr_b64 v[64:67], v2 offset0:21 offset1:22
	ds_load_b64 v[2:3], v2 offset:184
	s_mov_b32 s0, exec_lo
	s_waitcnt vmcnt(2) lgkmcnt(2)
	v_fma_f32 v53, v53, v60, 0
	s_delay_alu instid0(VALU_DEP_1) | instskip(NEXT) | instid1(VALU_DEP_1)
	v_fmac_f32_e32 v53, v54, v61
	v_fmac_f32_e32 v53, v55, v62
	s_waitcnt vmcnt(1)
	s_delay_alu instid0(VALU_DEP_1) | instskip(SKIP_1) | instid1(VALU_DEP_1)
	v_fmac_f32_e32 v53, v56, v63
	s_waitcnt lgkmcnt(1)
	v_fmac_f32_e32 v53, v57, v64
	s_delay_alu instid0(VALU_DEP_1) | instskip(NEXT) | instid1(VALU_DEP_1)
	v_fmac_f32_e32 v53, v58, v65
	v_fmac_f32_e32 v53, v59, v66
	s_waitcnt vmcnt(0)
	s_delay_alu instid0(VALU_DEP_1) | instskip(SKIP_1) | instid1(VALU_DEP_1)
	v_fmac_f32_e32 v53, v68, v67
	s_waitcnt lgkmcnt(0)
	v_fmac_f32_e32 v53, v69, v2
	s_delay_alu instid0(VALU_DEP_1) | instskip(NEXT) | instid1(VALU_DEP_1)
	v_fmac_f32_e32 v53, v70, v3
	v_sub_f32_e32 v2, v52, v53
	scratch_store_b32 off, v2, off offset:52
	v_cmpx_lt_u32_e32 12, v0
	s_cbranch_execz .LBB87_127
; %bb.126:
	scratch_load_b32 v2, off, off offset:48
	v_mov_b32_e32 v3, 0
	scratch_store_b32 off, v3, off offset:48
	s_waitcnt vmcnt(0)
	ds_store_b32 v1, v2
.LBB87_127:
	s_or_b32 exec_lo, exec_lo, s0
	s_waitcnt lgkmcnt(0)
	s_waitcnt_vscnt null, 0x0
	s_barrier
	buffer_gl0_inv
	s_clause 0x2
	scratch_load_b128 v[52:55], off, off offset:48
	scratch_load_b128 v[56:59], off, off offset:64
	;; [unrolled: 1-line block ×3, first 2 shown]
	v_mov_b32_e32 v2, 0
	ds_load_2addr_b32 v[64:65], v2 offset0:37 offset1:38
	ds_load_2addr_b32 v[66:67], v2 offset0:39 offset1:40
	;; [unrolled: 1-line block ×4, first 2 shown]
	s_mov_b32 s0, exec_lo
	s_waitcnt vmcnt(2) lgkmcnt(3)
	v_fma_f32 v3, v53, v64, 0
	s_delay_alu instid0(VALU_DEP_1)
	v_fmac_f32_e32 v3, v54, v65
	ds_load_2addr_b32 v[53:54], v2 offset0:45 offset1:46
	s_waitcnt lgkmcnt(3)
	v_fmac_f32_e32 v3, v55, v66
	ds_load_b32 v55, v2 offset:188
	s_waitcnt vmcnt(1)
	v_fmac_f32_e32 v3, v56, v67
	s_waitcnt lgkmcnt(3)
	s_delay_alu instid0(VALU_DEP_1) | instskip(NEXT) | instid1(VALU_DEP_1)
	v_fmac_f32_e32 v3, v57, v68
	v_fmac_f32_e32 v3, v58, v69
	s_waitcnt lgkmcnt(2)
	s_delay_alu instid0(VALU_DEP_1) | instskip(SKIP_1) | instid1(VALU_DEP_1)
	v_fmac_f32_e32 v3, v59, v70
	s_waitcnt vmcnt(0)
	v_fmac_f32_e32 v3, v60, v71
	s_waitcnt lgkmcnt(1)
	s_delay_alu instid0(VALU_DEP_1) | instskip(NEXT) | instid1(VALU_DEP_1)
	v_fmac_f32_e32 v3, v61, v53
	v_fmac_f32_e32 v3, v62, v54
	s_waitcnt lgkmcnt(0)
	s_delay_alu instid0(VALU_DEP_1) | instskip(NEXT) | instid1(VALU_DEP_1)
	v_fmac_f32_e32 v3, v63, v55
	v_sub_f32_e32 v3, v52, v3
	scratch_store_b32 off, v3, off offset:48
	v_cmpx_lt_u32_e32 11, v0
	s_cbranch_execz .LBB87_129
; %bb.128:
	scratch_load_b32 v3, off, off offset:44
	scratch_store_b32 off, v2, off offset:44
	s_waitcnt vmcnt(0)
	ds_store_b32 v1, v3
.LBB87_129:
	s_or_b32 exec_lo, exec_lo, s0
	s_waitcnt lgkmcnt(0)
	s_waitcnt_vscnt null, 0x0
	s_barrier
	buffer_gl0_inv
	s_clause 0x3
	scratch_load_b128 v[52:55], off, off offset:44
	scratch_load_b128 v[56:59], off, off offset:60
	;; [unrolled: 1-line block ×3, first 2 shown]
	scratch_load_b32 v3, off, off offset:92
	ds_load_b128 v[64:67], v2 offset:144
	ds_load_b128 v[68:71], v2 offset:160
	s_mov_b32 s0, exec_lo
	s_waitcnt vmcnt(3) lgkmcnt(1)
	v_fma_f32 v64, v53, v64, 0
	s_delay_alu instid0(VALU_DEP_1) | instskip(NEXT) | instid1(VALU_DEP_1)
	v_fmac_f32_e32 v64, v54, v65
	v_fmac_f32_e32 v64, v55, v66
	s_waitcnt vmcnt(2)
	s_delay_alu instid0(VALU_DEP_1) | instskip(SKIP_3) | instid1(VALU_DEP_1)
	v_fmac_f32_e32 v64, v56, v67
	ds_load_b128 v[53:56], v2 offset:176
	s_waitcnt lgkmcnt(1)
	v_fmac_f32_e32 v64, v57, v68
	v_fmac_f32_e32 v64, v58, v69
	s_delay_alu instid0(VALU_DEP_1) | instskip(SKIP_1) | instid1(VALU_DEP_1)
	v_fmac_f32_e32 v64, v59, v70
	s_waitcnt vmcnt(1)
	v_fmac_f32_e32 v64, v60, v71
	s_waitcnt lgkmcnt(0)
	s_delay_alu instid0(VALU_DEP_1) | instskip(NEXT) | instid1(VALU_DEP_1)
	v_fmac_f32_e32 v64, v61, v53
	v_fmac_f32_e32 v64, v62, v54
	s_delay_alu instid0(VALU_DEP_1) | instskip(SKIP_1) | instid1(VALU_DEP_1)
	v_fmac_f32_e32 v64, v63, v55
	s_waitcnt vmcnt(0)
	v_fmac_f32_e32 v64, v3, v56
	s_delay_alu instid0(VALU_DEP_1)
	v_sub_f32_e32 v2, v52, v64
	scratch_store_b32 off, v2, off offset:44
	v_cmpx_lt_u32_e32 10, v0
	s_cbranch_execz .LBB87_131
; %bb.130:
	scratch_load_b32 v2, off, off offset:40
	v_mov_b32_e32 v3, 0
	scratch_store_b32 off, v3, off offset:40
	s_waitcnt vmcnt(0)
	ds_store_b32 v1, v2
.LBB87_131:
	s_or_b32 exec_lo, exec_lo, s0
	s_waitcnt lgkmcnt(0)
	s_waitcnt_vscnt null, 0x0
	s_barrier
	buffer_gl0_inv
	s_clause 0x3
	scratch_load_b128 v[52:55], off, off offset:40
	scratch_load_b128 v[56:59], off, off offset:56
	;; [unrolled: 1-line block ×3, first 2 shown]
	scratch_load_b64 v[64:65], off, off offset:88
	v_mov_b32_e32 v2, 0
	ds_load_2addr_b32 v[66:67], v2 offset0:35 offset1:36
	ds_load_2addr_b32 v[68:69], v2 offset0:37 offset1:38
	;; [unrolled: 1-line block ×4, first 2 shown]
	s_mov_b32 s0, exec_lo
	s_waitcnt vmcnt(3) lgkmcnt(3)
	v_fma_f32 v3, v53, v66, 0
	s_delay_alu instid0(VALU_DEP_1) | instskip(SKIP_4) | instid1(VALU_DEP_1)
	v_fmac_f32_e32 v3, v54, v67
	ds_load_2addr_b32 v[53:54], v2 offset0:43 offset1:44
	s_waitcnt lgkmcnt(3)
	v_fmac_f32_e32 v3, v55, v68
	s_waitcnt vmcnt(2)
	v_fmac_f32_e32 v3, v56, v69
	ds_load_2addr_b32 v[55:56], v2 offset0:45 offset1:46
	s_waitcnt lgkmcnt(3)
	v_fmac_f32_e32 v3, v57, v70
	ds_load_b32 v57, v2 offset:188
	v_fmac_f32_e32 v3, v58, v71
	s_waitcnt lgkmcnt(3)
	s_delay_alu instid0(VALU_DEP_1) | instskip(SKIP_1) | instid1(VALU_DEP_1)
	v_fmac_f32_e32 v3, v59, v72
	s_waitcnt vmcnt(1)
	v_fmac_f32_e32 v3, v60, v73
	s_waitcnt lgkmcnt(2)
	s_delay_alu instid0(VALU_DEP_1) | instskip(NEXT) | instid1(VALU_DEP_1)
	v_fmac_f32_e32 v3, v61, v53
	v_fmac_f32_e32 v3, v62, v54
	s_waitcnt lgkmcnt(1)
	s_delay_alu instid0(VALU_DEP_1) | instskip(SKIP_1) | instid1(VALU_DEP_1)
	v_fmac_f32_e32 v3, v63, v55
	s_waitcnt vmcnt(0)
	v_fmac_f32_e32 v3, v64, v56
	s_waitcnt lgkmcnt(0)
	s_delay_alu instid0(VALU_DEP_1) | instskip(NEXT) | instid1(VALU_DEP_1)
	v_fmac_f32_e32 v3, v65, v57
	v_sub_f32_e32 v3, v52, v3
	scratch_store_b32 off, v3, off offset:40
	v_cmpx_lt_u32_e32 9, v0
	s_cbranch_execz .LBB87_133
; %bb.132:
	scratch_load_b32 v3, off, off offset:36
	scratch_store_b32 off, v2, off offset:36
	s_waitcnt vmcnt(0)
	ds_store_b32 v1, v3
.LBB87_133:
	s_or_b32 exec_lo, exec_lo, s0
	s_waitcnt lgkmcnt(0)
	s_waitcnt_vscnt null, 0x0
	s_barrier
	buffer_gl0_inv
	s_clause 0x3
	scratch_load_b128 v[52:55], off, off offset:36
	scratch_load_b128 v[56:59], off, off offset:52
	;; [unrolled: 1-line block ×3, first 2 shown]
	scratch_load_b96 v[72:74], off, off offset:84
	ds_load_2addr_b64 v[64:67], v2 offset0:17 offset1:18
	ds_load_2addr_b64 v[68:71], v2 offset0:19 offset1:20
	s_mov_b32 s0, exec_lo
	s_waitcnt vmcnt(3) lgkmcnt(1)
	v_fma_f32 v64, v53, v64, 0
	s_delay_alu instid0(VALU_DEP_1) | instskip(NEXT) | instid1(VALU_DEP_1)
	v_fmac_f32_e32 v64, v54, v65
	v_fmac_f32_e32 v64, v55, v66
	s_waitcnt vmcnt(2)
	s_delay_alu instid0(VALU_DEP_1) | instskip(SKIP_4) | instid1(VALU_DEP_1)
	v_fmac_f32_e32 v64, v56, v67
	ds_load_2addr_b64 v[53:56], v2 offset0:21 offset1:22
	ds_load_b64 v[2:3], v2 offset:184
	s_waitcnt lgkmcnt(2)
	v_fmac_f32_e32 v64, v57, v68
	v_fmac_f32_e32 v64, v58, v69
	s_delay_alu instid0(VALU_DEP_1) | instskip(SKIP_1) | instid1(VALU_DEP_1)
	v_fmac_f32_e32 v64, v59, v70
	s_waitcnt vmcnt(1)
	v_fmac_f32_e32 v64, v60, v71
	s_waitcnt lgkmcnt(1)
	s_delay_alu instid0(VALU_DEP_1) | instskip(NEXT) | instid1(VALU_DEP_1)
	v_fmac_f32_e32 v64, v61, v53
	v_fmac_f32_e32 v64, v62, v54
	s_delay_alu instid0(VALU_DEP_1) | instskip(SKIP_1) | instid1(VALU_DEP_1)
	v_fmac_f32_e32 v64, v63, v55
	s_waitcnt vmcnt(0)
	v_fmac_f32_e32 v64, v72, v56
	s_waitcnt lgkmcnt(0)
	s_delay_alu instid0(VALU_DEP_1) | instskip(NEXT) | instid1(VALU_DEP_1)
	v_fmac_f32_e32 v64, v73, v2
	v_fmac_f32_e32 v64, v74, v3
	s_delay_alu instid0(VALU_DEP_1)
	v_sub_f32_e32 v2, v52, v64
	scratch_store_b32 off, v2, off offset:36
	v_cmpx_lt_u32_e32 8, v0
	s_cbranch_execz .LBB87_135
; %bb.134:
	scratch_load_b32 v2, off, off offset:32
	v_mov_b32_e32 v3, 0
	scratch_store_b32 off, v3, off offset:32
	s_waitcnt vmcnt(0)
	ds_store_b32 v1, v2
.LBB87_135:
	s_or_b32 exec_lo, exec_lo, s0
	s_waitcnt lgkmcnt(0)
	s_waitcnt_vscnt null, 0x0
	s_barrier
	buffer_gl0_inv
	s_clause 0x3
	scratch_load_b128 v[52:55], off, off offset:32
	scratch_load_b128 v[56:59], off, off offset:48
	;; [unrolled: 1-line block ×4, first 2 shown]
	v_mov_b32_e32 v2, 0
	ds_load_2addr_b32 v[68:69], v2 offset0:33 offset1:34
	ds_load_2addr_b32 v[70:71], v2 offset0:35 offset1:36
	;; [unrolled: 1-line block ×4, first 2 shown]
	s_mov_b32 s0, exec_lo
	s_waitcnt vmcnt(3) lgkmcnt(3)
	v_fma_f32 v3, v53, v68, 0
	s_delay_alu instid0(VALU_DEP_1) | instskip(SKIP_4) | instid1(VALU_DEP_1)
	v_fmac_f32_e32 v3, v54, v69
	ds_load_2addr_b32 v[53:54], v2 offset0:41 offset1:42
	s_waitcnt lgkmcnt(3)
	v_fmac_f32_e32 v3, v55, v70
	s_waitcnt vmcnt(2)
	v_fmac_f32_e32 v3, v56, v71
	ds_load_2addr_b32 v[55:56], v2 offset0:43 offset1:44
	s_waitcnt lgkmcnt(3)
	v_fmac_f32_e32 v3, v57, v72
	s_delay_alu instid0(VALU_DEP_1) | instskip(SKIP_1) | instid1(VALU_DEP_1)
	v_fmac_f32_e32 v3, v58, v73
	s_waitcnt lgkmcnt(2)
	v_fmac_f32_e32 v3, v59, v74
	ds_load_2addr_b32 v[57:58], v2 offset0:45 offset1:46
	ds_load_b32 v59, v2 offset:188
	s_waitcnt vmcnt(1)
	v_fmac_f32_e32 v3, v60, v75
	s_waitcnt lgkmcnt(3)
	s_delay_alu instid0(VALU_DEP_1) | instskip(NEXT) | instid1(VALU_DEP_1)
	v_fmac_f32_e32 v3, v61, v53
	v_fmac_f32_e32 v3, v62, v54
	s_waitcnt lgkmcnt(2)
	s_delay_alu instid0(VALU_DEP_1) | instskip(SKIP_1) | instid1(VALU_DEP_1)
	v_fmac_f32_e32 v3, v63, v55
	s_waitcnt vmcnt(0)
	v_fmac_f32_e32 v3, v64, v56
	s_waitcnt lgkmcnt(1)
	s_delay_alu instid0(VALU_DEP_1) | instskip(NEXT) | instid1(VALU_DEP_1)
	v_fmac_f32_e32 v3, v65, v57
	v_fmac_f32_e32 v3, v66, v58
	s_waitcnt lgkmcnt(0)
	s_delay_alu instid0(VALU_DEP_1) | instskip(NEXT) | instid1(VALU_DEP_1)
	v_fmac_f32_e32 v3, v67, v59
	v_sub_f32_e32 v3, v52, v3
	scratch_store_b32 off, v3, off offset:32
	v_cmpx_lt_u32_e32 7, v0
	s_cbranch_execz .LBB87_137
; %bb.136:
	scratch_load_b32 v3, off, off offset:28
	scratch_store_b32 off, v2, off offset:28
	s_waitcnt vmcnt(0)
	ds_store_b32 v1, v3
.LBB87_137:
	s_or_b32 exec_lo, exec_lo, s0
	s_waitcnt lgkmcnt(0)
	s_waitcnt_vscnt null, 0x0
	s_barrier
	buffer_gl0_inv
	s_clause 0x4
	scratch_load_b128 v[52:55], off, off offset:28
	scratch_load_b128 v[56:59], off, off offset:44
	;; [unrolled: 1-line block ×4, first 2 shown]
	scratch_load_b32 v3, off, off offset:92
	ds_load_b128 v[68:71], v2 offset:128
	ds_load_b128 v[72:75], v2 offset:144
	s_mov_b32 s0, exec_lo
	s_waitcnt vmcnt(4) lgkmcnt(1)
	v_fma_f32 v68, v53, v68, 0
	s_delay_alu instid0(VALU_DEP_1) | instskip(NEXT) | instid1(VALU_DEP_1)
	v_fmac_f32_e32 v68, v54, v69
	v_fmac_f32_e32 v68, v55, v70
	s_waitcnt vmcnt(3)
	s_delay_alu instid0(VALU_DEP_1) | instskip(SKIP_3) | instid1(VALU_DEP_1)
	v_fmac_f32_e32 v68, v56, v71
	ds_load_b128 v[53:56], v2 offset:160
	s_waitcnt lgkmcnt(1)
	v_fmac_f32_e32 v68, v57, v72
	v_fmac_f32_e32 v68, v58, v73
	s_delay_alu instid0(VALU_DEP_1) | instskip(SKIP_1) | instid1(VALU_DEP_1)
	v_fmac_f32_e32 v68, v59, v74
	s_waitcnt vmcnt(2)
	v_fmac_f32_e32 v68, v60, v75
	ds_load_b128 v[57:60], v2 offset:176
	s_waitcnt lgkmcnt(1)
	v_fmac_f32_e32 v68, v61, v53
	s_delay_alu instid0(VALU_DEP_1) | instskip(NEXT) | instid1(VALU_DEP_1)
	v_fmac_f32_e32 v68, v62, v54
	v_fmac_f32_e32 v68, v63, v55
	s_waitcnt vmcnt(1)
	s_delay_alu instid0(VALU_DEP_1) | instskip(SKIP_1) | instid1(VALU_DEP_1)
	v_fmac_f32_e32 v68, v64, v56
	s_waitcnt lgkmcnt(0)
	v_fmac_f32_e32 v68, v65, v57
	s_delay_alu instid0(VALU_DEP_1) | instskip(NEXT) | instid1(VALU_DEP_1)
	v_fmac_f32_e32 v68, v66, v58
	v_fmac_f32_e32 v68, v67, v59
	s_waitcnt vmcnt(0)
	s_delay_alu instid0(VALU_DEP_1) | instskip(NEXT) | instid1(VALU_DEP_1)
	v_fmac_f32_e32 v68, v3, v60
	v_sub_f32_e32 v2, v52, v68
	scratch_store_b32 off, v2, off offset:28
	v_cmpx_lt_u32_e32 6, v0
	s_cbranch_execz .LBB87_139
; %bb.138:
	scratch_load_b32 v2, off, off offset:24
	v_mov_b32_e32 v3, 0
	scratch_store_b32 off, v3, off offset:24
	s_waitcnt vmcnt(0)
	ds_store_b32 v1, v2
.LBB87_139:
	s_or_b32 exec_lo, exec_lo, s0
	s_waitcnt lgkmcnt(0)
	s_waitcnt_vscnt null, 0x0
	s_barrier
	buffer_gl0_inv
	s_clause 0x4
	scratch_load_b128 v[52:55], off, off offset:24
	scratch_load_b128 v[56:59], off, off offset:40
	;; [unrolled: 1-line block ×4, first 2 shown]
	scratch_load_b64 v[68:69], off, off offset:88
	v_mov_b32_e32 v2, 0
	ds_load_2addr_b32 v[70:71], v2 offset0:31 offset1:32
	ds_load_2addr_b32 v[72:73], v2 offset0:33 offset1:34
	;; [unrolled: 1-line block ×4, first 2 shown]
	s_mov_b32 s0, exec_lo
	s_waitcnt vmcnt(4) lgkmcnt(3)
	v_fma_f32 v3, v53, v70, 0
	s_delay_alu instid0(VALU_DEP_1) | instskip(SKIP_4) | instid1(VALU_DEP_1)
	v_fmac_f32_e32 v3, v54, v71
	ds_load_2addr_b32 v[53:54], v2 offset0:39 offset1:40
	s_waitcnt lgkmcnt(3)
	v_fmac_f32_e32 v3, v55, v72
	s_waitcnt vmcnt(3)
	v_fmac_f32_e32 v3, v56, v73
	ds_load_2addr_b32 v[55:56], v2 offset0:41 offset1:42
	s_waitcnt lgkmcnt(3)
	v_fmac_f32_e32 v3, v57, v74
	s_delay_alu instid0(VALU_DEP_1) | instskip(SKIP_1) | instid1(VALU_DEP_1)
	v_fmac_f32_e32 v3, v58, v75
	s_waitcnt lgkmcnt(2)
	v_fmac_f32_e32 v3, v59, v76
	s_waitcnt vmcnt(2)
	s_delay_alu instid0(VALU_DEP_1)
	v_fmac_f32_e32 v3, v60, v77
	ds_load_2addr_b32 v[57:58], v2 offset0:43 offset1:44
	ds_load_2addr_b32 v[59:60], v2 offset0:45 offset1:46
	s_waitcnt lgkmcnt(3)
	v_fmac_f32_e32 v3, v61, v53
	ds_load_b32 v53, v2 offset:188
	v_fmac_f32_e32 v3, v62, v54
	s_waitcnt lgkmcnt(3)
	s_delay_alu instid0(VALU_DEP_1) | instskip(SKIP_1) | instid1(VALU_DEP_1)
	v_fmac_f32_e32 v3, v63, v55
	s_waitcnt vmcnt(1)
	v_fmac_f32_e32 v3, v64, v56
	s_waitcnt lgkmcnt(2)
	s_delay_alu instid0(VALU_DEP_1) | instskip(NEXT) | instid1(VALU_DEP_1)
	v_fmac_f32_e32 v3, v65, v57
	v_fmac_f32_e32 v3, v66, v58
	s_waitcnt lgkmcnt(1)
	s_delay_alu instid0(VALU_DEP_1) | instskip(SKIP_1) | instid1(VALU_DEP_1)
	v_fmac_f32_e32 v3, v67, v59
	s_waitcnt vmcnt(0)
	v_fmac_f32_e32 v3, v68, v60
	s_waitcnt lgkmcnt(0)
	s_delay_alu instid0(VALU_DEP_1) | instskip(NEXT) | instid1(VALU_DEP_1)
	v_fmac_f32_e32 v3, v69, v53
	v_sub_f32_e32 v3, v52, v3
	scratch_store_b32 off, v3, off offset:24
	v_cmpx_lt_u32_e32 5, v0
	s_cbranch_execz .LBB87_141
; %bb.140:
	scratch_load_b32 v3, off, off offset:20
	scratch_store_b32 off, v2, off offset:20
	s_waitcnt vmcnt(0)
	ds_store_b32 v1, v3
.LBB87_141:
	s_or_b32 exec_lo, exec_lo, s0
	s_waitcnt lgkmcnt(0)
	s_waitcnt_vscnt null, 0x0
	s_barrier
	buffer_gl0_inv
	s_clause 0x4
	scratch_load_b128 v[52:55], off, off offset:20
	scratch_load_b128 v[56:59], off, off offset:36
	;; [unrolled: 1-line block ×4, first 2 shown]
	scratch_load_b96 v[76:78], off, off offset:84
	ds_load_2addr_b64 v[68:71], v2 offset0:15 offset1:16
	ds_load_2addr_b64 v[72:75], v2 offset0:17 offset1:18
	s_mov_b32 s0, exec_lo
	s_waitcnt vmcnt(4) lgkmcnt(1)
	v_fma_f32 v68, v53, v68, 0
	s_delay_alu instid0(VALU_DEP_1) | instskip(NEXT) | instid1(VALU_DEP_1)
	v_fmac_f32_e32 v68, v54, v69
	v_fmac_f32_e32 v68, v55, v70
	s_waitcnt vmcnt(3)
	s_delay_alu instid0(VALU_DEP_1) | instskip(SKIP_3) | instid1(VALU_DEP_1)
	v_fmac_f32_e32 v68, v56, v71
	ds_load_2addr_b64 v[53:56], v2 offset0:19 offset1:20
	s_waitcnt lgkmcnt(1)
	v_fmac_f32_e32 v68, v57, v72
	v_fmac_f32_e32 v68, v58, v73
	s_delay_alu instid0(VALU_DEP_1) | instskip(SKIP_1) | instid1(VALU_DEP_1)
	v_fmac_f32_e32 v68, v59, v74
	s_waitcnt vmcnt(2)
	v_fmac_f32_e32 v68, v60, v75
	ds_load_2addr_b64 v[57:60], v2 offset0:21 offset1:22
	ds_load_b64 v[2:3], v2 offset:184
	s_waitcnt lgkmcnt(2)
	v_fmac_f32_e32 v68, v61, v53
	s_delay_alu instid0(VALU_DEP_1) | instskip(NEXT) | instid1(VALU_DEP_1)
	v_fmac_f32_e32 v68, v62, v54
	v_fmac_f32_e32 v68, v63, v55
	s_waitcnt vmcnt(1)
	s_delay_alu instid0(VALU_DEP_1) | instskip(SKIP_1) | instid1(VALU_DEP_1)
	v_fmac_f32_e32 v68, v64, v56
	s_waitcnt lgkmcnt(1)
	v_fmac_f32_e32 v68, v65, v57
	s_delay_alu instid0(VALU_DEP_1) | instskip(NEXT) | instid1(VALU_DEP_1)
	v_fmac_f32_e32 v68, v66, v58
	v_fmac_f32_e32 v68, v67, v59
	s_waitcnt vmcnt(0)
	s_delay_alu instid0(VALU_DEP_1) | instskip(SKIP_1) | instid1(VALU_DEP_1)
	v_fmac_f32_e32 v68, v76, v60
	s_waitcnt lgkmcnt(0)
	v_fmac_f32_e32 v68, v77, v2
	s_delay_alu instid0(VALU_DEP_1) | instskip(NEXT) | instid1(VALU_DEP_1)
	v_fmac_f32_e32 v68, v78, v3
	v_sub_f32_e32 v2, v52, v68
	scratch_store_b32 off, v2, off offset:20
	v_cmpx_lt_u32_e32 4, v0
	s_cbranch_execz .LBB87_143
; %bb.142:
	scratch_load_b32 v2, off, off offset:16
	v_mov_b32_e32 v3, 0
	scratch_store_b32 off, v3, off offset:16
	s_waitcnt vmcnt(0)
	ds_store_b32 v1, v2
.LBB87_143:
	s_or_b32 exec_lo, exec_lo, s0
	s_waitcnt lgkmcnt(0)
	s_waitcnt_vscnt null, 0x0
	s_barrier
	buffer_gl0_inv
	s_clause 0x4
	scratch_load_b128 v[52:55], off, off offset:16
	scratch_load_b128 v[56:59], off, off offset:32
	;; [unrolled: 1-line block ×5, first 2 shown]
	v_mov_b32_e32 v2, 0
	ds_load_2addr_b32 v[72:73], v2 offset0:29 offset1:30
	ds_load_2addr_b32 v[74:75], v2 offset0:31 offset1:32
	;; [unrolled: 1-line block ×4, first 2 shown]
	s_mov_b32 s0, exec_lo
	s_waitcnt vmcnt(4) lgkmcnt(3)
	v_fma_f32 v3, v53, v72, 0
	s_delay_alu instid0(VALU_DEP_1) | instskip(SKIP_4) | instid1(VALU_DEP_1)
	v_fmac_f32_e32 v3, v54, v73
	ds_load_2addr_b32 v[53:54], v2 offset0:37 offset1:38
	s_waitcnt lgkmcnt(3)
	v_fmac_f32_e32 v3, v55, v74
	s_waitcnt vmcnt(3)
	v_fmac_f32_e32 v3, v56, v75
	ds_load_2addr_b32 v[55:56], v2 offset0:39 offset1:40
	s_waitcnt lgkmcnt(3)
	v_fmac_f32_e32 v3, v57, v76
	s_delay_alu instid0(VALU_DEP_1) | instskip(SKIP_1) | instid1(VALU_DEP_1)
	v_fmac_f32_e32 v3, v58, v77
	s_waitcnt lgkmcnt(2)
	v_fmac_f32_e32 v3, v59, v78
	s_waitcnt vmcnt(2)
	s_delay_alu instid0(VALU_DEP_1) | instskip(SKIP_4) | instid1(VALU_DEP_1)
	v_fmac_f32_e32 v3, v60, v79
	ds_load_2addr_b32 v[57:58], v2 offset0:41 offset1:42
	ds_load_2addr_b32 v[59:60], v2 offset0:43 offset1:44
	s_waitcnt lgkmcnt(3)
	v_fmac_f32_e32 v3, v61, v53
	v_fmac_f32_e32 v3, v62, v54
	ds_load_2addr_b32 v[53:54], v2 offset0:45 offset1:46
	s_waitcnt lgkmcnt(3)
	v_fmac_f32_e32 v3, v63, v55
	ds_load_b32 v55, v2 offset:188
	s_waitcnt vmcnt(1)
	v_fmac_f32_e32 v3, v64, v56
	s_waitcnt lgkmcnt(3)
	s_delay_alu instid0(VALU_DEP_1) | instskip(NEXT) | instid1(VALU_DEP_1)
	v_fmac_f32_e32 v3, v65, v57
	v_fmac_f32_e32 v3, v66, v58
	s_waitcnt lgkmcnt(2)
	s_delay_alu instid0(VALU_DEP_1) | instskip(SKIP_1) | instid1(VALU_DEP_1)
	v_fmac_f32_e32 v3, v67, v59
	s_waitcnt vmcnt(0)
	v_fmac_f32_e32 v3, v68, v60
	s_waitcnt lgkmcnt(1)
	s_delay_alu instid0(VALU_DEP_1) | instskip(NEXT) | instid1(VALU_DEP_1)
	v_fmac_f32_e32 v3, v69, v53
	v_fmac_f32_e32 v3, v70, v54
	s_waitcnt lgkmcnt(0)
	s_delay_alu instid0(VALU_DEP_1) | instskip(NEXT) | instid1(VALU_DEP_1)
	v_fmac_f32_e32 v3, v71, v55
	v_sub_f32_e32 v3, v52, v3
	scratch_store_b32 off, v3, off offset:16
	v_cmpx_lt_u32_e32 3, v0
	s_cbranch_execz .LBB87_145
; %bb.144:
	scratch_load_b32 v3, off, off offset:12
	scratch_store_b32 off, v2, off offset:12
	s_waitcnt vmcnt(0)
	ds_store_b32 v1, v3
.LBB87_145:
	s_or_b32 exec_lo, exec_lo, s0
	s_waitcnt lgkmcnt(0)
	s_waitcnt_vscnt null, 0x0
	s_barrier
	buffer_gl0_inv
	s_clause 0x5
	scratch_load_b128 v[52:55], off, off offset:12
	scratch_load_b128 v[56:59], off, off offset:28
	;; [unrolled: 1-line block ×5, first 2 shown]
	scratch_load_b32 v3, off, off offset:92
	ds_load_b128 v[72:75], v2 offset:112
	ds_load_b128 v[76:79], v2 offset:128
	s_mov_b32 s0, exec_lo
	s_waitcnt vmcnt(5) lgkmcnt(1)
	v_fma_f32 v72, v53, v72, 0
	s_delay_alu instid0(VALU_DEP_1) | instskip(NEXT) | instid1(VALU_DEP_1)
	v_fmac_f32_e32 v72, v54, v73
	v_fmac_f32_e32 v72, v55, v74
	s_waitcnt vmcnt(4)
	s_delay_alu instid0(VALU_DEP_1) | instskip(SKIP_3) | instid1(VALU_DEP_1)
	v_fmac_f32_e32 v72, v56, v75
	ds_load_b128 v[53:56], v2 offset:144
	s_waitcnt lgkmcnt(1)
	v_fmac_f32_e32 v72, v57, v76
	v_fmac_f32_e32 v72, v58, v77
	s_delay_alu instid0(VALU_DEP_1) | instskip(SKIP_1) | instid1(VALU_DEP_1)
	v_fmac_f32_e32 v72, v59, v78
	s_waitcnt vmcnt(3)
	v_fmac_f32_e32 v72, v60, v79
	ds_load_b128 v[57:60], v2 offset:160
	s_waitcnt lgkmcnt(1)
	v_fmac_f32_e32 v72, v61, v53
	s_delay_alu instid0(VALU_DEP_1) | instskip(NEXT) | instid1(VALU_DEP_1)
	v_fmac_f32_e32 v72, v62, v54
	v_fmac_f32_e32 v72, v63, v55
	s_waitcnt vmcnt(2)
	s_delay_alu instid0(VALU_DEP_1) | instskip(SKIP_3) | instid1(VALU_DEP_1)
	v_fmac_f32_e32 v72, v64, v56
	ds_load_b128 v[53:56], v2 offset:176
	s_waitcnt lgkmcnt(1)
	v_fmac_f32_e32 v72, v65, v57
	v_fmac_f32_e32 v72, v66, v58
	s_delay_alu instid0(VALU_DEP_1) | instskip(SKIP_1) | instid1(VALU_DEP_1)
	v_fmac_f32_e32 v72, v67, v59
	s_waitcnt vmcnt(1)
	v_fmac_f32_e32 v72, v68, v60
	s_waitcnt lgkmcnt(0)
	s_delay_alu instid0(VALU_DEP_1) | instskip(NEXT) | instid1(VALU_DEP_1)
	v_fmac_f32_e32 v72, v69, v53
	v_fmac_f32_e32 v72, v70, v54
	s_delay_alu instid0(VALU_DEP_1) | instskip(SKIP_1) | instid1(VALU_DEP_1)
	v_fmac_f32_e32 v72, v71, v55
	s_waitcnt vmcnt(0)
	v_fmac_f32_e32 v72, v3, v56
	s_delay_alu instid0(VALU_DEP_1)
	v_sub_f32_e32 v2, v52, v72
	scratch_store_b32 off, v2, off offset:12
	v_cmpx_lt_u32_e32 2, v0
	s_cbranch_execz .LBB87_147
; %bb.146:
	scratch_load_b32 v2, off, off offset:8
	v_mov_b32_e32 v3, 0
	scratch_store_b32 off, v3, off offset:8
	s_waitcnt vmcnt(0)
	ds_store_b32 v1, v2
.LBB87_147:
	s_or_b32 exec_lo, exec_lo, s0
	s_waitcnt lgkmcnt(0)
	s_waitcnt_vscnt null, 0x0
	s_barrier
	buffer_gl0_inv
	s_clause 0x5
	scratch_load_b128 v[52:55], off, off offset:8
	scratch_load_b128 v[56:59], off, off offset:24
	;; [unrolled: 1-line block ×5, first 2 shown]
	scratch_load_b64 v[72:73], off, off offset:88
	v_mov_b32_e32 v2, 0
	ds_load_2addr_b32 v[74:75], v2 offset0:27 offset1:28
	ds_load_2addr_b32 v[76:77], v2 offset0:29 offset1:30
	;; [unrolled: 1-line block ×4, first 2 shown]
	s_mov_b32 s0, exec_lo
	s_waitcnt vmcnt(5) lgkmcnt(3)
	v_fma_f32 v3, v53, v74, 0
	s_delay_alu instid0(VALU_DEP_1) | instskip(SKIP_4) | instid1(VALU_DEP_1)
	v_fmac_f32_e32 v3, v54, v75
	ds_load_2addr_b32 v[53:54], v2 offset0:35 offset1:36
	s_waitcnt lgkmcnt(3)
	v_fmac_f32_e32 v3, v55, v76
	s_waitcnt vmcnt(4)
	v_fmac_f32_e32 v3, v56, v77
	ds_load_2addr_b32 v[55:56], v2 offset0:37 offset1:38
	s_waitcnt lgkmcnt(3)
	v_fmac_f32_e32 v3, v57, v78
	s_delay_alu instid0(VALU_DEP_1) | instskip(SKIP_1) | instid1(VALU_DEP_1)
	v_fmac_f32_e32 v3, v58, v79
	s_waitcnt lgkmcnt(2)
	v_fmac_f32_e32 v3, v59, v80
	s_waitcnt vmcnt(3)
	s_delay_alu instid0(VALU_DEP_1) | instskip(SKIP_4) | instid1(VALU_DEP_1)
	v_fmac_f32_e32 v3, v60, v81
	ds_load_2addr_b32 v[57:58], v2 offset0:39 offset1:40
	ds_load_2addr_b32 v[59:60], v2 offset0:41 offset1:42
	s_waitcnt lgkmcnt(3)
	v_fmac_f32_e32 v3, v61, v53
	v_fmac_f32_e32 v3, v62, v54
	ds_load_2addr_b32 v[53:54], v2 offset0:43 offset1:44
	s_waitcnt lgkmcnt(3)
	v_fmac_f32_e32 v3, v63, v55
	s_waitcnt vmcnt(2)
	s_delay_alu instid0(VALU_DEP_1)
	v_fmac_f32_e32 v3, v64, v56
	ds_load_2addr_b32 v[55:56], v2 offset0:45 offset1:46
	s_waitcnt lgkmcnt(3)
	v_fmac_f32_e32 v3, v65, v57
	ds_load_b32 v57, v2 offset:188
	v_fmac_f32_e32 v3, v66, v58
	s_waitcnt lgkmcnt(3)
	s_delay_alu instid0(VALU_DEP_1) | instskip(SKIP_1) | instid1(VALU_DEP_1)
	v_fmac_f32_e32 v3, v67, v59
	s_waitcnt vmcnt(1)
	v_fmac_f32_e32 v3, v68, v60
	s_waitcnt lgkmcnt(2)
	s_delay_alu instid0(VALU_DEP_1) | instskip(NEXT) | instid1(VALU_DEP_1)
	v_fmac_f32_e32 v3, v69, v53
	v_fmac_f32_e32 v3, v70, v54
	s_waitcnt lgkmcnt(1)
	s_delay_alu instid0(VALU_DEP_1) | instskip(SKIP_1) | instid1(VALU_DEP_1)
	v_fmac_f32_e32 v3, v71, v55
	s_waitcnt vmcnt(0)
	v_fmac_f32_e32 v3, v72, v56
	s_waitcnt lgkmcnt(0)
	s_delay_alu instid0(VALU_DEP_1) | instskip(NEXT) | instid1(VALU_DEP_1)
	v_fmac_f32_e32 v3, v73, v57
	v_sub_f32_e32 v3, v52, v3
	scratch_store_b32 off, v3, off offset:8
	v_cmpx_lt_u32_e32 1, v0
	s_cbranch_execz .LBB87_149
; %bb.148:
	scratch_load_b32 v3, off, off offset:4
	scratch_store_b32 off, v2, off offset:4
	s_waitcnt vmcnt(0)
	ds_store_b32 v1, v3
.LBB87_149:
	s_or_b32 exec_lo, exec_lo, s0
	s_waitcnt lgkmcnt(0)
	s_waitcnt_vscnt null, 0x0
	s_barrier
	buffer_gl0_inv
	s_clause 0x5
	scratch_load_b128 v[52:55], off, off offset:4
	scratch_load_b128 v[56:59], off, off offset:20
	;; [unrolled: 1-line block ×5, first 2 shown]
	scratch_load_b96 v[80:82], off, off offset:84
	ds_load_2addr_b64 v[72:75], v2 offset0:13 offset1:14
	ds_load_2addr_b64 v[76:79], v2 offset0:15 offset1:16
	s_mov_b32 s0, exec_lo
	s_waitcnt vmcnt(5) lgkmcnt(1)
	v_fma_f32 v72, v53, v72, 0
	s_delay_alu instid0(VALU_DEP_1) | instskip(NEXT) | instid1(VALU_DEP_1)
	v_fmac_f32_e32 v72, v54, v73
	v_fmac_f32_e32 v72, v55, v74
	s_waitcnt vmcnt(4)
	s_delay_alu instid0(VALU_DEP_1) | instskip(SKIP_3) | instid1(VALU_DEP_1)
	v_fmac_f32_e32 v72, v56, v75
	ds_load_2addr_b64 v[53:56], v2 offset0:17 offset1:18
	s_waitcnt lgkmcnt(1)
	v_fmac_f32_e32 v72, v57, v76
	v_fmac_f32_e32 v72, v58, v77
	s_delay_alu instid0(VALU_DEP_1) | instskip(SKIP_1) | instid1(VALU_DEP_1)
	v_fmac_f32_e32 v72, v59, v78
	s_waitcnt vmcnt(3)
	v_fmac_f32_e32 v72, v60, v79
	ds_load_2addr_b64 v[57:60], v2 offset0:19 offset1:20
	s_waitcnt lgkmcnt(1)
	v_fmac_f32_e32 v72, v61, v53
	s_delay_alu instid0(VALU_DEP_1) | instskip(NEXT) | instid1(VALU_DEP_1)
	v_fmac_f32_e32 v72, v62, v54
	v_fmac_f32_e32 v72, v63, v55
	s_waitcnt vmcnt(2)
	s_delay_alu instid0(VALU_DEP_1) | instskip(SKIP_4) | instid1(VALU_DEP_1)
	v_fmac_f32_e32 v72, v64, v56
	ds_load_2addr_b64 v[53:56], v2 offset0:21 offset1:22
	ds_load_b64 v[2:3], v2 offset:184
	s_waitcnt lgkmcnt(2)
	v_fmac_f32_e32 v72, v65, v57
	v_fmac_f32_e32 v72, v66, v58
	s_delay_alu instid0(VALU_DEP_1) | instskip(SKIP_1) | instid1(VALU_DEP_1)
	v_fmac_f32_e32 v72, v67, v59
	s_waitcnt vmcnt(1)
	v_fmac_f32_e32 v72, v68, v60
	s_waitcnt lgkmcnt(1)
	s_delay_alu instid0(VALU_DEP_1) | instskip(NEXT) | instid1(VALU_DEP_1)
	v_fmac_f32_e32 v72, v69, v53
	v_fmac_f32_e32 v72, v70, v54
	s_delay_alu instid0(VALU_DEP_1) | instskip(SKIP_1) | instid1(VALU_DEP_1)
	v_fmac_f32_e32 v72, v71, v55
	s_waitcnt vmcnt(0)
	v_fmac_f32_e32 v72, v80, v56
	s_waitcnt lgkmcnt(0)
	s_delay_alu instid0(VALU_DEP_1) | instskip(NEXT) | instid1(VALU_DEP_1)
	v_fmac_f32_e32 v72, v81, v2
	v_fmac_f32_e32 v72, v82, v3
	s_delay_alu instid0(VALU_DEP_1)
	v_sub_f32_e32 v2, v52, v72
	scratch_store_b32 off, v2, off offset:4
	v_cmpx_ne_u32_e32 0, v0
	s_cbranch_execz .LBB87_151
; %bb.150:
	scratch_load_b32 v0, off, off
	v_mov_b32_e32 v2, 0
	scratch_store_b32 off, v2, off
	s_waitcnt vmcnt(0)
	ds_store_b32 v1, v0
.LBB87_151:
	s_or_b32 exec_lo, exec_lo, s0
	s_waitcnt lgkmcnt(0)
	s_waitcnt_vscnt null, 0x0
	s_barrier
	buffer_gl0_inv
	s_clause 0x5
	scratch_load_b128 v[52:55], off, off
	scratch_load_b128 v[56:59], off, off offset:16
	scratch_load_b128 v[60:63], off, off offset:32
	;; [unrolled: 1-line block ×5, first 2 shown]
	v_mov_b32_e32 v80, 0
	ds_load_2addr_b32 v[72:73], v80 offset0:25 offset1:26
	ds_load_2addr_b32 v[74:75], v80 offset0:27 offset1:28
	;; [unrolled: 1-line block ×4, first 2 shown]
	s_and_b32 vcc_lo, exec_lo, s12
	s_waitcnt vmcnt(5) lgkmcnt(3)
	v_fma_f32 v72, v53, v72, 0
	s_delay_alu instid0(VALU_DEP_1) | instskip(SKIP_4) | instid1(VALU_DEP_1)
	v_fmac_f32_e32 v72, v54, v73
	ds_load_2addr_b32 v[53:54], v80 offset0:33 offset1:34
	s_waitcnt lgkmcnt(3)
	v_fmac_f32_e32 v72, v55, v74
	s_waitcnt vmcnt(4)
	v_fmac_f32_e32 v72, v56, v75
	ds_load_2addr_b32 v[55:56], v80 offset0:35 offset1:36
	s_waitcnt lgkmcnt(3)
	v_fmac_f32_e32 v72, v57, v76
	s_delay_alu instid0(VALU_DEP_1) | instskip(SKIP_1) | instid1(VALU_DEP_1)
	v_fmac_f32_e32 v72, v58, v77
	s_waitcnt lgkmcnt(2)
	v_fmac_f32_e32 v72, v59, v78
	s_waitcnt vmcnt(3)
	s_delay_alu instid0(VALU_DEP_1) | instskip(SKIP_4) | instid1(VALU_DEP_1)
	v_fmac_f32_e32 v72, v60, v79
	ds_load_2addr_b32 v[57:58], v80 offset0:37 offset1:38
	ds_load_2addr_b32 v[59:60], v80 offset0:39 offset1:40
	s_waitcnt lgkmcnt(3)
	v_fmac_f32_e32 v72, v61, v53
	v_fmac_f32_e32 v72, v62, v54
	ds_load_2addr_b32 v[53:54], v80 offset0:41 offset1:42
	s_waitcnt lgkmcnt(3)
	v_fmac_f32_e32 v72, v63, v55
	s_waitcnt vmcnt(2)
	s_delay_alu instid0(VALU_DEP_1) | instskip(SKIP_3) | instid1(VALU_DEP_1)
	v_fmac_f32_e32 v72, v64, v56
	ds_load_2addr_b32 v[55:56], v80 offset0:43 offset1:44
	s_waitcnt lgkmcnt(3)
	v_fmac_f32_e32 v72, v65, v57
	v_fmac_f32_e32 v72, v66, v58
	s_waitcnt lgkmcnt(2)
	s_delay_alu instid0(VALU_DEP_1)
	v_fmac_f32_e32 v72, v67, v59
	ds_load_2addr_b32 v[57:58], v80 offset0:45 offset1:46
	ds_load_b32 v59, v80 offset:188
	s_waitcnt vmcnt(1)
	v_fmac_f32_e32 v72, v68, v60
	s_waitcnt lgkmcnt(3)
	s_delay_alu instid0(VALU_DEP_1) | instskip(NEXT) | instid1(VALU_DEP_1)
	v_fmac_f32_e32 v72, v69, v53
	v_fmac_f32_e32 v72, v70, v54
	s_waitcnt lgkmcnt(2)
	s_delay_alu instid0(VALU_DEP_1) | instskip(SKIP_1) | instid1(VALU_DEP_1)
	v_fmac_f32_e32 v72, v71, v55
	s_waitcnt vmcnt(0)
	v_fmac_f32_e32 v72, v0, v56
	s_waitcnt lgkmcnt(1)
	s_delay_alu instid0(VALU_DEP_1) | instskip(NEXT) | instid1(VALU_DEP_1)
	v_fmac_f32_e32 v72, v1, v57
	v_fmac_f32_e32 v72, v2, v58
	s_waitcnt lgkmcnt(0)
	s_delay_alu instid0(VALU_DEP_1) | instskip(NEXT) | instid1(VALU_DEP_1)
	v_fmac_f32_e32 v72, v3, v59
	v_sub_f32_e32 v0, v52, v72
	scratch_store_b32 off, v0, off
	s_cbranch_vccz .LBB87_199
; %bb.152:
	v_dual_mov_b32 v0, s2 :: v_dual_mov_b32 v1, s3
	s_mov_b32 s0, exec_lo
	flat_load_b32 v0, v[0:1] offset:88
	s_waitcnt vmcnt(0) lgkmcnt(0)
	v_cmpx_ne_u32_e32 23, v0
	s_cbranch_execz .LBB87_154
; %bb.153:
	v_lshl_add_u32 v0, v0, 2, 0
	scratch_load_b32 v1, v0, off offset:-4
	s_waitcnt vmcnt(0)
	scratch_store_b32 off, v1, off offset:88
	scratch_store_b32 v0, v2, off offset:-4
.LBB87_154:
	s_or_b32 exec_lo, exec_lo, s0
	v_dual_mov_b32 v0, s2 :: v_dual_mov_b32 v1, s3
	s_mov_b32 s0, exec_lo
	flat_load_b32 v0, v[0:1] offset:84
	s_waitcnt vmcnt(0) lgkmcnt(0)
	v_cmpx_ne_u32_e32 22, v0
	s_cbranch_execz .LBB87_156
; %bb.155:
	v_lshl_add_u32 v0, v0, 2, 0
	scratch_load_b32 v1, v0, off offset:-4
	scratch_load_b32 v2, off, off offset:84
	s_waitcnt vmcnt(1)
	scratch_store_b32 off, v1, off offset:84
	s_waitcnt vmcnt(0)
	scratch_store_b32 v0, v2, off offset:-4
.LBB87_156:
	s_or_b32 exec_lo, exec_lo, s0
	v_dual_mov_b32 v0, s2 :: v_dual_mov_b32 v1, s3
	s_mov_b32 s0, exec_lo
	flat_load_b32 v0, v[0:1] offset:80
	s_waitcnt vmcnt(0) lgkmcnt(0)
	v_cmpx_ne_u32_e32 21, v0
	s_cbranch_execz .LBB87_158
; %bb.157:
	v_lshl_add_u32 v0, v0, 2, 0
	scratch_load_b32 v1, v0, off offset:-4
	scratch_load_b32 v2, off, off offset:80
	s_waitcnt vmcnt(1)
	scratch_store_b32 off, v1, off offset:80
	s_waitcnt vmcnt(0)
	scratch_store_b32 v0, v2, off offset:-4
.LBB87_158:
	;; [unrolled: 16-line block ×21, first 2 shown]
	s_or_b32 exec_lo, exec_lo, s0
	v_dual_mov_b32 v0, s2 :: v_dual_mov_b32 v1, s3
	s_mov_b32 s0, exec_lo
	flat_load_b32 v1, v[0:1]
	scratch_load_b32 v0, off, off
	s_waitcnt vmcnt(1) lgkmcnt(0)
	v_cmpx_ne_u32_e32 1, v1
	s_cbranch_execz .LBB87_198
; %bb.197:
	v_lshl_add_u32 v1, v1, 2, 0
	scratch_load_b32 v2, v1, off offset:-4
	s_waitcnt vmcnt(0)
	scratch_store_b32 off, v2, off
	scratch_store_b32 v1, v0, off offset:-4
	scratch_load_b32 v0, off, off
.LBB87_198:
	s_or_b32 exec_lo, exec_lo, s0
.LBB87_199:
	s_clause 0x5
	scratch_load_b128 v[52:55], off, off offset:4
	scratch_load_b128 v[56:59], off, off offset:20
	;; [unrolled: 1-line block ×5, first 2 shown]
	scratch_load_b96 v[1:3], off, off offset:84
	s_waitcnt vmcnt(6)
	global_store_b32 v[4:5], v0, off
	s_waitcnt vmcnt(5)
	s_clause 0x3
	global_store_b32 v[6:7], v52, off
	global_store_b32 v[8:9], v53, off
	global_store_b32 v[10:11], v54, off
	global_store_b32 v[12:13], v55, off
	s_waitcnt vmcnt(4)
	s_clause 0x3
	global_store_b32 v[14:15], v56, off
	global_store_b32 v[16:17], v57, off
	global_store_b32 v[18:19], v58, off
	;; [unrolled: 6-line block ×6, first 2 shown]
	s_endpgm
	.section	.rodata,"a",@progbits
	.p2align	6, 0x0
	.amdhsa_kernel _ZN9rocsolver6v33100L18getri_kernel_smallILi24EfPKPfEEvT1_iilPiilS6_bb
		.amdhsa_group_segment_fixed_size 196
		.amdhsa_private_segment_fixed_size 112
		.amdhsa_kernarg_size 60
		.amdhsa_user_sgpr_count 15
		.amdhsa_user_sgpr_dispatch_ptr 0
		.amdhsa_user_sgpr_queue_ptr 0
		.amdhsa_user_sgpr_kernarg_segment_ptr 1
		.amdhsa_user_sgpr_dispatch_id 0
		.amdhsa_user_sgpr_private_segment_size 0
		.amdhsa_wavefront_size32 1
		.amdhsa_uses_dynamic_stack 0
		.amdhsa_enable_private_segment 1
		.amdhsa_system_sgpr_workgroup_id_x 1
		.amdhsa_system_sgpr_workgroup_id_y 0
		.amdhsa_system_sgpr_workgroup_id_z 0
		.amdhsa_system_sgpr_workgroup_info 0
		.amdhsa_system_vgpr_workitem_id 0
		.amdhsa_next_free_vgpr 83
		.amdhsa_next_free_sgpr 17
		.amdhsa_reserve_vcc 1
		.amdhsa_float_round_mode_32 0
		.amdhsa_float_round_mode_16_64 0
		.amdhsa_float_denorm_mode_32 3
		.amdhsa_float_denorm_mode_16_64 3
		.amdhsa_dx10_clamp 1
		.amdhsa_ieee_mode 1
		.amdhsa_fp16_overflow 0
		.amdhsa_workgroup_processor_mode 1
		.amdhsa_memory_ordered 1
		.amdhsa_forward_progress 0
		.amdhsa_shared_vgpr_count 0
		.amdhsa_exception_fp_ieee_invalid_op 0
		.amdhsa_exception_fp_denorm_src 0
		.amdhsa_exception_fp_ieee_div_zero 0
		.amdhsa_exception_fp_ieee_overflow 0
		.amdhsa_exception_fp_ieee_underflow 0
		.amdhsa_exception_fp_ieee_inexact 0
		.amdhsa_exception_int_div_zero 0
	.end_amdhsa_kernel
	.section	.text._ZN9rocsolver6v33100L18getri_kernel_smallILi24EfPKPfEEvT1_iilPiilS6_bb,"axG",@progbits,_ZN9rocsolver6v33100L18getri_kernel_smallILi24EfPKPfEEvT1_iilPiilS6_bb,comdat
.Lfunc_end87:
	.size	_ZN9rocsolver6v33100L18getri_kernel_smallILi24EfPKPfEEvT1_iilPiilS6_bb, .Lfunc_end87-_ZN9rocsolver6v33100L18getri_kernel_smallILi24EfPKPfEEvT1_iilPiilS6_bb
                                        ; -- End function
	.section	.AMDGPU.csdata,"",@progbits
; Kernel info:
; codeLenInByte = 13836
; NumSgprs: 19
; NumVgprs: 83
; ScratchSize: 112
; MemoryBound: 0
; FloatMode: 240
; IeeeMode: 1
; LDSByteSize: 196 bytes/workgroup (compile time only)
; SGPRBlocks: 2
; VGPRBlocks: 10
; NumSGPRsForWavesPerEU: 19
; NumVGPRsForWavesPerEU: 83
; Occupancy: 16
; WaveLimiterHint : 1
; COMPUTE_PGM_RSRC2:SCRATCH_EN: 1
; COMPUTE_PGM_RSRC2:USER_SGPR: 15
; COMPUTE_PGM_RSRC2:TRAP_HANDLER: 0
; COMPUTE_PGM_RSRC2:TGID_X_EN: 1
; COMPUTE_PGM_RSRC2:TGID_Y_EN: 0
; COMPUTE_PGM_RSRC2:TGID_Z_EN: 0
; COMPUTE_PGM_RSRC2:TIDIG_COMP_CNT: 0
	.section	.text._ZN9rocsolver6v33100L18getri_kernel_smallILi25EfPKPfEEvT1_iilPiilS6_bb,"axG",@progbits,_ZN9rocsolver6v33100L18getri_kernel_smallILi25EfPKPfEEvT1_iilPiilS6_bb,comdat
	.globl	_ZN9rocsolver6v33100L18getri_kernel_smallILi25EfPKPfEEvT1_iilPiilS6_bb ; -- Begin function _ZN9rocsolver6v33100L18getri_kernel_smallILi25EfPKPfEEvT1_iilPiilS6_bb
	.p2align	8
	.type	_ZN9rocsolver6v33100L18getri_kernel_smallILi25EfPKPfEEvT1_iilPiilS6_bb,@function
_ZN9rocsolver6v33100L18getri_kernel_smallILi25EfPKPfEEvT1_iilPiilS6_bb: ; @_ZN9rocsolver6v33100L18getri_kernel_smallILi25EfPKPfEEvT1_iilPiilS6_bb
; %bb.0:
	s_mov_b32 s2, exec_lo
	v_cmpx_gt_u32_e32 25, v0
	s_cbranch_execz .LBB88_108
; %bb.1:
	s_clause 0x1
	s_load_b32 s13, s[0:1], 0x38
	s_load_b64 s[2:3], s[0:1], 0x0
	s_mov_b32 s8, s15
	s_load_b128 s[4:7], s[0:1], 0x28
	s_waitcnt lgkmcnt(0)
	s_bitcmp1_b32 s13, 8
	s_cselect_b32 s12, -1, 0
	s_ashr_i32 s9, s15, 31
	s_delay_alu instid0(SALU_CYCLE_1) | instskip(NEXT) | instid1(SALU_CYCLE_1)
	s_lshl_b64 s[10:11], s[8:9], 3
	s_add_u32 s2, s2, s10
	s_addc_u32 s3, s3, s11
	s_load_b64 s[10:11], s[2:3], 0x0
	s_bfe_u32 s2, s13, 0x10008
	s_delay_alu instid0(SALU_CYCLE_1)
	s_cmp_eq_u32 s2, 0
                                        ; implicit-def: $sgpr2_sgpr3
	s_cbranch_scc1 .LBB88_3
; %bb.2:
	s_clause 0x1
	s_load_b32 s2, s[0:1], 0x20
	s_load_b64 s[14:15], s[0:1], 0x18
	s_mul_i32 s3, s8, s5
	s_mul_hi_u32 s5, s8, s4
	s_mul_i32 s16, s9, s4
	s_add_i32 s3, s5, s3
	s_mul_i32 s4, s8, s4
	s_add_i32 s5, s3, s16
	s_delay_alu instid0(SALU_CYCLE_1)
	s_lshl_b64 s[4:5], s[4:5], 2
	s_waitcnt lgkmcnt(0)
	s_ashr_i32 s3, s2, 31
	s_add_u32 s4, s14, s4
	s_addc_u32 s5, s15, s5
	s_lshl_b64 s[2:3], s[2:3], 2
	s_delay_alu instid0(SALU_CYCLE_1)
	s_add_u32 s2, s4, s2
	s_addc_u32 s3, s5, s3
.LBB88_3:
	s_load_b64 s[0:1], s[0:1], 0x8
	v_lshlrev_b32_e32 v1, 2, v0
	s_waitcnt lgkmcnt(0)
	v_add3_u32 v2, s1, s1, v0
	s_ashr_i32 s5, s0, 31
	s_mov_b32 s4, s0
	s_mov_b32 s14, s1
	s_lshl_b64 s[4:5], s[4:5], 2
	v_add_nc_u32_e32 v8, s1, v2
	v_ashrrev_i32_e32 v3, 31, v2
	s_add_u32 s4, s10, s4
	s_addc_u32 s5, s11, s5
	v_add_co_u32 v4, s0, s4, v1
	v_add_nc_u32_e32 v10, s1, v8
	s_ashr_i32 s15, s1, 31
	v_add_co_ci_u32_e64 v5, null, s5, 0, s0
	v_lshlrev_b64 v[2:3], 2, v[2:3]
	s_delay_alu instid0(VALU_DEP_3)
	v_add_nc_u32_e32 v14, s1, v10
	v_ashrrev_i32_e32 v9, 31, v8
	s_lshl_b64 s[10:11], s[14:15], 2
	v_ashrrev_i32_e32 v11, 31, v10
	v_add_co_u32 v6, vcc_lo, v4, s10
	v_add_nc_u32_e32 v16, s1, v14
	v_add_co_ci_u32_e32 v7, vcc_lo, s11, v5, vcc_lo
	v_lshlrev_b64 v[12:13], 2, v[8:9]
	v_add_co_u32 v8, vcc_lo, s4, v2
	s_delay_alu instid0(VALU_DEP_4) | instskip(SKIP_3) | instid1(VALU_DEP_4)
	v_add_nc_u32_e32 v18, s1, v16
	v_add_co_ci_u32_e32 v9, vcc_lo, s5, v3, vcc_lo
	v_lshlrev_b64 v[2:3], 2, v[10:11]
	v_ashrrev_i32_e32 v15, 31, v14
	v_add_nc_u32_e32 v20, s1, v18
	v_add_co_u32 v10, vcc_lo, s4, v12
	v_ashrrev_i32_e32 v17, 31, v16
	v_add_co_ci_u32_e32 v11, vcc_lo, s5, v13, vcc_lo
	v_lshlrev_b64 v[14:15], 2, v[14:15]
	v_add_co_u32 v12, vcc_lo, s4, v2
	v_add_nc_u32_e32 v22, s1, v20
	v_add_co_ci_u32_e32 v13, vcc_lo, s5, v3, vcc_lo
	v_lshlrev_b64 v[2:3], 2, v[16:17]
	v_ashrrev_i32_e32 v19, 31, v18
	v_add_co_u32 v14, vcc_lo, s4, v14
	v_ashrrev_i32_e32 v21, 31, v20
	v_add_nc_u32_e32 v24, s1, v22
	v_add_co_ci_u32_e32 v15, vcc_lo, s5, v15, vcc_lo
	v_lshlrev_b64 v[18:19], 2, v[18:19]
	v_add_co_u32 v16, vcc_lo, s4, v2
	v_add_co_ci_u32_e32 v17, vcc_lo, s5, v3, vcc_lo
	v_lshlrev_b64 v[2:3], 2, v[20:21]
	v_add_nc_u32_e32 v26, s1, v24
	v_add_co_u32 v18, vcc_lo, s4, v18
	v_ashrrev_i32_e32 v23, 31, v22
	v_add_co_ci_u32_e32 v19, vcc_lo, s5, v19, vcc_lo
	s_delay_alu instid0(VALU_DEP_4)
	v_add_nc_u32_e32 v28, s1, v26
	v_add_co_u32 v20, vcc_lo, s4, v2
	v_add_co_ci_u32_e32 v21, vcc_lo, s5, v3, vcc_lo
	v_lshlrev_b64 v[2:3], 2, v[22:23]
	v_ashrrev_i32_e32 v25, 31, v24
	v_add_nc_u32_e32 v30, s1, v28
	v_ashrrev_i32_e32 v27, 31, v26
	v_ashrrev_i32_e32 v29, 31, v28
	global_load_b32 v54, v1, s[4:5]
	v_lshlrev_b64 v[24:25], 2, v[24:25]
	v_add_co_u32 v22, vcc_lo, s4, v2
	v_add_nc_u32_e32 v32, s1, v30
	v_add_co_ci_u32_e32 v23, vcc_lo, s5, v3, vcc_lo
	v_lshlrev_b64 v[2:3], 2, v[26:27]
	v_add_co_u32 v24, vcc_lo, s4, v24
	v_ashrrev_i32_e32 v31, 31, v30
	v_add_nc_u32_e32 v34, s1, v32
	v_add_co_ci_u32_e32 v25, vcc_lo, s5, v25, vcc_lo
	v_lshlrev_b64 v[28:29], 2, v[28:29]
	v_add_co_u32 v26, vcc_lo, s4, v2
	v_add_co_ci_u32_e32 v27, vcc_lo, s5, v3, vcc_lo
	v_lshlrev_b64 v[2:3], 2, v[30:31]
	v_ashrrev_i32_e32 v33, 31, v32
	v_add_nc_u32_e32 v36, s1, v34
	v_add_co_u32 v28, vcc_lo, s4, v28
	v_ashrrev_i32_e32 v35, 31, v34
	v_add_co_ci_u32_e32 v29, vcc_lo, s5, v29, vcc_lo
	v_lshlrev_b64 v[32:33], 2, v[32:33]
	v_add_co_u32 v30, vcc_lo, s4, v2
	v_ashrrev_i32_e32 v37, 31, v36
	v_add_co_ci_u32_e32 v31, vcc_lo, s5, v3, vcc_lo
	v_lshlrev_b64 v[2:3], 2, v[34:35]
	v_add_nc_u32_e32 v39, s1, v36
	v_add_co_u32 v32, vcc_lo, s4, v32
	v_lshlrev_b64 v[37:38], 2, v[36:37]
	v_add_co_ci_u32_e32 v33, vcc_lo, s5, v33, vcc_lo
	v_add_co_u32 v34, vcc_lo, s4, v2
	v_ashrrev_i32_e32 v40, 31, v39
	v_add_nc_u32_e32 v2, s1, v39
	v_add_co_ci_u32_e32 v35, vcc_lo, s5, v3, vcc_lo
	v_add_co_u32 v36, vcc_lo, s4, v37
	v_add_co_ci_u32_e32 v37, vcc_lo, s5, v38, vcc_lo
	v_lshlrev_b64 v[38:39], 2, v[39:40]
	v_add_nc_u32_e32 v40, s1, v2
	v_ashrrev_i32_e32 v3, 31, v2
	s_clause 0xf
	global_load_b32 v55, v[6:7], off
	global_load_b32 v56, v[8:9], off
	;; [unrolled: 1-line block ×16, first 2 shown]
	s_bitcmp0_b32 s13, 0
	v_add_nc_u32_e32 v42, s1, v40
	v_lshlrev_b64 v[2:3], 2, v[2:3]
	v_ashrrev_i32_e32 v41, 31, v40
	v_add_co_u32 v38, vcc_lo, s4, v38
	s_delay_alu instid0(VALU_DEP_4) | instskip(SKIP_3) | instid1(VALU_DEP_4)
	v_add_nc_u32_e32 v46, s1, v42
	v_ashrrev_i32_e32 v43, 31, v42
	v_add_co_ci_u32_e32 v39, vcc_lo, s5, v39, vcc_lo
	v_lshlrev_b64 v[44:45], 2, v[40:41]
	v_add_nc_u32_e32 v48, s1, v46
	v_add_co_u32 v40, vcc_lo, s4, v2
	v_add_co_ci_u32_e32 v41, vcc_lo, s5, v3, vcc_lo
	v_lshlrev_b64 v[2:3], 2, v[42:43]
	v_ashrrev_i32_e32 v47, 31, v46
	v_add_nc_u32_e32 v50, s1, v48
	v_add_co_u32 v42, vcc_lo, s4, v44
	v_ashrrev_i32_e32 v49, 31, v48
	v_add_co_ci_u32_e32 v43, vcc_lo, s5, v45, vcc_lo
	v_lshlrev_b64 v[46:47], 2, v[46:47]
	v_add_co_u32 v44, vcc_lo, s4, v2
	v_add_nc_u32_e32 v52, s1, v50
	v_add_co_ci_u32_e32 v45, vcc_lo, s5, v3, vcc_lo
	v_lshlrev_b64 v[2:3], 2, v[48:49]
	v_ashrrev_i32_e32 v51, 31, v50
	v_add_co_u32 v46, vcc_lo, s4, v46
	v_ashrrev_i32_e32 v53, 31, v52
	v_add_co_ci_u32_e32 v47, vcc_lo, s5, v47, vcc_lo
	s_delay_alu instid0(VALU_DEP_4) | instskip(SKIP_3) | instid1(VALU_DEP_4)
	v_lshlrev_b64 v[50:51], 2, v[50:51]
	v_add_co_u32 v48, vcc_lo, s4, v2
	v_add_co_ci_u32_e32 v49, vcc_lo, s5, v3, vcc_lo
	v_lshlrev_b64 v[2:3], 2, v[52:53]
	v_add_co_u32 v50, vcc_lo, s4, v50
	v_add_co_ci_u32_e32 v51, vcc_lo, s5, v51, vcc_lo
	s_mov_b32 s1, -1
	s_delay_alu instid0(VALU_DEP_3) | instskip(NEXT) | instid1(VALU_DEP_4)
	v_add_co_u32 v52, vcc_lo, s4, v2
	v_add_co_ci_u32_e32 v53, vcc_lo, s5, v3, vcc_lo
	s_clause 0x7
	global_load_b32 v71, v[38:39], off
	global_load_b32 v72, v[40:41], off
	;; [unrolled: 1-line block ×8, first 2 shown]
	s_waitcnt vmcnt(21)
	scratch_store_b128 off, v[54:57], off
	s_waitcnt vmcnt(17)
	scratch_store_b128 off, v[58:61], off offset:16
	s_waitcnt vmcnt(13)
	scratch_store_b128 off, v[62:65], off offset:32
	;; [unrolled: 2-line block ×5, first 2 shown]
	s_waitcnt vmcnt(0)
	scratch_store_b32 off, v2, off offset:96
	s_cbranch_scc1 .LBB88_106
; %bb.4:
	v_cmp_eq_u32_e64 s0, 0, v0
	s_delay_alu instid0(VALU_DEP_1)
	s_and_saveexec_b32 s1, s0
	s_cbranch_execz .LBB88_6
; %bb.5:
	v_mov_b32_e32 v2, 0
	ds_store_b32 v2, v2 offset:100
.LBB88_6:
	s_or_b32 exec_lo, exec_lo, s1
	s_waitcnt lgkmcnt(0)
	s_waitcnt_vscnt null, 0x0
	s_barrier
	buffer_gl0_inv
	scratch_load_b32 v2, v1, off
	s_mov_b32 s4, exec_lo
	s_waitcnt vmcnt(0)
	v_cmpx_eq_f32_e32 0, v2
	s_cbranch_execz .LBB88_10
; %bb.7:
	v_mov_b32_e32 v2, 0
	s_mov_b32 s5, 0
	ds_load_b32 v3, v2 offset:100
	s_waitcnt lgkmcnt(0)
	v_readfirstlane_b32 s1, v3
	v_add_nc_u32_e32 v3, 1, v0
	s_delay_alu instid0(VALU_DEP_2) | instskip(NEXT) | instid1(VALU_DEP_1)
	s_cmp_eq_u32 s1, 0
	v_cmp_gt_i32_e32 vcc_lo, s1, v3
	s_cselect_b32 s10, -1, 0
	s_delay_alu instid0(SALU_CYCLE_1) | instskip(NEXT) | instid1(SALU_CYCLE_1)
	s_or_b32 s10, s10, vcc_lo
	s_and_b32 exec_lo, exec_lo, s10
	s_cbranch_execz .LBB88_10
; %bb.8:
	v_mov_b32_e32 v54, s1
.LBB88_9:                               ; =>This Inner Loop Header: Depth=1
	ds_cmpstore_rtn_b32 v54, v2, v3, v54 offset:100
	s_waitcnt lgkmcnt(0)
	v_cmp_ne_u32_e32 vcc_lo, 0, v54
	v_cmp_le_i32_e64 s1, v54, v3
	s_delay_alu instid0(VALU_DEP_1) | instskip(NEXT) | instid1(SALU_CYCLE_1)
	s_and_b32 s1, vcc_lo, s1
	s_and_b32 s1, exec_lo, s1
	s_delay_alu instid0(SALU_CYCLE_1) | instskip(NEXT) | instid1(SALU_CYCLE_1)
	s_or_b32 s5, s1, s5
	s_and_not1_b32 exec_lo, exec_lo, s5
	s_cbranch_execnz .LBB88_9
.LBB88_10:
	s_or_b32 exec_lo, exec_lo, s4
	v_mov_b32_e32 v2, 0
	s_barrier
	buffer_gl0_inv
	ds_load_b32 v3, v2 offset:100
	s_and_saveexec_b32 s1, s0
	s_cbranch_execz .LBB88_12
; %bb.11:
	s_lshl_b64 s[4:5], s[8:9], 2
	s_delay_alu instid0(SALU_CYCLE_1)
	s_add_u32 s4, s6, s4
	s_addc_u32 s5, s7, s5
	s_waitcnt lgkmcnt(0)
	global_store_b32 v2, v3, s[4:5]
.LBB88_12:
	s_or_b32 exec_lo, exec_lo, s1
	s_waitcnt lgkmcnt(0)
	v_cmp_ne_u32_e32 vcc_lo, 0, v3
	s_mov_b32 s1, 0
	s_cbranch_vccnz .LBB88_106
; %bb.13:
	v_add_nc_u32_e32 v2, 0, v1
	scratch_load_b32 v3, v2, off
	s_waitcnt vmcnt(0)
	v_div_scale_f32 v54, null, v3, v3, 1.0
	v_div_scale_f32 v57, vcc_lo, 1.0, v3, 1.0
	s_delay_alu instid0(VALU_DEP_2) | instskip(SKIP_2) | instid1(VALU_DEP_1)
	v_rcp_f32_e32 v55, v54
	s_waitcnt_depctr 0xfff
	v_fma_f32 v56, -v54, v55, 1.0
	v_fmac_f32_e32 v55, v56, v55
	s_delay_alu instid0(VALU_DEP_1) | instskip(NEXT) | instid1(VALU_DEP_1)
	v_mul_f32_e32 v56, v57, v55
	v_fma_f32 v58, -v54, v56, v57
	s_delay_alu instid0(VALU_DEP_1) | instskip(NEXT) | instid1(VALU_DEP_1)
	v_fmac_f32_e32 v56, v58, v55
	v_fma_f32 v54, -v54, v56, v57
	s_delay_alu instid0(VALU_DEP_1) | instskip(NEXT) | instid1(VALU_DEP_1)
	v_div_fmas_f32 v54, v54, v55, v56
	v_div_fixup_f32 v3, v54, v3, 1.0
	scratch_store_b32 v2, v3, off
	scratch_load_b32 v54, off, off offset:4
	v_xor_b32_e32 v55, 0x80000000, v3
	v_add_nc_u32_e32 v3, 0x70, v1
	s_waitcnt vmcnt(0)
	ds_store_2addr_b32 v1, v55, v54 offset1:28
	s_waitcnt lgkmcnt(0)
	s_waitcnt_vscnt null, 0x0
	s_barrier
	buffer_gl0_inv
	s_and_saveexec_b32 s1, s0
	s_cbranch_execz .LBB88_15
; %bb.14:
	scratch_load_b32 v54, v2, off
	ds_load_b32 v55, v3
	v_mov_b32_e32 v56, 0
	ds_load_b32 v56, v56 offset:4
	s_waitcnt vmcnt(0) lgkmcnt(1)
	v_fma_f32 v54, v54, v55, 0
	s_waitcnt lgkmcnt(0)
	s_delay_alu instid0(VALU_DEP_1)
	v_mul_f32_e32 v54, v54, v56
	scratch_store_b32 off, v54, off offset:4
.LBB88_15:
	s_or_b32 exec_lo, exec_lo, s1
	s_waitcnt_vscnt null, 0x0
	s_barrier
	buffer_gl0_inv
	scratch_load_b32 v54, off, off offset:8
	s_mov_b32 s1, exec_lo
	s_waitcnt vmcnt(0)
	ds_store_b32 v3, v54
	s_waitcnt lgkmcnt(0)
	s_barrier
	buffer_gl0_inv
	v_cmpx_gt_u32_e32 2, v0
	s_cbranch_execz .LBB88_17
; %bb.16:
	scratch_load_b32 v56, v2, off
	scratch_load_b32 v57, off, off offset:4
	ds_load_b32 v58, v3
	v_mov_b32_e32 v54, 0
	ds_load_2addr_b32 v[54:55], v54 offset0:2 offset1:29
	s_waitcnt vmcnt(1) lgkmcnt(1)
	v_fma_f32 v56, v56, v58, 0
	s_waitcnt vmcnt(0) lgkmcnt(0)
	s_delay_alu instid0(VALU_DEP_1) | instskip(NEXT) | instid1(VALU_DEP_1)
	v_fma_f32 v55, v57, v55, v56
	v_cndmask_b32_e64 v55, v56, v55, s0
	s_delay_alu instid0(VALU_DEP_1)
	v_mul_f32_e32 v54, v55, v54
	scratch_store_b32 off, v54, off offset:8
.LBB88_17:
	s_or_b32 exec_lo, exec_lo, s1
	s_waitcnt_vscnt null, 0x0
	s_barrier
	buffer_gl0_inv
	scratch_load_b32 v55, off, off offset:12
	v_add_nc_u32_e32 v54, -1, v0
	s_mov_b32 s0, exec_lo
	s_waitcnt vmcnt(0)
	ds_store_b32 v3, v55
	s_waitcnt lgkmcnt(0)
	s_barrier
	buffer_gl0_inv
	v_cmpx_gt_u32_e32 3, v0
	s_cbranch_execz .LBB88_21
; %bb.18:
	v_dual_mov_b32 v55, 0 :: v_dual_add_nc_u32 v56, -1, v0
	v_add_nc_u32_e32 v57, 0x70, v1
	v_add_nc_u32_e32 v58, 0, v1
	s_mov_b32 s1, 0
.LBB88_19:                              ; =>This Inner Loop Header: Depth=1
	scratch_load_b32 v59, v58, off
	ds_load_b32 v60, v57
	v_add_nc_u32_e32 v56, 1, v56
	v_add_nc_u32_e32 v57, 4, v57
	v_add_nc_u32_e32 v58, 4, v58
	s_delay_alu instid0(VALU_DEP_3)
	v_cmp_lt_u32_e32 vcc_lo, 1, v56
	s_or_b32 s1, vcc_lo, s1
	s_waitcnt vmcnt(0) lgkmcnt(0)
	v_fmac_f32_e32 v55, v59, v60
	s_and_not1_b32 exec_lo, exec_lo, s1
	s_cbranch_execnz .LBB88_19
; %bb.20:
	s_or_b32 exec_lo, exec_lo, s1
	v_mov_b32_e32 v56, 0
	ds_load_b32 v56, v56 offset:12
	s_waitcnt lgkmcnt(0)
	v_mul_f32_e32 v55, v55, v56
	scratch_store_b32 off, v55, off offset:12
.LBB88_21:
	s_or_b32 exec_lo, exec_lo, s0
	s_waitcnt_vscnt null, 0x0
	s_barrier
	buffer_gl0_inv
	scratch_load_b32 v55, off, off offset:16
	s_mov_b32 s0, exec_lo
	s_waitcnt vmcnt(0)
	ds_store_b32 v3, v55
	s_waitcnt lgkmcnt(0)
	s_barrier
	buffer_gl0_inv
	v_cmpx_gt_u32_e32 4, v0
	s_cbranch_execz .LBB88_25
; %bb.22:
	v_dual_mov_b32 v55, 0 :: v_dual_add_nc_u32 v56, -1, v0
	v_add_nc_u32_e32 v57, 0x70, v1
	v_add_nc_u32_e32 v58, 0, v1
	s_mov_b32 s1, 0
.LBB88_23:                              ; =>This Inner Loop Header: Depth=1
	scratch_load_b32 v59, v58, off
	ds_load_b32 v60, v57
	v_add_nc_u32_e32 v56, 1, v56
	v_add_nc_u32_e32 v57, 4, v57
	v_add_nc_u32_e32 v58, 4, v58
	s_delay_alu instid0(VALU_DEP_3)
	v_cmp_lt_u32_e32 vcc_lo, 2, v56
	s_or_b32 s1, vcc_lo, s1
	s_waitcnt vmcnt(0) lgkmcnt(0)
	v_fmac_f32_e32 v55, v59, v60
	s_and_not1_b32 exec_lo, exec_lo, s1
	s_cbranch_execnz .LBB88_23
; %bb.24:
	s_or_b32 exec_lo, exec_lo, s1
	v_mov_b32_e32 v56, 0
	ds_load_b32 v56, v56 offset:16
	s_waitcnt lgkmcnt(0)
	v_mul_f32_e32 v55, v55, v56
	scratch_store_b32 off, v55, off offset:16
.LBB88_25:
	s_or_b32 exec_lo, exec_lo, s0
	s_waitcnt_vscnt null, 0x0
	s_barrier
	buffer_gl0_inv
	scratch_load_b32 v55, off, off offset:20
	s_mov_b32 s0, exec_lo
	s_waitcnt vmcnt(0)
	ds_store_b32 v3, v55
	s_waitcnt lgkmcnt(0)
	s_barrier
	buffer_gl0_inv
	v_cmpx_gt_u32_e32 5, v0
	s_cbranch_execz .LBB88_29
; %bb.26:
	v_dual_mov_b32 v55, 0 :: v_dual_add_nc_u32 v56, -1, v0
	v_add_nc_u32_e32 v57, 0x70, v1
	v_add_nc_u32_e32 v58, 0, v1
	s_mov_b32 s1, 0
.LBB88_27:                              ; =>This Inner Loop Header: Depth=1
	scratch_load_b32 v59, v58, off
	ds_load_b32 v60, v57
	v_add_nc_u32_e32 v56, 1, v56
	v_add_nc_u32_e32 v57, 4, v57
	v_add_nc_u32_e32 v58, 4, v58
	s_delay_alu instid0(VALU_DEP_3)
	v_cmp_lt_u32_e32 vcc_lo, 3, v56
	s_or_b32 s1, vcc_lo, s1
	s_waitcnt vmcnt(0) lgkmcnt(0)
	v_fmac_f32_e32 v55, v59, v60
	s_and_not1_b32 exec_lo, exec_lo, s1
	s_cbranch_execnz .LBB88_27
; %bb.28:
	s_or_b32 exec_lo, exec_lo, s1
	v_mov_b32_e32 v56, 0
	ds_load_b32 v56, v56 offset:20
	s_waitcnt lgkmcnt(0)
	v_mul_f32_e32 v55, v55, v56
	scratch_store_b32 off, v55, off offset:20
.LBB88_29:
	s_or_b32 exec_lo, exec_lo, s0
	s_waitcnt_vscnt null, 0x0
	s_barrier
	buffer_gl0_inv
	scratch_load_b32 v55, off, off offset:24
	s_mov_b32 s0, exec_lo
	s_waitcnt vmcnt(0)
	ds_store_b32 v3, v55
	s_waitcnt lgkmcnt(0)
	s_barrier
	buffer_gl0_inv
	v_cmpx_gt_u32_e32 6, v0
	s_cbranch_execz .LBB88_33
; %bb.30:
	v_dual_mov_b32 v55, 0 :: v_dual_add_nc_u32 v56, -1, v0
	v_add_nc_u32_e32 v57, 0x70, v1
	v_add_nc_u32_e32 v58, 0, v1
	s_mov_b32 s1, 0
.LBB88_31:                              ; =>This Inner Loop Header: Depth=1
	scratch_load_b32 v59, v58, off
	ds_load_b32 v60, v57
	v_add_nc_u32_e32 v56, 1, v56
	v_add_nc_u32_e32 v57, 4, v57
	v_add_nc_u32_e32 v58, 4, v58
	s_delay_alu instid0(VALU_DEP_3)
	v_cmp_lt_u32_e32 vcc_lo, 4, v56
	s_or_b32 s1, vcc_lo, s1
	s_waitcnt vmcnt(0) lgkmcnt(0)
	v_fmac_f32_e32 v55, v59, v60
	s_and_not1_b32 exec_lo, exec_lo, s1
	s_cbranch_execnz .LBB88_31
; %bb.32:
	s_or_b32 exec_lo, exec_lo, s1
	v_mov_b32_e32 v56, 0
	ds_load_b32 v56, v56 offset:24
	s_waitcnt lgkmcnt(0)
	v_mul_f32_e32 v55, v55, v56
	scratch_store_b32 off, v55, off offset:24
.LBB88_33:
	s_or_b32 exec_lo, exec_lo, s0
	s_waitcnt_vscnt null, 0x0
	s_barrier
	buffer_gl0_inv
	scratch_load_b32 v55, off, off offset:28
	s_mov_b32 s0, exec_lo
	s_waitcnt vmcnt(0)
	ds_store_b32 v3, v55
	s_waitcnt lgkmcnt(0)
	s_barrier
	buffer_gl0_inv
	v_cmpx_gt_u32_e32 7, v0
	s_cbranch_execz .LBB88_37
; %bb.34:
	v_dual_mov_b32 v55, 0 :: v_dual_add_nc_u32 v56, -1, v0
	v_add_nc_u32_e32 v57, 0x70, v1
	v_add_nc_u32_e32 v58, 0, v1
	s_mov_b32 s1, 0
.LBB88_35:                              ; =>This Inner Loop Header: Depth=1
	scratch_load_b32 v59, v58, off
	ds_load_b32 v60, v57
	v_add_nc_u32_e32 v56, 1, v56
	v_add_nc_u32_e32 v57, 4, v57
	v_add_nc_u32_e32 v58, 4, v58
	s_delay_alu instid0(VALU_DEP_3)
	v_cmp_lt_u32_e32 vcc_lo, 5, v56
	s_or_b32 s1, vcc_lo, s1
	s_waitcnt vmcnt(0) lgkmcnt(0)
	v_fmac_f32_e32 v55, v59, v60
	s_and_not1_b32 exec_lo, exec_lo, s1
	s_cbranch_execnz .LBB88_35
; %bb.36:
	s_or_b32 exec_lo, exec_lo, s1
	v_mov_b32_e32 v56, 0
	ds_load_b32 v56, v56 offset:28
	s_waitcnt lgkmcnt(0)
	v_mul_f32_e32 v55, v55, v56
	scratch_store_b32 off, v55, off offset:28
.LBB88_37:
	s_or_b32 exec_lo, exec_lo, s0
	s_waitcnt_vscnt null, 0x0
	s_barrier
	buffer_gl0_inv
	scratch_load_b32 v55, off, off offset:32
	s_mov_b32 s0, exec_lo
	s_waitcnt vmcnt(0)
	ds_store_b32 v3, v55
	s_waitcnt lgkmcnt(0)
	s_barrier
	buffer_gl0_inv
	v_cmpx_gt_u32_e32 8, v0
	s_cbranch_execz .LBB88_41
; %bb.38:
	v_dual_mov_b32 v55, 0 :: v_dual_add_nc_u32 v56, -1, v0
	v_add_nc_u32_e32 v57, 0x70, v1
	v_add_nc_u32_e32 v58, 0, v1
	s_mov_b32 s1, 0
.LBB88_39:                              ; =>This Inner Loop Header: Depth=1
	scratch_load_b32 v59, v58, off
	ds_load_b32 v60, v57
	v_add_nc_u32_e32 v56, 1, v56
	v_add_nc_u32_e32 v57, 4, v57
	v_add_nc_u32_e32 v58, 4, v58
	s_delay_alu instid0(VALU_DEP_3)
	v_cmp_lt_u32_e32 vcc_lo, 6, v56
	s_or_b32 s1, vcc_lo, s1
	s_waitcnt vmcnt(0) lgkmcnt(0)
	v_fmac_f32_e32 v55, v59, v60
	s_and_not1_b32 exec_lo, exec_lo, s1
	s_cbranch_execnz .LBB88_39
; %bb.40:
	s_or_b32 exec_lo, exec_lo, s1
	v_mov_b32_e32 v56, 0
	ds_load_b32 v56, v56 offset:32
	s_waitcnt lgkmcnt(0)
	v_mul_f32_e32 v55, v55, v56
	scratch_store_b32 off, v55, off offset:32
.LBB88_41:
	s_or_b32 exec_lo, exec_lo, s0
	s_waitcnt_vscnt null, 0x0
	s_barrier
	buffer_gl0_inv
	scratch_load_b32 v55, off, off offset:36
	s_mov_b32 s0, exec_lo
	s_waitcnt vmcnt(0)
	ds_store_b32 v3, v55
	s_waitcnt lgkmcnt(0)
	s_barrier
	buffer_gl0_inv
	v_cmpx_gt_u32_e32 9, v0
	s_cbranch_execz .LBB88_45
; %bb.42:
	v_dual_mov_b32 v55, 0 :: v_dual_add_nc_u32 v56, -1, v0
	v_add_nc_u32_e32 v57, 0x70, v1
	v_add_nc_u32_e32 v58, 0, v1
	s_mov_b32 s1, 0
.LBB88_43:                              ; =>This Inner Loop Header: Depth=1
	scratch_load_b32 v59, v58, off
	ds_load_b32 v60, v57
	v_add_nc_u32_e32 v56, 1, v56
	v_add_nc_u32_e32 v57, 4, v57
	v_add_nc_u32_e32 v58, 4, v58
	s_delay_alu instid0(VALU_DEP_3)
	v_cmp_lt_u32_e32 vcc_lo, 7, v56
	s_or_b32 s1, vcc_lo, s1
	s_waitcnt vmcnt(0) lgkmcnt(0)
	v_fmac_f32_e32 v55, v59, v60
	s_and_not1_b32 exec_lo, exec_lo, s1
	s_cbranch_execnz .LBB88_43
; %bb.44:
	s_or_b32 exec_lo, exec_lo, s1
	v_mov_b32_e32 v56, 0
	ds_load_b32 v56, v56 offset:36
	s_waitcnt lgkmcnt(0)
	v_mul_f32_e32 v55, v55, v56
	scratch_store_b32 off, v55, off offset:36
.LBB88_45:
	s_or_b32 exec_lo, exec_lo, s0
	s_waitcnt_vscnt null, 0x0
	s_barrier
	buffer_gl0_inv
	scratch_load_b32 v55, off, off offset:40
	s_mov_b32 s0, exec_lo
	s_waitcnt vmcnt(0)
	ds_store_b32 v3, v55
	s_waitcnt lgkmcnt(0)
	s_barrier
	buffer_gl0_inv
	v_cmpx_gt_u32_e32 10, v0
	s_cbranch_execz .LBB88_49
; %bb.46:
	v_dual_mov_b32 v55, 0 :: v_dual_add_nc_u32 v56, -1, v0
	v_add_nc_u32_e32 v57, 0x70, v1
	v_add_nc_u32_e32 v58, 0, v1
	s_mov_b32 s1, 0
.LBB88_47:                              ; =>This Inner Loop Header: Depth=1
	scratch_load_b32 v59, v58, off
	ds_load_b32 v60, v57
	v_add_nc_u32_e32 v56, 1, v56
	v_add_nc_u32_e32 v57, 4, v57
	v_add_nc_u32_e32 v58, 4, v58
	s_delay_alu instid0(VALU_DEP_3)
	v_cmp_lt_u32_e32 vcc_lo, 8, v56
	s_or_b32 s1, vcc_lo, s1
	s_waitcnt vmcnt(0) lgkmcnt(0)
	v_fmac_f32_e32 v55, v59, v60
	s_and_not1_b32 exec_lo, exec_lo, s1
	s_cbranch_execnz .LBB88_47
; %bb.48:
	s_or_b32 exec_lo, exec_lo, s1
	v_mov_b32_e32 v56, 0
	ds_load_b32 v56, v56 offset:40
	s_waitcnt lgkmcnt(0)
	v_mul_f32_e32 v55, v55, v56
	scratch_store_b32 off, v55, off offset:40
.LBB88_49:
	s_or_b32 exec_lo, exec_lo, s0
	s_waitcnt_vscnt null, 0x0
	s_barrier
	buffer_gl0_inv
	scratch_load_b32 v55, off, off offset:44
	s_mov_b32 s0, exec_lo
	s_waitcnt vmcnt(0)
	ds_store_b32 v3, v55
	s_waitcnt lgkmcnt(0)
	s_barrier
	buffer_gl0_inv
	v_cmpx_gt_u32_e32 11, v0
	s_cbranch_execz .LBB88_53
; %bb.50:
	v_dual_mov_b32 v55, 0 :: v_dual_add_nc_u32 v56, -1, v0
	v_add_nc_u32_e32 v57, 0x70, v1
	v_add_nc_u32_e32 v58, 0, v1
	s_mov_b32 s1, 0
.LBB88_51:                              ; =>This Inner Loop Header: Depth=1
	scratch_load_b32 v59, v58, off
	ds_load_b32 v60, v57
	v_add_nc_u32_e32 v56, 1, v56
	v_add_nc_u32_e32 v57, 4, v57
	v_add_nc_u32_e32 v58, 4, v58
	s_delay_alu instid0(VALU_DEP_3)
	v_cmp_lt_u32_e32 vcc_lo, 9, v56
	s_or_b32 s1, vcc_lo, s1
	s_waitcnt vmcnt(0) lgkmcnt(0)
	v_fmac_f32_e32 v55, v59, v60
	s_and_not1_b32 exec_lo, exec_lo, s1
	s_cbranch_execnz .LBB88_51
; %bb.52:
	s_or_b32 exec_lo, exec_lo, s1
	v_mov_b32_e32 v56, 0
	ds_load_b32 v56, v56 offset:44
	s_waitcnt lgkmcnt(0)
	v_mul_f32_e32 v55, v55, v56
	scratch_store_b32 off, v55, off offset:44
.LBB88_53:
	s_or_b32 exec_lo, exec_lo, s0
	s_waitcnt_vscnt null, 0x0
	s_barrier
	buffer_gl0_inv
	scratch_load_b32 v55, off, off offset:48
	s_mov_b32 s0, exec_lo
	s_waitcnt vmcnt(0)
	ds_store_b32 v3, v55
	s_waitcnt lgkmcnt(0)
	s_barrier
	buffer_gl0_inv
	v_cmpx_gt_u32_e32 12, v0
	s_cbranch_execz .LBB88_57
; %bb.54:
	v_dual_mov_b32 v55, 0 :: v_dual_add_nc_u32 v56, -1, v0
	v_add_nc_u32_e32 v57, 0x70, v1
	v_add_nc_u32_e32 v58, 0, v1
	s_mov_b32 s1, 0
.LBB88_55:                              ; =>This Inner Loop Header: Depth=1
	scratch_load_b32 v59, v58, off
	ds_load_b32 v60, v57
	v_add_nc_u32_e32 v56, 1, v56
	v_add_nc_u32_e32 v57, 4, v57
	v_add_nc_u32_e32 v58, 4, v58
	s_delay_alu instid0(VALU_DEP_3)
	v_cmp_lt_u32_e32 vcc_lo, 10, v56
	s_or_b32 s1, vcc_lo, s1
	s_waitcnt vmcnt(0) lgkmcnt(0)
	v_fmac_f32_e32 v55, v59, v60
	s_and_not1_b32 exec_lo, exec_lo, s1
	s_cbranch_execnz .LBB88_55
; %bb.56:
	s_or_b32 exec_lo, exec_lo, s1
	v_mov_b32_e32 v56, 0
	ds_load_b32 v56, v56 offset:48
	s_waitcnt lgkmcnt(0)
	v_mul_f32_e32 v55, v55, v56
	scratch_store_b32 off, v55, off offset:48
.LBB88_57:
	s_or_b32 exec_lo, exec_lo, s0
	s_waitcnt_vscnt null, 0x0
	s_barrier
	buffer_gl0_inv
	scratch_load_b32 v55, off, off offset:52
	s_mov_b32 s0, exec_lo
	s_waitcnt vmcnt(0)
	ds_store_b32 v3, v55
	s_waitcnt lgkmcnt(0)
	s_barrier
	buffer_gl0_inv
	v_cmpx_gt_u32_e32 13, v0
	s_cbranch_execz .LBB88_61
; %bb.58:
	v_dual_mov_b32 v55, 0 :: v_dual_add_nc_u32 v56, -1, v0
	v_add_nc_u32_e32 v57, 0x70, v1
	v_add_nc_u32_e32 v58, 0, v1
	s_mov_b32 s1, 0
.LBB88_59:                              ; =>This Inner Loop Header: Depth=1
	scratch_load_b32 v59, v58, off
	ds_load_b32 v60, v57
	v_add_nc_u32_e32 v56, 1, v56
	v_add_nc_u32_e32 v57, 4, v57
	v_add_nc_u32_e32 v58, 4, v58
	s_delay_alu instid0(VALU_DEP_3)
	v_cmp_lt_u32_e32 vcc_lo, 11, v56
	s_or_b32 s1, vcc_lo, s1
	s_waitcnt vmcnt(0) lgkmcnt(0)
	v_fmac_f32_e32 v55, v59, v60
	s_and_not1_b32 exec_lo, exec_lo, s1
	s_cbranch_execnz .LBB88_59
; %bb.60:
	s_or_b32 exec_lo, exec_lo, s1
	v_mov_b32_e32 v56, 0
	ds_load_b32 v56, v56 offset:52
	s_waitcnt lgkmcnt(0)
	v_mul_f32_e32 v55, v55, v56
	scratch_store_b32 off, v55, off offset:52
.LBB88_61:
	s_or_b32 exec_lo, exec_lo, s0
	s_waitcnt_vscnt null, 0x0
	s_barrier
	buffer_gl0_inv
	scratch_load_b32 v55, off, off offset:56
	s_mov_b32 s0, exec_lo
	s_waitcnt vmcnt(0)
	ds_store_b32 v3, v55
	s_waitcnt lgkmcnt(0)
	s_barrier
	buffer_gl0_inv
	v_cmpx_gt_u32_e32 14, v0
	s_cbranch_execz .LBB88_65
; %bb.62:
	v_dual_mov_b32 v55, 0 :: v_dual_add_nc_u32 v56, -1, v0
	v_add_nc_u32_e32 v57, 0x70, v1
	v_add_nc_u32_e32 v58, 0, v1
	s_mov_b32 s1, 0
.LBB88_63:                              ; =>This Inner Loop Header: Depth=1
	scratch_load_b32 v59, v58, off
	ds_load_b32 v60, v57
	v_add_nc_u32_e32 v56, 1, v56
	v_add_nc_u32_e32 v57, 4, v57
	v_add_nc_u32_e32 v58, 4, v58
	s_delay_alu instid0(VALU_DEP_3)
	v_cmp_lt_u32_e32 vcc_lo, 12, v56
	s_or_b32 s1, vcc_lo, s1
	s_waitcnt vmcnt(0) lgkmcnt(0)
	v_fmac_f32_e32 v55, v59, v60
	s_and_not1_b32 exec_lo, exec_lo, s1
	s_cbranch_execnz .LBB88_63
; %bb.64:
	s_or_b32 exec_lo, exec_lo, s1
	v_mov_b32_e32 v56, 0
	ds_load_b32 v56, v56 offset:56
	s_waitcnt lgkmcnt(0)
	v_mul_f32_e32 v55, v55, v56
	scratch_store_b32 off, v55, off offset:56
.LBB88_65:
	s_or_b32 exec_lo, exec_lo, s0
	s_waitcnt_vscnt null, 0x0
	s_barrier
	buffer_gl0_inv
	scratch_load_b32 v55, off, off offset:60
	s_mov_b32 s0, exec_lo
	s_waitcnt vmcnt(0)
	ds_store_b32 v3, v55
	s_waitcnt lgkmcnt(0)
	s_barrier
	buffer_gl0_inv
	v_cmpx_gt_u32_e32 15, v0
	s_cbranch_execz .LBB88_69
; %bb.66:
	v_dual_mov_b32 v55, 0 :: v_dual_add_nc_u32 v56, -1, v0
	v_add_nc_u32_e32 v57, 0x70, v1
	v_add_nc_u32_e32 v58, 0, v1
	s_mov_b32 s1, 0
.LBB88_67:                              ; =>This Inner Loop Header: Depth=1
	scratch_load_b32 v59, v58, off
	ds_load_b32 v60, v57
	v_add_nc_u32_e32 v56, 1, v56
	v_add_nc_u32_e32 v57, 4, v57
	v_add_nc_u32_e32 v58, 4, v58
	s_delay_alu instid0(VALU_DEP_3)
	v_cmp_lt_u32_e32 vcc_lo, 13, v56
	s_or_b32 s1, vcc_lo, s1
	s_waitcnt vmcnt(0) lgkmcnt(0)
	v_fmac_f32_e32 v55, v59, v60
	s_and_not1_b32 exec_lo, exec_lo, s1
	s_cbranch_execnz .LBB88_67
; %bb.68:
	s_or_b32 exec_lo, exec_lo, s1
	v_mov_b32_e32 v56, 0
	ds_load_b32 v56, v56 offset:60
	s_waitcnt lgkmcnt(0)
	v_mul_f32_e32 v55, v55, v56
	scratch_store_b32 off, v55, off offset:60
.LBB88_69:
	s_or_b32 exec_lo, exec_lo, s0
	s_waitcnt_vscnt null, 0x0
	s_barrier
	buffer_gl0_inv
	scratch_load_b32 v55, off, off offset:64
	s_mov_b32 s0, exec_lo
	s_waitcnt vmcnt(0)
	ds_store_b32 v3, v55
	s_waitcnt lgkmcnt(0)
	s_barrier
	buffer_gl0_inv
	v_cmpx_gt_u32_e32 16, v0
	s_cbranch_execz .LBB88_73
; %bb.70:
	v_dual_mov_b32 v55, 0 :: v_dual_add_nc_u32 v56, -1, v0
	v_add_nc_u32_e32 v57, 0x70, v1
	v_add_nc_u32_e32 v58, 0, v1
	s_mov_b32 s1, 0
.LBB88_71:                              ; =>This Inner Loop Header: Depth=1
	scratch_load_b32 v59, v58, off
	ds_load_b32 v60, v57
	v_add_nc_u32_e32 v56, 1, v56
	v_add_nc_u32_e32 v57, 4, v57
	v_add_nc_u32_e32 v58, 4, v58
	s_delay_alu instid0(VALU_DEP_3)
	v_cmp_lt_u32_e32 vcc_lo, 14, v56
	s_or_b32 s1, vcc_lo, s1
	s_waitcnt vmcnt(0) lgkmcnt(0)
	v_fmac_f32_e32 v55, v59, v60
	s_and_not1_b32 exec_lo, exec_lo, s1
	s_cbranch_execnz .LBB88_71
; %bb.72:
	s_or_b32 exec_lo, exec_lo, s1
	v_mov_b32_e32 v56, 0
	ds_load_b32 v56, v56 offset:64
	s_waitcnt lgkmcnt(0)
	v_mul_f32_e32 v55, v55, v56
	scratch_store_b32 off, v55, off offset:64
.LBB88_73:
	s_or_b32 exec_lo, exec_lo, s0
	s_waitcnt_vscnt null, 0x0
	s_barrier
	buffer_gl0_inv
	scratch_load_b32 v55, off, off offset:68
	s_mov_b32 s0, exec_lo
	s_waitcnt vmcnt(0)
	ds_store_b32 v3, v55
	s_waitcnt lgkmcnt(0)
	s_barrier
	buffer_gl0_inv
	v_cmpx_gt_u32_e32 17, v0
	s_cbranch_execz .LBB88_77
; %bb.74:
	v_dual_mov_b32 v55, 0 :: v_dual_add_nc_u32 v56, -1, v0
	v_add_nc_u32_e32 v57, 0x70, v1
	v_add_nc_u32_e32 v58, 0, v1
	s_mov_b32 s1, 0
.LBB88_75:                              ; =>This Inner Loop Header: Depth=1
	scratch_load_b32 v59, v58, off
	ds_load_b32 v60, v57
	v_add_nc_u32_e32 v56, 1, v56
	v_add_nc_u32_e32 v57, 4, v57
	v_add_nc_u32_e32 v58, 4, v58
	s_delay_alu instid0(VALU_DEP_3)
	v_cmp_lt_u32_e32 vcc_lo, 15, v56
	s_or_b32 s1, vcc_lo, s1
	s_waitcnt vmcnt(0) lgkmcnt(0)
	v_fmac_f32_e32 v55, v59, v60
	s_and_not1_b32 exec_lo, exec_lo, s1
	s_cbranch_execnz .LBB88_75
; %bb.76:
	s_or_b32 exec_lo, exec_lo, s1
	v_mov_b32_e32 v56, 0
	ds_load_b32 v56, v56 offset:68
	s_waitcnt lgkmcnt(0)
	v_mul_f32_e32 v55, v55, v56
	scratch_store_b32 off, v55, off offset:68
.LBB88_77:
	s_or_b32 exec_lo, exec_lo, s0
	s_waitcnt_vscnt null, 0x0
	s_barrier
	buffer_gl0_inv
	scratch_load_b32 v55, off, off offset:72
	s_mov_b32 s0, exec_lo
	s_waitcnt vmcnt(0)
	ds_store_b32 v3, v55
	s_waitcnt lgkmcnt(0)
	s_barrier
	buffer_gl0_inv
	v_cmpx_gt_u32_e32 18, v0
	s_cbranch_execz .LBB88_81
; %bb.78:
	v_dual_mov_b32 v55, 0 :: v_dual_add_nc_u32 v56, -1, v0
	v_add_nc_u32_e32 v57, 0x70, v1
	v_add_nc_u32_e32 v58, 0, v1
	s_mov_b32 s1, 0
.LBB88_79:                              ; =>This Inner Loop Header: Depth=1
	scratch_load_b32 v59, v58, off
	ds_load_b32 v60, v57
	v_add_nc_u32_e32 v56, 1, v56
	v_add_nc_u32_e32 v57, 4, v57
	v_add_nc_u32_e32 v58, 4, v58
	s_delay_alu instid0(VALU_DEP_3)
	v_cmp_lt_u32_e32 vcc_lo, 16, v56
	s_or_b32 s1, vcc_lo, s1
	s_waitcnt vmcnt(0) lgkmcnt(0)
	v_fmac_f32_e32 v55, v59, v60
	s_and_not1_b32 exec_lo, exec_lo, s1
	s_cbranch_execnz .LBB88_79
; %bb.80:
	s_or_b32 exec_lo, exec_lo, s1
	v_mov_b32_e32 v56, 0
	ds_load_b32 v56, v56 offset:72
	s_waitcnt lgkmcnt(0)
	v_mul_f32_e32 v55, v55, v56
	scratch_store_b32 off, v55, off offset:72
.LBB88_81:
	s_or_b32 exec_lo, exec_lo, s0
	s_waitcnt_vscnt null, 0x0
	s_barrier
	buffer_gl0_inv
	scratch_load_b32 v55, off, off offset:76
	s_mov_b32 s0, exec_lo
	s_waitcnt vmcnt(0)
	ds_store_b32 v3, v55
	s_waitcnt lgkmcnt(0)
	s_barrier
	buffer_gl0_inv
	v_cmpx_gt_u32_e32 19, v0
	s_cbranch_execz .LBB88_85
; %bb.82:
	v_dual_mov_b32 v55, 0 :: v_dual_add_nc_u32 v56, -1, v0
	v_add_nc_u32_e32 v57, 0x70, v1
	v_add_nc_u32_e32 v58, 0, v1
	s_mov_b32 s1, 0
.LBB88_83:                              ; =>This Inner Loop Header: Depth=1
	scratch_load_b32 v59, v58, off
	ds_load_b32 v60, v57
	v_add_nc_u32_e32 v56, 1, v56
	v_add_nc_u32_e32 v57, 4, v57
	v_add_nc_u32_e32 v58, 4, v58
	s_delay_alu instid0(VALU_DEP_3)
	v_cmp_lt_u32_e32 vcc_lo, 17, v56
	s_or_b32 s1, vcc_lo, s1
	s_waitcnt vmcnt(0) lgkmcnt(0)
	v_fmac_f32_e32 v55, v59, v60
	s_and_not1_b32 exec_lo, exec_lo, s1
	s_cbranch_execnz .LBB88_83
; %bb.84:
	s_or_b32 exec_lo, exec_lo, s1
	v_mov_b32_e32 v56, 0
	ds_load_b32 v56, v56 offset:76
	s_waitcnt lgkmcnt(0)
	v_mul_f32_e32 v55, v55, v56
	scratch_store_b32 off, v55, off offset:76
.LBB88_85:
	s_or_b32 exec_lo, exec_lo, s0
	s_waitcnt_vscnt null, 0x0
	s_barrier
	buffer_gl0_inv
	scratch_load_b32 v55, off, off offset:80
	s_mov_b32 s0, exec_lo
	s_waitcnt vmcnt(0)
	ds_store_b32 v3, v55
	s_waitcnt lgkmcnt(0)
	s_barrier
	buffer_gl0_inv
	v_cmpx_gt_u32_e32 20, v0
	s_cbranch_execz .LBB88_89
; %bb.86:
	v_dual_mov_b32 v55, 0 :: v_dual_add_nc_u32 v56, -1, v0
	v_add_nc_u32_e32 v57, 0x70, v1
	v_add_nc_u32_e32 v58, 0, v1
	s_mov_b32 s1, 0
.LBB88_87:                              ; =>This Inner Loop Header: Depth=1
	scratch_load_b32 v59, v58, off
	ds_load_b32 v60, v57
	v_add_nc_u32_e32 v56, 1, v56
	v_add_nc_u32_e32 v57, 4, v57
	v_add_nc_u32_e32 v58, 4, v58
	s_delay_alu instid0(VALU_DEP_3)
	v_cmp_lt_u32_e32 vcc_lo, 18, v56
	s_or_b32 s1, vcc_lo, s1
	s_waitcnt vmcnt(0) lgkmcnt(0)
	v_fmac_f32_e32 v55, v59, v60
	s_and_not1_b32 exec_lo, exec_lo, s1
	s_cbranch_execnz .LBB88_87
; %bb.88:
	s_or_b32 exec_lo, exec_lo, s1
	v_mov_b32_e32 v56, 0
	ds_load_b32 v56, v56 offset:80
	s_waitcnt lgkmcnt(0)
	v_mul_f32_e32 v55, v55, v56
	scratch_store_b32 off, v55, off offset:80
.LBB88_89:
	s_or_b32 exec_lo, exec_lo, s0
	s_waitcnt_vscnt null, 0x0
	s_barrier
	buffer_gl0_inv
	scratch_load_b32 v55, off, off offset:84
	s_mov_b32 s0, exec_lo
	s_waitcnt vmcnt(0)
	ds_store_b32 v3, v55
	s_waitcnt lgkmcnt(0)
	s_barrier
	buffer_gl0_inv
	v_cmpx_gt_u32_e32 21, v0
	s_cbranch_execz .LBB88_93
; %bb.90:
	v_dual_mov_b32 v55, 0 :: v_dual_add_nc_u32 v56, -1, v0
	v_add_nc_u32_e32 v57, 0x70, v1
	v_add_nc_u32_e32 v58, 0, v1
	s_mov_b32 s1, 0
.LBB88_91:                              ; =>This Inner Loop Header: Depth=1
	scratch_load_b32 v59, v58, off
	ds_load_b32 v60, v57
	v_add_nc_u32_e32 v56, 1, v56
	v_add_nc_u32_e32 v57, 4, v57
	v_add_nc_u32_e32 v58, 4, v58
	s_delay_alu instid0(VALU_DEP_3)
	v_cmp_lt_u32_e32 vcc_lo, 19, v56
	s_or_b32 s1, vcc_lo, s1
	s_waitcnt vmcnt(0) lgkmcnt(0)
	v_fmac_f32_e32 v55, v59, v60
	s_and_not1_b32 exec_lo, exec_lo, s1
	s_cbranch_execnz .LBB88_91
; %bb.92:
	s_or_b32 exec_lo, exec_lo, s1
	v_mov_b32_e32 v56, 0
	ds_load_b32 v56, v56 offset:84
	s_waitcnt lgkmcnt(0)
	v_mul_f32_e32 v55, v55, v56
	scratch_store_b32 off, v55, off offset:84
.LBB88_93:
	s_or_b32 exec_lo, exec_lo, s0
	s_waitcnt_vscnt null, 0x0
	s_barrier
	buffer_gl0_inv
	scratch_load_b32 v55, off, off offset:88
	s_mov_b32 s0, exec_lo
	s_waitcnt vmcnt(0)
	ds_store_b32 v3, v55
	s_waitcnt lgkmcnt(0)
	s_barrier
	buffer_gl0_inv
	v_cmpx_gt_u32_e32 22, v0
	s_cbranch_execz .LBB88_97
; %bb.94:
	v_dual_mov_b32 v55, 0 :: v_dual_add_nc_u32 v56, -1, v0
	v_add_nc_u32_e32 v57, 0x70, v1
	v_add_nc_u32_e32 v58, 0, v1
	s_mov_b32 s1, 0
.LBB88_95:                              ; =>This Inner Loop Header: Depth=1
	scratch_load_b32 v59, v58, off
	ds_load_b32 v60, v57
	v_add_nc_u32_e32 v56, 1, v56
	v_add_nc_u32_e32 v57, 4, v57
	v_add_nc_u32_e32 v58, 4, v58
	s_delay_alu instid0(VALU_DEP_3)
	v_cmp_lt_u32_e32 vcc_lo, 20, v56
	s_or_b32 s1, vcc_lo, s1
	s_waitcnt vmcnt(0) lgkmcnt(0)
	v_fmac_f32_e32 v55, v59, v60
	s_and_not1_b32 exec_lo, exec_lo, s1
	s_cbranch_execnz .LBB88_95
; %bb.96:
	s_or_b32 exec_lo, exec_lo, s1
	v_mov_b32_e32 v56, 0
	ds_load_b32 v56, v56 offset:88
	s_waitcnt lgkmcnt(0)
	v_mul_f32_e32 v55, v55, v56
	scratch_store_b32 off, v55, off offset:88
.LBB88_97:
	s_or_b32 exec_lo, exec_lo, s0
	s_waitcnt_vscnt null, 0x0
	s_barrier
	buffer_gl0_inv
	scratch_load_b32 v55, off, off offset:92
	s_mov_b32 s0, exec_lo
	s_waitcnt vmcnt(0)
	ds_store_b32 v3, v55
	s_waitcnt lgkmcnt(0)
	s_barrier
	buffer_gl0_inv
	v_cmpx_gt_u32_e32 23, v0
	s_cbranch_execz .LBB88_101
; %bb.98:
	v_add_nc_u32_e32 v55, -1, v0
	v_add_nc_u32_e32 v56, 0x70, v1
	v_add_nc_u32_e32 v57, 0, v1
	v_mov_b32_e32 v1, 0
	s_mov_b32 s1, 0
.LBB88_99:                              ; =>This Inner Loop Header: Depth=1
	scratch_load_b32 v58, v57, off
	ds_load_b32 v59, v56
	v_add_nc_u32_e32 v55, 1, v55
	v_add_nc_u32_e32 v56, 4, v56
	;; [unrolled: 1-line block ×3, first 2 shown]
	s_delay_alu instid0(VALU_DEP_3)
	v_cmp_lt_u32_e32 vcc_lo, 21, v55
	s_or_b32 s1, vcc_lo, s1
	s_waitcnt vmcnt(0) lgkmcnt(0)
	v_fmac_f32_e32 v1, v58, v59
	s_and_not1_b32 exec_lo, exec_lo, s1
	s_cbranch_execnz .LBB88_99
; %bb.100:
	s_or_b32 exec_lo, exec_lo, s1
	v_mov_b32_e32 v55, 0
	ds_load_b32 v55, v55 offset:92
	s_waitcnt lgkmcnt(0)
	v_mul_f32_e32 v1, v1, v55
	scratch_store_b32 off, v1, off offset:92
.LBB88_101:
	s_or_b32 exec_lo, exec_lo, s0
	s_waitcnt_vscnt null, 0x0
	s_barrier
	buffer_gl0_inv
	scratch_load_b32 v1, off, off offset:96
	s_mov_b32 s0, exec_lo
	s_waitcnt vmcnt(0)
	ds_store_b32 v3, v1
	s_waitcnt lgkmcnt(0)
	s_barrier
	buffer_gl0_inv
	v_cmpx_ne_u32_e32 24, v0
	s_cbranch_execz .LBB88_105
; %bb.102:
	v_mov_b32_e32 v1, 0
	s_mov_b32 s1, 0
.LBB88_103:                             ; =>This Inner Loop Header: Depth=1
	scratch_load_b32 v55, v2, off
	ds_load_b32 v56, v3
	v_add_nc_u32_e32 v54, 1, v54
	v_add_nc_u32_e32 v3, 4, v3
	s_waitcnt vmcnt(0) lgkmcnt(0)
	v_dual_fmac_f32 v1, v55, v56 :: v_dual_add_nc_u32 v2, 4, v2
	s_delay_alu instid0(VALU_DEP_3) | instskip(SKIP_1) | instid1(SALU_CYCLE_1)
	v_cmp_lt_u32_e32 vcc_lo, 22, v54
	s_or_b32 s1, vcc_lo, s1
	s_and_not1_b32 exec_lo, exec_lo, s1
	s_cbranch_execnz .LBB88_103
; %bb.104:
	s_or_b32 exec_lo, exec_lo, s1
	v_mov_b32_e32 v2, 0
	ds_load_b32 v2, v2 offset:96
	s_waitcnt lgkmcnt(0)
	v_mul_f32_e32 v1, v1, v2
	scratch_store_b32 off, v1, off offset:96
.LBB88_105:
	s_or_b32 exec_lo, exec_lo, s0
	s_mov_b32 s1, -1
	s_waitcnt_vscnt null, 0x0
	s_barrier
	buffer_gl0_inv
.LBB88_106:
	s_and_b32 vcc_lo, exec_lo, s1
	s_cbranch_vccz .LBB88_108
; %bb.107:
	s_lshl_b64 s[0:1], s[8:9], 2
	v_mov_b32_e32 v1, 0
	s_add_u32 s0, s6, s0
	s_addc_u32 s1, s7, s1
	global_load_b32 v1, v1, s[0:1]
	s_waitcnt vmcnt(0)
	v_cmp_ne_u32_e32 vcc_lo, 0, v1
	s_cbranch_vccz .LBB88_109
.LBB88_108:
	s_endpgm
.LBB88_109:
	v_lshl_add_u32 v1, v0, 2, 0x70
	s_mov_b32 s0, exec_lo
	v_cmpx_eq_u32_e32 24, v0
	s_cbranch_execz .LBB88_111
; %bb.110:
	scratch_load_b32 v2, off, off offset:92
	v_mov_b32_e32 v3, 0
	scratch_store_b32 off, v3, off offset:92
	s_waitcnt vmcnt(0)
	ds_store_b32 v1, v2
.LBB88_111:
	s_or_b32 exec_lo, exec_lo, s0
	s_waitcnt lgkmcnt(0)
	s_waitcnt_vscnt null, 0x0
	s_barrier
	buffer_gl0_inv
	scratch_load_b64 v[54:55], off, off offset:92
	v_mov_b32_e32 v2, 0
	s_mov_b32 s0, exec_lo
	ds_load_b32 v3, v2 offset:208
	s_waitcnt vmcnt(0) lgkmcnt(0)
	v_fma_f32 v3, v55, v3, 0
	s_delay_alu instid0(VALU_DEP_1)
	v_sub_f32_e32 v3, v54, v3
	scratch_store_b32 off, v3, off offset:92
	v_cmpx_lt_u32_e32 22, v0
	s_cbranch_execz .LBB88_113
; %bb.112:
	scratch_load_b32 v3, off, off offset:88
	scratch_store_b32 off, v2, off offset:88
	s_waitcnt vmcnt(0)
	ds_store_b32 v1, v3
.LBB88_113:
	s_or_b32 exec_lo, exec_lo, s0
	s_waitcnt lgkmcnt(0)
	s_waitcnt_vscnt null, 0x0
	s_barrier
	buffer_gl0_inv
	scratch_load_b96 v[54:56], off, off offset:88
	ds_load_2addr_b32 v[2:3], v2 offset0:51 offset1:52
	s_mov_b32 s0, exec_lo
	s_waitcnt vmcnt(0) lgkmcnt(0)
	v_fma_f32 v2, v55, v2, 0
	s_delay_alu instid0(VALU_DEP_1) | instskip(NEXT) | instid1(VALU_DEP_1)
	v_fmac_f32_e32 v2, v56, v3
	v_sub_f32_e32 v2, v54, v2
	scratch_store_b32 off, v2, off offset:88
	v_cmpx_lt_u32_e32 21, v0
	s_cbranch_execz .LBB88_115
; %bb.114:
	scratch_load_b32 v2, off, off offset:84
	v_mov_b32_e32 v3, 0
	scratch_store_b32 off, v3, off offset:84
	s_waitcnt vmcnt(0)
	ds_store_b32 v1, v2
.LBB88_115:
	s_or_b32 exec_lo, exec_lo, s0
	s_waitcnt lgkmcnt(0)
	s_waitcnt_vscnt null, 0x0
	s_barrier
	buffer_gl0_inv
	scratch_load_b128 v[54:57], off, off offset:84
	v_mov_b32_e32 v2, 0
	ds_load_b64 v[58:59], v2 offset:200
	ds_load_b32 v3, v2 offset:208
	s_mov_b32 s0, exec_lo
	s_waitcnt vmcnt(0) lgkmcnt(1)
	v_fma_f32 v55, v55, v58, 0
	s_delay_alu instid0(VALU_DEP_1) | instskip(SKIP_1) | instid1(VALU_DEP_1)
	v_fmac_f32_e32 v55, v56, v59
	s_waitcnt lgkmcnt(0)
	v_fmac_f32_e32 v55, v57, v3
	s_delay_alu instid0(VALU_DEP_1)
	v_sub_f32_e32 v3, v54, v55
	scratch_store_b32 off, v3, off offset:84
	v_cmpx_lt_u32_e32 20, v0
	s_cbranch_execz .LBB88_117
; %bb.116:
	scratch_load_b32 v3, off, off offset:80
	scratch_store_b32 off, v2, off offset:80
	s_waitcnt vmcnt(0)
	ds_store_b32 v1, v3
.LBB88_117:
	s_or_b32 exec_lo, exec_lo, s0
	s_waitcnt lgkmcnt(0)
	s_waitcnt_vscnt null, 0x0
	s_barrier
	buffer_gl0_inv
	s_clause 0x1
	scratch_load_b128 v[54:57], off, off offset:80
	scratch_load_b32 v60, off, off offset:96
	ds_load_2addr_b32 v[58:59], v2 offset0:49 offset1:50
	ds_load_2addr_b32 v[2:3], v2 offset0:51 offset1:52
	s_mov_b32 s0, exec_lo
	s_waitcnt vmcnt(1) lgkmcnt(1)
	v_fma_f32 v55, v55, v58, 0
	s_delay_alu instid0(VALU_DEP_1) | instskip(SKIP_1) | instid1(VALU_DEP_1)
	v_fmac_f32_e32 v55, v56, v59
	s_waitcnt lgkmcnt(0)
	v_fmac_f32_e32 v55, v57, v2
	s_waitcnt vmcnt(0)
	s_delay_alu instid0(VALU_DEP_1) | instskip(NEXT) | instid1(VALU_DEP_1)
	v_fmac_f32_e32 v55, v60, v3
	v_sub_f32_e32 v2, v54, v55
	scratch_store_b32 off, v2, off offset:80
	v_cmpx_lt_u32_e32 19, v0
	s_cbranch_execz .LBB88_119
; %bb.118:
	scratch_load_b32 v2, off, off offset:76
	v_mov_b32_e32 v3, 0
	scratch_store_b32 off, v3, off offset:76
	s_waitcnt vmcnt(0)
	ds_store_b32 v1, v2
.LBB88_119:
	s_or_b32 exec_lo, exec_lo, s0
	s_waitcnt lgkmcnt(0)
	s_waitcnt_vscnt null, 0x0
	s_barrier
	buffer_gl0_inv
	s_clause 0x1
	scratch_load_b128 v[54:57], off, off offset:76
	scratch_load_b64 v[62:63], off, off offset:92
	v_mov_b32_e32 v2, 0
	ds_load_b128 v[58:61], v2 offset:192
	ds_load_b32 v3, v2 offset:208
	s_mov_b32 s0, exec_lo
	s_waitcnt vmcnt(1) lgkmcnt(1)
	v_fma_f32 v55, v55, v58, 0
	s_delay_alu instid0(VALU_DEP_1) | instskip(NEXT) | instid1(VALU_DEP_1)
	v_fmac_f32_e32 v55, v56, v59
	v_fmac_f32_e32 v55, v57, v60
	s_waitcnt vmcnt(0)
	s_delay_alu instid0(VALU_DEP_1) | instskip(SKIP_1) | instid1(VALU_DEP_1)
	v_fmac_f32_e32 v55, v62, v61
	s_waitcnt lgkmcnt(0)
	v_fmac_f32_e32 v55, v63, v3
	s_delay_alu instid0(VALU_DEP_1)
	v_sub_f32_e32 v3, v54, v55
	scratch_store_b32 off, v3, off offset:76
	v_cmpx_lt_u32_e32 18, v0
	s_cbranch_execz .LBB88_121
; %bb.120:
	scratch_load_b32 v3, off, off offset:72
	scratch_store_b32 off, v2, off offset:72
	s_waitcnt vmcnt(0)
	ds_store_b32 v1, v3
.LBB88_121:
	s_or_b32 exec_lo, exec_lo, s0
	s_waitcnt lgkmcnt(0)
	s_waitcnt_vscnt null, 0x0
	s_barrier
	buffer_gl0_inv
	s_clause 0x1
	scratch_load_b128 v[54:57], off, off offset:72
	scratch_load_b96 v[58:60], off, off offset:88
	ds_load_2addr_b32 v[61:62], v2 offset0:47 offset1:48
	ds_load_2addr_b32 v[63:64], v2 offset0:49 offset1:50
	;; [unrolled: 1-line block ×3, first 2 shown]
	s_mov_b32 s0, exec_lo
	s_waitcnt vmcnt(1) lgkmcnt(2)
	v_fma_f32 v55, v55, v61, 0
	s_delay_alu instid0(VALU_DEP_1) | instskip(SKIP_1) | instid1(VALU_DEP_1)
	v_fmac_f32_e32 v55, v56, v62
	s_waitcnt lgkmcnt(1)
	v_fmac_f32_e32 v55, v57, v63
	s_waitcnt vmcnt(0)
	s_delay_alu instid0(VALU_DEP_1) | instskip(SKIP_1) | instid1(VALU_DEP_1)
	v_fmac_f32_e32 v55, v58, v64
	s_waitcnt lgkmcnt(0)
	v_fmac_f32_e32 v55, v59, v2
	s_delay_alu instid0(VALU_DEP_1) | instskip(NEXT) | instid1(VALU_DEP_1)
	v_fmac_f32_e32 v55, v60, v3
	v_sub_f32_e32 v2, v54, v55
	scratch_store_b32 off, v2, off offset:72
	v_cmpx_lt_u32_e32 17, v0
	s_cbranch_execz .LBB88_123
; %bb.122:
	scratch_load_b32 v2, off, off offset:68
	v_mov_b32_e32 v3, 0
	scratch_store_b32 off, v3, off offset:68
	s_waitcnt vmcnt(0)
	ds_store_b32 v1, v2
.LBB88_123:
	s_or_b32 exec_lo, exec_lo, s0
	s_waitcnt lgkmcnt(0)
	s_waitcnt_vscnt null, 0x0
	s_barrier
	buffer_gl0_inv
	s_clause 0x1
	scratch_load_b128 v[54:57], off, off offset:68
	scratch_load_b128 v[58:61], off, off offset:84
	v_mov_b32_e32 v2, 0
	ds_load_2addr_b64 v[62:65], v2 offset0:23 offset1:24
	ds_load_b64 v[66:67], v2 offset:200
	s_mov_b32 s0, exec_lo
	s_waitcnt vmcnt(1) lgkmcnt(1)
	v_fma_f32 v3, v55, v62, 0
	s_delay_alu instid0(VALU_DEP_1) | instskip(SKIP_3) | instid1(VALU_DEP_1)
	v_fmac_f32_e32 v3, v56, v63
	ds_load_b32 v55, v2 offset:208
	v_fmac_f32_e32 v3, v57, v64
	s_waitcnt vmcnt(0)
	v_fmac_f32_e32 v3, v58, v65
	s_waitcnt lgkmcnt(1)
	s_delay_alu instid0(VALU_DEP_1) | instskip(NEXT) | instid1(VALU_DEP_1)
	v_fmac_f32_e32 v3, v59, v66
	v_fmac_f32_e32 v3, v60, v67
	s_waitcnt lgkmcnt(0)
	s_delay_alu instid0(VALU_DEP_1) | instskip(NEXT) | instid1(VALU_DEP_1)
	v_fmac_f32_e32 v3, v61, v55
	v_sub_f32_e32 v3, v54, v3
	scratch_store_b32 off, v3, off offset:68
	v_cmpx_lt_u32_e32 16, v0
	s_cbranch_execz .LBB88_125
; %bb.124:
	scratch_load_b32 v3, off, off offset:64
	scratch_store_b32 off, v2, off offset:64
	s_waitcnt vmcnt(0)
	ds_store_b32 v1, v3
.LBB88_125:
	s_or_b32 exec_lo, exec_lo, s0
	s_waitcnt lgkmcnt(0)
	s_waitcnt_vscnt null, 0x0
	s_barrier
	buffer_gl0_inv
	s_clause 0x2
	scratch_load_b128 v[54:57], off, off offset:64
	scratch_load_b128 v[58:61], off, off offset:80
	scratch_load_b32 v68, off, off offset:96
	ds_load_2addr_b32 v[62:63], v2 offset0:45 offset1:46
	ds_load_2addr_b32 v[64:65], v2 offset0:47 offset1:48
	;; [unrolled: 1-line block ×4, first 2 shown]
	s_mov_b32 s0, exec_lo
	s_waitcnt vmcnt(2) lgkmcnt(3)
	v_fma_f32 v55, v55, v62, 0
	s_delay_alu instid0(VALU_DEP_1) | instskip(SKIP_1) | instid1(VALU_DEP_1)
	v_fmac_f32_e32 v55, v56, v63
	s_waitcnt lgkmcnt(2)
	v_fmac_f32_e32 v55, v57, v64
	s_waitcnt vmcnt(1)
	s_delay_alu instid0(VALU_DEP_1) | instskip(SKIP_1) | instid1(VALU_DEP_1)
	v_fmac_f32_e32 v55, v58, v65
	s_waitcnt lgkmcnt(1)
	v_fmac_f32_e32 v55, v59, v66
	s_delay_alu instid0(VALU_DEP_1) | instskip(SKIP_1) | instid1(VALU_DEP_1)
	v_fmac_f32_e32 v55, v60, v67
	s_waitcnt lgkmcnt(0)
	v_fmac_f32_e32 v55, v61, v2
	s_waitcnt vmcnt(0)
	s_delay_alu instid0(VALU_DEP_1) | instskip(NEXT) | instid1(VALU_DEP_1)
	v_fmac_f32_e32 v55, v68, v3
	v_sub_f32_e32 v2, v54, v55
	scratch_store_b32 off, v2, off offset:64
	v_cmpx_lt_u32_e32 15, v0
	s_cbranch_execz .LBB88_127
; %bb.126:
	scratch_load_b32 v2, off, off offset:60
	v_mov_b32_e32 v3, 0
	scratch_store_b32 off, v3, off offset:60
	s_waitcnt vmcnt(0)
	ds_store_b32 v1, v2
.LBB88_127:
	s_or_b32 exec_lo, exec_lo, s0
	s_waitcnt lgkmcnt(0)
	s_waitcnt_vscnt null, 0x0
	s_barrier
	buffer_gl0_inv
	s_clause 0x2
	scratch_load_b128 v[54:57], off, off offset:60
	scratch_load_b128 v[58:61], off, off offset:76
	scratch_load_b64 v[70:71], off, off offset:92
	v_mov_b32_e32 v2, 0
	ds_load_b128 v[62:65], v2 offset:176
	ds_load_b128 v[66:69], v2 offset:192
	s_mov_b32 s0, exec_lo
	s_waitcnt vmcnt(2) lgkmcnt(1)
	v_fma_f32 v3, v55, v62, 0
	s_delay_alu instid0(VALU_DEP_1) | instskip(SKIP_3) | instid1(VALU_DEP_1)
	v_fmac_f32_e32 v3, v56, v63
	ds_load_b32 v55, v2 offset:208
	v_fmac_f32_e32 v3, v57, v64
	s_waitcnt vmcnt(1)
	v_fmac_f32_e32 v3, v58, v65
	s_waitcnt lgkmcnt(1)
	s_delay_alu instid0(VALU_DEP_1) | instskip(NEXT) | instid1(VALU_DEP_1)
	v_fmac_f32_e32 v3, v59, v66
	v_fmac_f32_e32 v3, v60, v67
	s_delay_alu instid0(VALU_DEP_1) | instskip(SKIP_1) | instid1(VALU_DEP_1)
	v_fmac_f32_e32 v3, v61, v68
	s_waitcnt vmcnt(0)
	v_fmac_f32_e32 v3, v70, v69
	s_waitcnt lgkmcnt(0)
	s_delay_alu instid0(VALU_DEP_1) | instskip(NEXT) | instid1(VALU_DEP_1)
	v_fmac_f32_e32 v3, v71, v55
	v_sub_f32_e32 v3, v54, v3
	scratch_store_b32 off, v3, off offset:60
	v_cmpx_lt_u32_e32 14, v0
	s_cbranch_execz .LBB88_129
; %bb.128:
	scratch_load_b32 v3, off, off offset:56
	scratch_store_b32 off, v2, off offset:56
	s_waitcnt vmcnt(0)
	ds_store_b32 v1, v3
.LBB88_129:
	s_or_b32 exec_lo, exec_lo, s0
	s_waitcnt lgkmcnt(0)
	s_waitcnt_vscnt null, 0x0
	s_barrier
	buffer_gl0_inv
	s_clause 0x2
	scratch_load_b128 v[54:57], off, off offset:56
	scratch_load_b128 v[58:61], off, off offset:72
	scratch_load_b96 v[62:64], off, off offset:88
	ds_load_2addr_b32 v[65:66], v2 offset0:43 offset1:44
	ds_load_2addr_b32 v[67:68], v2 offset0:45 offset1:46
	;; [unrolled: 1-line block ×5, first 2 shown]
	s_mov_b32 s0, exec_lo
	s_waitcnt vmcnt(2) lgkmcnt(4)
	v_fma_f32 v55, v55, v65, 0
	s_delay_alu instid0(VALU_DEP_1) | instskip(SKIP_1) | instid1(VALU_DEP_1)
	v_fmac_f32_e32 v55, v56, v66
	s_waitcnt lgkmcnt(3)
	v_fmac_f32_e32 v55, v57, v67
	s_waitcnt vmcnt(1)
	s_delay_alu instid0(VALU_DEP_1) | instskip(SKIP_1) | instid1(VALU_DEP_1)
	v_fmac_f32_e32 v55, v58, v68
	s_waitcnt lgkmcnt(2)
	v_fmac_f32_e32 v55, v59, v69
	s_delay_alu instid0(VALU_DEP_1) | instskip(SKIP_1) | instid1(VALU_DEP_1)
	v_fmac_f32_e32 v55, v60, v70
	s_waitcnt lgkmcnt(1)
	v_fmac_f32_e32 v55, v61, v71
	s_waitcnt vmcnt(0)
	s_delay_alu instid0(VALU_DEP_1) | instskip(SKIP_1) | instid1(VALU_DEP_1)
	v_fmac_f32_e32 v55, v62, v72
	s_waitcnt lgkmcnt(0)
	v_fmac_f32_e32 v55, v63, v2
	s_delay_alu instid0(VALU_DEP_1) | instskip(NEXT) | instid1(VALU_DEP_1)
	v_fmac_f32_e32 v55, v64, v3
	v_sub_f32_e32 v2, v54, v55
	scratch_store_b32 off, v2, off offset:56
	v_cmpx_lt_u32_e32 13, v0
	s_cbranch_execz .LBB88_131
; %bb.130:
	scratch_load_b32 v2, off, off offset:52
	v_mov_b32_e32 v3, 0
	scratch_store_b32 off, v3, off offset:52
	s_waitcnt vmcnt(0)
	ds_store_b32 v1, v2
.LBB88_131:
	s_or_b32 exec_lo, exec_lo, s0
	s_waitcnt lgkmcnt(0)
	s_waitcnt_vscnt null, 0x0
	s_barrier
	buffer_gl0_inv
	s_clause 0x2
	scratch_load_b128 v[54:57], off, off offset:52
	scratch_load_b128 v[58:61], off, off offset:68
	scratch_load_b128 v[62:65], off, off offset:84
	v_mov_b32_e32 v2, 0
	ds_load_2addr_b64 v[66:69], v2 offset0:21 offset1:22
	ds_load_2addr_b64 v[70:73], v2 offset0:23 offset1:24
	s_mov_b32 s0, exec_lo
	s_waitcnt vmcnt(2) lgkmcnt(1)
	v_fma_f32 v3, v55, v66, 0
	s_delay_alu instid0(VALU_DEP_1)
	v_fmac_f32_e32 v3, v56, v67
	ds_load_b64 v[55:56], v2 offset:200
	v_fmac_f32_e32 v3, v57, v68
	ds_load_b32 v57, v2 offset:208
	s_waitcnt vmcnt(1)
	v_fmac_f32_e32 v3, v58, v69
	s_waitcnt lgkmcnt(2)
	s_delay_alu instid0(VALU_DEP_1) | instskip(NEXT) | instid1(VALU_DEP_1)
	v_fmac_f32_e32 v3, v59, v70
	v_fmac_f32_e32 v3, v60, v71
	s_delay_alu instid0(VALU_DEP_1) | instskip(SKIP_1) | instid1(VALU_DEP_1)
	v_fmac_f32_e32 v3, v61, v72
	s_waitcnt vmcnt(0)
	v_fmac_f32_e32 v3, v62, v73
	s_waitcnt lgkmcnt(1)
	s_delay_alu instid0(VALU_DEP_1) | instskip(NEXT) | instid1(VALU_DEP_1)
	v_fmac_f32_e32 v3, v63, v55
	v_fmac_f32_e32 v3, v64, v56
	s_waitcnt lgkmcnt(0)
	s_delay_alu instid0(VALU_DEP_1) | instskip(NEXT) | instid1(VALU_DEP_1)
	v_fmac_f32_e32 v3, v65, v57
	v_sub_f32_e32 v3, v54, v3
	scratch_store_b32 off, v3, off offset:52
	v_cmpx_lt_u32_e32 12, v0
	s_cbranch_execz .LBB88_133
; %bb.132:
	scratch_load_b32 v3, off, off offset:48
	scratch_store_b32 off, v2, off offset:48
	s_waitcnt vmcnt(0)
	ds_store_b32 v1, v3
.LBB88_133:
	s_or_b32 exec_lo, exec_lo, s0
	s_waitcnt lgkmcnt(0)
	s_waitcnt_vscnt null, 0x0
	s_barrier
	buffer_gl0_inv
	s_clause 0x3
	scratch_load_b128 v[54:57], off, off offset:48
	scratch_load_b128 v[58:61], off, off offset:64
	;; [unrolled: 1-line block ×3, first 2 shown]
	scratch_load_b32 v74, off, off offset:96
	ds_load_2addr_b32 v[66:67], v2 offset0:41 offset1:42
	ds_load_2addr_b32 v[68:69], v2 offset0:43 offset1:44
	;; [unrolled: 1-line block ×4, first 2 shown]
	s_mov_b32 s0, exec_lo
	s_waitcnt vmcnt(3) lgkmcnt(3)
	v_fma_f32 v66, v55, v66, 0
	s_delay_alu instid0(VALU_DEP_1)
	v_fmac_f32_e32 v66, v56, v67
	ds_load_2addr_b32 v[55:56], v2 offset0:49 offset1:50
	ds_load_2addr_b32 v[2:3], v2 offset0:51 offset1:52
	s_waitcnt lgkmcnt(4)
	v_fmac_f32_e32 v66, v57, v68
	s_waitcnt vmcnt(2)
	s_delay_alu instid0(VALU_DEP_1) | instskip(SKIP_1) | instid1(VALU_DEP_1)
	v_fmac_f32_e32 v66, v58, v69
	s_waitcnt lgkmcnt(3)
	v_fmac_f32_e32 v66, v59, v70
	s_delay_alu instid0(VALU_DEP_1) | instskip(SKIP_1) | instid1(VALU_DEP_1)
	v_fmac_f32_e32 v66, v60, v71
	s_waitcnt lgkmcnt(2)
	v_fmac_f32_e32 v66, v61, v72
	s_waitcnt vmcnt(1)
	s_delay_alu instid0(VALU_DEP_1) | instskip(SKIP_1) | instid1(VALU_DEP_1)
	v_fmac_f32_e32 v66, v62, v73
	s_waitcnt lgkmcnt(1)
	v_fmac_f32_e32 v66, v63, v55
	s_delay_alu instid0(VALU_DEP_1) | instskip(SKIP_1) | instid1(VALU_DEP_1)
	v_fmac_f32_e32 v66, v64, v56
	s_waitcnt lgkmcnt(0)
	v_fmac_f32_e32 v66, v65, v2
	s_waitcnt vmcnt(0)
	s_delay_alu instid0(VALU_DEP_1) | instskip(NEXT) | instid1(VALU_DEP_1)
	v_fmac_f32_e32 v66, v74, v3
	v_sub_f32_e32 v2, v54, v66
	scratch_store_b32 off, v2, off offset:48
	v_cmpx_lt_u32_e32 11, v0
	s_cbranch_execz .LBB88_135
; %bb.134:
	scratch_load_b32 v2, off, off offset:44
	v_mov_b32_e32 v3, 0
	scratch_store_b32 off, v3, off offset:44
	s_waitcnt vmcnt(0)
	ds_store_b32 v1, v2
.LBB88_135:
	s_or_b32 exec_lo, exec_lo, s0
	s_waitcnt lgkmcnt(0)
	s_waitcnt_vscnt null, 0x0
	s_barrier
	buffer_gl0_inv
	s_clause 0x3
	scratch_load_b128 v[54:57], off, off offset:44
	scratch_load_b128 v[58:61], off, off offset:60
	;; [unrolled: 1-line block ×3, first 2 shown]
	scratch_load_b64 v[74:75], off, off offset:92
	v_mov_b32_e32 v2, 0
	ds_load_b128 v[66:69], v2 offset:160
	ds_load_b128 v[70:73], v2 offset:176
	s_mov_b32 s0, exec_lo
	s_waitcnt vmcnt(3) lgkmcnt(1)
	v_fma_f32 v3, v55, v66, 0
	s_delay_alu instid0(VALU_DEP_1) | instskip(NEXT) | instid1(VALU_DEP_1)
	v_fmac_f32_e32 v3, v56, v67
	v_fmac_f32_e32 v3, v57, v68
	s_waitcnt vmcnt(2)
	s_delay_alu instid0(VALU_DEP_1)
	v_fmac_f32_e32 v3, v58, v69
	ds_load_b128 v[55:58], v2 offset:192
	s_waitcnt lgkmcnt(1)
	v_fmac_f32_e32 v3, v59, v70
	ds_load_b32 v59, v2 offset:208
	v_fmac_f32_e32 v3, v60, v71
	s_delay_alu instid0(VALU_DEP_1) | instskip(SKIP_1) | instid1(VALU_DEP_1)
	v_fmac_f32_e32 v3, v61, v72
	s_waitcnt vmcnt(1)
	v_fmac_f32_e32 v3, v62, v73
	s_waitcnt lgkmcnt(1)
	s_delay_alu instid0(VALU_DEP_1) | instskip(NEXT) | instid1(VALU_DEP_1)
	v_fmac_f32_e32 v3, v63, v55
	v_fmac_f32_e32 v3, v64, v56
	s_delay_alu instid0(VALU_DEP_1) | instskip(SKIP_1) | instid1(VALU_DEP_1)
	v_fmac_f32_e32 v3, v65, v57
	s_waitcnt vmcnt(0)
	v_fmac_f32_e32 v3, v74, v58
	s_waitcnt lgkmcnt(0)
	s_delay_alu instid0(VALU_DEP_1) | instskip(NEXT) | instid1(VALU_DEP_1)
	v_fmac_f32_e32 v3, v75, v59
	v_sub_f32_e32 v3, v54, v3
	scratch_store_b32 off, v3, off offset:44
	v_cmpx_lt_u32_e32 10, v0
	s_cbranch_execz .LBB88_137
; %bb.136:
	scratch_load_b32 v3, off, off offset:40
	scratch_store_b32 off, v2, off offset:40
	s_waitcnt vmcnt(0)
	ds_store_b32 v1, v3
.LBB88_137:
	s_or_b32 exec_lo, exec_lo, s0
	s_waitcnt lgkmcnt(0)
	s_waitcnt_vscnt null, 0x0
	s_barrier
	buffer_gl0_inv
	s_clause 0x3
	scratch_load_b128 v[54:57], off, off offset:40
	scratch_load_b128 v[58:61], off, off offset:56
	;; [unrolled: 1-line block ×3, first 2 shown]
	scratch_load_b96 v[66:68], off, off offset:88
	ds_load_2addr_b32 v[69:70], v2 offset0:39 offset1:40
	ds_load_2addr_b32 v[71:72], v2 offset0:41 offset1:42
	;; [unrolled: 1-line block ×4, first 2 shown]
	s_mov_b32 s0, exec_lo
	s_waitcnt vmcnt(3) lgkmcnt(3)
	v_fma_f32 v69, v55, v69, 0
	s_delay_alu instid0(VALU_DEP_1) | instskip(SKIP_4) | instid1(VALU_DEP_1)
	v_fmac_f32_e32 v69, v56, v70
	ds_load_2addr_b32 v[55:56], v2 offset0:47 offset1:48
	s_waitcnt lgkmcnt(3)
	v_fmac_f32_e32 v69, v57, v71
	s_waitcnt vmcnt(2)
	v_fmac_f32_e32 v69, v58, v72
	ds_load_2addr_b32 v[57:58], v2 offset0:49 offset1:50
	ds_load_2addr_b32 v[2:3], v2 offset0:51 offset1:52
	s_waitcnt lgkmcnt(4)
	v_fmac_f32_e32 v69, v59, v73
	s_delay_alu instid0(VALU_DEP_1) | instskip(SKIP_1) | instid1(VALU_DEP_1)
	v_fmac_f32_e32 v69, v60, v74
	s_waitcnt lgkmcnt(3)
	v_fmac_f32_e32 v69, v61, v75
	s_waitcnt vmcnt(1)
	s_delay_alu instid0(VALU_DEP_1) | instskip(SKIP_1) | instid1(VALU_DEP_1)
	v_fmac_f32_e32 v69, v62, v76
	s_waitcnt lgkmcnt(2)
	v_fmac_f32_e32 v69, v63, v55
	s_delay_alu instid0(VALU_DEP_1) | instskip(SKIP_1) | instid1(VALU_DEP_1)
	v_fmac_f32_e32 v69, v64, v56
	s_waitcnt lgkmcnt(1)
	v_fmac_f32_e32 v69, v65, v57
	s_waitcnt vmcnt(0)
	s_delay_alu instid0(VALU_DEP_1) | instskip(SKIP_1) | instid1(VALU_DEP_1)
	v_fmac_f32_e32 v69, v66, v58
	s_waitcnt lgkmcnt(0)
	v_fmac_f32_e32 v69, v67, v2
	s_delay_alu instid0(VALU_DEP_1) | instskip(NEXT) | instid1(VALU_DEP_1)
	v_fmac_f32_e32 v69, v68, v3
	v_sub_f32_e32 v2, v54, v69
	scratch_store_b32 off, v2, off offset:40
	v_cmpx_lt_u32_e32 9, v0
	s_cbranch_execz .LBB88_139
; %bb.138:
	scratch_load_b32 v2, off, off offset:36
	v_mov_b32_e32 v3, 0
	scratch_store_b32 off, v3, off offset:36
	s_waitcnt vmcnt(0)
	ds_store_b32 v1, v2
.LBB88_139:
	s_or_b32 exec_lo, exec_lo, s0
	s_waitcnt lgkmcnt(0)
	s_waitcnt_vscnt null, 0x0
	s_barrier
	buffer_gl0_inv
	s_clause 0x3
	scratch_load_b128 v[54:57], off, off offset:36
	scratch_load_b128 v[58:61], off, off offset:52
	;; [unrolled: 1-line block ×4, first 2 shown]
	v_mov_b32_e32 v2, 0
	ds_load_2addr_b64 v[70:73], v2 offset0:19 offset1:20
	ds_load_2addr_b64 v[74:77], v2 offset0:21 offset1:22
	s_mov_b32 s0, exec_lo
	s_waitcnt vmcnt(3) lgkmcnt(1)
	v_fma_f32 v3, v55, v70, 0
	s_delay_alu instid0(VALU_DEP_1) | instskip(NEXT) | instid1(VALU_DEP_1)
	v_fmac_f32_e32 v3, v56, v71
	v_fmac_f32_e32 v3, v57, v72
	s_waitcnt vmcnt(2)
	s_delay_alu instid0(VALU_DEP_1) | instskip(SKIP_3) | instid1(VALU_DEP_1)
	v_fmac_f32_e32 v3, v58, v73
	ds_load_2addr_b64 v[55:58], v2 offset0:23 offset1:24
	s_waitcnt lgkmcnt(1)
	v_fmac_f32_e32 v3, v59, v74
	v_fmac_f32_e32 v3, v60, v75
	ds_load_b64 v[59:60], v2 offset:200
	v_fmac_f32_e32 v3, v61, v76
	s_waitcnt vmcnt(1)
	s_delay_alu instid0(VALU_DEP_1) | instskip(SKIP_1) | instid1(VALU_DEP_1)
	v_fmac_f32_e32 v3, v62, v77
	s_waitcnt lgkmcnt(1)
	v_fmac_f32_e32 v3, v63, v55
	ds_load_b32 v55, v2 offset:208
	v_fmac_f32_e32 v3, v64, v56
	s_delay_alu instid0(VALU_DEP_1) | instskip(SKIP_1) | instid1(VALU_DEP_1)
	v_fmac_f32_e32 v3, v65, v57
	s_waitcnt vmcnt(0)
	v_fmac_f32_e32 v3, v66, v58
	s_waitcnt lgkmcnt(1)
	s_delay_alu instid0(VALU_DEP_1) | instskip(NEXT) | instid1(VALU_DEP_1)
	v_fmac_f32_e32 v3, v67, v59
	v_fmac_f32_e32 v3, v68, v60
	s_waitcnt lgkmcnt(0)
	s_delay_alu instid0(VALU_DEP_1) | instskip(NEXT) | instid1(VALU_DEP_1)
	v_fmac_f32_e32 v3, v69, v55
	v_sub_f32_e32 v3, v54, v3
	scratch_store_b32 off, v3, off offset:36
	v_cmpx_lt_u32_e32 8, v0
	s_cbranch_execz .LBB88_141
; %bb.140:
	scratch_load_b32 v3, off, off offset:32
	scratch_store_b32 off, v2, off offset:32
	s_waitcnt vmcnt(0)
	ds_store_b32 v1, v3
.LBB88_141:
	s_or_b32 exec_lo, exec_lo, s0
	s_waitcnt lgkmcnt(0)
	s_waitcnt_vscnt null, 0x0
	s_barrier
	buffer_gl0_inv
	s_clause 0x4
	scratch_load_b128 v[54:57], off, off offset:32
	scratch_load_b128 v[58:61], off, off offset:48
	;; [unrolled: 1-line block ×4, first 2 shown]
	scratch_load_b32 v78, off, off offset:96
	ds_load_2addr_b32 v[70:71], v2 offset0:37 offset1:38
	ds_load_2addr_b32 v[72:73], v2 offset0:39 offset1:40
	;; [unrolled: 1-line block ×4, first 2 shown]
	s_mov_b32 s0, exec_lo
	s_waitcnt vmcnt(4) lgkmcnt(3)
	v_fma_f32 v70, v55, v70, 0
	s_delay_alu instid0(VALU_DEP_1) | instskip(SKIP_4) | instid1(VALU_DEP_1)
	v_fmac_f32_e32 v70, v56, v71
	ds_load_2addr_b32 v[55:56], v2 offset0:45 offset1:46
	s_waitcnt lgkmcnt(3)
	v_fmac_f32_e32 v70, v57, v72
	s_waitcnt vmcnt(3)
	v_fmac_f32_e32 v70, v58, v73
	ds_load_2addr_b32 v[57:58], v2 offset0:47 offset1:48
	s_waitcnt lgkmcnt(3)
	v_fmac_f32_e32 v70, v59, v74
	s_delay_alu instid0(VALU_DEP_1)
	v_fmac_f32_e32 v70, v60, v75
	ds_load_2addr_b32 v[59:60], v2 offset0:49 offset1:50
	ds_load_2addr_b32 v[2:3], v2 offset0:51 offset1:52
	s_waitcnt lgkmcnt(4)
	v_fmac_f32_e32 v70, v61, v76
	s_waitcnt vmcnt(2)
	s_delay_alu instid0(VALU_DEP_1) | instskip(SKIP_1) | instid1(VALU_DEP_1)
	v_fmac_f32_e32 v70, v62, v77
	s_waitcnt lgkmcnt(3)
	v_fmac_f32_e32 v70, v63, v55
	s_delay_alu instid0(VALU_DEP_1) | instskip(SKIP_1) | instid1(VALU_DEP_1)
	v_fmac_f32_e32 v70, v64, v56
	s_waitcnt lgkmcnt(2)
	v_fmac_f32_e32 v70, v65, v57
	s_waitcnt vmcnt(1)
	s_delay_alu instid0(VALU_DEP_1) | instskip(SKIP_1) | instid1(VALU_DEP_1)
	v_fmac_f32_e32 v70, v66, v58
	s_waitcnt lgkmcnt(1)
	v_fmac_f32_e32 v70, v67, v59
	s_delay_alu instid0(VALU_DEP_1) | instskip(SKIP_1) | instid1(VALU_DEP_1)
	v_fmac_f32_e32 v70, v68, v60
	s_waitcnt lgkmcnt(0)
	v_fmac_f32_e32 v70, v69, v2
	s_waitcnt vmcnt(0)
	s_delay_alu instid0(VALU_DEP_1) | instskip(NEXT) | instid1(VALU_DEP_1)
	v_fmac_f32_e32 v70, v78, v3
	v_sub_f32_e32 v2, v54, v70
	scratch_store_b32 off, v2, off offset:32
	v_cmpx_lt_u32_e32 7, v0
	s_cbranch_execz .LBB88_143
; %bb.142:
	scratch_load_b32 v2, off, off offset:28
	v_mov_b32_e32 v3, 0
	scratch_store_b32 off, v3, off offset:28
	s_waitcnt vmcnt(0)
	ds_store_b32 v1, v2
.LBB88_143:
	s_or_b32 exec_lo, exec_lo, s0
	s_waitcnt lgkmcnt(0)
	s_waitcnt_vscnt null, 0x0
	s_barrier
	buffer_gl0_inv
	s_clause 0x4
	scratch_load_b128 v[54:57], off, off offset:28
	scratch_load_b128 v[58:61], off, off offset:44
	;; [unrolled: 1-line block ×4, first 2 shown]
	scratch_load_b64 v[78:79], off, off offset:92
	v_mov_b32_e32 v2, 0
	ds_load_b128 v[70:73], v2 offset:144
	ds_load_b128 v[74:77], v2 offset:160
	s_mov_b32 s0, exec_lo
	s_waitcnt vmcnt(4) lgkmcnt(1)
	v_fma_f32 v3, v55, v70, 0
	s_delay_alu instid0(VALU_DEP_1) | instskip(NEXT) | instid1(VALU_DEP_1)
	v_fmac_f32_e32 v3, v56, v71
	v_fmac_f32_e32 v3, v57, v72
	s_waitcnt vmcnt(3)
	s_delay_alu instid0(VALU_DEP_1) | instskip(SKIP_3) | instid1(VALU_DEP_1)
	v_fmac_f32_e32 v3, v58, v73
	ds_load_b128 v[55:58], v2 offset:176
	s_waitcnt lgkmcnt(1)
	v_fmac_f32_e32 v3, v59, v74
	v_fmac_f32_e32 v3, v60, v75
	s_delay_alu instid0(VALU_DEP_1) | instskip(SKIP_1) | instid1(VALU_DEP_1)
	v_fmac_f32_e32 v3, v61, v76
	s_waitcnt vmcnt(2)
	v_fmac_f32_e32 v3, v62, v77
	ds_load_b128 v[59:62], v2 offset:192
	s_waitcnt lgkmcnt(1)
	v_fmac_f32_e32 v3, v63, v55
	ds_load_b32 v55, v2 offset:208
	v_fmac_f32_e32 v3, v64, v56
	s_delay_alu instid0(VALU_DEP_1) | instskip(SKIP_1) | instid1(VALU_DEP_1)
	v_fmac_f32_e32 v3, v65, v57
	s_waitcnt vmcnt(1)
	v_fmac_f32_e32 v3, v66, v58
	s_waitcnt lgkmcnt(1)
	s_delay_alu instid0(VALU_DEP_1) | instskip(NEXT) | instid1(VALU_DEP_1)
	v_fmac_f32_e32 v3, v67, v59
	v_fmac_f32_e32 v3, v68, v60
	s_delay_alu instid0(VALU_DEP_1) | instskip(SKIP_1) | instid1(VALU_DEP_1)
	v_fmac_f32_e32 v3, v69, v61
	s_waitcnt vmcnt(0)
	v_fmac_f32_e32 v3, v78, v62
	s_waitcnt lgkmcnt(0)
	s_delay_alu instid0(VALU_DEP_1) | instskip(NEXT) | instid1(VALU_DEP_1)
	v_fmac_f32_e32 v3, v79, v55
	v_sub_f32_e32 v3, v54, v3
	scratch_store_b32 off, v3, off offset:28
	v_cmpx_lt_u32_e32 6, v0
	s_cbranch_execz .LBB88_145
; %bb.144:
	scratch_load_b32 v3, off, off offset:24
	scratch_store_b32 off, v2, off offset:24
	s_waitcnt vmcnt(0)
	ds_store_b32 v1, v3
.LBB88_145:
	s_or_b32 exec_lo, exec_lo, s0
	s_waitcnt lgkmcnt(0)
	s_waitcnt_vscnt null, 0x0
	s_barrier
	buffer_gl0_inv
	s_clause 0x4
	scratch_load_b128 v[54:57], off, off offset:24
	scratch_load_b128 v[58:61], off, off offset:40
	;; [unrolled: 1-line block ×4, first 2 shown]
	scratch_load_b96 v[70:72], off, off offset:88
	ds_load_2addr_b32 v[73:74], v2 offset0:35 offset1:36
	ds_load_2addr_b32 v[75:76], v2 offset0:37 offset1:38
	;; [unrolled: 1-line block ×4, first 2 shown]
	s_mov_b32 s0, exec_lo
	s_waitcnt vmcnt(4) lgkmcnt(3)
	v_fma_f32 v73, v55, v73, 0
	s_delay_alu instid0(VALU_DEP_1) | instskip(SKIP_4) | instid1(VALU_DEP_1)
	v_fmac_f32_e32 v73, v56, v74
	ds_load_2addr_b32 v[55:56], v2 offset0:43 offset1:44
	s_waitcnt lgkmcnt(3)
	v_fmac_f32_e32 v73, v57, v75
	s_waitcnt vmcnt(3)
	v_fmac_f32_e32 v73, v58, v76
	ds_load_2addr_b32 v[57:58], v2 offset0:45 offset1:46
	s_waitcnt lgkmcnt(3)
	v_fmac_f32_e32 v73, v59, v77
	s_delay_alu instid0(VALU_DEP_1) | instskip(SKIP_1) | instid1(VALU_DEP_1)
	v_fmac_f32_e32 v73, v60, v78
	s_waitcnt lgkmcnt(2)
	v_fmac_f32_e32 v73, v61, v79
	s_waitcnt vmcnt(2)
	s_delay_alu instid0(VALU_DEP_1)
	v_fmac_f32_e32 v73, v62, v80
	ds_load_2addr_b32 v[59:60], v2 offset0:47 offset1:48
	ds_load_2addr_b32 v[61:62], v2 offset0:49 offset1:50
	;; [unrolled: 1-line block ×3, first 2 shown]
	s_waitcnt lgkmcnt(4)
	v_fmac_f32_e32 v73, v63, v55
	s_delay_alu instid0(VALU_DEP_1) | instskip(SKIP_1) | instid1(VALU_DEP_1)
	v_fmac_f32_e32 v73, v64, v56
	s_waitcnt lgkmcnt(3)
	v_fmac_f32_e32 v73, v65, v57
	s_waitcnt vmcnt(1)
	s_delay_alu instid0(VALU_DEP_1) | instskip(SKIP_1) | instid1(VALU_DEP_1)
	v_fmac_f32_e32 v73, v66, v58
	s_waitcnt lgkmcnt(2)
	v_fmac_f32_e32 v73, v67, v59
	s_delay_alu instid0(VALU_DEP_1) | instskip(SKIP_1) | instid1(VALU_DEP_1)
	v_fmac_f32_e32 v73, v68, v60
	s_waitcnt lgkmcnt(1)
	v_fmac_f32_e32 v73, v69, v61
	s_waitcnt vmcnt(0)
	s_delay_alu instid0(VALU_DEP_1) | instskip(SKIP_1) | instid1(VALU_DEP_1)
	v_fmac_f32_e32 v73, v70, v62
	s_waitcnt lgkmcnt(0)
	v_fmac_f32_e32 v73, v71, v2
	s_delay_alu instid0(VALU_DEP_1) | instskip(NEXT) | instid1(VALU_DEP_1)
	v_fmac_f32_e32 v73, v72, v3
	v_sub_f32_e32 v2, v54, v73
	scratch_store_b32 off, v2, off offset:24
	v_cmpx_lt_u32_e32 5, v0
	s_cbranch_execz .LBB88_147
; %bb.146:
	scratch_load_b32 v2, off, off offset:20
	v_mov_b32_e32 v3, 0
	scratch_store_b32 off, v3, off offset:20
	s_waitcnt vmcnt(0)
	ds_store_b32 v1, v2
.LBB88_147:
	s_or_b32 exec_lo, exec_lo, s0
	s_waitcnt lgkmcnt(0)
	s_waitcnt_vscnt null, 0x0
	s_barrier
	buffer_gl0_inv
	s_clause 0x4
	scratch_load_b128 v[54:57], off, off offset:20
	scratch_load_b128 v[58:61], off, off offset:36
	;; [unrolled: 1-line block ×5, first 2 shown]
	v_mov_b32_e32 v2, 0
	ds_load_2addr_b64 v[74:77], v2 offset0:17 offset1:18
	ds_load_2addr_b64 v[78:81], v2 offset0:19 offset1:20
	s_mov_b32 s0, exec_lo
	s_waitcnt vmcnt(4) lgkmcnt(1)
	v_fma_f32 v3, v55, v74, 0
	s_delay_alu instid0(VALU_DEP_1) | instskip(NEXT) | instid1(VALU_DEP_1)
	v_fmac_f32_e32 v3, v56, v75
	v_fmac_f32_e32 v3, v57, v76
	s_waitcnt vmcnt(3)
	s_delay_alu instid0(VALU_DEP_1) | instskip(SKIP_3) | instid1(VALU_DEP_1)
	v_fmac_f32_e32 v3, v58, v77
	ds_load_2addr_b64 v[55:58], v2 offset0:21 offset1:22
	s_waitcnt lgkmcnt(1)
	v_fmac_f32_e32 v3, v59, v78
	v_fmac_f32_e32 v3, v60, v79
	s_delay_alu instid0(VALU_DEP_1) | instskip(SKIP_1) | instid1(VALU_DEP_1)
	v_fmac_f32_e32 v3, v61, v80
	s_waitcnt vmcnt(2)
	v_fmac_f32_e32 v3, v62, v81
	ds_load_2addr_b64 v[59:62], v2 offset0:23 offset1:24
	s_waitcnt lgkmcnt(1)
	v_fmac_f32_e32 v3, v63, v55
	s_delay_alu instid0(VALU_DEP_1)
	v_fmac_f32_e32 v3, v64, v56
	ds_load_b64 v[55:56], v2 offset:200
	v_fmac_f32_e32 v3, v65, v57
	ds_load_b32 v57, v2 offset:208
	s_waitcnt vmcnt(1)
	v_fmac_f32_e32 v3, v66, v58
	s_waitcnt lgkmcnt(2)
	s_delay_alu instid0(VALU_DEP_1) | instskip(NEXT) | instid1(VALU_DEP_1)
	v_fmac_f32_e32 v3, v67, v59
	v_fmac_f32_e32 v3, v68, v60
	s_delay_alu instid0(VALU_DEP_1) | instskip(SKIP_1) | instid1(VALU_DEP_1)
	v_fmac_f32_e32 v3, v69, v61
	s_waitcnt vmcnt(0)
	v_fmac_f32_e32 v3, v70, v62
	s_waitcnt lgkmcnt(1)
	s_delay_alu instid0(VALU_DEP_1) | instskip(NEXT) | instid1(VALU_DEP_1)
	v_fmac_f32_e32 v3, v71, v55
	v_fmac_f32_e32 v3, v72, v56
	s_waitcnt lgkmcnt(0)
	s_delay_alu instid0(VALU_DEP_1) | instskip(NEXT) | instid1(VALU_DEP_1)
	v_fmac_f32_e32 v3, v73, v57
	v_sub_f32_e32 v3, v54, v3
	scratch_store_b32 off, v3, off offset:20
	v_cmpx_lt_u32_e32 4, v0
	s_cbranch_execz .LBB88_149
; %bb.148:
	scratch_load_b32 v3, off, off offset:16
	scratch_store_b32 off, v2, off offset:16
	s_waitcnt vmcnt(0)
	ds_store_b32 v1, v3
.LBB88_149:
	s_or_b32 exec_lo, exec_lo, s0
	s_waitcnt lgkmcnt(0)
	s_waitcnt_vscnt null, 0x0
	s_barrier
	buffer_gl0_inv
	s_clause 0x5
	scratch_load_b128 v[54:57], off, off offset:16
	scratch_load_b128 v[58:61], off, off offset:32
	;; [unrolled: 1-line block ×5, first 2 shown]
	scratch_load_b32 v82, off, off offset:96
	ds_load_2addr_b32 v[74:75], v2 offset0:33 offset1:34
	ds_load_2addr_b32 v[76:77], v2 offset0:35 offset1:36
	ds_load_2addr_b32 v[78:79], v2 offset0:37 offset1:38
	ds_load_2addr_b32 v[80:81], v2 offset0:39 offset1:40
	s_mov_b32 s0, exec_lo
	s_waitcnt vmcnt(5) lgkmcnt(3)
	v_fma_f32 v74, v55, v74, 0
	s_delay_alu instid0(VALU_DEP_1) | instskip(SKIP_4) | instid1(VALU_DEP_1)
	v_fmac_f32_e32 v74, v56, v75
	ds_load_2addr_b32 v[55:56], v2 offset0:41 offset1:42
	s_waitcnt lgkmcnt(3)
	v_fmac_f32_e32 v74, v57, v76
	s_waitcnt vmcnt(4)
	v_fmac_f32_e32 v74, v58, v77
	ds_load_2addr_b32 v[57:58], v2 offset0:43 offset1:44
	s_waitcnt lgkmcnt(3)
	v_fmac_f32_e32 v74, v59, v78
	s_delay_alu instid0(VALU_DEP_1) | instskip(SKIP_1) | instid1(VALU_DEP_1)
	v_fmac_f32_e32 v74, v60, v79
	s_waitcnt lgkmcnt(2)
	v_fmac_f32_e32 v74, v61, v80
	s_waitcnt vmcnt(3)
	s_delay_alu instid0(VALU_DEP_1) | instskip(SKIP_4) | instid1(VALU_DEP_1)
	v_fmac_f32_e32 v74, v62, v81
	ds_load_2addr_b32 v[59:60], v2 offset0:45 offset1:46
	ds_load_2addr_b32 v[61:62], v2 offset0:47 offset1:48
	s_waitcnt lgkmcnt(3)
	v_fmac_f32_e32 v74, v63, v55
	v_fmac_f32_e32 v74, v64, v56
	ds_load_2addr_b32 v[55:56], v2 offset0:49 offset1:50
	ds_load_2addr_b32 v[2:3], v2 offset0:51 offset1:52
	s_waitcnt lgkmcnt(4)
	v_fmac_f32_e32 v74, v65, v57
	s_waitcnt vmcnt(2)
	s_delay_alu instid0(VALU_DEP_1) | instskip(SKIP_1) | instid1(VALU_DEP_1)
	v_fmac_f32_e32 v74, v66, v58
	s_waitcnt lgkmcnt(3)
	v_fmac_f32_e32 v74, v67, v59
	s_delay_alu instid0(VALU_DEP_1) | instskip(SKIP_1) | instid1(VALU_DEP_1)
	v_fmac_f32_e32 v74, v68, v60
	s_waitcnt lgkmcnt(2)
	v_fmac_f32_e32 v74, v69, v61
	s_waitcnt vmcnt(1)
	s_delay_alu instid0(VALU_DEP_1) | instskip(SKIP_1) | instid1(VALU_DEP_1)
	v_fmac_f32_e32 v74, v70, v62
	s_waitcnt lgkmcnt(1)
	v_fmac_f32_e32 v74, v71, v55
	s_delay_alu instid0(VALU_DEP_1) | instskip(SKIP_1) | instid1(VALU_DEP_1)
	v_fmac_f32_e32 v74, v72, v56
	s_waitcnt lgkmcnt(0)
	v_fmac_f32_e32 v74, v73, v2
	s_waitcnt vmcnt(0)
	s_delay_alu instid0(VALU_DEP_1) | instskip(NEXT) | instid1(VALU_DEP_1)
	v_fmac_f32_e32 v74, v82, v3
	v_sub_f32_e32 v2, v54, v74
	scratch_store_b32 off, v2, off offset:16
	v_cmpx_lt_u32_e32 3, v0
	s_cbranch_execz .LBB88_151
; %bb.150:
	scratch_load_b32 v2, off, off offset:12
	v_mov_b32_e32 v3, 0
	scratch_store_b32 off, v3, off offset:12
	s_waitcnt vmcnt(0)
	ds_store_b32 v1, v2
.LBB88_151:
	s_or_b32 exec_lo, exec_lo, s0
	s_waitcnt lgkmcnt(0)
	s_waitcnt_vscnt null, 0x0
	s_barrier
	buffer_gl0_inv
	s_clause 0x5
	scratch_load_b128 v[54:57], off, off offset:12
	scratch_load_b128 v[58:61], off, off offset:28
	;; [unrolled: 1-line block ×5, first 2 shown]
	scratch_load_b64 v[82:83], off, off offset:92
	v_mov_b32_e32 v2, 0
	ds_load_b128 v[74:77], v2 offset:128
	ds_load_b128 v[78:81], v2 offset:144
	s_mov_b32 s0, exec_lo
	s_waitcnt vmcnt(5) lgkmcnt(1)
	v_fma_f32 v3, v55, v74, 0
	s_delay_alu instid0(VALU_DEP_1) | instskip(NEXT) | instid1(VALU_DEP_1)
	v_fmac_f32_e32 v3, v56, v75
	v_fmac_f32_e32 v3, v57, v76
	s_waitcnt vmcnt(4)
	s_delay_alu instid0(VALU_DEP_1) | instskip(SKIP_3) | instid1(VALU_DEP_1)
	v_fmac_f32_e32 v3, v58, v77
	ds_load_b128 v[55:58], v2 offset:160
	s_waitcnt lgkmcnt(1)
	v_fmac_f32_e32 v3, v59, v78
	v_fmac_f32_e32 v3, v60, v79
	s_delay_alu instid0(VALU_DEP_1) | instskip(SKIP_1) | instid1(VALU_DEP_1)
	v_fmac_f32_e32 v3, v61, v80
	s_waitcnt vmcnt(3)
	v_fmac_f32_e32 v3, v62, v81
	ds_load_b128 v[59:62], v2 offset:176
	s_waitcnt lgkmcnt(1)
	v_fmac_f32_e32 v3, v63, v55
	s_delay_alu instid0(VALU_DEP_1) | instskip(NEXT) | instid1(VALU_DEP_1)
	v_fmac_f32_e32 v3, v64, v56
	v_fmac_f32_e32 v3, v65, v57
	s_waitcnt vmcnt(2)
	s_delay_alu instid0(VALU_DEP_1)
	v_fmac_f32_e32 v3, v66, v58
	ds_load_b128 v[55:58], v2 offset:192
	s_waitcnt lgkmcnt(1)
	v_fmac_f32_e32 v3, v67, v59
	ds_load_b32 v59, v2 offset:208
	v_fmac_f32_e32 v3, v68, v60
	s_delay_alu instid0(VALU_DEP_1) | instskip(SKIP_1) | instid1(VALU_DEP_1)
	v_fmac_f32_e32 v3, v69, v61
	s_waitcnt vmcnt(1)
	v_fmac_f32_e32 v3, v70, v62
	s_waitcnt lgkmcnt(1)
	s_delay_alu instid0(VALU_DEP_1) | instskip(NEXT) | instid1(VALU_DEP_1)
	v_fmac_f32_e32 v3, v71, v55
	v_fmac_f32_e32 v3, v72, v56
	s_delay_alu instid0(VALU_DEP_1) | instskip(SKIP_1) | instid1(VALU_DEP_1)
	v_fmac_f32_e32 v3, v73, v57
	s_waitcnt vmcnt(0)
	v_fmac_f32_e32 v3, v82, v58
	s_waitcnt lgkmcnt(0)
	s_delay_alu instid0(VALU_DEP_1) | instskip(NEXT) | instid1(VALU_DEP_1)
	v_fmac_f32_e32 v3, v83, v59
	v_sub_f32_e32 v3, v54, v3
	scratch_store_b32 off, v3, off offset:12
	v_cmpx_lt_u32_e32 2, v0
	s_cbranch_execz .LBB88_153
; %bb.152:
	scratch_load_b32 v3, off, off offset:8
	scratch_store_b32 off, v2, off offset:8
	s_waitcnt vmcnt(0)
	ds_store_b32 v1, v3
.LBB88_153:
	s_or_b32 exec_lo, exec_lo, s0
	s_waitcnt lgkmcnt(0)
	s_waitcnt_vscnt null, 0x0
	s_barrier
	buffer_gl0_inv
	s_clause 0x5
	scratch_load_b128 v[54:57], off, off offset:8
	scratch_load_b128 v[58:61], off, off offset:24
	;; [unrolled: 1-line block ×5, first 2 shown]
	scratch_load_b96 v[74:76], off, off offset:88
	ds_load_2addr_b32 v[77:78], v2 offset0:31 offset1:32
	ds_load_2addr_b32 v[79:80], v2 offset0:33 offset1:34
	;; [unrolled: 1-line block ×4, first 2 shown]
	s_mov_b32 s0, exec_lo
	s_waitcnt vmcnt(5) lgkmcnt(3)
	v_fma_f32 v77, v55, v77, 0
	s_delay_alu instid0(VALU_DEP_1) | instskip(SKIP_4) | instid1(VALU_DEP_1)
	v_fmac_f32_e32 v77, v56, v78
	ds_load_2addr_b32 v[55:56], v2 offset0:39 offset1:40
	s_waitcnt lgkmcnt(3)
	v_fmac_f32_e32 v77, v57, v79
	s_waitcnt vmcnt(4)
	v_fmac_f32_e32 v77, v58, v80
	ds_load_2addr_b32 v[57:58], v2 offset0:41 offset1:42
	s_waitcnt lgkmcnt(3)
	v_fmac_f32_e32 v77, v59, v81
	s_delay_alu instid0(VALU_DEP_1) | instskip(SKIP_1) | instid1(VALU_DEP_1)
	v_fmac_f32_e32 v77, v60, v82
	s_waitcnt lgkmcnt(2)
	v_fmac_f32_e32 v77, v61, v83
	s_waitcnt vmcnt(3)
	s_delay_alu instid0(VALU_DEP_1) | instskip(SKIP_4) | instid1(VALU_DEP_1)
	v_fmac_f32_e32 v77, v62, v84
	ds_load_2addr_b32 v[59:60], v2 offset0:43 offset1:44
	ds_load_2addr_b32 v[61:62], v2 offset0:45 offset1:46
	s_waitcnt lgkmcnt(3)
	v_fmac_f32_e32 v77, v63, v55
	v_fmac_f32_e32 v77, v64, v56
	ds_load_2addr_b32 v[55:56], v2 offset0:47 offset1:48
	s_waitcnt lgkmcnt(3)
	v_fmac_f32_e32 v77, v65, v57
	s_waitcnt vmcnt(2)
	s_delay_alu instid0(VALU_DEP_1) | instskip(SKIP_4) | instid1(VALU_DEP_1)
	v_fmac_f32_e32 v77, v66, v58
	ds_load_2addr_b32 v[57:58], v2 offset0:49 offset1:50
	ds_load_2addr_b32 v[2:3], v2 offset0:51 offset1:52
	s_waitcnt lgkmcnt(4)
	v_fmac_f32_e32 v77, v67, v59
	v_fmac_f32_e32 v77, v68, v60
	s_waitcnt lgkmcnt(3)
	s_delay_alu instid0(VALU_DEP_1) | instskip(SKIP_1) | instid1(VALU_DEP_1)
	v_fmac_f32_e32 v77, v69, v61
	s_waitcnt vmcnt(1)
	v_fmac_f32_e32 v77, v70, v62
	s_waitcnt lgkmcnt(2)
	s_delay_alu instid0(VALU_DEP_1) | instskip(NEXT) | instid1(VALU_DEP_1)
	v_fmac_f32_e32 v77, v71, v55
	v_fmac_f32_e32 v77, v72, v56
	s_waitcnt lgkmcnt(1)
	s_delay_alu instid0(VALU_DEP_1) | instskip(SKIP_1) | instid1(VALU_DEP_1)
	v_fmac_f32_e32 v77, v73, v57
	s_waitcnt vmcnt(0)
	v_fmac_f32_e32 v77, v74, v58
	s_waitcnt lgkmcnt(0)
	s_delay_alu instid0(VALU_DEP_1) | instskip(NEXT) | instid1(VALU_DEP_1)
	v_fmac_f32_e32 v77, v75, v2
	v_fmac_f32_e32 v77, v76, v3
	s_delay_alu instid0(VALU_DEP_1)
	v_sub_f32_e32 v2, v54, v77
	scratch_store_b32 off, v2, off offset:8
	v_cmpx_lt_u32_e32 1, v0
	s_cbranch_execz .LBB88_155
; %bb.154:
	scratch_load_b32 v2, off, off offset:4
	v_mov_b32_e32 v3, 0
	scratch_store_b32 off, v3, off offset:4
	s_waitcnt vmcnt(0)
	ds_store_b32 v1, v2
.LBB88_155:
	s_or_b32 exec_lo, exec_lo, s0
	s_waitcnt lgkmcnt(0)
	s_waitcnt_vscnt null, 0x0
	s_barrier
	buffer_gl0_inv
	s_clause 0x5
	scratch_load_b128 v[55:58], off, off offset:4
	scratch_load_b128 v[59:62], off, off offset:20
	;; [unrolled: 1-line block ×6, first 2 shown]
	v_mov_b32_e32 v54, 0
	ds_load_2addr_b64 v[79:82], v54 offset0:15 offset1:16
	ds_load_2addr_b64 v[83:86], v54 offset0:17 offset1:18
	s_mov_b32 s0, exec_lo
	s_waitcnt vmcnt(5) lgkmcnt(1)
	v_fma_f32 v79, v56, v79, 0
	s_delay_alu instid0(VALU_DEP_1) | instskip(SKIP_3) | instid1(VALU_DEP_1)
	v_fmac_f32_e32 v79, v57, v80
	ds_load_b64 v[2:3], v54 offset:200
	v_fmac_f32_e32 v79, v58, v81
	s_waitcnt vmcnt(4)
	v_fmac_f32_e32 v79, v59, v82
	ds_load_2addr_b64 v[56:59], v54 offset0:19 offset1:20
	s_waitcnt lgkmcnt(2)
	v_fmac_f32_e32 v79, v60, v83
	s_delay_alu instid0(VALU_DEP_1) | instskip(NEXT) | instid1(VALU_DEP_1)
	v_fmac_f32_e32 v79, v61, v84
	v_fmac_f32_e32 v79, v62, v85
	s_waitcnt vmcnt(3)
	s_delay_alu instid0(VALU_DEP_1) | instskip(SKIP_3) | instid1(VALU_DEP_1)
	v_fmac_f32_e32 v79, v63, v86
	ds_load_2addr_b64 v[60:63], v54 offset0:21 offset1:22
	s_waitcnt lgkmcnt(1)
	v_fmac_f32_e32 v79, v64, v56
	v_fmac_f32_e32 v79, v65, v57
	s_delay_alu instid0(VALU_DEP_1) | instskip(SKIP_1) | instid1(VALU_DEP_1)
	v_fmac_f32_e32 v79, v66, v58
	s_waitcnt vmcnt(2)
	v_fmac_f32_e32 v79, v67, v59
	ds_load_2addr_b64 v[56:59], v54 offset0:23 offset1:24
	s_waitcnt lgkmcnt(1)
	v_fmac_f32_e32 v79, v68, v60
	s_delay_alu instid0(VALU_DEP_1) | instskip(NEXT) | instid1(VALU_DEP_1)
	v_fmac_f32_e32 v79, v69, v61
	v_fmac_f32_e32 v79, v70, v62
	s_waitcnt vmcnt(1)
	s_delay_alu instid0(VALU_DEP_1) | instskip(SKIP_1) | instid1(VALU_DEP_1)
	v_fmac_f32_e32 v79, v71, v63
	s_waitcnt lgkmcnt(0)
	v_fmac_f32_e32 v79, v72, v56
	ds_load_b32 v56, v54 offset:208
	v_fmac_f32_e32 v79, v73, v57
	s_delay_alu instid0(VALU_DEP_1) | instskip(SKIP_1) | instid1(VALU_DEP_1)
	v_fmac_f32_e32 v79, v74, v58
	s_waitcnt vmcnt(0)
	v_fmac_f32_e32 v79, v75, v59
	s_delay_alu instid0(VALU_DEP_1) | instskip(NEXT) | instid1(VALU_DEP_1)
	v_fmac_f32_e32 v79, v76, v2
	v_fmac_f32_e32 v79, v77, v3
	s_waitcnt lgkmcnt(0)
	s_delay_alu instid0(VALU_DEP_1) | instskip(NEXT) | instid1(VALU_DEP_1)
	v_fmac_f32_e32 v79, v78, v56
	v_sub_f32_e32 v2, v55, v79
	scratch_store_b32 off, v2, off offset:4
	v_cmpx_ne_u32_e32 0, v0
	s_cbranch_execz .LBB88_157
; %bb.156:
	scratch_load_b32 v0, off, off
	scratch_store_b32 off, v54, off
	s_waitcnt vmcnt(0)
	ds_store_b32 v1, v0
.LBB88_157:
	s_or_b32 exec_lo, exec_lo, s0
	s_waitcnt lgkmcnt(0)
	s_waitcnt_vscnt null, 0x0
	s_barrier
	buffer_gl0_inv
	s_clause 0x6
	scratch_load_b128 v[55:58], off, off
	scratch_load_b128 v[59:62], off, off offset:16
	scratch_load_b128 v[63:66], off, off offset:32
	;; [unrolled: 1-line block ×5, first 2 shown]
	scratch_load_b32 v83, off, off offset:96
	ds_load_2addr_b32 v[75:76], v54 offset0:29 offset1:30
	ds_load_2addr_b32 v[77:78], v54 offset0:31 offset1:32
	;; [unrolled: 1-line block ×4, first 2 shown]
	s_and_b32 vcc_lo, exec_lo, s12
	s_waitcnt vmcnt(6) lgkmcnt(3)
	v_fma_f32 v75, v56, v75, 0
	s_delay_alu instid0(VALU_DEP_1) | instskip(SKIP_4) | instid1(VALU_DEP_1)
	v_fmac_f32_e32 v75, v57, v76
	ds_load_2addr_b32 v[56:57], v54 offset0:37 offset1:38
	s_waitcnt lgkmcnt(3)
	v_fmac_f32_e32 v75, v58, v77
	s_waitcnt vmcnt(5)
	v_fmac_f32_e32 v75, v59, v78
	ds_load_2addr_b32 v[58:59], v54 offset0:39 offset1:40
	s_waitcnt lgkmcnt(3)
	v_fmac_f32_e32 v75, v60, v79
	s_delay_alu instid0(VALU_DEP_1) | instskip(SKIP_1) | instid1(VALU_DEP_1)
	v_fmac_f32_e32 v75, v61, v80
	s_waitcnt lgkmcnt(2)
	v_fmac_f32_e32 v75, v62, v81
	s_waitcnt vmcnt(4)
	s_delay_alu instid0(VALU_DEP_1) | instskip(SKIP_4) | instid1(VALU_DEP_1)
	v_fmac_f32_e32 v75, v63, v82
	ds_load_2addr_b32 v[60:61], v54 offset0:41 offset1:42
	ds_load_2addr_b32 v[62:63], v54 offset0:43 offset1:44
	s_waitcnt lgkmcnt(3)
	v_fmac_f32_e32 v75, v64, v56
	v_fmac_f32_e32 v75, v65, v57
	ds_load_2addr_b32 v[56:57], v54 offset0:45 offset1:46
	s_waitcnt lgkmcnt(3)
	v_fmac_f32_e32 v75, v66, v58
	s_waitcnt vmcnt(3)
	s_delay_alu instid0(VALU_DEP_1) | instskip(SKIP_3) | instid1(VALU_DEP_1)
	v_fmac_f32_e32 v75, v67, v59
	ds_load_2addr_b32 v[58:59], v54 offset0:47 offset1:48
	s_waitcnt lgkmcnt(3)
	v_fmac_f32_e32 v75, v68, v60
	v_fmac_f32_e32 v75, v69, v61
	s_waitcnt lgkmcnt(2)
	s_delay_alu instid0(VALU_DEP_1) | instskip(SKIP_1) | instid1(VALU_DEP_1)
	v_fmac_f32_e32 v75, v70, v62
	s_waitcnt vmcnt(2)
	v_fmac_f32_e32 v75, v71, v63
	ds_load_2addr_b32 v[60:61], v54 offset0:49 offset1:50
	ds_load_2addr_b32 v[62:63], v54 offset0:51 offset1:52
	s_waitcnt lgkmcnt(3)
	v_fmac_f32_e32 v75, v72, v56
	s_delay_alu instid0(VALU_DEP_1) | instskip(SKIP_1) | instid1(VALU_DEP_1)
	v_fmac_f32_e32 v75, v73, v57
	s_waitcnt lgkmcnt(2)
	v_fmac_f32_e32 v75, v74, v58
	s_waitcnt vmcnt(1)
	s_delay_alu instid0(VALU_DEP_1) | instskip(SKIP_1) | instid1(VALU_DEP_1)
	v_fmac_f32_e32 v75, v0, v59
	s_waitcnt lgkmcnt(1)
	v_fmac_f32_e32 v75, v1, v60
	s_delay_alu instid0(VALU_DEP_1) | instskip(SKIP_1) | instid1(VALU_DEP_1)
	v_fmac_f32_e32 v75, v2, v61
	s_waitcnt lgkmcnt(0)
	v_fmac_f32_e32 v75, v3, v62
	s_waitcnt vmcnt(0)
	s_delay_alu instid0(VALU_DEP_1) | instskip(NEXT) | instid1(VALU_DEP_1)
	v_fmac_f32_e32 v75, v83, v63
	v_sub_f32_e32 v0, v55, v75
	scratch_store_b32 off, v0, off
	s_cbranch_vccz .LBB88_207
; %bb.158:
	v_dual_mov_b32 v0, s2 :: v_dual_mov_b32 v1, s3
	s_mov_b32 s0, exec_lo
	flat_load_b32 v0, v[0:1] offset:92
	s_waitcnt vmcnt(0) lgkmcnt(0)
	v_cmpx_ne_u32_e32 24, v0
	s_cbranch_execz .LBB88_160
; %bb.159:
	v_lshl_add_u32 v0, v0, 2, 0
	scratch_load_b32 v1, v0, off offset:-4
	s_waitcnt vmcnt(0)
	scratch_store_b32 off, v1, off offset:92
	scratch_store_b32 v0, v3, off offset:-4
.LBB88_160:
	s_or_b32 exec_lo, exec_lo, s0
	v_dual_mov_b32 v0, s2 :: v_dual_mov_b32 v1, s3
	s_mov_b32 s0, exec_lo
	flat_load_b32 v0, v[0:1] offset:88
	s_waitcnt vmcnt(0) lgkmcnt(0)
	v_cmpx_ne_u32_e32 23, v0
	s_cbranch_execz .LBB88_162
; %bb.161:
	v_lshl_add_u32 v0, v0, 2, 0
	scratch_load_b32 v1, v0, off offset:-4
	scratch_load_b32 v2, off, off offset:88
	s_waitcnt vmcnt(1)
	scratch_store_b32 off, v1, off offset:88
	s_waitcnt vmcnt(0)
	scratch_store_b32 v0, v2, off offset:-4
.LBB88_162:
	s_or_b32 exec_lo, exec_lo, s0
	v_dual_mov_b32 v0, s2 :: v_dual_mov_b32 v1, s3
	s_mov_b32 s0, exec_lo
	flat_load_b32 v0, v[0:1] offset:84
	s_waitcnt vmcnt(0) lgkmcnt(0)
	v_cmpx_ne_u32_e32 22, v0
	s_cbranch_execz .LBB88_164
; %bb.163:
	v_lshl_add_u32 v0, v0, 2, 0
	scratch_load_b32 v1, v0, off offset:-4
	scratch_load_b32 v2, off, off offset:84
	s_waitcnt vmcnt(1)
	scratch_store_b32 off, v1, off offset:84
	s_waitcnt vmcnt(0)
	scratch_store_b32 v0, v2, off offset:-4
.LBB88_164:
	;; [unrolled: 16-line block ×22, first 2 shown]
	s_or_b32 exec_lo, exec_lo, s0
	v_dual_mov_b32 v0, s2 :: v_dual_mov_b32 v1, s3
	s_mov_b32 s0, exec_lo
	flat_load_b32 v1, v[0:1]
	scratch_load_b32 v0, off, off
	s_waitcnt vmcnt(1) lgkmcnt(0)
	v_cmpx_ne_u32_e32 1, v1
	s_cbranch_execz .LBB88_206
; %bb.205:
	v_lshl_add_u32 v1, v1, 2, 0
	scratch_load_b32 v2, v1, off offset:-4
	s_waitcnt vmcnt(0)
	scratch_store_b32 off, v2, off
	scratch_store_b32 v1, v0, off offset:-4
	scratch_load_b32 v0, off, off
.LBB88_206:
	s_or_b32 exec_lo, exec_lo, s0
.LBB88_207:
	s_clause 0x5
	scratch_load_b128 v[54:57], off, off offset:4
	scratch_load_b128 v[58:61], off, off offset:20
	;; [unrolled: 1-line block ×6, first 2 shown]
	s_waitcnt vmcnt(6)
	global_store_b32 v[4:5], v0, off
	s_waitcnt vmcnt(5)
	s_clause 0x3
	global_store_b32 v[6:7], v54, off
	global_store_b32 v[8:9], v55, off
	global_store_b32 v[10:11], v56, off
	global_store_b32 v[12:13], v57, off
	s_waitcnt vmcnt(4)
	s_clause 0x3
	global_store_b32 v[14:15], v58, off
	global_store_b32 v[16:17], v59, off
	global_store_b32 v[18:19], v60, off
	;; [unrolled: 6-line block ×6, first 2 shown]
	global_store_b32 v[52:53], v77, off
	s_endpgm
	.section	.rodata,"a",@progbits
	.p2align	6, 0x0
	.amdhsa_kernel _ZN9rocsolver6v33100L18getri_kernel_smallILi25EfPKPfEEvT1_iilPiilS6_bb
		.amdhsa_group_segment_fixed_size 212
		.amdhsa_private_segment_fixed_size 112
		.amdhsa_kernarg_size 60
		.amdhsa_user_sgpr_count 15
		.amdhsa_user_sgpr_dispatch_ptr 0
		.amdhsa_user_sgpr_queue_ptr 0
		.amdhsa_user_sgpr_kernarg_segment_ptr 1
		.amdhsa_user_sgpr_dispatch_id 0
		.amdhsa_user_sgpr_private_segment_size 0
		.amdhsa_wavefront_size32 1
		.amdhsa_uses_dynamic_stack 0
		.amdhsa_enable_private_segment 1
		.amdhsa_system_sgpr_workgroup_id_x 1
		.amdhsa_system_sgpr_workgroup_id_y 0
		.amdhsa_system_sgpr_workgroup_id_z 0
		.amdhsa_system_sgpr_workgroup_info 0
		.amdhsa_system_vgpr_workitem_id 0
		.amdhsa_next_free_vgpr 87
		.amdhsa_next_free_sgpr 17
		.amdhsa_reserve_vcc 1
		.amdhsa_float_round_mode_32 0
		.amdhsa_float_round_mode_16_64 0
		.amdhsa_float_denorm_mode_32 3
		.amdhsa_float_denorm_mode_16_64 3
		.amdhsa_dx10_clamp 1
		.amdhsa_ieee_mode 1
		.amdhsa_fp16_overflow 0
		.amdhsa_workgroup_processor_mode 1
		.amdhsa_memory_ordered 1
		.amdhsa_forward_progress 0
		.amdhsa_shared_vgpr_count 0
		.amdhsa_exception_fp_ieee_invalid_op 0
		.amdhsa_exception_fp_denorm_src 0
		.amdhsa_exception_fp_ieee_div_zero 0
		.amdhsa_exception_fp_ieee_overflow 0
		.amdhsa_exception_fp_ieee_underflow 0
		.amdhsa_exception_fp_ieee_inexact 0
		.amdhsa_exception_int_div_zero 0
	.end_amdhsa_kernel
	.section	.text._ZN9rocsolver6v33100L18getri_kernel_smallILi25EfPKPfEEvT1_iilPiilS6_bb,"axG",@progbits,_ZN9rocsolver6v33100L18getri_kernel_smallILi25EfPKPfEEvT1_iilPiilS6_bb,comdat
.Lfunc_end88:
	.size	_ZN9rocsolver6v33100L18getri_kernel_smallILi25EfPKPfEEvT1_iilPiilS6_bb, .Lfunc_end88-_ZN9rocsolver6v33100L18getri_kernel_smallILi25EfPKPfEEvT1_iilPiilS6_bb
                                        ; -- End function
	.section	.AMDGPU.csdata,"",@progbits
; Kernel info:
; codeLenInByte = 14588
; NumSgprs: 19
; NumVgprs: 87
; ScratchSize: 112
; MemoryBound: 0
; FloatMode: 240
; IeeeMode: 1
; LDSByteSize: 212 bytes/workgroup (compile time only)
; SGPRBlocks: 2
; VGPRBlocks: 10
; NumSGPRsForWavesPerEU: 19
; NumVGPRsForWavesPerEU: 87
; Occupancy: 16
; WaveLimiterHint : 1
; COMPUTE_PGM_RSRC2:SCRATCH_EN: 1
; COMPUTE_PGM_RSRC2:USER_SGPR: 15
; COMPUTE_PGM_RSRC2:TRAP_HANDLER: 0
; COMPUTE_PGM_RSRC2:TGID_X_EN: 1
; COMPUTE_PGM_RSRC2:TGID_Y_EN: 0
; COMPUTE_PGM_RSRC2:TGID_Z_EN: 0
; COMPUTE_PGM_RSRC2:TIDIG_COMP_CNT: 0
	.section	.text._ZN9rocsolver6v33100L18getri_kernel_smallILi26EfPKPfEEvT1_iilPiilS6_bb,"axG",@progbits,_ZN9rocsolver6v33100L18getri_kernel_smallILi26EfPKPfEEvT1_iilPiilS6_bb,comdat
	.globl	_ZN9rocsolver6v33100L18getri_kernel_smallILi26EfPKPfEEvT1_iilPiilS6_bb ; -- Begin function _ZN9rocsolver6v33100L18getri_kernel_smallILi26EfPKPfEEvT1_iilPiilS6_bb
	.p2align	8
	.type	_ZN9rocsolver6v33100L18getri_kernel_smallILi26EfPKPfEEvT1_iilPiilS6_bb,@function
_ZN9rocsolver6v33100L18getri_kernel_smallILi26EfPKPfEEvT1_iilPiilS6_bb: ; @_ZN9rocsolver6v33100L18getri_kernel_smallILi26EfPKPfEEvT1_iilPiilS6_bb
; %bb.0:
	s_mov_b32 s2, exec_lo
	v_cmpx_gt_u32_e32 26, v0
	s_cbranch_execz .LBB89_112
; %bb.1:
	s_clause 0x1
	s_load_b32 s13, s[0:1], 0x38
	s_load_b64 s[2:3], s[0:1], 0x0
	s_mov_b32 s8, s15
	s_load_b128 s[4:7], s[0:1], 0x28
	s_waitcnt lgkmcnt(0)
	s_bitcmp1_b32 s13, 8
	s_cselect_b32 s12, -1, 0
	s_ashr_i32 s9, s15, 31
	s_delay_alu instid0(SALU_CYCLE_1) | instskip(NEXT) | instid1(SALU_CYCLE_1)
	s_lshl_b64 s[10:11], s[8:9], 3
	s_add_u32 s2, s2, s10
	s_addc_u32 s3, s3, s11
	s_load_b64 s[10:11], s[2:3], 0x0
	s_bfe_u32 s2, s13, 0x10008
	s_delay_alu instid0(SALU_CYCLE_1)
	s_cmp_eq_u32 s2, 0
                                        ; implicit-def: $sgpr2_sgpr3
	s_cbranch_scc1 .LBB89_3
; %bb.2:
	s_clause 0x1
	s_load_b32 s2, s[0:1], 0x20
	s_load_b64 s[14:15], s[0:1], 0x18
	s_mul_i32 s3, s8, s5
	s_mul_hi_u32 s5, s8, s4
	s_mul_i32 s16, s9, s4
	s_add_i32 s3, s5, s3
	s_mul_i32 s4, s8, s4
	s_add_i32 s5, s3, s16
	s_delay_alu instid0(SALU_CYCLE_1)
	s_lshl_b64 s[4:5], s[4:5], 2
	s_waitcnt lgkmcnt(0)
	s_ashr_i32 s3, s2, 31
	s_add_u32 s4, s14, s4
	s_addc_u32 s5, s15, s5
	s_lshl_b64 s[2:3], s[2:3], 2
	s_delay_alu instid0(SALU_CYCLE_1)
	s_add_u32 s2, s4, s2
	s_addc_u32 s3, s5, s3
.LBB89_3:
	s_load_b64 s[0:1], s[0:1], 0x8
	v_lshlrev_b32_e32 v53, 2, v0
	s_waitcnt lgkmcnt(0)
	v_add3_u32 v3, s1, s1, v0
	s_ashr_i32 s5, s0, 31
	s_mov_b32 s4, s0
	s_mov_b32 s14, s1
	s_lshl_b64 s[4:5], s[4:5], 2
	v_add_nc_u32_e32 v5, s1, v3
	v_ashrrev_i32_e32 v4, 31, v3
	s_add_u32 s4, s10, s4
	s_addc_u32 s5, s11, s5
	v_add_co_u32 v1, s0, s4, v53
	v_add_nc_u32_e32 v9, s1, v5
	v_ashrrev_i32_e32 v6, 31, v5
	s_ashr_i32 s15, s1, 31
	v_add_co_ci_u32_e64 v2, null, s5, 0, s0
	v_lshlrev_b64 v[7:8], 2, v[3:4]
	s_lshl_b64 s[10:11], s[14:15], 2
	v_add_nc_u32_e32 v13, s1, v9
	v_add_co_u32 v3, vcc_lo, v1, s10
	v_lshlrev_b64 v[11:12], 2, v[5:6]
	v_add_co_ci_u32_e32 v4, vcc_lo, s11, v2, vcc_lo
	v_add_co_u32 v5, vcc_lo, s4, v7
	v_ashrrev_i32_e32 v14, 31, v13
	v_add_nc_u32_e32 v15, s1, v13
	v_ashrrev_i32_e32 v10, 31, v9
	v_add_co_ci_u32_e32 v6, vcc_lo, s5, v8, vcc_lo
	v_add_co_u32 v7, vcc_lo, s4, v11
	v_add_co_ci_u32_e32 v8, vcc_lo, s5, v12, vcc_lo
	v_lshlrev_b64 v[11:12], 2, v[13:14]
	v_add_nc_u32_e32 v13, s1, v15
	v_lshlrev_b64 v[9:10], 2, v[9:10]
	v_ashrrev_i32_e32 v16, 31, v15
	global_load_b32 v54, v53, s[4:5]
	s_bitcmp0_b32 s13, 0
	v_ashrrev_i32_e32 v14, 31, v13
	v_add_nc_u32_e32 v17, s1, v13
	v_add_co_u32 v9, vcc_lo, s4, v9
	v_lshlrev_b64 v[15:16], 2, v[15:16]
	v_add_co_ci_u32_e32 v10, vcc_lo, s5, v10, vcc_lo
	v_add_co_u32 v11, vcc_lo, s4, v11
	v_lshlrev_b64 v[19:20], 2, v[13:14]
	v_add_nc_u32_e32 v21, s1, v17
	v_add_co_ci_u32_e32 v12, vcc_lo, s5, v12, vcc_lo
	v_add_co_u32 v13, vcc_lo, s4, v15
	v_add_co_ci_u32_e32 v14, vcc_lo, s5, v16, vcc_lo
	v_add_co_u32 v15, vcc_lo, s4, v19
	v_add_nc_u32_e32 v19, s1, v21
	v_ashrrev_i32_e32 v18, 31, v17
	v_ashrrev_i32_e32 v22, 31, v21
	v_add_co_ci_u32_e32 v16, vcc_lo, s5, v20, vcc_lo
	s_delay_alu instid0(VALU_DEP_4) | instskip(NEXT) | instid1(VALU_DEP_4)
	v_add_nc_u32_e32 v23, s1, v19
	v_lshlrev_b64 v[17:18], 2, v[17:18]
	v_ashrrev_i32_e32 v20, 31, v19
	v_lshlrev_b64 v[21:22], 2, v[21:22]
	s_delay_alu instid0(VALU_DEP_4)
	v_add_nc_u32_e32 v27, s1, v23
	v_ashrrev_i32_e32 v24, 31, v23
	v_add_co_u32 v17, vcc_lo, s4, v17
	v_lshlrev_b64 v[25:26], 2, v[19:20]
	v_add_co_ci_u32_e32 v18, vcc_lo, s5, v18, vcc_lo
	v_add_co_u32 v19, vcc_lo, s4, v21
	v_ashrrev_i32_e32 v28, 31, v27
	v_add_nc_u32_e32 v29, s1, v27
	v_add_co_ci_u32_e32 v20, vcc_lo, s5, v22, vcc_lo
	v_add_co_u32 v21, vcc_lo, s4, v25
	v_add_co_ci_u32_e32 v22, vcc_lo, s5, v26, vcc_lo
	v_lshlrev_b64 v[25:26], 2, v[27:28]
	v_add_nc_u32_e32 v27, s1, v29
	v_lshlrev_b64 v[23:24], 2, v[23:24]
	v_ashrrev_i32_e32 v30, 31, v29
	s_clause 0x7
	global_load_b32 v55, v[3:4], off
	global_load_b32 v56, v[5:6], off
	;; [unrolled: 1-line block ×8, first 2 shown]
	v_add_nc_u32_e32 v31, s1, v27
	v_ashrrev_i32_e32 v28, 31, v27
	v_add_co_u32 v23, vcc_lo, s4, v23
	v_lshlrev_b64 v[29:30], 2, v[29:30]
	s_delay_alu instid0(VALU_DEP_4)
	v_add_nc_u32_e32 v35, s1, v31
	v_add_co_ci_u32_e32 v24, vcc_lo, s5, v24, vcc_lo
	v_add_co_u32 v25, vcc_lo, s4, v25
	v_lshlrev_b64 v[33:34], 2, v[27:28]
	v_add_co_ci_u32_e32 v26, vcc_lo, s5, v26, vcc_lo
	v_add_co_u32 v27, vcc_lo, s4, v29
	v_ashrrev_i32_e32 v36, 31, v35
	v_add_co_ci_u32_e32 v28, vcc_lo, s5, v30, vcc_lo
	v_add_co_u32 v29, vcc_lo, s4, v33
	v_add_co_ci_u32_e32 v30, vcc_lo, s5, v34, vcc_lo
	s_delay_alu instid0(VALU_DEP_4) | instskip(SKIP_2) | instid1(VALU_DEP_2)
	v_lshlrev_b64 v[33:34], 2, v[35:36]
	v_add_nc_u32_e32 v35, s1, v35
	v_ashrrev_i32_e32 v32, 31, v31
	v_add_nc_u32_e32 v37, s1, v35
	s_delay_alu instid0(VALU_DEP_2) | instskip(SKIP_1) | instid1(VALU_DEP_3)
	v_lshlrev_b64 v[31:32], 2, v[31:32]
	v_ashrrev_i32_e32 v36, 31, v35
	v_add_nc_u32_e32 v39, s1, v37
	v_ashrrev_i32_e32 v38, 31, v37
	s_delay_alu instid0(VALU_DEP_4) | instskip(NEXT) | instid1(VALU_DEP_4)
	v_add_co_u32 v31, vcc_lo, s4, v31
	v_lshlrev_b64 v[35:36], 2, v[35:36]
	s_delay_alu instid0(VALU_DEP_4) | instskip(SKIP_3) | instid1(VALU_DEP_4)
	v_add_nc_u32_e32 v41, s1, v39
	v_ashrrev_i32_e32 v40, 31, v39
	v_add_co_ci_u32_e32 v32, vcc_lo, s5, v32, vcc_lo
	v_add_co_u32 v33, vcc_lo, s4, v33
	v_add_nc_u32_e32 v43, s1, v41
	v_lshlrev_b64 v[37:38], 2, v[37:38]
	v_ashrrev_i32_e32 v42, 31, v41
	v_add_co_ci_u32_e32 v34, vcc_lo, s5, v34, vcc_lo
	s_delay_alu instid0(VALU_DEP_4) | instskip(SKIP_3) | instid1(VALU_DEP_4)
	v_add_nc_u32_e32 v45, s1, v43
	v_add_co_u32 v35, vcc_lo, s4, v35
	v_lshlrev_b64 v[39:40], 2, v[39:40]
	v_ashrrev_i32_e32 v44, 31, v43
	v_add_nc_u32_e32 v47, s1, v45
	v_add_co_ci_u32_e32 v36, vcc_lo, s5, v36, vcc_lo
	v_add_co_u32 v37, vcc_lo, s4, v37
	v_lshlrev_b64 v[41:42], 2, v[41:42]
	s_delay_alu instid0(VALU_DEP_4)
	v_add_nc_u32_e32 v49, s1, v47
	v_ashrrev_i32_e32 v46, 31, v45
	v_add_co_ci_u32_e32 v38, vcc_lo, s5, v38, vcc_lo
	v_add_co_u32 v39, vcc_lo, s4, v39
	v_lshlrev_b64 v[43:44], 2, v[43:44]
	v_ashrrev_i32_e32 v48, 31, v47
	v_add_co_ci_u32_e32 v40, vcc_lo, s5, v40, vcc_lo
	v_add_nc_u32_e32 v51, s1, v49
	v_add_co_u32 v41, vcc_lo, s4, v41
	v_lshlrev_b64 v[45:46], 2, v[45:46]
	v_ashrrev_i32_e32 v50, 31, v49
	v_add_co_ci_u32_e32 v42, vcc_lo, s5, v42, vcc_lo
	v_add_co_u32 v43, vcc_lo, s4, v43
	v_lshlrev_b64 v[47:48], 2, v[47:48]
	v_ashrrev_i32_e32 v52, 31, v51
	v_add_co_ci_u32_e32 v44, vcc_lo, s5, v44, vcc_lo
	v_add_co_u32 v45, vcc_lo, s4, v45
	v_lshlrev_b64 v[49:50], 2, v[49:50]
	v_add_co_ci_u32_e32 v46, vcc_lo, s5, v46, vcc_lo
	v_add_co_u32 v47, vcc_lo, s4, v47
	v_lshlrev_b64 v[51:52], 2, v[51:52]
	v_add_co_ci_u32_e32 v48, vcc_lo, s5, v48, vcc_lo
	v_add_co_u32 v49, vcc_lo, s4, v49
	v_add_co_ci_u32_e32 v50, vcc_lo, s5, v50, vcc_lo
	s_delay_alu instid0(VALU_DEP_4)
	v_add_co_u32 v51, vcc_lo, s4, v51
	s_clause 0x7
	global_load_b32 v63, v[19:20], off
	global_load_b32 v64, v[21:22], off
	;; [unrolled: 1-line block ×8, first 2 shown]
	v_add_co_ci_u32_e32 v52, vcc_lo, s5, v52, vcc_lo
	s_clause 0x8
	global_load_b32 v71, v[35:36], off
	global_load_b32 v72, v[37:38], off
	;; [unrolled: 1-line block ×9, first 2 shown]
	s_mov_b32 s1, -1
	s_waitcnt vmcnt(22)
	scratch_store_b128 off, v[54:57], off
	s_waitcnt vmcnt(18)
	scratch_store_b128 off, v[58:61], off offset:16
	s_waitcnt vmcnt(14)
	scratch_store_b128 off, v[62:65], off offset:32
	;; [unrolled: 2-line block ×5, first 2 shown]
	s_waitcnt vmcnt(0)
	scratch_store_b64 off, v[78:79], off offset:96
	s_cbranch_scc1 .LBB89_110
; %bb.4:
	v_cmp_eq_u32_e64 s0, 0, v0
	s_delay_alu instid0(VALU_DEP_1)
	s_and_saveexec_b32 s1, s0
	s_cbranch_execz .LBB89_6
; %bb.5:
	v_mov_b32_e32 v54, 0
	ds_store_b32 v54, v54 offset:104
.LBB89_6:
	s_or_b32 exec_lo, exec_lo, s1
	s_waitcnt lgkmcnt(0)
	s_waitcnt_vscnt null, 0x0
	s_barrier
	buffer_gl0_inv
	scratch_load_b32 v54, v53, off
	s_mov_b32 s4, exec_lo
	s_waitcnt vmcnt(0)
	v_cmpx_eq_f32_e32 0, v54
	s_cbranch_execz .LBB89_10
; %bb.7:
	v_mov_b32_e32 v54, 0
	s_mov_b32 s5, 0
	ds_load_b32 v55, v54 offset:104
	s_waitcnt lgkmcnt(0)
	v_readfirstlane_b32 s1, v55
	v_add_nc_u32_e32 v55, 1, v0
	s_delay_alu instid0(VALU_DEP_2) | instskip(NEXT) | instid1(VALU_DEP_1)
	s_cmp_eq_u32 s1, 0
	v_cmp_gt_i32_e32 vcc_lo, s1, v55
	s_cselect_b32 s10, -1, 0
	s_delay_alu instid0(SALU_CYCLE_1) | instskip(NEXT) | instid1(SALU_CYCLE_1)
	s_or_b32 s10, s10, vcc_lo
	s_and_b32 exec_lo, exec_lo, s10
	s_cbranch_execz .LBB89_10
; %bb.8:
	v_mov_b32_e32 v56, s1
.LBB89_9:                               ; =>This Inner Loop Header: Depth=1
	ds_cmpstore_rtn_b32 v56, v54, v55, v56 offset:104
	s_waitcnt lgkmcnt(0)
	v_cmp_ne_u32_e32 vcc_lo, 0, v56
	v_cmp_le_i32_e64 s1, v56, v55
	s_delay_alu instid0(VALU_DEP_1) | instskip(NEXT) | instid1(SALU_CYCLE_1)
	s_and_b32 s1, vcc_lo, s1
	s_and_b32 s1, exec_lo, s1
	s_delay_alu instid0(SALU_CYCLE_1) | instskip(NEXT) | instid1(SALU_CYCLE_1)
	s_or_b32 s5, s1, s5
	s_and_not1_b32 exec_lo, exec_lo, s5
	s_cbranch_execnz .LBB89_9
.LBB89_10:
	s_or_b32 exec_lo, exec_lo, s4
	v_mov_b32_e32 v54, 0
	s_barrier
	buffer_gl0_inv
	ds_load_b32 v55, v54 offset:104
	s_and_saveexec_b32 s1, s0
	s_cbranch_execz .LBB89_12
; %bb.11:
	s_lshl_b64 s[4:5], s[8:9], 2
	s_delay_alu instid0(SALU_CYCLE_1)
	s_add_u32 s4, s6, s4
	s_addc_u32 s5, s7, s5
	s_waitcnt lgkmcnt(0)
	global_store_b32 v54, v55, s[4:5]
.LBB89_12:
	s_or_b32 exec_lo, exec_lo, s1
	s_waitcnt lgkmcnt(0)
	v_cmp_ne_u32_e32 vcc_lo, 0, v55
	s_mov_b32 s1, 0
	s_cbranch_vccnz .LBB89_110
; %bb.13:
	v_add_nc_u32_e32 v54, 0, v53
	scratch_load_b32 v55, v54, off
	s_waitcnt vmcnt(0)
	v_div_scale_f32 v56, null, v55, v55, 1.0
	v_div_scale_f32 v59, vcc_lo, 1.0, v55, 1.0
	s_delay_alu instid0(VALU_DEP_2) | instskip(SKIP_2) | instid1(VALU_DEP_1)
	v_rcp_f32_e32 v57, v56
	s_waitcnt_depctr 0xfff
	v_fma_f32 v58, -v56, v57, 1.0
	v_fmac_f32_e32 v57, v58, v57
	s_delay_alu instid0(VALU_DEP_1) | instskip(NEXT) | instid1(VALU_DEP_1)
	v_mul_f32_e32 v58, v59, v57
	v_fma_f32 v60, -v56, v58, v59
	s_delay_alu instid0(VALU_DEP_1) | instskip(NEXT) | instid1(VALU_DEP_1)
	v_fmac_f32_e32 v58, v60, v57
	v_fma_f32 v56, -v56, v58, v59
	s_delay_alu instid0(VALU_DEP_1) | instskip(NEXT) | instid1(VALU_DEP_1)
	v_div_fmas_f32 v56, v56, v57, v58
	v_div_fixup_f32 v55, v56, v55, 1.0
	scratch_store_b32 v54, v55, off
	scratch_load_b32 v56, off, off offset:4
	v_xor_b32_e32 v57, 0x80000000, v55
	v_add_nc_u32_e32 v55, 0x70, v53
	s_waitcnt vmcnt(0)
	ds_store_2addr_b32 v53, v57, v56 offset1:28
	s_waitcnt lgkmcnt(0)
	s_waitcnt_vscnt null, 0x0
	s_barrier
	buffer_gl0_inv
	s_and_saveexec_b32 s1, s0
	s_cbranch_execz .LBB89_15
; %bb.14:
	scratch_load_b32 v56, v54, off
	ds_load_b32 v57, v55
	v_mov_b32_e32 v58, 0
	ds_load_b32 v58, v58 offset:4
	s_waitcnt vmcnt(0) lgkmcnt(1)
	v_fma_f32 v56, v56, v57, 0
	s_waitcnt lgkmcnt(0)
	s_delay_alu instid0(VALU_DEP_1)
	v_mul_f32_e32 v56, v56, v58
	scratch_store_b32 off, v56, off offset:4
.LBB89_15:
	s_or_b32 exec_lo, exec_lo, s1
	s_waitcnt_vscnt null, 0x0
	s_barrier
	buffer_gl0_inv
	scratch_load_b32 v56, off, off offset:8
	s_mov_b32 s1, exec_lo
	s_waitcnt vmcnt(0)
	ds_store_b32 v55, v56
	s_waitcnt lgkmcnt(0)
	s_barrier
	buffer_gl0_inv
	v_cmpx_gt_u32_e32 2, v0
	s_cbranch_execz .LBB89_17
; %bb.16:
	scratch_load_b32 v58, v54, off
	scratch_load_b32 v59, off, off offset:4
	ds_load_b32 v60, v55
	v_mov_b32_e32 v56, 0
	ds_load_2addr_b32 v[56:57], v56 offset0:2 offset1:29
	s_waitcnt vmcnt(1) lgkmcnt(1)
	v_fma_f32 v58, v58, v60, 0
	s_waitcnt vmcnt(0) lgkmcnt(0)
	s_delay_alu instid0(VALU_DEP_1) | instskip(NEXT) | instid1(VALU_DEP_1)
	v_fma_f32 v57, v59, v57, v58
	v_cndmask_b32_e64 v57, v58, v57, s0
	s_delay_alu instid0(VALU_DEP_1)
	v_mul_f32_e32 v56, v57, v56
	scratch_store_b32 off, v56, off offset:8
.LBB89_17:
	s_or_b32 exec_lo, exec_lo, s1
	s_waitcnt_vscnt null, 0x0
	s_barrier
	buffer_gl0_inv
	scratch_load_b32 v57, off, off offset:12
	v_add_nc_u32_e32 v56, -1, v0
	s_mov_b32 s0, exec_lo
	s_waitcnt vmcnt(0)
	ds_store_b32 v55, v57
	s_waitcnt lgkmcnt(0)
	s_barrier
	buffer_gl0_inv
	v_cmpx_gt_u32_e32 3, v0
	s_cbranch_execz .LBB89_21
; %bb.18:
	v_dual_mov_b32 v57, 0 :: v_dual_add_nc_u32 v58, -1, v0
	v_add_nc_u32_e32 v59, 0x70, v53
	v_add_nc_u32_e32 v60, 0, v53
	s_mov_b32 s1, 0
.LBB89_19:                              ; =>This Inner Loop Header: Depth=1
	scratch_load_b32 v61, v60, off
	ds_load_b32 v62, v59
	v_add_nc_u32_e32 v58, 1, v58
	v_add_nc_u32_e32 v59, 4, v59
	v_add_nc_u32_e32 v60, 4, v60
	s_delay_alu instid0(VALU_DEP_3)
	v_cmp_lt_u32_e32 vcc_lo, 1, v58
	s_or_b32 s1, vcc_lo, s1
	s_waitcnt vmcnt(0) lgkmcnt(0)
	v_fmac_f32_e32 v57, v61, v62
	s_and_not1_b32 exec_lo, exec_lo, s1
	s_cbranch_execnz .LBB89_19
; %bb.20:
	s_or_b32 exec_lo, exec_lo, s1
	v_mov_b32_e32 v58, 0
	ds_load_b32 v58, v58 offset:12
	s_waitcnt lgkmcnt(0)
	v_mul_f32_e32 v57, v57, v58
	scratch_store_b32 off, v57, off offset:12
.LBB89_21:
	s_or_b32 exec_lo, exec_lo, s0
	s_waitcnt_vscnt null, 0x0
	s_barrier
	buffer_gl0_inv
	scratch_load_b32 v57, off, off offset:16
	s_mov_b32 s0, exec_lo
	s_waitcnt vmcnt(0)
	ds_store_b32 v55, v57
	s_waitcnt lgkmcnt(0)
	s_barrier
	buffer_gl0_inv
	v_cmpx_gt_u32_e32 4, v0
	s_cbranch_execz .LBB89_25
; %bb.22:
	v_dual_mov_b32 v57, 0 :: v_dual_add_nc_u32 v58, -1, v0
	v_add_nc_u32_e32 v59, 0x70, v53
	v_add_nc_u32_e32 v60, 0, v53
	s_mov_b32 s1, 0
.LBB89_23:                              ; =>This Inner Loop Header: Depth=1
	scratch_load_b32 v61, v60, off
	ds_load_b32 v62, v59
	v_add_nc_u32_e32 v58, 1, v58
	v_add_nc_u32_e32 v59, 4, v59
	v_add_nc_u32_e32 v60, 4, v60
	s_delay_alu instid0(VALU_DEP_3)
	v_cmp_lt_u32_e32 vcc_lo, 2, v58
	s_or_b32 s1, vcc_lo, s1
	s_waitcnt vmcnt(0) lgkmcnt(0)
	v_fmac_f32_e32 v57, v61, v62
	s_and_not1_b32 exec_lo, exec_lo, s1
	s_cbranch_execnz .LBB89_23
; %bb.24:
	s_or_b32 exec_lo, exec_lo, s1
	v_mov_b32_e32 v58, 0
	ds_load_b32 v58, v58 offset:16
	s_waitcnt lgkmcnt(0)
	v_mul_f32_e32 v57, v57, v58
	scratch_store_b32 off, v57, off offset:16
.LBB89_25:
	s_or_b32 exec_lo, exec_lo, s0
	s_waitcnt_vscnt null, 0x0
	s_barrier
	buffer_gl0_inv
	scratch_load_b32 v57, off, off offset:20
	;; [unrolled: 39-line block ×21, first 2 shown]
	s_mov_b32 s0, exec_lo
	s_waitcnt vmcnt(0)
	ds_store_b32 v55, v57
	s_waitcnt lgkmcnt(0)
	s_barrier
	buffer_gl0_inv
	v_cmpx_gt_u32_e32 24, v0
	s_cbranch_execz .LBB89_105
; %bb.102:
	v_add_nc_u32_e32 v57, -1, v0
	v_add_nc_u32_e32 v58, 0x70, v53
	v_add_nc_u32_e32 v59, 0, v53
	v_mov_b32_e32 v53, 0
	s_mov_b32 s1, 0
.LBB89_103:                             ; =>This Inner Loop Header: Depth=1
	scratch_load_b32 v60, v59, off
	ds_load_b32 v61, v58
	v_add_nc_u32_e32 v57, 1, v57
	v_add_nc_u32_e32 v58, 4, v58
	;; [unrolled: 1-line block ×3, first 2 shown]
	s_delay_alu instid0(VALU_DEP_3)
	v_cmp_lt_u32_e32 vcc_lo, 22, v57
	s_or_b32 s1, vcc_lo, s1
	s_waitcnt vmcnt(0) lgkmcnt(0)
	v_fmac_f32_e32 v53, v60, v61
	s_and_not1_b32 exec_lo, exec_lo, s1
	s_cbranch_execnz .LBB89_103
; %bb.104:
	s_or_b32 exec_lo, exec_lo, s1
	v_mov_b32_e32 v57, 0
	ds_load_b32 v57, v57 offset:96
	s_waitcnt lgkmcnt(0)
	v_mul_f32_e32 v53, v53, v57
	scratch_store_b32 off, v53, off offset:96
.LBB89_105:
	s_or_b32 exec_lo, exec_lo, s0
	s_waitcnt_vscnt null, 0x0
	s_barrier
	buffer_gl0_inv
	scratch_load_b32 v53, off, off offset:100
	s_mov_b32 s0, exec_lo
	s_waitcnt vmcnt(0)
	ds_store_b32 v55, v53
	s_waitcnt lgkmcnt(0)
	s_barrier
	buffer_gl0_inv
	v_cmpx_ne_u32_e32 25, v0
	s_cbranch_execz .LBB89_109
; %bb.106:
	v_mov_b32_e32 v53, 0
	s_mov_b32 s1, 0
.LBB89_107:                             ; =>This Inner Loop Header: Depth=1
	scratch_load_b32 v57, v54, off
	ds_load_b32 v58, v55
	v_add_nc_u32_e32 v56, 1, v56
	v_add_nc_u32_e32 v55, 4, v55
	;; [unrolled: 1-line block ×3, first 2 shown]
	s_waitcnt vmcnt(0) lgkmcnt(0)
	v_fmac_f32_e32 v53, v57, v58
	v_cmp_lt_u32_e32 vcc_lo, 23, v56
	s_or_b32 s1, vcc_lo, s1
	s_delay_alu instid0(SALU_CYCLE_1)
	s_and_not1_b32 exec_lo, exec_lo, s1
	s_cbranch_execnz .LBB89_107
; %bb.108:
	s_or_b32 exec_lo, exec_lo, s1
	v_mov_b32_e32 v54, 0
	ds_load_b32 v54, v54 offset:100
	s_waitcnt lgkmcnt(0)
	v_mul_f32_e32 v53, v53, v54
	scratch_store_b32 off, v53, off offset:100
.LBB89_109:
	s_or_b32 exec_lo, exec_lo, s0
	s_mov_b32 s1, -1
	s_waitcnt_vscnt null, 0x0
	s_barrier
	buffer_gl0_inv
.LBB89_110:
	s_and_b32 vcc_lo, exec_lo, s1
	s_cbranch_vccz .LBB89_112
; %bb.111:
	s_lshl_b64 s[0:1], s[8:9], 2
	v_mov_b32_e32 v53, 0
	s_add_u32 s0, s6, s0
	s_addc_u32 s1, s7, s1
	global_load_b32 v53, v53, s[0:1]
	s_waitcnt vmcnt(0)
	v_cmp_ne_u32_e32 vcc_lo, 0, v53
	s_cbranch_vccz .LBB89_113
.LBB89_112:
	s_endpgm
.LBB89_113:
	v_lshl_add_u32 v53, v0, 2, 0x70
	s_mov_b32 s0, exec_lo
	v_cmpx_eq_u32_e32 25, v0
	s_cbranch_execz .LBB89_115
; %bb.114:
	scratch_load_b32 v54, off, off offset:96
	v_mov_b32_e32 v55, 0
	scratch_store_b32 off, v55, off offset:96
	s_waitcnt vmcnt(0)
	ds_store_b32 v53, v54
.LBB89_115:
	s_or_b32 exec_lo, exec_lo, s0
	s_waitcnt lgkmcnt(0)
	s_waitcnt_vscnt null, 0x0
	s_barrier
	buffer_gl0_inv
	scratch_load_b64 v[55:56], off, off offset:96
	v_mov_b32_e32 v54, 0
	s_mov_b32 s0, exec_lo
	ds_load_b32 v57, v54 offset:212
	s_waitcnt vmcnt(0) lgkmcnt(0)
	v_fma_f32 v56, v56, v57, 0
	s_delay_alu instid0(VALU_DEP_1)
	v_sub_f32_e32 v55, v55, v56
	scratch_store_b32 off, v55, off offset:96
	v_cmpx_lt_u32_e32 23, v0
	s_cbranch_execz .LBB89_117
; %bb.116:
	scratch_load_b32 v55, off, off offset:92
	scratch_store_b32 off, v54, off offset:92
	s_waitcnt vmcnt(0)
	ds_store_b32 v53, v55
.LBB89_117:
	s_or_b32 exec_lo, exec_lo, s0
	s_waitcnt lgkmcnt(0)
	s_waitcnt_vscnt null, 0x0
	s_barrier
	buffer_gl0_inv
	scratch_load_b96 v[55:57], off, off offset:92
	ds_load_b64 v[58:59], v54 offset:208
	s_mov_b32 s0, exec_lo
	s_waitcnt vmcnt(0) lgkmcnt(0)
	v_fma_f32 v54, v56, v58, 0
	s_delay_alu instid0(VALU_DEP_1) | instskip(NEXT) | instid1(VALU_DEP_1)
	v_fmac_f32_e32 v54, v57, v59
	v_sub_f32_e32 v54, v55, v54
	scratch_store_b32 off, v54, off offset:92
	v_cmpx_lt_u32_e32 22, v0
	s_cbranch_execz .LBB89_119
; %bb.118:
	scratch_load_b32 v54, off, off offset:88
	v_mov_b32_e32 v55, 0
	scratch_store_b32 off, v55, off offset:88
	s_waitcnt vmcnt(0)
	ds_store_b32 v53, v54
.LBB89_119:
	s_or_b32 exec_lo, exec_lo, s0
	s_waitcnt lgkmcnt(0)
	s_waitcnt_vscnt null, 0x0
	s_barrier
	buffer_gl0_inv
	scratch_load_b128 v[55:58], off, off offset:88
	v_mov_b32_e32 v54, 0
	ds_load_2addr_b32 v[59:60], v54 offset0:51 offset1:52
	ds_load_b32 v61, v54 offset:212
	s_mov_b32 s0, exec_lo
	s_waitcnt vmcnt(0) lgkmcnt(1)
	v_fma_f32 v56, v56, v59, 0
	s_delay_alu instid0(VALU_DEP_1) | instskip(SKIP_1) | instid1(VALU_DEP_1)
	v_fmac_f32_e32 v56, v57, v60
	s_waitcnt lgkmcnt(0)
	v_fmac_f32_e32 v56, v58, v61
	s_delay_alu instid0(VALU_DEP_1)
	v_sub_f32_e32 v55, v55, v56
	scratch_store_b32 off, v55, off offset:88
	v_cmpx_lt_u32_e32 21, v0
	s_cbranch_execz .LBB89_121
; %bb.120:
	scratch_load_b32 v55, off, off offset:84
	scratch_store_b32 off, v54, off offset:84
	s_waitcnt vmcnt(0)
	ds_store_b32 v53, v55
.LBB89_121:
	s_or_b32 exec_lo, exec_lo, s0
	s_waitcnt lgkmcnt(0)
	s_waitcnt_vscnt null, 0x0
	s_barrier
	buffer_gl0_inv
	s_clause 0x1
	scratch_load_b128 v[55:58], off, off offset:84
	scratch_load_b32 v63, off, off offset:100
	ds_load_2addr_b64 v[59:62], v54 offset0:25 offset1:26
	s_mov_b32 s0, exec_lo
	s_waitcnt vmcnt(1) lgkmcnt(0)
	v_fma_f32 v54, v56, v59, 0
	s_delay_alu instid0(VALU_DEP_1) | instskip(NEXT) | instid1(VALU_DEP_1)
	v_fmac_f32_e32 v54, v57, v60
	v_fmac_f32_e32 v54, v58, v61
	s_waitcnt vmcnt(0)
	s_delay_alu instid0(VALU_DEP_1) | instskip(NEXT) | instid1(VALU_DEP_1)
	v_fmac_f32_e32 v54, v63, v62
	v_sub_f32_e32 v54, v55, v54
	scratch_store_b32 off, v54, off offset:84
	v_cmpx_lt_u32_e32 20, v0
	s_cbranch_execz .LBB89_123
; %bb.122:
	scratch_load_b32 v54, off, off offset:80
	v_mov_b32_e32 v55, 0
	scratch_store_b32 off, v55, off offset:80
	s_waitcnt vmcnt(0)
	ds_store_b32 v53, v54
.LBB89_123:
	s_or_b32 exec_lo, exec_lo, s0
	s_waitcnt lgkmcnt(0)
	s_waitcnt_vscnt null, 0x0
	s_barrier
	buffer_gl0_inv
	s_clause 0x1
	scratch_load_b128 v[55:58], off, off offset:80
	scratch_load_b64 v[59:60], off, off offset:96
	v_mov_b32_e32 v54, 0
	ds_load_2addr_b32 v[61:62], v54 offset0:49 offset1:50
	ds_load_2addr_b32 v[63:64], v54 offset0:51 offset1:52
	ds_load_b32 v65, v54 offset:212
	s_mov_b32 s0, exec_lo
	s_waitcnt vmcnt(1) lgkmcnt(2)
	v_fma_f32 v56, v56, v61, 0
	s_delay_alu instid0(VALU_DEP_1) | instskip(SKIP_1) | instid1(VALU_DEP_1)
	v_fmac_f32_e32 v56, v57, v62
	s_waitcnt lgkmcnt(1)
	v_fmac_f32_e32 v56, v58, v63
	s_waitcnt vmcnt(0)
	s_delay_alu instid0(VALU_DEP_1) | instskip(SKIP_1) | instid1(VALU_DEP_1)
	v_fmac_f32_e32 v56, v59, v64
	s_waitcnt lgkmcnt(0)
	v_fmac_f32_e32 v56, v60, v65
	s_delay_alu instid0(VALU_DEP_1)
	v_sub_f32_e32 v55, v55, v56
	scratch_store_b32 off, v55, off offset:80
	v_cmpx_lt_u32_e32 19, v0
	s_cbranch_execz .LBB89_125
; %bb.124:
	scratch_load_b32 v55, off, off offset:76
	scratch_store_b32 off, v54, off offset:76
	s_waitcnt vmcnt(0)
	ds_store_b32 v53, v55
.LBB89_125:
	s_or_b32 exec_lo, exec_lo, s0
	s_waitcnt lgkmcnt(0)
	s_waitcnt_vscnt null, 0x0
	s_barrier
	buffer_gl0_inv
	s_clause 0x1
	scratch_load_b128 v[55:58], off, off offset:76
	scratch_load_b96 v[63:65], off, off offset:92
	ds_load_b128 v[59:62], v54 offset:192
	ds_load_b64 v[66:67], v54 offset:208
	s_mov_b32 s0, exec_lo
	s_waitcnt vmcnt(1) lgkmcnt(1)
	v_fma_f32 v54, v56, v59, 0
	s_delay_alu instid0(VALU_DEP_1) | instskip(NEXT) | instid1(VALU_DEP_1)
	v_fmac_f32_e32 v54, v57, v60
	v_fmac_f32_e32 v54, v58, v61
	s_waitcnt vmcnt(0)
	s_delay_alu instid0(VALU_DEP_1) | instskip(SKIP_1) | instid1(VALU_DEP_1)
	v_fmac_f32_e32 v54, v63, v62
	s_waitcnt lgkmcnt(0)
	v_fmac_f32_e32 v54, v64, v66
	s_delay_alu instid0(VALU_DEP_1) | instskip(NEXT) | instid1(VALU_DEP_1)
	v_fmac_f32_e32 v54, v65, v67
	v_sub_f32_e32 v54, v55, v54
	scratch_store_b32 off, v54, off offset:76
	v_cmpx_lt_u32_e32 18, v0
	s_cbranch_execz .LBB89_127
; %bb.126:
	scratch_load_b32 v54, off, off offset:72
	v_mov_b32_e32 v55, 0
	scratch_store_b32 off, v55, off offset:72
	s_waitcnt vmcnt(0)
	ds_store_b32 v53, v54
.LBB89_127:
	s_or_b32 exec_lo, exec_lo, s0
	s_waitcnt lgkmcnt(0)
	s_waitcnt_vscnt null, 0x0
	s_barrier
	buffer_gl0_inv
	s_clause 0x1
	scratch_load_b128 v[55:58], off, off offset:72
	scratch_load_b128 v[59:62], off, off offset:88
	v_mov_b32_e32 v54, 0
	ds_load_2addr_b32 v[63:64], v54 offset0:47 offset1:48
	ds_load_2addr_b32 v[65:66], v54 offset0:49 offset1:50
	;; [unrolled: 1-line block ×3, first 2 shown]
	ds_load_b32 v69, v54 offset:212
	s_mov_b32 s0, exec_lo
	s_waitcnt vmcnt(1) lgkmcnt(3)
	v_fma_f32 v56, v56, v63, 0
	s_delay_alu instid0(VALU_DEP_1) | instskip(SKIP_1) | instid1(VALU_DEP_1)
	v_fmac_f32_e32 v56, v57, v64
	s_waitcnt lgkmcnt(2)
	v_fmac_f32_e32 v56, v58, v65
	s_waitcnt vmcnt(0)
	s_delay_alu instid0(VALU_DEP_1) | instskip(SKIP_1) | instid1(VALU_DEP_1)
	v_fmac_f32_e32 v56, v59, v66
	s_waitcnt lgkmcnt(1)
	v_fmac_f32_e32 v56, v60, v67
	s_delay_alu instid0(VALU_DEP_1) | instskip(SKIP_1) | instid1(VALU_DEP_1)
	v_fmac_f32_e32 v56, v61, v68
	s_waitcnt lgkmcnt(0)
	v_fmac_f32_e32 v56, v62, v69
	s_delay_alu instid0(VALU_DEP_1)
	v_sub_f32_e32 v55, v55, v56
	scratch_store_b32 off, v55, off offset:72
	v_cmpx_lt_u32_e32 17, v0
	s_cbranch_execz .LBB89_129
; %bb.128:
	scratch_load_b32 v55, off, off offset:68
	scratch_store_b32 off, v54, off offset:68
	s_waitcnt vmcnt(0)
	ds_store_b32 v53, v55
.LBB89_129:
	s_or_b32 exec_lo, exec_lo, s0
	s_waitcnt lgkmcnt(0)
	s_waitcnt_vscnt null, 0x0
	s_barrier
	buffer_gl0_inv
	s_clause 0x2
	scratch_load_b128 v[55:58], off, off offset:68
	scratch_load_b128 v[59:62], off, off offset:84
	scratch_load_b32 v71, off, off offset:100
	ds_load_2addr_b64 v[63:66], v54 offset0:23 offset1:24
	ds_load_2addr_b64 v[67:70], v54 offset0:25 offset1:26
	s_mov_b32 s0, exec_lo
	s_waitcnt vmcnt(2) lgkmcnt(1)
	v_fma_f32 v54, v56, v63, 0
	s_delay_alu instid0(VALU_DEP_1) | instskip(NEXT) | instid1(VALU_DEP_1)
	v_fmac_f32_e32 v54, v57, v64
	v_fmac_f32_e32 v54, v58, v65
	s_waitcnt vmcnt(1)
	s_delay_alu instid0(VALU_DEP_1) | instskip(SKIP_1) | instid1(VALU_DEP_1)
	v_fmac_f32_e32 v54, v59, v66
	s_waitcnt lgkmcnt(0)
	v_fmac_f32_e32 v54, v60, v67
	s_delay_alu instid0(VALU_DEP_1) | instskip(NEXT) | instid1(VALU_DEP_1)
	v_fmac_f32_e32 v54, v61, v68
	v_fmac_f32_e32 v54, v62, v69
	s_waitcnt vmcnt(0)
	s_delay_alu instid0(VALU_DEP_1) | instskip(NEXT) | instid1(VALU_DEP_1)
	v_fmac_f32_e32 v54, v71, v70
	v_sub_f32_e32 v54, v55, v54
	scratch_store_b32 off, v54, off offset:68
	v_cmpx_lt_u32_e32 16, v0
	s_cbranch_execz .LBB89_131
; %bb.130:
	scratch_load_b32 v54, off, off offset:64
	v_mov_b32_e32 v55, 0
	scratch_store_b32 off, v55, off offset:64
	s_waitcnt vmcnt(0)
	ds_store_b32 v53, v54
.LBB89_131:
	s_or_b32 exec_lo, exec_lo, s0
	s_waitcnt lgkmcnt(0)
	s_waitcnt_vscnt null, 0x0
	s_barrier
	buffer_gl0_inv
	s_clause 0x2
	scratch_load_b128 v[55:58], off, off offset:64
	scratch_load_b128 v[59:62], off, off offset:80
	scratch_load_b64 v[63:64], off, off offset:96
	v_mov_b32_e32 v54, 0
	ds_load_2addr_b32 v[65:66], v54 offset0:45 offset1:46
	ds_load_2addr_b32 v[67:68], v54 offset0:47 offset1:48
	;; [unrolled: 1-line block ×4, first 2 shown]
	s_mov_b32 s0, exec_lo
	s_waitcnt vmcnt(2) lgkmcnt(3)
	v_fma_f32 v56, v56, v65, 0
	s_delay_alu instid0(VALU_DEP_1) | instskip(SKIP_4) | instid1(VALU_DEP_1)
	v_fmac_f32_e32 v56, v57, v66
	ds_load_b32 v57, v54 offset:212
	s_waitcnt lgkmcnt(3)
	v_fmac_f32_e32 v56, v58, v67
	s_waitcnt vmcnt(1)
	v_fmac_f32_e32 v56, v59, v68
	s_waitcnt lgkmcnt(2)
	s_delay_alu instid0(VALU_DEP_1) | instskip(NEXT) | instid1(VALU_DEP_1)
	v_fmac_f32_e32 v56, v60, v69
	v_fmac_f32_e32 v56, v61, v70
	s_waitcnt lgkmcnt(1)
	s_delay_alu instid0(VALU_DEP_1) | instskip(SKIP_1) | instid1(VALU_DEP_1)
	v_fmac_f32_e32 v56, v62, v71
	s_waitcnt vmcnt(0)
	v_fmac_f32_e32 v56, v63, v72
	s_waitcnt lgkmcnt(0)
	s_delay_alu instid0(VALU_DEP_1) | instskip(NEXT) | instid1(VALU_DEP_1)
	v_fmac_f32_e32 v56, v64, v57
	v_sub_f32_e32 v55, v55, v56
	scratch_store_b32 off, v55, off offset:64
	v_cmpx_lt_u32_e32 15, v0
	s_cbranch_execz .LBB89_133
; %bb.132:
	scratch_load_b32 v55, off, off offset:60
	scratch_store_b32 off, v54, off offset:60
	s_waitcnt vmcnt(0)
	ds_store_b32 v53, v55
.LBB89_133:
	s_or_b32 exec_lo, exec_lo, s0
	s_waitcnt lgkmcnt(0)
	s_waitcnt_vscnt null, 0x0
	s_barrier
	buffer_gl0_inv
	s_clause 0x2
	scratch_load_b128 v[55:58], off, off offset:60
	scratch_load_b128 v[59:62], off, off offset:76
	scratch_load_b96 v[71:73], off, off offset:92
	ds_load_b128 v[63:66], v54 offset:176
	ds_load_b128 v[67:70], v54 offset:192
	s_mov_b32 s0, exec_lo
	s_waitcnt vmcnt(2) lgkmcnt(1)
	v_fma_f32 v63, v56, v63, 0
	s_delay_alu instid0(VALU_DEP_1) | instskip(SKIP_3) | instid1(VALU_DEP_1)
	v_fmac_f32_e32 v63, v57, v64
	ds_load_b64 v[56:57], v54 offset:208
	v_fmac_f32_e32 v63, v58, v65
	s_waitcnt vmcnt(1)
	v_fmac_f32_e32 v63, v59, v66
	s_waitcnt lgkmcnt(1)
	s_delay_alu instid0(VALU_DEP_1) | instskip(NEXT) | instid1(VALU_DEP_1)
	v_fmac_f32_e32 v63, v60, v67
	v_fmac_f32_e32 v63, v61, v68
	s_delay_alu instid0(VALU_DEP_1) | instskip(SKIP_1) | instid1(VALU_DEP_1)
	v_fmac_f32_e32 v63, v62, v69
	s_waitcnt vmcnt(0)
	v_fmac_f32_e32 v63, v71, v70
	s_waitcnt lgkmcnt(0)
	s_delay_alu instid0(VALU_DEP_1) | instskip(NEXT) | instid1(VALU_DEP_1)
	v_fmac_f32_e32 v63, v72, v56
	v_fmac_f32_e32 v63, v73, v57
	s_delay_alu instid0(VALU_DEP_1)
	v_sub_f32_e32 v54, v55, v63
	scratch_store_b32 off, v54, off offset:60
	v_cmpx_lt_u32_e32 14, v0
	s_cbranch_execz .LBB89_135
; %bb.134:
	scratch_load_b32 v54, off, off offset:56
	v_mov_b32_e32 v55, 0
	scratch_store_b32 off, v55, off offset:56
	s_waitcnt vmcnt(0)
	ds_store_b32 v53, v54
.LBB89_135:
	s_or_b32 exec_lo, exec_lo, s0
	s_waitcnt lgkmcnt(0)
	s_waitcnt_vscnt null, 0x0
	s_barrier
	buffer_gl0_inv
	s_clause 0x2
	scratch_load_b128 v[55:58], off, off offset:56
	scratch_load_b128 v[59:62], off, off offset:72
	;; [unrolled: 1-line block ×3, first 2 shown]
	v_mov_b32_e32 v54, 0
	ds_load_2addr_b32 v[67:68], v54 offset0:43 offset1:44
	ds_load_2addr_b32 v[69:70], v54 offset0:45 offset1:46
	ds_load_2addr_b32 v[71:72], v54 offset0:47 offset1:48
	ds_load_2addr_b32 v[73:74], v54 offset0:49 offset1:50
	s_mov_b32 s0, exec_lo
	s_waitcnt vmcnt(2) lgkmcnt(3)
	v_fma_f32 v67, v56, v67, 0
	s_delay_alu instid0(VALU_DEP_1)
	v_fmac_f32_e32 v67, v57, v68
	ds_load_2addr_b32 v[56:57], v54 offset0:51 offset1:52
	s_waitcnt lgkmcnt(3)
	v_fmac_f32_e32 v67, v58, v69
	ds_load_b32 v58, v54 offset:212
	s_waitcnt vmcnt(1)
	v_fmac_f32_e32 v67, v59, v70
	s_waitcnt lgkmcnt(3)
	s_delay_alu instid0(VALU_DEP_1) | instskip(NEXT) | instid1(VALU_DEP_1)
	v_fmac_f32_e32 v67, v60, v71
	v_fmac_f32_e32 v67, v61, v72
	s_waitcnt lgkmcnt(2)
	s_delay_alu instid0(VALU_DEP_1) | instskip(SKIP_1) | instid1(VALU_DEP_1)
	v_fmac_f32_e32 v67, v62, v73
	s_waitcnt vmcnt(0)
	v_fmac_f32_e32 v67, v63, v74
	s_waitcnt lgkmcnt(1)
	s_delay_alu instid0(VALU_DEP_1) | instskip(NEXT) | instid1(VALU_DEP_1)
	v_fmac_f32_e32 v67, v64, v56
	v_fmac_f32_e32 v67, v65, v57
	s_waitcnt lgkmcnt(0)
	s_delay_alu instid0(VALU_DEP_1) | instskip(NEXT) | instid1(VALU_DEP_1)
	v_fmac_f32_e32 v67, v66, v58
	v_sub_f32_e32 v55, v55, v67
	scratch_store_b32 off, v55, off offset:56
	v_cmpx_lt_u32_e32 13, v0
	s_cbranch_execz .LBB89_137
; %bb.136:
	scratch_load_b32 v55, off, off offset:52
	scratch_store_b32 off, v54, off offset:52
	s_waitcnt vmcnt(0)
	ds_store_b32 v53, v55
.LBB89_137:
	s_or_b32 exec_lo, exec_lo, s0
	s_waitcnt lgkmcnt(0)
	s_waitcnt_vscnt null, 0x0
	s_barrier
	buffer_gl0_inv
	s_clause 0x3
	scratch_load_b128 v[55:58], off, off offset:52
	scratch_load_b128 v[59:62], off, off offset:68
	scratch_load_b128 v[63:66], off, off offset:84
	scratch_load_b32 v75, off, off offset:100
	ds_load_2addr_b64 v[67:70], v54 offset0:21 offset1:22
	ds_load_2addr_b64 v[71:74], v54 offset0:23 offset1:24
	s_mov_b32 s0, exec_lo
	s_waitcnt vmcnt(3) lgkmcnt(1)
	v_fma_f32 v67, v56, v67, 0
	s_delay_alu instid0(VALU_DEP_1) | instskip(NEXT) | instid1(VALU_DEP_1)
	v_fmac_f32_e32 v67, v57, v68
	v_fmac_f32_e32 v67, v58, v69
	s_waitcnt vmcnt(2)
	s_delay_alu instid0(VALU_DEP_1) | instskip(SKIP_3) | instid1(VALU_DEP_1)
	v_fmac_f32_e32 v67, v59, v70
	ds_load_2addr_b64 v[56:59], v54 offset0:25 offset1:26
	s_waitcnt lgkmcnt(1)
	v_fmac_f32_e32 v67, v60, v71
	v_fmac_f32_e32 v67, v61, v72
	s_delay_alu instid0(VALU_DEP_1) | instskip(SKIP_1) | instid1(VALU_DEP_1)
	v_fmac_f32_e32 v67, v62, v73
	s_waitcnt vmcnt(1)
	v_fmac_f32_e32 v67, v63, v74
	s_waitcnt lgkmcnt(0)
	s_delay_alu instid0(VALU_DEP_1) | instskip(NEXT) | instid1(VALU_DEP_1)
	v_fmac_f32_e32 v67, v64, v56
	v_fmac_f32_e32 v67, v65, v57
	s_delay_alu instid0(VALU_DEP_1) | instskip(SKIP_1) | instid1(VALU_DEP_1)
	v_fmac_f32_e32 v67, v66, v58
	s_waitcnt vmcnt(0)
	v_fmac_f32_e32 v67, v75, v59
	s_delay_alu instid0(VALU_DEP_1)
	v_sub_f32_e32 v54, v55, v67
	scratch_store_b32 off, v54, off offset:52
	v_cmpx_lt_u32_e32 12, v0
	s_cbranch_execz .LBB89_139
; %bb.138:
	scratch_load_b32 v54, off, off offset:48
	v_mov_b32_e32 v55, 0
	scratch_store_b32 off, v55, off offset:48
	s_waitcnt vmcnt(0)
	ds_store_b32 v53, v54
.LBB89_139:
	s_or_b32 exec_lo, exec_lo, s0
	s_waitcnt lgkmcnt(0)
	s_waitcnt_vscnt null, 0x0
	s_barrier
	buffer_gl0_inv
	s_clause 0x3
	scratch_load_b128 v[55:58], off, off offset:48
	scratch_load_b128 v[59:62], off, off offset:64
	scratch_load_b128 v[63:66], off, off offset:80
	scratch_load_b64 v[67:68], off, off offset:96
	v_mov_b32_e32 v54, 0
	ds_load_2addr_b32 v[69:70], v54 offset0:41 offset1:42
	ds_load_2addr_b32 v[71:72], v54 offset0:43 offset1:44
	;; [unrolled: 1-line block ×4, first 2 shown]
	s_mov_b32 s0, exec_lo
	s_waitcnt vmcnt(3) lgkmcnt(3)
	v_fma_f32 v69, v56, v69, 0
	s_delay_alu instid0(VALU_DEP_1) | instskip(SKIP_4) | instid1(VALU_DEP_1)
	v_fmac_f32_e32 v69, v57, v70
	ds_load_2addr_b32 v[56:57], v54 offset0:49 offset1:50
	s_waitcnt lgkmcnt(3)
	v_fmac_f32_e32 v69, v58, v71
	s_waitcnt vmcnt(2)
	v_fmac_f32_e32 v69, v59, v72
	ds_load_2addr_b32 v[58:59], v54 offset0:51 offset1:52
	s_waitcnt lgkmcnt(3)
	v_fmac_f32_e32 v69, v60, v73
	ds_load_b32 v60, v54 offset:212
	v_fmac_f32_e32 v69, v61, v74
	s_waitcnt lgkmcnt(3)
	s_delay_alu instid0(VALU_DEP_1) | instskip(SKIP_1) | instid1(VALU_DEP_1)
	v_fmac_f32_e32 v69, v62, v75
	s_waitcnt vmcnt(1)
	v_fmac_f32_e32 v69, v63, v76
	s_waitcnt lgkmcnt(2)
	s_delay_alu instid0(VALU_DEP_1) | instskip(NEXT) | instid1(VALU_DEP_1)
	v_fmac_f32_e32 v69, v64, v56
	v_fmac_f32_e32 v69, v65, v57
	s_waitcnt lgkmcnt(1)
	s_delay_alu instid0(VALU_DEP_1) | instskip(SKIP_1) | instid1(VALU_DEP_1)
	v_fmac_f32_e32 v69, v66, v58
	s_waitcnt vmcnt(0)
	v_fmac_f32_e32 v69, v67, v59
	s_waitcnt lgkmcnt(0)
	s_delay_alu instid0(VALU_DEP_1) | instskip(NEXT) | instid1(VALU_DEP_1)
	v_fmac_f32_e32 v69, v68, v60
	v_sub_f32_e32 v55, v55, v69
	scratch_store_b32 off, v55, off offset:48
	v_cmpx_lt_u32_e32 11, v0
	s_cbranch_execz .LBB89_141
; %bb.140:
	scratch_load_b32 v55, off, off offset:44
	scratch_store_b32 off, v54, off offset:44
	s_waitcnt vmcnt(0)
	ds_store_b32 v53, v55
.LBB89_141:
	s_or_b32 exec_lo, exec_lo, s0
	s_waitcnt lgkmcnt(0)
	s_waitcnt_vscnt null, 0x0
	s_barrier
	buffer_gl0_inv
	s_clause 0x3
	scratch_load_b128 v[55:58], off, off offset:44
	scratch_load_b128 v[59:62], off, off offset:60
	;; [unrolled: 1-line block ×3, first 2 shown]
	scratch_load_b96 v[75:77], off, off offset:92
	ds_load_b128 v[67:70], v54 offset:160
	ds_load_b128 v[71:74], v54 offset:176
	s_mov_b32 s0, exec_lo
	s_waitcnt vmcnt(3) lgkmcnt(1)
	v_fma_f32 v67, v56, v67, 0
	s_delay_alu instid0(VALU_DEP_1) | instskip(NEXT) | instid1(VALU_DEP_1)
	v_fmac_f32_e32 v67, v57, v68
	v_fmac_f32_e32 v67, v58, v69
	s_waitcnt vmcnt(2)
	s_delay_alu instid0(VALU_DEP_1) | instskip(SKIP_3) | instid1(VALU_DEP_1)
	v_fmac_f32_e32 v67, v59, v70
	ds_load_b128 v[56:59], v54 offset:192
	s_waitcnt lgkmcnt(1)
	v_fmac_f32_e32 v67, v60, v71
	v_fmac_f32_e32 v67, v61, v72
	ds_load_b64 v[60:61], v54 offset:208
	v_fmac_f32_e32 v67, v62, v73
	s_waitcnt vmcnt(1)
	s_delay_alu instid0(VALU_DEP_1) | instskip(SKIP_1) | instid1(VALU_DEP_1)
	v_fmac_f32_e32 v67, v63, v74
	s_waitcnt lgkmcnt(1)
	v_fmac_f32_e32 v67, v64, v56
	s_delay_alu instid0(VALU_DEP_1) | instskip(NEXT) | instid1(VALU_DEP_1)
	v_fmac_f32_e32 v67, v65, v57
	v_fmac_f32_e32 v67, v66, v58
	s_waitcnt vmcnt(0)
	s_delay_alu instid0(VALU_DEP_1) | instskip(SKIP_1) | instid1(VALU_DEP_1)
	v_fmac_f32_e32 v67, v75, v59
	s_waitcnt lgkmcnt(0)
	v_fmac_f32_e32 v67, v76, v60
	s_delay_alu instid0(VALU_DEP_1) | instskip(NEXT) | instid1(VALU_DEP_1)
	v_fmac_f32_e32 v67, v77, v61
	v_sub_f32_e32 v54, v55, v67
	scratch_store_b32 off, v54, off offset:44
	v_cmpx_lt_u32_e32 10, v0
	s_cbranch_execz .LBB89_143
; %bb.142:
	scratch_load_b32 v54, off, off offset:40
	v_mov_b32_e32 v55, 0
	scratch_store_b32 off, v55, off offset:40
	s_waitcnt vmcnt(0)
	ds_store_b32 v53, v54
.LBB89_143:
	s_or_b32 exec_lo, exec_lo, s0
	s_waitcnt lgkmcnt(0)
	s_waitcnt_vscnt null, 0x0
	s_barrier
	buffer_gl0_inv
	s_clause 0x3
	scratch_load_b128 v[55:58], off, off offset:40
	scratch_load_b128 v[59:62], off, off offset:56
	;; [unrolled: 1-line block ×4, first 2 shown]
	v_mov_b32_e32 v54, 0
	ds_load_2addr_b32 v[71:72], v54 offset0:39 offset1:40
	ds_load_2addr_b32 v[73:74], v54 offset0:41 offset1:42
	;; [unrolled: 1-line block ×4, first 2 shown]
	s_mov_b32 s0, exec_lo
	s_waitcnt vmcnt(3) lgkmcnt(3)
	v_fma_f32 v71, v56, v71, 0
	s_delay_alu instid0(VALU_DEP_1) | instskip(SKIP_4) | instid1(VALU_DEP_1)
	v_fmac_f32_e32 v71, v57, v72
	ds_load_2addr_b32 v[56:57], v54 offset0:47 offset1:48
	s_waitcnt lgkmcnt(3)
	v_fmac_f32_e32 v71, v58, v73
	s_waitcnt vmcnt(2)
	v_fmac_f32_e32 v71, v59, v74
	ds_load_2addr_b32 v[58:59], v54 offset0:49 offset1:50
	s_waitcnt lgkmcnt(3)
	v_fmac_f32_e32 v71, v60, v75
	s_delay_alu instid0(VALU_DEP_1) | instskip(SKIP_1) | instid1(VALU_DEP_1)
	v_fmac_f32_e32 v71, v61, v76
	s_waitcnt lgkmcnt(2)
	v_fmac_f32_e32 v71, v62, v77
	ds_load_2addr_b32 v[60:61], v54 offset0:51 offset1:52
	ds_load_b32 v62, v54 offset:212
	s_waitcnt vmcnt(1)
	v_fmac_f32_e32 v71, v63, v78
	s_waitcnt lgkmcnt(3)
	s_delay_alu instid0(VALU_DEP_1) | instskip(NEXT) | instid1(VALU_DEP_1)
	v_fmac_f32_e32 v71, v64, v56
	v_fmac_f32_e32 v71, v65, v57
	s_waitcnt lgkmcnt(2)
	s_delay_alu instid0(VALU_DEP_1) | instskip(SKIP_1) | instid1(VALU_DEP_1)
	v_fmac_f32_e32 v71, v66, v58
	s_waitcnt vmcnt(0)
	v_fmac_f32_e32 v71, v67, v59
	s_waitcnt lgkmcnt(1)
	s_delay_alu instid0(VALU_DEP_1) | instskip(NEXT) | instid1(VALU_DEP_1)
	v_fmac_f32_e32 v71, v68, v60
	v_fmac_f32_e32 v71, v69, v61
	s_waitcnt lgkmcnt(0)
	s_delay_alu instid0(VALU_DEP_1) | instskip(NEXT) | instid1(VALU_DEP_1)
	v_fmac_f32_e32 v71, v70, v62
	v_sub_f32_e32 v55, v55, v71
	scratch_store_b32 off, v55, off offset:40
	v_cmpx_lt_u32_e32 9, v0
	s_cbranch_execz .LBB89_145
; %bb.144:
	scratch_load_b32 v55, off, off offset:36
	scratch_store_b32 off, v54, off offset:36
	s_waitcnt vmcnt(0)
	ds_store_b32 v53, v55
.LBB89_145:
	s_or_b32 exec_lo, exec_lo, s0
	s_waitcnt lgkmcnt(0)
	s_waitcnt_vscnt null, 0x0
	s_barrier
	buffer_gl0_inv
	s_clause 0x4
	scratch_load_b128 v[55:58], off, off offset:36
	scratch_load_b128 v[59:62], off, off offset:52
	;; [unrolled: 1-line block ×4, first 2 shown]
	scratch_load_b32 v79, off, off offset:100
	ds_load_2addr_b64 v[71:74], v54 offset0:19 offset1:20
	ds_load_2addr_b64 v[75:78], v54 offset0:21 offset1:22
	s_mov_b32 s0, exec_lo
	s_waitcnt vmcnt(4) lgkmcnt(1)
	v_fma_f32 v71, v56, v71, 0
	s_delay_alu instid0(VALU_DEP_1) | instskip(NEXT) | instid1(VALU_DEP_1)
	v_fmac_f32_e32 v71, v57, v72
	v_fmac_f32_e32 v71, v58, v73
	s_waitcnt vmcnt(3)
	s_delay_alu instid0(VALU_DEP_1) | instskip(SKIP_3) | instid1(VALU_DEP_1)
	v_fmac_f32_e32 v71, v59, v74
	ds_load_2addr_b64 v[56:59], v54 offset0:23 offset1:24
	s_waitcnt lgkmcnt(1)
	v_fmac_f32_e32 v71, v60, v75
	v_fmac_f32_e32 v71, v61, v76
	s_delay_alu instid0(VALU_DEP_1) | instskip(SKIP_1) | instid1(VALU_DEP_1)
	v_fmac_f32_e32 v71, v62, v77
	s_waitcnt vmcnt(2)
	v_fmac_f32_e32 v71, v63, v78
	ds_load_2addr_b64 v[60:63], v54 offset0:25 offset1:26
	s_waitcnt lgkmcnt(1)
	v_fmac_f32_e32 v71, v64, v56
	s_delay_alu instid0(VALU_DEP_1) | instskip(NEXT) | instid1(VALU_DEP_1)
	v_fmac_f32_e32 v71, v65, v57
	v_fmac_f32_e32 v71, v66, v58
	s_waitcnt vmcnt(1)
	s_delay_alu instid0(VALU_DEP_1) | instskip(SKIP_1) | instid1(VALU_DEP_1)
	v_fmac_f32_e32 v71, v67, v59
	s_waitcnt lgkmcnt(0)
	v_fmac_f32_e32 v71, v68, v60
	s_delay_alu instid0(VALU_DEP_1) | instskip(NEXT) | instid1(VALU_DEP_1)
	v_fmac_f32_e32 v71, v69, v61
	v_fmac_f32_e32 v71, v70, v62
	s_waitcnt vmcnt(0)
	s_delay_alu instid0(VALU_DEP_1) | instskip(NEXT) | instid1(VALU_DEP_1)
	v_fmac_f32_e32 v71, v79, v63
	v_sub_f32_e32 v54, v55, v71
	scratch_store_b32 off, v54, off offset:36
	v_cmpx_lt_u32_e32 8, v0
	s_cbranch_execz .LBB89_147
; %bb.146:
	scratch_load_b32 v54, off, off offset:32
	v_mov_b32_e32 v55, 0
	scratch_store_b32 off, v55, off offset:32
	s_waitcnt vmcnt(0)
	ds_store_b32 v53, v54
.LBB89_147:
	s_or_b32 exec_lo, exec_lo, s0
	s_waitcnt lgkmcnt(0)
	s_waitcnt_vscnt null, 0x0
	s_barrier
	buffer_gl0_inv
	s_clause 0x4
	scratch_load_b128 v[55:58], off, off offset:32
	scratch_load_b128 v[59:62], off, off offset:48
	;; [unrolled: 1-line block ×4, first 2 shown]
	scratch_load_b64 v[71:72], off, off offset:96
	v_mov_b32_e32 v54, 0
	ds_load_2addr_b32 v[73:74], v54 offset0:37 offset1:38
	ds_load_2addr_b32 v[75:76], v54 offset0:39 offset1:40
	;; [unrolled: 1-line block ×4, first 2 shown]
	s_mov_b32 s0, exec_lo
	s_waitcnt vmcnt(4) lgkmcnt(3)
	v_fma_f32 v73, v56, v73, 0
	s_delay_alu instid0(VALU_DEP_1) | instskip(SKIP_4) | instid1(VALU_DEP_1)
	v_fmac_f32_e32 v73, v57, v74
	ds_load_2addr_b32 v[56:57], v54 offset0:45 offset1:46
	s_waitcnt lgkmcnt(3)
	v_fmac_f32_e32 v73, v58, v75
	s_waitcnt vmcnt(3)
	v_fmac_f32_e32 v73, v59, v76
	ds_load_2addr_b32 v[58:59], v54 offset0:47 offset1:48
	s_waitcnt lgkmcnt(3)
	v_fmac_f32_e32 v73, v60, v77
	s_delay_alu instid0(VALU_DEP_1) | instskip(SKIP_1) | instid1(VALU_DEP_1)
	v_fmac_f32_e32 v73, v61, v78
	s_waitcnt lgkmcnt(2)
	v_fmac_f32_e32 v73, v62, v79
	s_waitcnt vmcnt(2)
	s_delay_alu instid0(VALU_DEP_1)
	v_fmac_f32_e32 v73, v63, v80
	ds_load_2addr_b32 v[60:61], v54 offset0:49 offset1:50
	ds_load_2addr_b32 v[62:63], v54 offset0:51 offset1:52
	s_waitcnt lgkmcnt(3)
	v_fmac_f32_e32 v73, v64, v56
	ds_load_b32 v56, v54 offset:212
	v_fmac_f32_e32 v73, v65, v57
	s_waitcnt lgkmcnt(3)
	s_delay_alu instid0(VALU_DEP_1) | instskip(SKIP_1) | instid1(VALU_DEP_1)
	v_fmac_f32_e32 v73, v66, v58
	s_waitcnt vmcnt(1)
	v_fmac_f32_e32 v73, v67, v59
	s_waitcnt lgkmcnt(2)
	s_delay_alu instid0(VALU_DEP_1) | instskip(NEXT) | instid1(VALU_DEP_1)
	v_fmac_f32_e32 v73, v68, v60
	v_fmac_f32_e32 v73, v69, v61
	s_waitcnt lgkmcnt(1)
	s_delay_alu instid0(VALU_DEP_1) | instskip(SKIP_1) | instid1(VALU_DEP_1)
	v_fmac_f32_e32 v73, v70, v62
	s_waitcnt vmcnt(0)
	v_fmac_f32_e32 v73, v71, v63
	s_waitcnt lgkmcnt(0)
	s_delay_alu instid0(VALU_DEP_1) | instskip(NEXT) | instid1(VALU_DEP_1)
	v_fmac_f32_e32 v73, v72, v56
	v_sub_f32_e32 v55, v55, v73
	scratch_store_b32 off, v55, off offset:32
	v_cmpx_lt_u32_e32 7, v0
	s_cbranch_execz .LBB89_149
; %bb.148:
	scratch_load_b32 v55, off, off offset:28
	scratch_store_b32 off, v54, off offset:28
	s_waitcnt vmcnt(0)
	ds_store_b32 v53, v55
.LBB89_149:
	s_or_b32 exec_lo, exec_lo, s0
	s_waitcnt lgkmcnt(0)
	s_waitcnt_vscnt null, 0x0
	s_barrier
	buffer_gl0_inv
	s_clause 0x4
	scratch_load_b128 v[55:58], off, off offset:28
	scratch_load_b128 v[59:62], off, off offset:44
	;; [unrolled: 1-line block ×4, first 2 shown]
	scratch_load_b96 v[79:81], off, off offset:92
	ds_load_b128 v[71:74], v54 offset:144
	ds_load_b128 v[75:78], v54 offset:160
	s_mov_b32 s0, exec_lo
	s_waitcnt vmcnt(4) lgkmcnt(1)
	v_fma_f32 v71, v56, v71, 0
	s_delay_alu instid0(VALU_DEP_1) | instskip(NEXT) | instid1(VALU_DEP_1)
	v_fmac_f32_e32 v71, v57, v72
	v_fmac_f32_e32 v71, v58, v73
	s_waitcnt vmcnt(3)
	s_delay_alu instid0(VALU_DEP_1) | instskip(SKIP_3) | instid1(VALU_DEP_1)
	v_fmac_f32_e32 v71, v59, v74
	ds_load_b128 v[56:59], v54 offset:176
	s_waitcnt lgkmcnt(1)
	v_fmac_f32_e32 v71, v60, v75
	v_fmac_f32_e32 v71, v61, v76
	s_delay_alu instid0(VALU_DEP_1) | instskip(SKIP_1) | instid1(VALU_DEP_1)
	v_fmac_f32_e32 v71, v62, v77
	s_waitcnt vmcnt(2)
	v_fmac_f32_e32 v71, v63, v78
	ds_load_b128 v[60:63], v54 offset:192
	s_waitcnt lgkmcnt(1)
	v_fmac_f32_e32 v71, v64, v56
	s_delay_alu instid0(VALU_DEP_1) | instskip(SKIP_3) | instid1(VALU_DEP_1)
	v_fmac_f32_e32 v71, v65, v57
	ds_load_b64 v[56:57], v54 offset:208
	v_fmac_f32_e32 v71, v66, v58
	s_waitcnt vmcnt(1)
	v_fmac_f32_e32 v71, v67, v59
	s_waitcnt lgkmcnt(1)
	s_delay_alu instid0(VALU_DEP_1) | instskip(NEXT) | instid1(VALU_DEP_1)
	v_fmac_f32_e32 v71, v68, v60
	v_fmac_f32_e32 v71, v69, v61
	s_delay_alu instid0(VALU_DEP_1) | instskip(SKIP_1) | instid1(VALU_DEP_1)
	v_fmac_f32_e32 v71, v70, v62
	s_waitcnt vmcnt(0)
	v_fmac_f32_e32 v71, v79, v63
	s_waitcnt lgkmcnt(0)
	s_delay_alu instid0(VALU_DEP_1) | instskip(NEXT) | instid1(VALU_DEP_1)
	v_fmac_f32_e32 v71, v80, v56
	v_fmac_f32_e32 v71, v81, v57
	s_delay_alu instid0(VALU_DEP_1)
	v_sub_f32_e32 v54, v55, v71
	scratch_store_b32 off, v54, off offset:28
	v_cmpx_lt_u32_e32 6, v0
	s_cbranch_execz .LBB89_151
; %bb.150:
	scratch_load_b32 v54, off, off offset:24
	v_mov_b32_e32 v55, 0
	scratch_store_b32 off, v55, off offset:24
	s_waitcnt vmcnt(0)
	ds_store_b32 v53, v54
.LBB89_151:
	s_or_b32 exec_lo, exec_lo, s0
	s_waitcnt lgkmcnt(0)
	s_waitcnt_vscnt null, 0x0
	s_barrier
	buffer_gl0_inv
	s_clause 0x4
	scratch_load_b128 v[55:58], off, off offset:24
	scratch_load_b128 v[59:62], off, off offset:40
	;; [unrolled: 1-line block ×5, first 2 shown]
	v_mov_b32_e32 v54, 0
	ds_load_2addr_b32 v[75:76], v54 offset0:35 offset1:36
	ds_load_2addr_b32 v[77:78], v54 offset0:37 offset1:38
	;; [unrolled: 1-line block ×4, first 2 shown]
	s_mov_b32 s0, exec_lo
	s_waitcnt vmcnt(4) lgkmcnt(3)
	v_fma_f32 v75, v56, v75, 0
	s_delay_alu instid0(VALU_DEP_1) | instskip(SKIP_4) | instid1(VALU_DEP_1)
	v_fmac_f32_e32 v75, v57, v76
	ds_load_2addr_b32 v[56:57], v54 offset0:43 offset1:44
	s_waitcnt lgkmcnt(3)
	v_fmac_f32_e32 v75, v58, v77
	s_waitcnt vmcnt(3)
	v_fmac_f32_e32 v75, v59, v78
	ds_load_2addr_b32 v[58:59], v54 offset0:45 offset1:46
	s_waitcnt lgkmcnt(3)
	v_fmac_f32_e32 v75, v60, v79
	s_delay_alu instid0(VALU_DEP_1) | instskip(SKIP_1) | instid1(VALU_DEP_1)
	v_fmac_f32_e32 v75, v61, v80
	s_waitcnt lgkmcnt(2)
	v_fmac_f32_e32 v75, v62, v81
	s_waitcnt vmcnt(2)
	s_delay_alu instid0(VALU_DEP_1) | instskip(SKIP_4) | instid1(VALU_DEP_1)
	v_fmac_f32_e32 v75, v63, v82
	ds_load_2addr_b32 v[60:61], v54 offset0:47 offset1:48
	ds_load_2addr_b32 v[62:63], v54 offset0:49 offset1:50
	s_waitcnt lgkmcnt(3)
	v_fmac_f32_e32 v75, v64, v56
	v_fmac_f32_e32 v75, v65, v57
	ds_load_2addr_b32 v[56:57], v54 offset0:51 offset1:52
	s_waitcnt lgkmcnt(3)
	v_fmac_f32_e32 v75, v66, v58
	ds_load_b32 v58, v54 offset:212
	s_waitcnt vmcnt(1)
	v_fmac_f32_e32 v75, v67, v59
	s_waitcnt lgkmcnt(3)
	s_delay_alu instid0(VALU_DEP_1) | instskip(NEXT) | instid1(VALU_DEP_1)
	v_fmac_f32_e32 v75, v68, v60
	v_fmac_f32_e32 v75, v69, v61
	s_waitcnt lgkmcnt(2)
	s_delay_alu instid0(VALU_DEP_1) | instskip(SKIP_1) | instid1(VALU_DEP_1)
	v_fmac_f32_e32 v75, v70, v62
	s_waitcnt vmcnt(0)
	v_fmac_f32_e32 v75, v71, v63
	s_waitcnt lgkmcnt(1)
	s_delay_alu instid0(VALU_DEP_1) | instskip(NEXT) | instid1(VALU_DEP_1)
	v_fmac_f32_e32 v75, v72, v56
	v_fmac_f32_e32 v75, v73, v57
	s_waitcnt lgkmcnt(0)
	s_delay_alu instid0(VALU_DEP_1) | instskip(NEXT) | instid1(VALU_DEP_1)
	v_fmac_f32_e32 v75, v74, v58
	v_sub_f32_e32 v55, v55, v75
	scratch_store_b32 off, v55, off offset:24
	v_cmpx_lt_u32_e32 5, v0
	s_cbranch_execz .LBB89_153
; %bb.152:
	scratch_load_b32 v55, off, off offset:20
	scratch_store_b32 off, v54, off offset:20
	s_waitcnt vmcnt(0)
	ds_store_b32 v53, v55
.LBB89_153:
	s_or_b32 exec_lo, exec_lo, s0
	s_waitcnt lgkmcnt(0)
	s_waitcnt_vscnt null, 0x0
	s_barrier
	buffer_gl0_inv
	s_clause 0x5
	scratch_load_b128 v[55:58], off, off offset:20
	scratch_load_b128 v[59:62], off, off offset:36
	;; [unrolled: 1-line block ×5, first 2 shown]
	scratch_load_b32 v83, off, off offset:100
	ds_load_2addr_b64 v[75:78], v54 offset0:17 offset1:18
	ds_load_2addr_b64 v[79:82], v54 offset0:19 offset1:20
	s_mov_b32 s0, exec_lo
	s_waitcnt vmcnt(5) lgkmcnt(1)
	v_fma_f32 v75, v56, v75, 0
	s_delay_alu instid0(VALU_DEP_1) | instskip(NEXT) | instid1(VALU_DEP_1)
	v_fmac_f32_e32 v75, v57, v76
	v_fmac_f32_e32 v75, v58, v77
	s_waitcnt vmcnt(4)
	s_delay_alu instid0(VALU_DEP_1) | instskip(SKIP_3) | instid1(VALU_DEP_1)
	v_fmac_f32_e32 v75, v59, v78
	ds_load_2addr_b64 v[56:59], v54 offset0:21 offset1:22
	s_waitcnt lgkmcnt(1)
	v_fmac_f32_e32 v75, v60, v79
	v_fmac_f32_e32 v75, v61, v80
	s_delay_alu instid0(VALU_DEP_1) | instskip(SKIP_1) | instid1(VALU_DEP_1)
	v_fmac_f32_e32 v75, v62, v81
	s_waitcnt vmcnt(3)
	v_fmac_f32_e32 v75, v63, v82
	ds_load_2addr_b64 v[60:63], v54 offset0:23 offset1:24
	s_waitcnt lgkmcnt(1)
	v_fmac_f32_e32 v75, v64, v56
	s_delay_alu instid0(VALU_DEP_1) | instskip(NEXT) | instid1(VALU_DEP_1)
	v_fmac_f32_e32 v75, v65, v57
	v_fmac_f32_e32 v75, v66, v58
	s_waitcnt vmcnt(2)
	s_delay_alu instid0(VALU_DEP_1) | instskip(SKIP_3) | instid1(VALU_DEP_1)
	v_fmac_f32_e32 v75, v67, v59
	ds_load_2addr_b64 v[56:59], v54 offset0:25 offset1:26
	s_waitcnt lgkmcnt(1)
	v_fmac_f32_e32 v75, v68, v60
	v_fmac_f32_e32 v75, v69, v61
	s_delay_alu instid0(VALU_DEP_1) | instskip(SKIP_1) | instid1(VALU_DEP_1)
	v_fmac_f32_e32 v75, v70, v62
	s_waitcnt vmcnt(1)
	v_fmac_f32_e32 v75, v71, v63
	s_waitcnt lgkmcnt(0)
	s_delay_alu instid0(VALU_DEP_1) | instskip(NEXT) | instid1(VALU_DEP_1)
	v_fmac_f32_e32 v75, v72, v56
	v_fmac_f32_e32 v75, v73, v57
	s_delay_alu instid0(VALU_DEP_1) | instskip(SKIP_1) | instid1(VALU_DEP_1)
	v_fmac_f32_e32 v75, v74, v58
	s_waitcnt vmcnt(0)
	v_fmac_f32_e32 v75, v83, v59
	s_delay_alu instid0(VALU_DEP_1)
	v_sub_f32_e32 v54, v55, v75
	scratch_store_b32 off, v54, off offset:20
	v_cmpx_lt_u32_e32 4, v0
	s_cbranch_execz .LBB89_155
; %bb.154:
	scratch_load_b32 v54, off, off offset:16
	v_mov_b32_e32 v55, 0
	scratch_store_b32 off, v55, off offset:16
	s_waitcnt vmcnt(0)
	ds_store_b32 v53, v54
.LBB89_155:
	s_or_b32 exec_lo, exec_lo, s0
	s_waitcnt lgkmcnt(0)
	s_waitcnt_vscnt null, 0x0
	s_barrier
	buffer_gl0_inv
	s_clause 0x5
	scratch_load_b128 v[55:58], off, off offset:16
	scratch_load_b128 v[59:62], off, off offset:32
	;; [unrolled: 1-line block ×5, first 2 shown]
	scratch_load_b64 v[75:76], off, off offset:96
	v_mov_b32_e32 v54, 0
	ds_load_2addr_b32 v[77:78], v54 offset0:33 offset1:34
	ds_load_2addr_b32 v[79:80], v54 offset0:35 offset1:36
	;; [unrolled: 1-line block ×4, first 2 shown]
	s_mov_b32 s0, exec_lo
	s_waitcnt vmcnt(5) lgkmcnt(3)
	v_fma_f32 v77, v56, v77, 0
	s_delay_alu instid0(VALU_DEP_1) | instskip(SKIP_4) | instid1(VALU_DEP_1)
	v_fmac_f32_e32 v77, v57, v78
	ds_load_2addr_b32 v[56:57], v54 offset0:41 offset1:42
	s_waitcnt lgkmcnt(3)
	v_fmac_f32_e32 v77, v58, v79
	s_waitcnt vmcnt(4)
	v_fmac_f32_e32 v77, v59, v80
	ds_load_2addr_b32 v[58:59], v54 offset0:43 offset1:44
	s_waitcnt lgkmcnt(3)
	v_fmac_f32_e32 v77, v60, v81
	s_delay_alu instid0(VALU_DEP_1) | instskip(SKIP_1) | instid1(VALU_DEP_1)
	v_fmac_f32_e32 v77, v61, v82
	s_waitcnt lgkmcnt(2)
	v_fmac_f32_e32 v77, v62, v83
	s_waitcnt vmcnt(3)
	s_delay_alu instid0(VALU_DEP_1) | instskip(SKIP_4) | instid1(VALU_DEP_1)
	v_fmac_f32_e32 v77, v63, v84
	ds_load_2addr_b32 v[60:61], v54 offset0:45 offset1:46
	ds_load_2addr_b32 v[62:63], v54 offset0:47 offset1:48
	s_waitcnt lgkmcnt(3)
	v_fmac_f32_e32 v77, v64, v56
	v_fmac_f32_e32 v77, v65, v57
	ds_load_2addr_b32 v[56:57], v54 offset0:49 offset1:50
	s_waitcnt lgkmcnt(3)
	v_fmac_f32_e32 v77, v66, v58
	s_waitcnt vmcnt(2)
	s_delay_alu instid0(VALU_DEP_1)
	v_fmac_f32_e32 v77, v67, v59
	ds_load_2addr_b32 v[58:59], v54 offset0:51 offset1:52
	s_waitcnt lgkmcnt(3)
	v_fmac_f32_e32 v77, v68, v60
	ds_load_b32 v60, v54 offset:212
	v_fmac_f32_e32 v77, v69, v61
	s_waitcnt lgkmcnt(3)
	s_delay_alu instid0(VALU_DEP_1) | instskip(SKIP_1) | instid1(VALU_DEP_1)
	v_fmac_f32_e32 v77, v70, v62
	s_waitcnt vmcnt(1)
	v_fmac_f32_e32 v77, v71, v63
	s_waitcnt lgkmcnt(2)
	s_delay_alu instid0(VALU_DEP_1) | instskip(NEXT) | instid1(VALU_DEP_1)
	v_fmac_f32_e32 v77, v72, v56
	v_fmac_f32_e32 v77, v73, v57
	s_waitcnt lgkmcnt(1)
	s_delay_alu instid0(VALU_DEP_1) | instskip(SKIP_1) | instid1(VALU_DEP_1)
	v_fmac_f32_e32 v77, v74, v58
	s_waitcnt vmcnt(0)
	v_fmac_f32_e32 v77, v75, v59
	s_waitcnt lgkmcnt(0)
	s_delay_alu instid0(VALU_DEP_1) | instskip(NEXT) | instid1(VALU_DEP_1)
	v_fmac_f32_e32 v77, v76, v60
	v_sub_f32_e32 v55, v55, v77
	scratch_store_b32 off, v55, off offset:16
	v_cmpx_lt_u32_e32 3, v0
	s_cbranch_execz .LBB89_157
; %bb.156:
	scratch_load_b32 v55, off, off offset:12
	scratch_store_b32 off, v54, off offset:12
	s_waitcnt vmcnt(0)
	ds_store_b32 v53, v55
.LBB89_157:
	s_or_b32 exec_lo, exec_lo, s0
	s_waitcnt lgkmcnt(0)
	s_waitcnt_vscnt null, 0x0
	s_barrier
	buffer_gl0_inv
	s_clause 0x5
	scratch_load_b128 v[55:58], off, off offset:12
	scratch_load_b128 v[59:62], off, off offset:28
	;; [unrolled: 1-line block ×5, first 2 shown]
	scratch_load_b96 v[83:85], off, off offset:92
	ds_load_b128 v[75:78], v54 offset:128
	ds_load_b128 v[79:82], v54 offset:144
	s_mov_b32 s0, exec_lo
	s_waitcnt vmcnt(5) lgkmcnt(1)
	v_fma_f32 v75, v56, v75, 0
	s_delay_alu instid0(VALU_DEP_1) | instskip(NEXT) | instid1(VALU_DEP_1)
	v_fmac_f32_e32 v75, v57, v76
	v_fmac_f32_e32 v75, v58, v77
	s_waitcnt vmcnt(4)
	s_delay_alu instid0(VALU_DEP_1) | instskip(SKIP_3) | instid1(VALU_DEP_1)
	v_fmac_f32_e32 v75, v59, v78
	ds_load_b128 v[56:59], v54 offset:160
	s_waitcnt lgkmcnt(1)
	v_fmac_f32_e32 v75, v60, v79
	v_fmac_f32_e32 v75, v61, v80
	s_delay_alu instid0(VALU_DEP_1) | instskip(SKIP_1) | instid1(VALU_DEP_1)
	v_fmac_f32_e32 v75, v62, v81
	s_waitcnt vmcnt(3)
	v_fmac_f32_e32 v75, v63, v82
	ds_load_b128 v[60:63], v54 offset:176
	s_waitcnt lgkmcnt(1)
	v_fmac_f32_e32 v75, v64, v56
	s_delay_alu instid0(VALU_DEP_1) | instskip(NEXT) | instid1(VALU_DEP_1)
	v_fmac_f32_e32 v75, v65, v57
	v_fmac_f32_e32 v75, v66, v58
	s_waitcnt vmcnt(2)
	s_delay_alu instid0(VALU_DEP_1) | instskip(SKIP_3) | instid1(VALU_DEP_1)
	v_fmac_f32_e32 v75, v67, v59
	ds_load_b128 v[56:59], v54 offset:192
	s_waitcnt lgkmcnt(1)
	v_fmac_f32_e32 v75, v68, v60
	v_fmac_f32_e32 v75, v69, v61
	ds_load_b64 v[60:61], v54 offset:208
	v_fmac_f32_e32 v75, v70, v62
	s_waitcnt vmcnt(1)
	s_delay_alu instid0(VALU_DEP_1) | instskip(SKIP_1) | instid1(VALU_DEP_1)
	v_fmac_f32_e32 v75, v71, v63
	s_waitcnt lgkmcnt(1)
	v_fmac_f32_e32 v75, v72, v56
	s_delay_alu instid0(VALU_DEP_1) | instskip(NEXT) | instid1(VALU_DEP_1)
	v_fmac_f32_e32 v75, v73, v57
	v_fmac_f32_e32 v75, v74, v58
	s_waitcnt vmcnt(0)
	s_delay_alu instid0(VALU_DEP_1) | instskip(SKIP_1) | instid1(VALU_DEP_1)
	v_fmac_f32_e32 v75, v83, v59
	s_waitcnt lgkmcnt(0)
	v_fmac_f32_e32 v75, v84, v60
	s_delay_alu instid0(VALU_DEP_1) | instskip(NEXT) | instid1(VALU_DEP_1)
	v_fmac_f32_e32 v75, v85, v61
	v_sub_f32_e32 v54, v55, v75
	scratch_store_b32 off, v54, off offset:12
	v_cmpx_lt_u32_e32 2, v0
	s_cbranch_execz .LBB89_159
; %bb.158:
	scratch_load_b32 v54, off, off offset:8
	v_mov_b32_e32 v55, 0
	scratch_store_b32 off, v55, off offset:8
	s_waitcnt vmcnt(0)
	ds_store_b32 v53, v54
.LBB89_159:
	s_or_b32 exec_lo, exec_lo, s0
	s_waitcnt lgkmcnt(0)
	s_waitcnt_vscnt null, 0x0
	s_barrier
	buffer_gl0_inv
	s_clause 0x5
	scratch_load_b128 v[55:58], off, off offset:8
	scratch_load_b128 v[59:62], off, off offset:24
	;; [unrolled: 1-line block ×6, first 2 shown]
	v_mov_b32_e32 v54, 0
	ds_load_2addr_b32 v[79:80], v54 offset0:31 offset1:32
	ds_load_2addr_b32 v[81:82], v54 offset0:33 offset1:34
	;; [unrolled: 1-line block ×4, first 2 shown]
	s_mov_b32 s0, exec_lo
	s_waitcnt vmcnt(5) lgkmcnt(3)
	v_fma_f32 v79, v56, v79, 0
	s_delay_alu instid0(VALU_DEP_1) | instskip(SKIP_4) | instid1(VALU_DEP_1)
	v_fmac_f32_e32 v79, v57, v80
	ds_load_2addr_b32 v[56:57], v54 offset0:39 offset1:40
	s_waitcnt lgkmcnt(3)
	v_fmac_f32_e32 v79, v58, v81
	s_waitcnt vmcnt(4)
	v_fmac_f32_e32 v79, v59, v82
	ds_load_2addr_b32 v[58:59], v54 offset0:41 offset1:42
	s_waitcnt lgkmcnt(3)
	v_fmac_f32_e32 v79, v60, v83
	s_delay_alu instid0(VALU_DEP_1) | instskip(SKIP_1) | instid1(VALU_DEP_1)
	v_fmac_f32_e32 v79, v61, v84
	s_waitcnt lgkmcnt(2)
	v_fmac_f32_e32 v79, v62, v85
	s_waitcnt vmcnt(3)
	s_delay_alu instid0(VALU_DEP_1) | instskip(SKIP_4) | instid1(VALU_DEP_1)
	v_fmac_f32_e32 v79, v63, v86
	ds_load_2addr_b32 v[60:61], v54 offset0:43 offset1:44
	ds_load_2addr_b32 v[62:63], v54 offset0:45 offset1:46
	s_waitcnt lgkmcnt(3)
	v_fmac_f32_e32 v79, v64, v56
	v_fmac_f32_e32 v79, v65, v57
	ds_load_2addr_b32 v[56:57], v54 offset0:47 offset1:48
	s_waitcnt lgkmcnt(3)
	v_fmac_f32_e32 v79, v66, v58
	s_waitcnt vmcnt(2)
	s_delay_alu instid0(VALU_DEP_1) | instskip(SKIP_3) | instid1(VALU_DEP_1)
	v_fmac_f32_e32 v79, v67, v59
	ds_load_2addr_b32 v[58:59], v54 offset0:49 offset1:50
	s_waitcnt lgkmcnt(3)
	v_fmac_f32_e32 v79, v68, v60
	v_fmac_f32_e32 v79, v69, v61
	s_waitcnt lgkmcnt(2)
	s_delay_alu instid0(VALU_DEP_1)
	v_fmac_f32_e32 v79, v70, v62
	ds_load_2addr_b32 v[60:61], v54 offset0:51 offset1:52
	ds_load_b32 v62, v54 offset:212
	s_waitcnt vmcnt(1)
	v_fmac_f32_e32 v79, v71, v63
	s_waitcnt lgkmcnt(3)
	s_delay_alu instid0(VALU_DEP_1) | instskip(NEXT) | instid1(VALU_DEP_1)
	v_fmac_f32_e32 v79, v72, v56
	v_fmac_f32_e32 v79, v73, v57
	s_waitcnt lgkmcnt(2)
	s_delay_alu instid0(VALU_DEP_1) | instskip(SKIP_1) | instid1(VALU_DEP_1)
	v_fmac_f32_e32 v79, v74, v58
	s_waitcnt vmcnt(0)
	v_fmac_f32_e32 v79, v75, v59
	s_waitcnt lgkmcnt(1)
	s_delay_alu instid0(VALU_DEP_1) | instskip(NEXT) | instid1(VALU_DEP_1)
	v_fmac_f32_e32 v79, v76, v60
	v_fmac_f32_e32 v79, v77, v61
	s_waitcnt lgkmcnt(0)
	s_delay_alu instid0(VALU_DEP_1) | instskip(NEXT) | instid1(VALU_DEP_1)
	v_fmac_f32_e32 v79, v78, v62
	v_sub_f32_e32 v55, v55, v79
	scratch_store_b32 off, v55, off offset:8
	v_cmpx_lt_u32_e32 1, v0
	s_cbranch_execz .LBB89_161
; %bb.160:
	scratch_load_b32 v55, off, off offset:4
	scratch_store_b32 off, v54, off offset:4
	s_waitcnt vmcnt(0)
	ds_store_b32 v53, v55
.LBB89_161:
	s_or_b32 exec_lo, exec_lo, s0
	s_waitcnt lgkmcnt(0)
	s_waitcnt_vscnt null, 0x0
	s_barrier
	buffer_gl0_inv
	s_clause 0x6
	scratch_load_b128 v[55:58], off, off offset:4
	scratch_load_b128 v[59:62], off, off offset:20
	;; [unrolled: 1-line block ×6, first 2 shown]
	scratch_load_b32 v87, off, off offset:100
	ds_load_2addr_b64 v[79:82], v54 offset0:15 offset1:16
	ds_load_2addr_b64 v[83:86], v54 offset0:17 offset1:18
	s_mov_b32 s0, exec_lo
	s_waitcnt vmcnt(6) lgkmcnt(1)
	v_fma_f32 v79, v56, v79, 0
	s_delay_alu instid0(VALU_DEP_1) | instskip(NEXT) | instid1(VALU_DEP_1)
	v_fmac_f32_e32 v79, v57, v80
	v_fmac_f32_e32 v79, v58, v81
	s_waitcnt vmcnt(5)
	s_delay_alu instid0(VALU_DEP_1) | instskip(SKIP_3) | instid1(VALU_DEP_1)
	v_fmac_f32_e32 v79, v59, v82
	ds_load_2addr_b64 v[56:59], v54 offset0:19 offset1:20
	s_waitcnt lgkmcnt(1)
	v_fmac_f32_e32 v79, v60, v83
	v_fmac_f32_e32 v79, v61, v84
	s_delay_alu instid0(VALU_DEP_1) | instskip(SKIP_1) | instid1(VALU_DEP_1)
	v_fmac_f32_e32 v79, v62, v85
	s_waitcnt vmcnt(4)
	v_fmac_f32_e32 v79, v63, v86
	ds_load_2addr_b64 v[60:63], v54 offset0:21 offset1:22
	s_waitcnt lgkmcnt(1)
	v_fmac_f32_e32 v79, v64, v56
	s_delay_alu instid0(VALU_DEP_1) | instskip(NEXT) | instid1(VALU_DEP_1)
	v_fmac_f32_e32 v79, v65, v57
	v_fmac_f32_e32 v79, v66, v58
	s_waitcnt vmcnt(3)
	s_delay_alu instid0(VALU_DEP_1) | instskip(SKIP_3) | instid1(VALU_DEP_1)
	v_fmac_f32_e32 v79, v67, v59
	ds_load_2addr_b64 v[56:59], v54 offset0:23 offset1:24
	s_waitcnt lgkmcnt(1)
	v_fmac_f32_e32 v79, v68, v60
	v_fmac_f32_e32 v79, v69, v61
	s_delay_alu instid0(VALU_DEP_1) | instskip(SKIP_1) | instid1(VALU_DEP_1)
	v_fmac_f32_e32 v79, v70, v62
	s_waitcnt vmcnt(2)
	v_fmac_f32_e32 v79, v71, v63
	ds_load_2addr_b64 v[60:63], v54 offset0:25 offset1:26
	s_waitcnt lgkmcnt(1)
	v_fmac_f32_e32 v79, v72, v56
	s_delay_alu instid0(VALU_DEP_1) | instskip(NEXT) | instid1(VALU_DEP_1)
	v_fmac_f32_e32 v79, v73, v57
	v_fmac_f32_e32 v79, v74, v58
	s_waitcnt vmcnt(1)
	s_delay_alu instid0(VALU_DEP_1) | instskip(SKIP_1) | instid1(VALU_DEP_1)
	v_fmac_f32_e32 v79, v75, v59
	s_waitcnt lgkmcnt(0)
	v_fmac_f32_e32 v79, v76, v60
	s_delay_alu instid0(VALU_DEP_1) | instskip(NEXT) | instid1(VALU_DEP_1)
	v_fmac_f32_e32 v79, v77, v61
	v_fmac_f32_e32 v79, v78, v62
	s_waitcnt vmcnt(0)
	s_delay_alu instid0(VALU_DEP_1) | instskip(NEXT) | instid1(VALU_DEP_1)
	v_fmac_f32_e32 v79, v87, v63
	v_sub_f32_e32 v54, v55, v79
	scratch_store_b32 off, v54, off offset:4
	v_cmpx_ne_u32_e32 0, v0
	s_cbranch_execz .LBB89_163
; %bb.162:
	scratch_load_b32 v0, off, off
	v_mov_b32_e32 v54, 0
	scratch_store_b32 off, v54, off
	s_waitcnt vmcnt(0)
	ds_store_b32 v53, v0
.LBB89_163:
	s_or_b32 exec_lo, exec_lo, s0
	s_waitcnt lgkmcnt(0)
	s_waitcnt_vscnt null, 0x0
	s_barrier
	buffer_gl0_inv
	s_clause 0x6
	scratch_load_b128 v[55:58], off, off
	scratch_load_b128 v[59:62], off, off offset:16
	scratch_load_b128 v[63:66], off, off offset:32
	;; [unrolled: 1-line block ×5, first 2 shown]
	scratch_load_b64 v[53:54], off, off offset:96
	v_mov_b32_e32 v0, 0
	ds_load_2addr_b32 v[79:80], v0 offset0:29 offset1:30
	ds_load_2addr_b32 v[81:82], v0 offset0:31 offset1:32
	;; [unrolled: 1-line block ×4, first 2 shown]
	s_and_b32 vcc_lo, exec_lo, s12
	s_waitcnt vmcnt(6) lgkmcnt(3)
	v_fma_f32 v79, v56, v79, 0
	s_delay_alu instid0(VALU_DEP_1) | instskip(SKIP_4) | instid1(VALU_DEP_1)
	v_fmac_f32_e32 v79, v57, v80
	ds_load_2addr_b32 v[56:57], v0 offset0:37 offset1:38
	s_waitcnt lgkmcnt(3)
	v_fmac_f32_e32 v79, v58, v81
	s_waitcnt vmcnt(5)
	v_fmac_f32_e32 v79, v59, v82
	ds_load_2addr_b32 v[58:59], v0 offset0:39 offset1:40
	s_waitcnt lgkmcnt(3)
	v_fmac_f32_e32 v79, v60, v83
	s_delay_alu instid0(VALU_DEP_1) | instskip(SKIP_1) | instid1(VALU_DEP_1)
	v_fmac_f32_e32 v79, v61, v84
	s_waitcnt lgkmcnt(2)
	v_fmac_f32_e32 v79, v62, v85
	s_waitcnt vmcnt(4)
	s_delay_alu instid0(VALU_DEP_1) | instskip(SKIP_4) | instid1(VALU_DEP_1)
	v_fmac_f32_e32 v79, v63, v86
	ds_load_2addr_b32 v[60:61], v0 offset0:41 offset1:42
	ds_load_2addr_b32 v[62:63], v0 offset0:43 offset1:44
	s_waitcnt lgkmcnt(3)
	v_fmac_f32_e32 v79, v64, v56
	v_fmac_f32_e32 v79, v65, v57
	ds_load_2addr_b32 v[56:57], v0 offset0:45 offset1:46
	s_waitcnt lgkmcnt(3)
	v_fmac_f32_e32 v79, v66, v58
	s_waitcnt vmcnt(3)
	s_delay_alu instid0(VALU_DEP_1) | instskip(SKIP_3) | instid1(VALU_DEP_1)
	v_fmac_f32_e32 v79, v67, v59
	ds_load_2addr_b32 v[58:59], v0 offset0:47 offset1:48
	s_waitcnt lgkmcnt(3)
	v_fmac_f32_e32 v79, v68, v60
	v_fmac_f32_e32 v79, v69, v61
	s_waitcnt lgkmcnt(2)
	s_delay_alu instid0(VALU_DEP_1) | instskip(SKIP_1) | instid1(VALU_DEP_1)
	v_fmac_f32_e32 v79, v70, v62
	s_waitcnt vmcnt(2)
	v_fmac_f32_e32 v79, v71, v63
	ds_load_2addr_b32 v[60:61], v0 offset0:49 offset1:50
	ds_load_2addr_b32 v[62:63], v0 offset0:51 offset1:52
	ds_load_b32 v0, v0 offset:212
	s_waitcnt lgkmcnt(4)
	v_fmac_f32_e32 v79, v72, v56
	s_delay_alu instid0(VALU_DEP_1) | instskip(SKIP_1) | instid1(VALU_DEP_1)
	v_fmac_f32_e32 v79, v73, v57
	s_waitcnt lgkmcnt(3)
	v_fmac_f32_e32 v79, v74, v58
	s_waitcnt vmcnt(1)
	s_delay_alu instid0(VALU_DEP_1) | instskip(SKIP_1) | instid1(VALU_DEP_1)
	v_fmac_f32_e32 v79, v75, v59
	s_waitcnt lgkmcnt(2)
	v_fmac_f32_e32 v79, v76, v60
	s_delay_alu instid0(VALU_DEP_1) | instskip(SKIP_1) | instid1(VALU_DEP_1)
	v_fmac_f32_e32 v79, v77, v61
	s_waitcnt lgkmcnt(1)
	v_fmac_f32_e32 v79, v78, v62
	s_waitcnt vmcnt(0)
	s_delay_alu instid0(VALU_DEP_1) | instskip(SKIP_1) | instid1(VALU_DEP_1)
	v_fmac_f32_e32 v79, v53, v63
	s_waitcnt lgkmcnt(0)
	v_fmac_f32_e32 v79, v54, v0
	s_delay_alu instid0(VALU_DEP_1)
	v_sub_f32_e32 v0, v55, v79
	scratch_store_b32 off, v0, off
	s_cbranch_vccz .LBB89_215
; %bb.164:
	v_dual_mov_b32 v55, s3 :: v_dual_mov_b32 v54, s2
	s_mov_b32 s0, exec_lo
	flat_load_b32 v0, v[54:55] offset:96
	s_waitcnt vmcnt(0) lgkmcnt(0)
	v_cmpx_ne_u32_e32 25, v0
	s_cbranch_execz .LBB89_166
; %bb.165:
	v_lshl_add_u32 v0, v0, 2, 0
	scratch_load_b32 v54, v0, off offset:-4
	s_waitcnt vmcnt(0)
	scratch_store_b32 off, v54, off offset:96
	scratch_store_b32 v0, v53, off offset:-4
.LBB89_166:
	s_or_b32 exec_lo, exec_lo, s0
	v_dual_mov_b32 v54, s3 :: v_dual_mov_b32 v53, s2
	s_mov_b32 s0, exec_lo
	flat_load_b32 v0, v[53:54] offset:92
	s_waitcnt vmcnt(0) lgkmcnt(0)
	v_cmpx_ne_u32_e32 24, v0
	s_cbranch_execz .LBB89_168
; %bb.167:
	v_lshl_add_u32 v0, v0, 2, 0
	scratch_load_b32 v53, v0, off offset:-4
	scratch_load_b32 v54, off, off offset:92
	s_waitcnt vmcnt(1)
	scratch_store_b32 off, v53, off offset:92
	s_waitcnt vmcnt(0)
	scratch_store_b32 v0, v54, off offset:-4
.LBB89_168:
	s_or_b32 exec_lo, exec_lo, s0
	v_dual_mov_b32 v54, s3 :: v_dual_mov_b32 v53, s2
	s_mov_b32 s0, exec_lo
	flat_load_b32 v0, v[53:54] offset:88
	s_waitcnt vmcnt(0) lgkmcnt(0)
	v_cmpx_ne_u32_e32 23, v0
	s_cbranch_execz .LBB89_170
; %bb.169:
	v_lshl_add_u32 v0, v0, 2, 0
	scratch_load_b32 v53, v0, off offset:-4
	scratch_load_b32 v54, off, off offset:88
	s_waitcnt vmcnt(1)
	scratch_store_b32 off, v53, off offset:88
	s_waitcnt vmcnt(0)
	scratch_store_b32 v0, v54, off offset:-4
.LBB89_170:
	;; [unrolled: 16-line block ×23, first 2 shown]
	s_or_b32 exec_lo, exec_lo, s0
	v_dual_mov_b32 v54, s3 :: v_dual_mov_b32 v53, s2
	s_mov_b32 s0, exec_lo
	flat_load_b32 v53, v[53:54]
	scratch_load_b32 v0, off, off
	s_waitcnt vmcnt(1) lgkmcnt(0)
	v_cmpx_ne_u32_e32 1, v53
	s_cbranch_execz .LBB89_214
; %bb.213:
	v_lshl_add_u32 v53, v53, 2, 0
	scratch_load_b32 v54, v53, off offset:-4
	s_waitcnt vmcnt(0)
	scratch_store_b32 off, v54, off
	scratch_store_b32 v53, v0, off offset:-4
	scratch_load_b32 v0, off, off
.LBB89_214:
	s_or_b32 exec_lo, exec_lo, s0
.LBB89_215:
	s_clause 0x6
	scratch_load_b128 v[53:56], off, off offset:4
	scratch_load_b128 v[57:60], off, off offset:20
	;; [unrolled: 1-line block ×6, first 2 shown]
	scratch_load_b32 v77, off, off offset:100
	s_waitcnt vmcnt(7)
	global_store_b32 v[1:2], v0, off
	s_waitcnt vmcnt(6)
	s_clause 0x3
	global_store_b32 v[3:4], v53, off
	global_store_b32 v[5:6], v54, off
	global_store_b32 v[7:8], v55, off
	global_store_b32 v[9:10], v56, off
	s_waitcnt vmcnt(5)
	s_clause 0x3
	global_store_b32 v[11:12], v57, off
	global_store_b32 v[13:14], v58, off
	global_store_b32 v[15:16], v59, off
	;; [unrolled: 6-line block ×6, first 2 shown]
	global_store_b32 v[49:50], v76, off
	s_waitcnt vmcnt(0)
	global_store_b32 v[51:52], v77, off
	s_endpgm
	.section	.rodata,"a",@progbits
	.p2align	6, 0x0
	.amdhsa_kernel _ZN9rocsolver6v33100L18getri_kernel_smallILi26EfPKPfEEvT1_iilPiilS6_bb
		.amdhsa_group_segment_fixed_size 216
		.amdhsa_private_segment_fixed_size 112
		.amdhsa_kernarg_size 60
		.amdhsa_user_sgpr_count 15
		.amdhsa_user_sgpr_dispatch_ptr 0
		.amdhsa_user_sgpr_queue_ptr 0
		.amdhsa_user_sgpr_kernarg_segment_ptr 1
		.amdhsa_user_sgpr_dispatch_id 0
		.amdhsa_user_sgpr_private_segment_size 0
		.amdhsa_wavefront_size32 1
		.amdhsa_uses_dynamic_stack 0
		.amdhsa_enable_private_segment 1
		.amdhsa_system_sgpr_workgroup_id_x 1
		.amdhsa_system_sgpr_workgroup_id_y 0
		.amdhsa_system_sgpr_workgroup_id_z 0
		.amdhsa_system_sgpr_workgroup_info 0
		.amdhsa_system_vgpr_workitem_id 0
		.amdhsa_next_free_vgpr 88
		.amdhsa_next_free_sgpr 17
		.amdhsa_reserve_vcc 1
		.amdhsa_float_round_mode_32 0
		.amdhsa_float_round_mode_16_64 0
		.amdhsa_float_denorm_mode_32 3
		.amdhsa_float_denorm_mode_16_64 3
		.amdhsa_dx10_clamp 1
		.amdhsa_ieee_mode 1
		.amdhsa_fp16_overflow 0
		.amdhsa_workgroup_processor_mode 1
		.amdhsa_memory_ordered 1
		.amdhsa_forward_progress 0
		.amdhsa_shared_vgpr_count 0
		.amdhsa_exception_fp_ieee_invalid_op 0
		.amdhsa_exception_fp_denorm_src 0
		.amdhsa_exception_fp_ieee_div_zero 0
		.amdhsa_exception_fp_ieee_overflow 0
		.amdhsa_exception_fp_ieee_underflow 0
		.amdhsa_exception_fp_ieee_inexact 0
		.amdhsa_exception_int_div_zero 0
	.end_amdhsa_kernel
	.section	.text._ZN9rocsolver6v33100L18getri_kernel_smallILi26EfPKPfEEvT1_iilPiilS6_bb,"axG",@progbits,_ZN9rocsolver6v33100L18getri_kernel_smallILi26EfPKPfEEvT1_iilPiilS6_bb,comdat
.Lfunc_end89:
	.size	_ZN9rocsolver6v33100L18getri_kernel_smallILi26EfPKPfEEvT1_iilPiilS6_bb, .Lfunc_end89-_ZN9rocsolver6v33100L18getri_kernel_smallILi26EfPKPfEEvT1_iilPiilS6_bb
                                        ; -- End function
	.section	.AMDGPU.csdata,"",@progbits
; Kernel info:
; codeLenInByte = 15328
; NumSgprs: 19
; NumVgprs: 88
; ScratchSize: 112
; MemoryBound: 0
; FloatMode: 240
; IeeeMode: 1
; LDSByteSize: 216 bytes/workgroup (compile time only)
; SGPRBlocks: 2
; VGPRBlocks: 10
; NumSGPRsForWavesPerEU: 19
; NumVGPRsForWavesPerEU: 88
; Occupancy: 16
; WaveLimiterHint : 1
; COMPUTE_PGM_RSRC2:SCRATCH_EN: 1
; COMPUTE_PGM_RSRC2:USER_SGPR: 15
; COMPUTE_PGM_RSRC2:TRAP_HANDLER: 0
; COMPUTE_PGM_RSRC2:TGID_X_EN: 1
; COMPUTE_PGM_RSRC2:TGID_Y_EN: 0
; COMPUTE_PGM_RSRC2:TGID_Z_EN: 0
; COMPUTE_PGM_RSRC2:TIDIG_COMP_CNT: 0
	.section	.text._ZN9rocsolver6v33100L18getri_kernel_smallILi27EfPKPfEEvT1_iilPiilS6_bb,"axG",@progbits,_ZN9rocsolver6v33100L18getri_kernel_smallILi27EfPKPfEEvT1_iilPiilS6_bb,comdat
	.globl	_ZN9rocsolver6v33100L18getri_kernel_smallILi27EfPKPfEEvT1_iilPiilS6_bb ; -- Begin function _ZN9rocsolver6v33100L18getri_kernel_smallILi27EfPKPfEEvT1_iilPiilS6_bb
	.p2align	8
	.type	_ZN9rocsolver6v33100L18getri_kernel_smallILi27EfPKPfEEvT1_iilPiilS6_bb,@function
_ZN9rocsolver6v33100L18getri_kernel_smallILi27EfPKPfEEvT1_iilPiilS6_bb: ; @_ZN9rocsolver6v33100L18getri_kernel_smallILi27EfPKPfEEvT1_iilPiilS6_bb
; %bb.0:
	s_mov_b32 s2, exec_lo
	v_cmpx_gt_u32_e32 27, v0
	s_cbranch_execz .LBB90_116
; %bb.1:
	s_clause 0x1
	s_load_b32 s13, s[0:1], 0x38
	s_load_b64 s[2:3], s[0:1], 0x0
	s_mov_b32 s8, s15
	s_load_b128 s[4:7], s[0:1], 0x28
	s_waitcnt lgkmcnt(0)
	s_bitcmp1_b32 s13, 8
	s_cselect_b32 s12, -1, 0
	s_ashr_i32 s9, s15, 31
	s_delay_alu instid0(SALU_CYCLE_1) | instskip(NEXT) | instid1(SALU_CYCLE_1)
	s_lshl_b64 s[10:11], s[8:9], 3
	s_add_u32 s2, s2, s10
	s_addc_u32 s3, s3, s11
	s_load_b64 s[10:11], s[2:3], 0x0
	s_bfe_u32 s2, s13, 0x10008
	s_delay_alu instid0(SALU_CYCLE_1)
	s_cmp_eq_u32 s2, 0
                                        ; implicit-def: $sgpr2_sgpr3
	s_cbranch_scc1 .LBB90_3
; %bb.2:
	s_clause 0x1
	s_load_b32 s2, s[0:1], 0x20
	s_load_b64 s[14:15], s[0:1], 0x18
	s_mul_i32 s3, s8, s5
	s_mul_hi_u32 s5, s8, s4
	s_mul_i32 s16, s9, s4
	s_add_i32 s3, s5, s3
	s_mul_i32 s4, s8, s4
	s_add_i32 s5, s3, s16
	s_delay_alu instid0(SALU_CYCLE_1)
	s_lshl_b64 s[4:5], s[4:5], 2
	s_waitcnt lgkmcnt(0)
	s_ashr_i32 s3, s2, 31
	s_add_u32 s4, s14, s4
	s_addc_u32 s5, s15, s5
	s_lshl_b64 s[2:3], s[2:3], 2
	s_delay_alu instid0(SALU_CYCLE_1)
	s_add_u32 s2, s4, s2
	s_addc_u32 s3, s5, s3
.LBB90_3:
	s_load_b64 s[0:1], s[0:1], 0x8
	v_lshlrev_b32_e32 v1, 2, v0
	s_waitcnt lgkmcnt(0)
	v_add3_u32 v5, s1, s1, v0
	s_ashr_i32 s5, s0, 31
	s_mov_b32 s4, s0
	s_mov_b32 s14, s1
	s_lshl_b64 s[4:5], s[4:5], 2
	v_add_nc_u32_e32 v7, s1, v5
	v_ashrrev_i32_e32 v6, 31, v5
	s_add_u32 s4, s10, s4
	s_addc_u32 s5, s11, s5
	v_add_co_u32 v3, s0, s4, v1
	v_add_nc_u32_e32 v11, s1, v7
	v_ashrrev_i32_e32 v8, 31, v7
	s_ashr_i32 s15, s1, 31
	v_add_co_ci_u32_e64 v4, null, s5, 0, s0
	v_lshlrev_b64 v[9:10], 2, v[5:6]
	s_lshl_b64 s[10:11], s[14:15], 2
	v_add_nc_u32_e32 v15, s1, v11
	v_add_co_u32 v5, vcc_lo, v3, s10
	v_lshlrev_b64 v[13:14], 2, v[7:8]
	v_add_co_ci_u32_e32 v6, vcc_lo, s11, v4, vcc_lo
	v_add_co_u32 v7, vcc_lo, s4, v9
	v_ashrrev_i32_e32 v16, 31, v15
	v_add_nc_u32_e32 v17, s1, v15
	v_ashrrev_i32_e32 v12, 31, v11
	v_add_co_ci_u32_e32 v8, vcc_lo, s5, v10, vcc_lo
	v_add_co_u32 v9, vcc_lo, s4, v13
	v_add_co_ci_u32_e32 v10, vcc_lo, s5, v14, vcc_lo
	v_lshlrev_b64 v[13:14], 2, v[15:16]
	v_add_nc_u32_e32 v15, s1, v17
	v_lshlrev_b64 v[11:12], 2, v[11:12]
	v_ashrrev_i32_e32 v18, 31, v17
	global_load_b32 v57, v1, s[4:5]
	s_bitcmp0_b32 s13, 0
	v_ashrrev_i32_e32 v16, 31, v15
	v_add_nc_u32_e32 v19, s1, v15
	v_add_co_u32 v11, vcc_lo, s4, v11
	v_lshlrev_b64 v[17:18], 2, v[17:18]
	v_add_co_ci_u32_e32 v12, vcc_lo, s5, v12, vcc_lo
	v_add_co_u32 v13, vcc_lo, s4, v13
	v_lshlrev_b64 v[21:22], 2, v[15:16]
	v_add_nc_u32_e32 v23, s1, v19
	v_add_co_ci_u32_e32 v14, vcc_lo, s5, v14, vcc_lo
	v_add_co_u32 v15, vcc_lo, s4, v17
	v_add_co_ci_u32_e32 v16, vcc_lo, s5, v18, vcc_lo
	v_add_co_u32 v17, vcc_lo, s4, v21
	v_add_nc_u32_e32 v21, s1, v23
	v_ashrrev_i32_e32 v20, 31, v19
	v_ashrrev_i32_e32 v24, 31, v23
	v_add_co_ci_u32_e32 v18, vcc_lo, s5, v22, vcc_lo
	s_delay_alu instid0(VALU_DEP_4) | instskip(NEXT) | instid1(VALU_DEP_4)
	v_add_nc_u32_e32 v25, s1, v21
	v_lshlrev_b64 v[19:20], 2, v[19:20]
	v_ashrrev_i32_e32 v22, 31, v21
	v_lshlrev_b64 v[23:24], 2, v[23:24]
	s_delay_alu instid0(VALU_DEP_4)
	v_add_nc_u32_e32 v29, s1, v25
	v_ashrrev_i32_e32 v26, 31, v25
	v_add_co_u32 v19, vcc_lo, s4, v19
	v_lshlrev_b64 v[27:28], 2, v[21:22]
	v_add_co_ci_u32_e32 v20, vcc_lo, s5, v20, vcc_lo
	v_add_co_u32 v21, vcc_lo, s4, v23
	v_ashrrev_i32_e32 v30, 31, v29
	v_add_nc_u32_e32 v31, s1, v29
	v_add_co_ci_u32_e32 v22, vcc_lo, s5, v24, vcc_lo
	v_add_co_u32 v23, vcc_lo, s4, v27
	v_add_co_ci_u32_e32 v24, vcc_lo, s5, v28, vcc_lo
	v_lshlrev_b64 v[27:28], 2, v[29:30]
	v_add_nc_u32_e32 v29, s1, v31
	v_lshlrev_b64 v[25:26], 2, v[25:26]
	v_ashrrev_i32_e32 v32, 31, v31
	s_clause 0x7
	global_load_b32 v58, v[5:6], off
	global_load_b32 v59, v[7:8], off
	;; [unrolled: 1-line block ×8, first 2 shown]
	v_add_nc_u32_e32 v33, s1, v29
	v_ashrrev_i32_e32 v30, 31, v29
	v_add_co_u32 v25, vcc_lo, s4, v25
	v_lshlrev_b64 v[31:32], 2, v[31:32]
	s_delay_alu instid0(VALU_DEP_4)
	v_add_nc_u32_e32 v37, s1, v33
	v_add_co_ci_u32_e32 v26, vcc_lo, s5, v26, vcc_lo
	v_add_co_u32 v27, vcc_lo, s4, v27
	v_lshlrev_b64 v[35:36], 2, v[29:30]
	v_add_co_ci_u32_e32 v28, vcc_lo, s5, v28, vcc_lo
	v_add_co_u32 v29, vcc_lo, s4, v31
	v_ashrrev_i32_e32 v38, 31, v37
	v_add_co_ci_u32_e32 v30, vcc_lo, s5, v32, vcc_lo
	v_add_co_u32 v31, vcc_lo, s4, v35
	v_add_co_ci_u32_e32 v32, vcc_lo, s5, v36, vcc_lo
	s_delay_alu instid0(VALU_DEP_4) | instskip(SKIP_2) | instid1(VALU_DEP_2)
	v_lshlrev_b64 v[35:36], 2, v[37:38]
	v_add_nc_u32_e32 v37, s1, v37
	v_ashrrev_i32_e32 v34, 31, v33
	v_add_nc_u32_e32 v39, s1, v37
	s_delay_alu instid0(VALU_DEP_2) | instskip(SKIP_1) | instid1(VALU_DEP_3)
	v_lshlrev_b64 v[33:34], 2, v[33:34]
	v_ashrrev_i32_e32 v38, 31, v37
	v_add_nc_u32_e32 v41, s1, v39
	v_ashrrev_i32_e32 v40, 31, v39
	s_delay_alu instid0(VALU_DEP_4) | instskip(NEXT) | instid1(VALU_DEP_4)
	v_add_co_u32 v33, vcc_lo, s4, v33
	v_lshlrev_b64 v[37:38], 2, v[37:38]
	s_delay_alu instid0(VALU_DEP_4) | instskip(SKIP_3) | instid1(VALU_DEP_4)
	v_add_nc_u32_e32 v43, s1, v41
	v_ashrrev_i32_e32 v42, 31, v41
	v_add_co_ci_u32_e32 v34, vcc_lo, s5, v34, vcc_lo
	v_add_co_u32 v35, vcc_lo, s4, v35
	v_add_nc_u32_e32 v45, s1, v43
	v_lshlrev_b64 v[39:40], 2, v[39:40]
	v_ashrrev_i32_e32 v44, 31, v43
	v_add_co_ci_u32_e32 v36, vcc_lo, s5, v36, vcc_lo
	s_delay_alu instid0(VALU_DEP_4) | instskip(SKIP_3) | instid1(VALU_DEP_4)
	v_add_nc_u32_e32 v47, s1, v45
	v_add_co_u32 v37, vcc_lo, s4, v37
	v_lshlrev_b64 v[41:42], 2, v[41:42]
	v_ashrrev_i32_e32 v46, 31, v45
	v_add_nc_u32_e32 v49, s1, v47
	v_add_co_ci_u32_e32 v38, vcc_lo, s5, v38, vcc_lo
	v_add_co_u32 v39, vcc_lo, s4, v39
	s_delay_alu instid0(VALU_DEP_3)
	v_add_nc_u32_e32 v51, s1, v49
	v_lshlrev_b64 v[43:44], 2, v[43:44]
	v_ashrrev_i32_e32 v48, 31, v47
	v_add_co_ci_u32_e32 v40, vcc_lo, s5, v40, vcc_lo
	v_add_co_u32 v41, vcc_lo, s4, v41
	v_lshlrev_b64 v[45:46], 2, v[45:46]
	v_add_nc_u32_e32 v53, s1, v51
	v_ashrrev_i32_e32 v50, 31, v49
	v_add_co_ci_u32_e32 v42, vcc_lo, s5, v42, vcc_lo
	v_add_co_u32 v43, vcc_lo, s4, v43
	v_lshlrev_b64 v[47:48], 2, v[47:48]
	v_ashrrev_i32_e32 v52, 31, v51
	v_add_co_ci_u32_e32 v44, vcc_lo, s5, v44, vcc_lo
	v_add_nc_u32_e32 v55, s1, v53
	v_add_co_u32 v45, vcc_lo, s4, v45
	v_lshlrev_b64 v[49:50], 2, v[49:50]
	v_ashrrev_i32_e32 v54, 31, v53
	v_add_co_ci_u32_e32 v46, vcc_lo, s5, v46, vcc_lo
	v_add_co_u32 v47, vcc_lo, s4, v47
	v_lshlrev_b64 v[51:52], 2, v[51:52]
	v_ashrrev_i32_e32 v56, 31, v55
	v_add_co_ci_u32_e32 v48, vcc_lo, s5, v48, vcc_lo
	v_add_co_u32 v49, vcc_lo, s4, v49
	v_lshlrev_b64 v[53:54], 2, v[53:54]
	v_add_co_ci_u32_e32 v50, vcc_lo, s5, v50, vcc_lo
	v_add_co_u32 v51, vcc_lo, s4, v51
	v_lshlrev_b64 v[55:56], 2, v[55:56]
	v_add_co_ci_u32_e32 v52, vcc_lo, s5, v52, vcc_lo
	v_add_co_u32 v53, vcc_lo, s4, v53
	v_add_co_ci_u32_e32 v54, vcc_lo, s5, v54, vcc_lo
	s_delay_alu instid0(VALU_DEP_4)
	v_add_co_u32 v55, vcc_lo, s4, v55
	s_clause 0x7
	global_load_b32 v66, v[21:22], off
	global_load_b32 v67, v[23:24], off
	;; [unrolled: 1-line block ×8, first 2 shown]
	v_add_co_ci_u32_e32 v56, vcc_lo, s5, v56, vcc_lo
	s_clause 0x9
	global_load_b32 v74, v[37:38], off
	global_load_b32 v75, v[39:40], off
	;; [unrolled: 1-line block ×10, first 2 shown]
	s_mov_b32 s1, -1
	s_waitcnt vmcnt(23)
	scratch_store_b128 off, v[57:60], off
	s_waitcnt vmcnt(19)
	scratch_store_b128 off, v[61:64], off offset:16
	s_waitcnt vmcnt(15)
	scratch_store_b128 off, v[65:68], off offset:32
	;; [unrolled: 2-line block ×5, first 2 shown]
	s_waitcnt vmcnt(0)
	scratch_store_b96 off, v[81:83], off offset:96
	s_cbranch_scc1 .LBB90_114
; %bb.4:
	v_cmp_eq_u32_e64 s0, 0, v0
	s_delay_alu instid0(VALU_DEP_1)
	s_and_saveexec_b32 s1, s0
	s_cbranch_execz .LBB90_6
; %bb.5:
	v_mov_b32_e32 v2, 0
	ds_store_b32 v2, v2 offset:108
.LBB90_6:
	s_or_b32 exec_lo, exec_lo, s1
	s_waitcnt lgkmcnt(0)
	s_waitcnt_vscnt null, 0x0
	s_barrier
	buffer_gl0_inv
	scratch_load_b32 v2, v1, off
	s_mov_b32 s4, exec_lo
	s_waitcnt vmcnt(0)
	v_cmpx_eq_f32_e32 0, v2
	s_cbranch_execz .LBB90_10
; %bb.7:
	v_mov_b32_e32 v2, 0
	s_mov_b32 s5, 0
	ds_load_b32 v57, v2 offset:108
	s_waitcnt lgkmcnt(0)
	v_readfirstlane_b32 s1, v57
	v_add_nc_u32_e32 v57, 1, v0
	s_delay_alu instid0(VALU_DEP_2) | instskip(NEXT) | instid1(VALU_DEP_1)
	s_cmp_eq_u32 s1, 0
	v_cmp_gt_i32_e32 vcc_lo, s1, v57
	s_cselect_b32 s10, -1, 0
	s_delay_alu instid0(SALU_CYCLE_1) | instskip(NEXT) | instid1(SALU_CYCLE_1)
	s_or_b32 s10, s10, vcc_lo
	s_and_b32 exec_lo, exec_lo, s10
	s_cbranch_execz .LBB90_10
; %bb.8:
	v_mov_b32_e32 v58, s1
.LBB90_9:                               ; =>This Inner Loop Header: Depth=1
	ds_cmpstore_rtn_b32 v58, v2, v57, v58 offset:108
	s_waitcnt lgkmcnt(0)
	v_cmp_ne_u32_e32 vcc_lo, 0, v58
	v_cmp_le_i32_e64 s1, v58, v57
	s_delay_alu instid0(VALU_DEP_1) | instskip(NEXT) | instid1(SALU_CYCLE_1)
	s_and_b32 s1, vcc_lo, s1
	s_and_b32 s1, exec_lo, s1
	s_delay_alu instid0(SALU_CYCLE_1) | instskip(NEXT) | instid1(SALU_CYCLE_1)
	s_or_b32 s5, s1, s5
	s_and_not1_b32 exec_lo, exec_lo, s5
	s_cbranch_execnz .LBB90_9
.LBB90_10:
	s_or_b32 exec_lo, exec_lo, s4
	v_mov_b32_e32 v2, 0
	s_barrier
	buffer_gl0_inv
	ds_load_b32 v57, v2 offset:108
	s_and_saveexec_b32 s1, s0
	s_cbranch_execz .LBB90_12
; %bb.11:
	s_lshl_b64 s[4:5], s[8:9], 2
	s_delay_alu instid0(SALU_CYCLE_1)
	s_add_u32 s4, s6, s4
	s_addc_u32 s5, s7, s5
	s_waitcnt lgkmcnt(0)
	global_store_b32 v2, v57, s[4:5]
.LBB90_12:
	s_or_b32 exec_lo, exec_lo, s1
	s_waitcnt lgkmcnt(0)
	v_cmp_ne_u32_e32 vcc_lo, 0, v57
	s_mov_b32 s1, 0
	s_cbranch_vccnz .LBB90_114
; %bb.13:
	v_add_nc_u32_e32 v2, 0, v1
	scratch_load_b32 v57, v2, off
	s_waitcnt vmcnt(0)
	v_div_scale_f32 v58, null, v57, v57, 1.0
	v_div_scale_f32 v61, vcc_lo, 1.0, v57, 1.0
	s_delay_alu instid0(VALU_DEP_2) | instskip(SKIP_2) | instid1(VALU_DEP_1)
	v_rcp_f32_e32 v59, v58
	s_waitcnt_depctr 0xfff
	v_fma_f32 v60, -v58, v59, 1.0
	v_fmac_f32_e32 v59, v60, v59
	s_delay_alu instid0(VALU_DEP_1) | instskip(NEXT) | instid1(VALU_DEP_1)
	v_mul_f32_e32 v60, v61, v59
	v_fma_f32 v62, -v58, v60, v61
	s_delay_alu instid0(VALU_DEP_1) | instskip(NEXT) | instid1(VALU_DEP_1)
	v_fmac_f32_e32 v60, v62, v59
	v_fma_f32 v58, -v58, v60, v61
	s_delay_alu instid0(VALU_DEP_1) | instskip(NEXT) | instid1(VALU_DEP_1)
	v_div_fmas_f32 v58, v58, v59, v60
	v_div_fixup_f32 v57, v58, v57, 1.0
	scratch_store_b32 v2, v57, off
	scratch_load_b32 v58, off, off offset:4
	v_xor_b32_e32 v59, 0x80000000, v57
	v_add_nc_u32_e32 v57, 0x70, v1
	s_waitcnt vmcnt(0)
	ds_store_2addr_b32 v1, v59, v58 offset1:28
	s_waitcnt lgkmcnt(0)
	s_waitcnt_vscnt null, 0x0
	s_barrier
	buffer_gl0_inv
	s_and_saveexec_b32 s1, s0
	s_cbranch_execz .LBB90_15
; %bb.14:
	scratch_load_b32 v58, v2, off
	ds_load_b32 v59, v57
	v_mov_b32_e32 v60, 0
	ds_load_b32 v60, v60 offset:4
	s_waitcnt vmcnt(0) lgkmcnt(1)
	v_fma_f32 v58, v58, v59, 0
	s_waitcnt lgkmcnt(0)
	s_delay_alu instid0(VALU_DEP_1)
	v_mul_f32_e32 v58, v58, v60
	scratch_store_b32 off, v58, off offset:4
.LBB90_15:
	s_or_b32 exec_lo, exec_lo, s1
	s_waitcnt_vscnt null, 0x0
	s_barrier
	buffer_gl0_inv
	scratch_load_b32 v58, off, off offset:8
	s_mov_b32 s1, exec_lo
	s_waitcnt vmcnt(0)
	ds_store_b32 v57, v58
	s_waitcnt lgkmcnt(0)
	s_barrier
	buffer_gl0_inv
	v_cmpx_gt_u32_e32 2, v0
	s_cbranch_execz .LBB90_17
; %bb.16:
	scratch_load_b32 v60, v2, off
	scratch_load_b32 v61, off, off offset:4
	ds_load_b32 v62, v57
	v_mov_b32_e32 v58, 0
	ds_load_2addr_b32 v[58:59], v58 offset0:2 offset1:29
	s_waitcnt vmcnt(1) lgkmcnt(1)
	v_fma_f32 v60, v60, v62, 0
	s_waitcnt vmcnt(0) lgkmcnt(0)
	s_delay_alu instid0(VALU_DEP_1) | instskip(NEXT) | instid1(VALU_DEP_1)
	v_fma_f32 v59, v61, v59, v60
	v_cndmask_b32_e64 v59, v60, v59, s0
	s_delay_alu instid0(VALU_DEP_1)
	v_mul_f32_e32 v58, v59, v58
	scratch_store_b32 off, v58, off offset:8
.LBB90_17:
	s_or_b32 exec_lo, exec_lo, s1
	s_waitcnt_vscnt null, 0x0
	s_barrier
	buffer_gl0_inv
	scratch_load_b32 v59, off, off offset:12
	v_add_nc_u32_e32 v58, -1, v0
	s_mov_b32 s0, exec_lo
	s_waitcnt vmcnt(0)
	ds_store_b32 v57, v59
	s_waitcnt lgkmcnt(0)
	s_barrier
	buffer_gl0_inv
	v_cmpx_gt_u32_e32 3, v0
	s_cbranch_execz .LBB90_21
; %bb.18:
	v_dual_mov_b32 v59, 0 :: v_dual_add_nc_u32 v60, -1, v0
	v_add_nc_u32_e32 v61, 0x70, v1
	v_add_nc_u32_e32 v62, 0, v1
	s_mov_b32 s1, 0
.LBB90_19:                              ; =>This Inner Loop Header: Depth=1
	scratch_load_b32 v63, v62, off
	ds_load_b32 v64, v61
	v_add_nc_u32_e32 v60, 1, v60
	v_add_nc_u32_e32 v61, 4, v61
	v_add_nc_u32_e32 v62, 4, v62
	s_delay_alu instid0(VALU_DEP_3)
	v_cmp_lt_u32_e32 vcc_lo, 1, v60
	s_or_b32 s1, vcc_lo, s1
	s_waitcnt vmcnt(0) lgkmcnt(0)
	v_fmac_f32_e32 v59, v63, v64
	s_and_not1_b32 exec_lo, exec_lo, s1
	s_cbranch_execnz .LBB90_19
; %bb.20:
	s_or_b32 exec_lo, exec_lo, s1
	v_mov_b32_e32 v60, 0
	ds_load_b32 v60, v60 offset:12
	s_waitcnt lgkmcnt(0)
	v_mul_f32_e32 v59, v59, v60
	scratch_store_b32 off, v59, off offset:12
.LBB90_21:
	s_or_b32 exec_lo, exec_lo, s0
	s_waitcnt_vscnt null, 0x0
	s_barrier
	buffer_gl0_inv
	scratch_load_b32 v59, off, off offset:16
	s_mov_b32 s0, exec_lo
	s_waitcnt vmcnt(0)
	ds_store_b32 v57, v59
	s_waitcnt lgkmcnt(0)
	s_barrier
	buffer_gl0_inv
	v_cmpx_gt_u32_e32 4, v0
	s_cbranch_execz .LBB90_25
; %bb.22:
	v_dual_mov_b32 v59, 0 :: v_dual_add_nc_u32 v60, -1, v0
	v_add_nc_u32_e32 v61, 0x70, v1
	v_add_nc_u32_e32 v62, 0, v1
	s_mov_b32 s1, 0
.LBB90_23:                              ; =>This Inner Loop Header: Depth=1
	scratch_load_b32 v63, v62, off
	ds_load_b32 v64, v61
	v_add_nc_u32_e32 v60, 1, v60
	v_add_nc_u32_e32 v61, 4, v61
	v_add_nc_u32_e32 v62, 4, v62
	s_delay_alu instid0(VALU_DEP_3)
	v_cmp_lt_u32_e32 vcc_lo, 2, v60
	s_or_b32 s1, vcc_lo, s1
	s_waitcnt vmcnt(0) lgkmcnt(0)
	v_fmac_f32_e32 v59, v63, v64
	s_and_not1_b32 exec_lo, exec_lo, s1
	s_cbranch_execnz .LBB90_23
; %bb.24:
	s_or_b32 exec_lo, exec_lo, s1
	v_mov_b32_e32 v60, 0
	ds_load_b32 v60, v60 offset:16
	s_waitcnt lgkmcnt(0)
	v_mul_f32_e32 v59, v59, v60
	scratch_store_b32 off, v59, off offset:16
.LBB90_25:
	s_or_b32 exec_lo, exec_lo, s0
	s_waitcnt_vscnt null, 0x0
	s_barrier
	buffer_gl0_inv
	scratch_load_b32 v59, off, off offset:20
	;; [unrolled: 39-line block ×21, first 2 shown]
	s_mov_b32 s0, exec_lo
	s_waitcnt vmcnt(0)
	ds_store_b32 v57, v59
	s_waitcnt lgkmcnt(0)
	s_barrier
	buffer_gl0_inv
	v_cmpx_gt_u32_e32 24, v0
	s_cbranch_execz .LBB90_105
; %bb.102:
	v_dual_mov_b32 v59, 0 :: v_dual_add_nc_u32 v60, -1, v0
	v_add_nc_u32_e32 v61, 0x70, v1
	v_add_nc_u32_e32 v62, 0, v1
	s_mov_b32 s1, 0
.LBB90_103:                             ; =>This Inner Loop Header: Depth=1
	scratch_load_b32 v63, v62, off
	ds_load_b32 v64, v61
	v_add_nc_u32_e32 v60, 1, v60
	v_add_nc_u32_e32 v61, 4, v61
	;; [unrolled: 1-line block ×3, first 2 shown]
	s_delay_alu instid0(VALU_DEP_3)
	v_cmp_lt_u32_e32 vcc_lo, 22, v60
	s_or_b32 s1, vcc_lo, s1
	s_waitcnt vmcnt(0) lgkmcnt(0)
	v_fmac_f32_e32 v59, v63, v64
	s_and_not1_b32 exec_lo, exec_lo, s1
	s_cbranch_execnz .LBB90_103
; %bb.104:
	s_or_b32 exec_lo, exec_lo, s1
	v_mov_b32_e32 v60, 0
	ds_load_b32 v60, v60 offset:96
	s_waitcnt lgkmcnt(0)
	v_mul_f32_e32 v59, v59, v60
	scratch_store_b32 off, v59, off offset:96
.LBB90_105:
	s_or_b32 exec_lo, exec_lo, s0
	s_waitcnt_vscnt null, 0x0
	s_barrier
	buffer_gl0_inv
	scratch_load_b32 v59, off, off offset:100
	s_mov_b32 s0, exec_lo
	s_waitcnt vmcnt(0)
	ds_store_b32 v57, v59
	s_waitcnt lgkmcnt(0)
	s_barrier
	buffer_gl0_inv
	v_cmpx_gt_u32_e32 25, v0
	s_cbranch_execz .LBB90_109
; %bb.106:
	v_add_nc_u32_e32 v59, -1, v0
	v_add_nc_u32_e32 v60, 0x70, v1
	v_add_nc_u32_e32 v61, 0, v1
	v_mov_b32_e32 v1, 0
	s_mov_b32 s1, 0
.LBB90_107:                             ; =>This Inner Loop Header: Depth=1
	scratch_load_b32 v62, v61, off
	ds_load_b32 v63, v60
	v_add_nc_u32_e32 v59, 1, v59
	v_add_nc_u32_e32 v60, 4, v60
	v_add_nc_u32_e32 v61, 4, v61
	s_delay_alu instid0(VALU_DEP_3)
	v_cmp_lt_u32_e32 vcc_lo, 23, v59
	s_or_b32 s1, vcc_lo, s1
	s_waitcnt vmcnt(0) lgkmcnt(0)
	v_fmac_f32_e32 v1, v62, v63
	s_and_not1_b32 exec_lo, exec_lo, s1
	s_cbranch_execnz .LBB90_107
; %bb.108:
	s_or_b32 exec_lo, exec_lo, s1
	v_mov_b32_e32 v59, 0
	ds_load_b32 v59, v59 offset:100
	s_waitcnt lgkmcnt(0)
	v_mul_f32_e32 v1, v1, v59
	scratch_store_b32 off, v1, off offset:100
.LBB90_109:
	s_or_b32 exec_lo, exec_lo, s0
	s_waitcnt_vscnt null, 0x0
	s_barrier
	buffer_gl0_inv
	scratch_load_b32 v1, off, off offset:104
	s_mov_b32 s0, exec_lo
	s_waitcnt vmcnt(0)
	ds_store_b32 v57, v1
	s_waitcnt lgkmcnt(0)
	s_barrier
	buffer_gl0_inv
	v_cmpx_ne_u32_e32 26, v0
	s_cbranch_execz .LBB90_113
; %bb.110:
	v_mov_b32_e32 v1, 0
	s_mov_b32 s1, 0
.LBB90_111:                             ; =>This Inner Loop Header: Depth=1
	scratch_load_b32 v59, v2, off
	ds_load_b32 v60, v57
	v_add_nc_u32_e32 v58, 1, v58
	v_add_nc_u32_e32 v57, 4, v57
	s_waitcnt vmcnt(0) lgkmcnt(0)
	v_dual_fmac_f32 v1, v59, v60 :: v_dual_add_nc_u32 v2, 4, v2
	s_delay_alu instid0(VALU_DEP_3) | instskip(SKIP_1) | instid1(SALU_CYCLE_1)
	v_cmp_lt_u32_e32 vcc_lo, 24, v58
	s_or_b32 s1, vcc_lo, s1
	s_and_not1_b32 exec_lo, exec_lo, s1
	s_cbranch_execnz .LBB90_111
; %bb.112:
	s_or_b32 exec_lo, exec_lo, s1
	v_mov_b32_e32 v2, 0
	ds_load_b32 v2, v2 offset:104
	s_waitcnt lgkmcnt(0)
	v_mul_f32_e32 v1, v1, v2
	scratch_store_b32 off, v1, off offset:104
.LBB90_113:
	s_or_b32 exec_lo, exec_lo, s0
	s_mov_b32 s1, -1
	s_waitcnt_vscnt null, 0x0
	s_barrier
	buffer_gl0_inv
.LBB90_114:
	s_and_b32 vcc_lo, exec_lo, s1
	s_cbranch_vccz .LBB90_116
; %bb.115:
	s_lshl_b64 s[0:1], s[8:9], 2
	v_mov_b32_e32 v1, 0
	s_add_u32 s0, s6, s0
	s_addc_u32 s1, s7, s1
	global_load_b32 v1, v1, s[0:1]
	s_waitcnt vmcnt(0)
	v_cmp_ne_u32_e32 vcc_lo, 0, v1
	s_cbranch_vccz .LBB90_117
.LBB90_116:
	s_endpgm
.LBB90_117:
	v_lshl_add_u32 v1, v0, 2, 0x70
	s_mov_b32 s0, exec_lo
	v_cmpx_eq_u32_e32 26, v0
	s_cbranch_execz .LBB90_119
; %bb.118:
	scratch_load_b32 v2, off, off offset:100
	v_mov_b32_e32 v57, 0
	scratch_store_b32 off, v57, off offset:100
	s_waitcnt vmcnt(0)
	ds_store_b32 v1, v2
.LBB90_119:
	s_or_b32 exec_lo, exec_lo, s0
	s_waitcnt lgkmcnt(0)
	s_waitcnt_vscnt null, 0x0
	s_barrier
	buffer_gl0_inv
	scratch_load_b64 v[57:58], off, off offset:100
	v_mov_b32_e32 v2, 0
	s_mov_b32 s0, exec_lo
	ds_load_b32 v59, v2 offset:216
	s_waitcnt vmcnt(0) lgkmcnt(0)
	v_fma_f32 v58, v58, v59, 0
	s_delay_alu instid0(VALU_DEP_1)
	v_sub_f32_e32 v57, v57, v58
	scratch_store_b32 off, v57, off offset:100
	v_cmpx_lt_u32_e32 24, v0
	s_cbranch_execz .LBB90_121
; %bb.120:
	scratch_load_b32 v57, off, off offset:96
	scratch_store_b32 off, v2, off offset:96
	s_waitcnt vmcnt(0)
	ds_store_b32 v1, v57
.LBB90_121:
	s_or_b32 exec_lo, exec_lo, s0
	s_waitcnt lgkmcnt(0)
	s_waitcnt_vscnt null, 0x0
	s_barrier
	buffer_gl0_inv
	scratch_load_b96 v[57:59], off, off offset:96
	ds_load_2addr_b32 v[60:61], v2 offset0:53 offset1:54
	s_mov_b32 s0, exec_lo
	s_waitcnt vmcnt(0) lgkmcnt(0)
	v_fma_f32 v2, v58, v60, 0
	s_delay_alu instid0(VALU_DEP_1) | instskip(NEXT) | instid1(VALU_DEP_1)
	v_fmac_f32_e32 v2, v59, v61
	v_sub_f32_e32 v2, v57, v2
	scratch_store_b32 off, v2, off offset:96
	v_cmpx_lt_u32_e32 23, v0
	s_cbranch_execz .LBB90_123
; %bb.122:
	scratch_load_b32 v2, off, off offset:92
	v_mov_b32_e32 v57, 0
	scratch_store_b32 off, v57, off offset:92
	s_waitcnt vmcnt(0)
	ds_store_b32 v1, v2
.LBB90_123:
	s_or_b32 exec_lo, exec_lo, s0
	s_waitcnt lgkmcnt(0)
	s_waitcnt_vscnt null, 0x0
	s_barrier
	buffer_gl0_inv
	scratch_load_b128 v[57:60], off, off offset:92
	v_mov_b32_e32 v2, 0
	s_mov_b32 s0, exec_lo
	ds_load_b96 v[61:63], v2 offset:208
	s_waitcnt vmcnt(0) lgkmcnt(0)
	v_fma_f32 v58, v58, v61, 0
	s_delay_alu instid0(VALU_DEP_1) | instskip(NEXT) | instid1(VALU_DEP_1)
	v_fmac_f32_e32 v58, v59, v62
	v_fmac_f32_e32 v58, v60, v63
	s_delay_alu instid0(VALU_DEP_1)
	v_sub_f32_e32 v57, v57, v58
	scratch_store_b32 off, v57, off offset:92
	v_cmpx_lt_u32_e32 22, v0
	s_cbranch_execz .LBB90_125
; %bb.124:
	scratch_load_b32 v57, off, off offset:88
	scratch_store_b32 off, v2, off offset:88
	s_waitcnt vmcnt(0)
	ds_store_b32 v1, v57
.LBB90_125:
	s_or_b32 exec_lo, exec_lo, s0
	s_waitcnt lgkmcnt(0)
	s_waitcnt_vscnt null, 0x0
	s_barrier
	buffer_gl0_inv
	s_clause 0x1
	scratch_load_b128 v[57:60], off, off offset:88
	scratch_load_b32 v65, off, off offset:104
	ds_load_2addr_b32 v[61:62], v2 offset0:51 offset1:52
	ds_load_2addr_b32 v[63:64], v2 offset0:53 offset1:54
	s_mov_b32 s0, exec_lo
	s_waitcnt vmcnt(1) lgkmcnt(1)
	v_fma_f32 v2, v58, v61, 0
	s_delay_alu instid0(VALU_DEP_1) | instskip(SKIP_1) | instid1(VALU_DEP_1)
	v_fmac_f32_e32 v2, v59, v62
	s_waitcnt lgkmcnt(0)
	v_fmac_f32_e32 v2, v60, v63
	s_waitcnt vmcnt(0)
	s_delay_alu instid0(VALU_DEP_1) | instskip(NEXT) | instid1(VALU_DEP_1)
	v_fmac_f32_e32 v2, v65, v64
	v_sub_f32_e32 v2, v57, v2
	scratch_store_b32 off, v2, off offset:88
	v_cmpx_lt_u32_e32 21, v0
	s_cbranch_execz .LBB90_127
; %bb.126:
	scratch_load_b32 v2, off, off offset:84
	v_mov_b32_e32 v57, 0
	scratch_store_b32 off, v57, off offset:84
	s_waitcnt vmcnt(0)
	ds_store_b32 v1, v2
.LBB90_127:
	s_or_b32 exec_lo, exec_lo, s0
	s_waitcnt lgkmcnt(0)
	s_waitcnt_vscnt null, 0x0
	s_barrier
	buffer_gl0_inv
	s_clause 0x1
	scratch_load_b128 v[57:60], off, off offset:84
	scratch_load_b64 v[65:66], off, off offset:100
	v_mov_b32_e32 v2, 0
	ds_load_2addr_b64 v[61:64], v2 offset0:25 offset1:26
	ds_load_b32 v67, v2 offset:216
	s_mov_b32 s0, exec_lo
	s_waitcnt vmcnt(1) lgkmcnt(1)
	v_fma_f32 v58, v58, v61, 0
	s_delay_alu instid0(VALU_DEP_1) | instskip(NEXT) | instid1(VALU_DEP_1)
	v_fmac_f32_e32 v58, v59, v62
	v_fmac_f32_e32 v58, v60, v63
	s_waitcnt vmcnt(0)
	s_delay_alu instid0(VALU_DEP_1) | instskip(SKIP_1) | instid1(VALU_DEP_1)
	v_fmac_f32_e32 v58, v65, v64
	s_waitcnt lgkmcnt(0)
	v_fmac_f32_e32 v58, v66, v67
	s_delay_alu instid0(VALU_DEP_1)
	v_sub_f32_e32 v57, v57, v58
	scratch_store_b32 off, v57, off offset:84
	v_cmpx_lt_u32_e32 20, v0
	s_cbranch_execz .LBB90_129
; %bb.128:
	scratch_load_b32 v57, off, off offset:80
	scratch_store_b32 off, v2, off offset:80
	s_waitcnt vmcnt(0)
	ds_store_b32 v1, v57
.LBB90_129:
	s_or_b32 exec_lo, exec_lo, s0
	s_waitcnt lgkmcnt(0)
	s_waitcnt_vscnt null, 0x0
	s_barrier
	buffer_gl0_inv
	s_clause 0x1
	scratch_load_b128 v[57:60], off, off offset:80
	scratch_load_b96 v[61:63], off, off offset:96
	ds_load_2addr_b32 v[64:65], v2 offset0:49 offset1:50
	ds_load_2addr_b32 v[66:67], v2 offset0:51 offset1:52
	;; [unrolled: 1-line block ×3, first 2 shown]
	s_mov_b32 s0, exec_lo
	s_waitcnt vmcnt(1) lgkmcnt(2)
	v_fma_f32 v2, v58, v64, 0
	s_delay_alu instid0(VALU_DEP_1) | instskip(SKIP_1) | instid1(VALU_DEP_1)
	v_fmac_f32_e32 v2, v59, v65
	s_waitcnt lgkmcnt(1)
	v_fmac_f32_e32 v2, v60, v66
	s_waitcnt vmcnt(0)
	s_delay_alu instid0(VALU_DEP_1) | instskip(SKIP_1) | instid1(VALU_DEP_1)
	v_fmac_f32_e32 v2, v61, v67
	s_waitcnt lgkmcnt(0)
	v_fmac_f32_e32 v2, v62, v68
	s_delay_alu instid0(VALU_DEP_1) | instskip(NEXT) | instid1(VALU_DEP_1)
	v_fmac_f32_e32 v2, v63, v69
	v_sub_f32_e32 v2, v57, v2
	scratch_store_b32 off, v2, off offset:80
	v_cmpx_lt_u32_e32 19, v0
	s_cbranch_execz .LBB90_131
; %bb.130:
	scratch_load_b32 v2, off, off offset:76
	v_mov_b32_e32 v57, 0
	scratch_store_b32 off, v57, off offset:76
	s_waitcnt vmcnt(0)
	ds_store_b32 v1, v2
.LBB90_131:
	s_or_b32 exec_lo, exec_lo, s0
	s_waitcnt lgkmcnt(0)
	s_waitcnt_vscnt null, 0x0
	s_barrier
	buffer_gl0_inv
	s_clause 0x1
	scratch_load_b128 v[57:60], off, off offset:76
	scratch_load_b128 v[61:64], off, off offset:92
	v_mov_b32_e32 v2, 0
	ds_load_b128 v[65:68], v2 offset:192
	ds_load_b96 v[69:71], v2 offset:208
	s_mov_b32 s0, exec_lo
	s_waitcnt vmcnt(1) lgkmcnt(1)
	v_fma_f32 v58, v58, v65, 0
	s_delay_alu instid0(VALU_DEP_1) | instskip(NEXT) | instid1(VALU_DEP_1)
	v_fmac_f32_e32 v58, v59, v66
	v_fmac_f32_e32 v58, v60, v67
	s_waitcnt vmcnt(0)
	s_delay_alu instid0(VALU_DEP_1) | instskip(SKIP_1) | instid1(VALU_DEP_1)
	v_fmac_f32_e32 v58, v61, v68
	s_waitcnt lgkmcnt(0)
	v_fmac_f32_e32 v58, v62, v69
	s_delay_alu instid0(VALU_DEP_1) | instskip(NEXT) | instid1(VALU_DEP_1)
	v_fmac_f32_e32 v58, v63, v70
	v_fmac_f32_e32 v58, v64, v71
	s_delay_alu instid0(VALU_DEP_1)
	v_sub_f32_e32 v57, v57, v58
	scratch_store_b32 off, v57, off offset:76
	v_cmpx_lt_u32_e32 18, v0
	s_cbranch_execz .LBB90_133
; %bb.132:
	scratch_load_b32 v57, off, off offset:72
	scratch_store_b32 off, v2, off offset:72
	s_waitcnt vmcnt(0)
	ds_store_b32 v1, v57
.LBB90_133:
	s_or_b32 exec_lo, exec_lo, s0
	s_waitcnt lgkmcnt(0)
	s_waitcnt_vscnt null, 0x0
	s_barrier
	buffer_gl0_inv
	s_clause 0x2
	scratch_load_b128 v[57:60], off, off offset:72
	scratch_load_b128 v[61:64], off, off offset:88
	scratch_load_b32 v73, off, off offset:104
	ds_load_2addr_b32 v[65:66], v2 offset0:47 offset1:48
	ds_load_2addr_b32 v[67:68], v2 offset0:49 offset1:50
	;; [unrolled: 1-line block ×4, first 2 shown]
	s_mov_b32 s0, exec_lo
	s_waitcnt vmcnt(2) lgkmcnt(3)
	v_fma_f32 v2, v58, v65, 0
	s_delay_alu instid0(VALU_DEP_1) | instskip(SKIP_1) | instid1(VALU_DEP_1)
	v_fmac_f32_e32 v2, v59, v66
	s_waitcnt lgkmcnt(2)
	v_fmac_f32_e32 v2, v60, v67
	s_waitcnt vmcnt(1)
	s_delay_alu instid0(VALU_DEP_1) | instskip(SKIP_1) | instid1(VALU_DEP_1)
	v_fmac_f32_e32 v2, v61, v68
	s_waitcnt lgkmcnt(1)
	v_fmac_f32_e32 v2, v62, v69
	s_delay_alu instid0(VALU_DEP_1) | instskip(SKIP_1) | instid1(VALU_DEP_1)
	v_fmac_f32_e32 v2, v63, v70
	s_waitcnt lgkmcnt(0)
	v_fmac_f32_e32 v2, v64, v71
	s_waitcnt vmcnt(0)
	s_delay_alu instid0(VALU_DEP_1) | instskip(NEXT) | instid1(VALU_DEP_1)
	v_fmac_f32_e32 v2, v73, v72
	v_sub_f32_e32 v2, v57, v2
	scratch_store_b32 off, v2, off offset:72
	v_cmpx_lt_u32_e32 17, v0
	s_cbranch_execz .LBB90_135
; %bb.134:
	scratch_load_b32 v2, off, off offset:68
	v_mov_b32_e32 v57, 0
	scratch_store_b32 off, v57, off offset:68
	s_waitcnt vmcnt(0)
	ds_store_b32 v1, v2
.LBB90_135:
	s_or_b32 exec_lo, exec_lo, s0
	s_waitcnt lgkmcnt(0)
	s_waitcnt_vscnt null, 0x0
	s_barrier
	buffer_gl0_inv
	s_clause 0x2
	scratch_load_b128 v[57:60], off, off offset:68
	scratch_load_b128 v[61:64], off, off offset:84
	scratch_load_b64 v[73:74], off, off offset:100
	v_mov_b32_e32 v2, 0
	ds_load_2addr_b64 v[65:68], v2 offset0:23 offset1:24
	ds_load_2addr_b64 v[69:72], v2 offset0:25 offset1:26
	s_mov_b32 s0, exec_lo
	s_waitcnt vmcnt(2) lgkmcnt(1)
	v_fma_f32 v58, v58, v65, 0
	s_delay_alu instid0(VALU_DEP_1) | instskip(SKIP_3) | instid1(VALU_DEP_1)
	v_fmac_f32_e32 v58, v59, v66
	ds_load_b32 v59, v2 offset:216
	v_fmac_f32_e32 v58, v60, v67
	s_waitcnt vmcnt(1)
	v_fmac_f32_e32 v58, v61, v68
	s_waitcnt lgkmcnt(1)
	s_delay_alu instid0(VALU_DEP_1) | instskip(NEXT) | instid1(VALU_DEP_1)
	v_fmac_f32_e32 v58, v62, v69
	v_fmac_f32_e32 v58, v63, v70
	s_delay_alu instid0(VALU_DEP_1) | instskip(SKIP_1) | instid1(VALU_DEP_1)
	v_fmac_f32_e32 v58, v64, v71
	s_waitcnt vmcnt(0)
	v_fmac_f32_e32 v58, v73, v72
	s_waitcnt lgkmcnt(0)
	s_delay_alu instid0(VALU_DEP_1) | instskip(NEXT) | instid1(VALU_DEP_1)
	v_fmac_f32_e32 v58, v74, v59
	v_sub_f32_e32 v57, v57, v58
	scratch_store_b32 off, v57, off offset:68
	v_cmpx_lt_u32_e32 16, v0
	s_cbranch_execz .LBB90_137
; %bb.136:
	scratch_load_b32 v57, off, off offset:64
	scratch_store_b32 off, v2, off offset:64
	s_waitcnt vmcnt(0)
	ds_store_b32 v1, v57
.LBB90_137:
	s_or_b32 exec_lo, exec_lo, s0
	s_waitcnt lgkmcnt(0)
	s_waitcnt_vscnt null, 0x0
	s_barrier
	buffer_gl0_inv
	s_clause 0x2
	scratch_load_b128 v[57:60], off, off offset:64
	scratch_load_b128 v[61:64], off, off offset:80
	scratch_load_b96 v[65:67], off, off offset:96
	ds_load_2addr_b32 v[68:69], v2 offset0:45 offset1:46
	ds_load_2addr_b32 v[70:71], v2 offset0:47 offset1:48
	;; [unrolled: 1-line block ×4, first 2 shown]
	s_mov_b32 s0, exec_lo
	s_waitcnt vmcnt(2) lgkmcnt(3)
	v_fma_f32 v68, v58, v68, 0
	s_delay_alu instid0(VALU_DEP_1) | instskip(SKIP_4) | instid1(VALU_DEP_1)
	v_fmac_f32_e32 v68, v59, v69
	ds_load_2addr_b32 v[58:59], v2 offset0:53 offset1:54
	s_waitcnt lgkmcnt(3)
	v_fmac_f32_e32 v68, v60, v70
	s_waitcnt vmcnt(1)
	v_fmac_f32_e32 v68, v61, v71
	s_waitcnt lgkmcnt(2)
	s_delay_alu instid0(VALU_DEP_1) | instskip(NEXT) | instid1(VALU_DEP_1)
	v_fmac_f32_e32 v68, v62, v72
	v_fmac_f32_e32 v68, v63, v73
	s_waitcnt lgkmcnt(1)
	s_delay_alu instid0(VALU_DEP_1) | instskip(SKIP_1) | instid1(VALU_DEP_1)
	v_fmac_f32_e32 v68, v64, v74
	s_waitcnt vmcnt(0)
	v_fmac_f32_e32 v68, v65, v75
	s_waitcnt lgkmcnt(0)
	s_delay_alu instid0(VALU_DEP_1) | instskip(NEXT) | instid1(VALU_DEP_1)
	v_fmac_f32_e32 v68, v66, v58
	v_fmac_f32_e32 v68, v67, v59
	s_delay_alu instid0(VALU_DEP_1)
	v_sub_f32_e32 v2, v57, v68
	scratch_store_b32 off, v2, off offset:64
	v_cmpx_lt_u32_e32 15, v0
	s_cbranch_execz .LBB90_139
; %bb.138:
	scratch_load_b32 v2, off, off offset:60
	v_mov_b32_e32 v57, 0
	scratch_store_b32 off, v57, off offset:60
	s_waitcnt vmcnt(0)
	ds_store_b32 v1, v2
.LBB90_139:
	s_or_b32 exec_lo, exec_lo, s0
	s_waitcnt lgkmcnt(0)
	s_waitcnt_vscnt null, 0x0
	s_barrier
	buffer_gl0_inv
	s_clause 0x2
	scratch_load_b128 v[57:60], off, off offset:60
	scratch_load_b128 v[61:64], off, off offset:76
	scratch_load_b128 v[65:68], off, off offset:92
	v_mov_b32_e32 v2, 0
	ds_load_b128 v[69:72], v2 offset:176
	ds_load_b128 v[73:76], v2 offset:192
	s_mov_b32 s0, exec_lo
	s_waitcnt vmcnt(2) lgkmcnt(1)
	v_fma_f32 v69, v58, v69, 0
	s_delay_alu instid0(VALU_DEP_1) | instskip(NEXT) | instid1(VALU_DEP_1)
	v_fmac_f32_e32 v69, v59, v70
	v_fmac_f32_e32 v69, v60, v71
	ds_load_b96 v[58:60], v2 offset:208
	s_waitcnt vmcnt(1)
	v_fmac_f32_e32 v69, v61, v72
	s_waitcnt lgkmcnt(1)
	s_delay_alu instid0(VALU_DEP_1) | instskip(NEXT) | instid1(VALU_DEP_1)
	v_fmac_f32_e32 v69, v62, v73
	v_fmac_f32_e32 v69, v63, v74
	s_delay_alu instid0(VALU_DEP_1) | instskip(SKIP_1) | instid1(VALU_DEP_1)
	v_fmac_f32_e32 v69, v64, v75
	s_waitcnt vmcnt(0)
	v_fmac_f32_e32 v69, v65, v76
	s_waitcnt lgkmcnt(0)
	s_delay_alu instid0(VALU_DEP_1) | instskip(NEXT) | instid1(VALU_DEP_1)
	v_fmac_f32_e32 v69, v66, v58
	v_fmac_f32_e32 v69, v67, v59
	s_delay_alu instid0(VALU_DEP_1) | instskip(NEXT) | instid1(VALU_DEP_1)
	v_fmac_f32_e32 v69, v68, v60
	v_sub_f32_e32 v57, v57, v69
	scratch_store_b32 off, v57, off offset:60
	v_cmpx_lt_u32_e32 14, v0
	s_cbranch_execz .LBB90_141
; %bb.140:
	scratch_load_b32 v57, off, off offset:56
	scratch_store_b32 off, v2, off offset:56
	s_waitcnt vmcnt(0)
	ds_store_b32 v1, v57
.LBB90_141:
	s_or_b32 exec_lo, exec_lo, s0
	s_waitcnt lgkmcnt(0)
	s_waitcnt_vscnt null, 0x0
	s_barrier
	buffer_gl0_inv
	s_clause 0x3
	scratch_load_b128 v[57:60], off, off offset:56
	scratch_load_b128 v[61:64], off, off offset:72
	;; [unrolled: 1-line block ×3, first 2 shown]
	scratch_load_b32 v77, off, off offset:104
	ds_load_2addr_b32 v[69:70], v2 offset0:43 offset1:44
	ds_load_2addr_b32 v[71:72], v2 offset0:45 offset1:46
	;; [unrolled: 1-line block ×4, first 2 shown]
	s_mov_b32 s0, exec_lo
	s_waitcnt vmcnt(3) lgkmcnt(3)
	v_fma_f32 v69, v58, v69, 0
	s_delay_alu instid0(VALU_DEP_1) | instskip(SKIP_4) | instid1(VALU_DEP_1)
	v_fmac_f32_e32 v69, v59, v70
	ds_load_2addr_b32 v[58:59], v2 offset0:51 offset1:52
	s_waitcnt lgkmcnt(3)
	v_fmac_f32_e32 v69, v60, v71
	s_waitcnt vmcnt(2)
	v_fmac_f32_e32 v69, v61, v72
	ds_load_2addr_b32 v[60:61], v2 offset0:53 offset1:54
	s_waitcnt lgkmcnt(3)
	v_fmac_f32_e32 v69, v62, v73
	s_delay_alu instid0(VALU_DEP_1) | instskip(SKIP_1) | instid1(VALU_DEP_1)
	v_fmac_f32_e32 v69, v63, v74
	s_waitcnt lgkmcnt(2)
	v_fmac_f32_e32 v69, v64, v75
	s_waitcnt vmcnt(1)
	s_delay_alu instid0(VALU_DEP_1) | instskip(SKIP_1) | instid1(VALU_DEP_1)
	v_fmac_f32_e32 v69, v65, v76
	s_waitcnt lgkmcnt(1)
	v_fmac_f32_e32 v69, v66, v58
	s_delay_alu instid0(VALU_DEP_1) | instskip(SKIP_1) | instid1(VALU_DEP_1)
	v_fmac_f32_e32 v69, v67, v59
	s_waitcnt lgkmcnt(0)
	v_fmac_f32_e32 v69, v68, v60
	s_waitcnt vmcnt(0)
	s_delay_alu instid0(VALU_DEP_1) | instskip(NEXT) | instid1(VALU_DEP_1)
	v_fmac_f32_e32 v69, v77, v61
	v_sub_f32_e32 v2, v57, v69
	scratch_store_b32 off, v2, off offset:56
	v_cmpx_lt_u32_e32 13, v0
	s_cbranch_execz .LBB90_143
; %bb.142:
	scratch_load_b32 v2, off, off offset:52
	v_mov_b32_e32 v57, 0
	scratch_store_b32 off, v57, off offset:52
	s_waitcnt vmcnt(0)
	ds_store_b32 v1, v2
.LBB90_143:
	s_or_b32 exec_lo, exec_lo, s0
	s_waitcnt lgkmcnt(0)
	s_waitcnt_vscnt null, 0x0
	s_barrier
	buffer_gl0_inv
	s_clause 0x3
	scratch_load_b128 v[57:60], off, off offset:52
	scratch_load_b128 v[61:64], off, off offset:68
	;; [unrolled: 1-line block ×3, first 2 shown]
	scratch_load_b64 v[77:78], off, off offset:100
	v_mov_b32_e32 v2, 0
	ds_load_2addr_b64 v[69:72], v2 offset0:21 offset1:22
	ds_load_2addr_b64 v[73:76], v2 offset0:23 offset1:24
	s_mov_b32 s0, exec_lo
	s_waitcnt vmcnt(3) lgkmcnt(1)
	v_fma_f32 v69, v58, v69, 0
	s_delay_alu instid0(VALU_DEP_1) | instskip(NEXT) | instid1(VALU_DEP_1)
	v_fmac_f32_e32 v69, v59, v70
	v_fmac_f32_e32 v69, v60, v71
	s_waitcnt vmcnt(2)
	s_delay_alu instid0(VALU_DEP_1)
	v_fmac_f32_e32 v69, v61, v72
	ds_load_2addr_b64 v[58:61], v2 offset0:25 offset1:26
	s_waitcnt lgkmcnt(1)
	v_fmac_f32_e32 v69, v62, v73
	ds_load_b32 v62, v2 offset:216
	v_fmac_f32_e32 v69, v63, v74
	s_delay_alu instid0(VALU_DEP_1) | instskip(SKIP_1) | instid1(VALU_DEP_1)
	v_fmac_f32_e32 v69, v64, v75
	s_waitcnt vmcnt(1)
	v_fmac_f32_e32 v69, v65, v76
	s_waitcnt lgkmcnt(1)
	s_delay_alu instid0(VALU_DEP_1) | instskip(NEXT) | instid1(VALU_DEP_1)
	v_fmac_f32_e32 v69, v66, v58
	v_fmac_f32_e32 v69, v67, v59
	s_delay_alu instid0(VALU_DEP_1) | instskip(SKIP_1) | instid1(VALU_DEP_1)
	v_fmac_f32_e32 v69, v68, v60
	s_waitcnt vmcnt(0)
	v_fmac_f32_e32 v69, v77, v61
	s_waitcnt lgkmcnt(0)
	s_delay_alu instid0(VALU_DEP_1) | instskip(NEXT) | instid1(VALU_DEP_1)
	v_fmac_f32_e32 v69, v78, v62
	v_sub_f32_e32 v57, v57, v69
	scratch_store_b32 off, v57, off offset:52
	v_cmpx_lt_u32_e32 12, v0
	s_cbranch_execz .LBB90_145
; %bb.144:
	scratch_load_b32 v57, off, off offset:48
	scratch_store_b32 off, v2, off offset:48
	s_waitcnt vmcnt(0)
	ds_store_b32 v1, v57
.LBB90_145:
	s_or_b32 exec_lo, exec_lo, s0
	s_waitcnt lgkmcnt(0)
	s_waitcnt_vscnt null, 0x0
	s_barrier
	buffer_gl0_inv
	s_clause 0x3
	scratch_load_b128 v[57:60], off, off offset:48
	scratch_load_b128 v[61:64], off, off offset:64
	;; [unrolled: 1-line block ×3, first 2 shown]
	scratch_load_b96 v[69:71], off, off offset:96
	ds_load_2addr_b32 v[72:73], v2 offset0:41 offset1:42
	ds_load_2addr_b32 v[74:75], v2 offset0:43 offset1:44
	;; [unrolled: 1-line block ×4, first 2 shown]
	s_mov_b32 s0, exec_lo
	s_waitcnt vmcnt(3) lgkmcnt(3)
	v_fma_f32 v72, v58, v72, 0
	s_delay_alu instid0(VALU_DEP_1) | instskip(SKIP_4) | instid1(VALU_DEP_1)
	v_fmac_f32_e32 v72, v59, v73
	ds_load_2addr_b32 v[58:59], v2 offset0:49 offset1:50
	s_waitcnt lgkmcnt(3)
	v_fmac_f32_e32 v72, v60, v74
	s_waitcnt vmcnt(2)
	v_fmac_f32_e32 v72, v61, v75
	ds_load_2addr_b32 v[60:61], v2 offset0:51 offset1:52
	s_waitcnt lgkmcnt(3)
	v_fmac_f32_e32 v72, v62, v76
	s_delay_alu instid0(VALU_DEP_1) | instskip(SKIP_4) | instid1(VALU_DEP_1)
	v_fmac_f32_e32 v72, v63, v77
	ds_load_2addr_b32 v[62:63], v2 offset0:53 offset1:54
	s_waitcnt lgkmcnt(3)
	v_fmac_f32_e32 v72, v64, v78
	s_waitcnt vmcnt(1)
	v_fmac_f32_e32 v72, v65, v79
	s_waitcnt lgkmcnt(2)
	s_delay_alu instid0(VALU_DEP_1) | instskip(NEXT) | instid1(VALU_DEP_1)
	v_fmac_f32_e32 v72, v66, v58
	v_fmac_f32_e32 v72, v67, v59
	s_waitcnt lgkmcnt(1)
	s_delay_alu instid0(VALU_DEP_1) | instskip(SKIP_1) | instid1(VALU_DEP_1)
	v_fmac_f32_e32 v72, v68, v60
	s_waitcnt vmcnt(0)
	v_fmac_f32_e32 v72, v69, v61
	s_waitcnt lgkmcnt(0)
	s_delay_alu instid0(VALU_DEP_1) | instskip(NEXT) | instid1(VALU_DEP_1)
	v_fmac_f32_e32 v72, v70, v62
	v_fmac_f32_e32 v72, v71, v63
	s_delay_alu instid0(VALU_DEP_1)
	v_sub_f32_e32 v2, v57, v72
	scratch_store_b32 off, v2, off offset:48
	v_cmpx_lt_u32_e32 11, v0
	s_cbranch_execz .LBB90_147
; %bb.146:
	scratch_load_b32 v2, off, off offset:44
	v_mov_b32_e32 v57, 0
	scratch_store_b32 off, v57, off offset:44
	s_waitcnt vmcnt(0)
	ds_store_b32 v1, v2
.LBB90_147:
	s_or_b32 exec_lo, exec_lo, s0
	s_waitcnt lgkmcnt(0)
	s_waitcnt_vscnt null, 0x0
	s_barrier
	buffer_gl0_inv
	s_clause 0x3
	scratch_load_b128 v[57:60], off, off offset:44
	scratch_load_b128 v[61:64], off, off offset:60
	;; [unrolled: 1-line block ×4, first 2 shown]
	v_mov_b32_e32 v2, 0
	ds_load_b128 v[73:76], v2 offset:160
	ds_load_b128 v[77:80], v2 offset:176
	s_mov_b32 s0, exec_lo
	s_waitcnt vmcnt(3) lgkmcnt(1)
	v_fma_f32 v73, v58, v73, 0
	s_delay_alu instid0(VALU_DEP_1) | instskip(NEXT) | instid1(VALU_DEP_1)
	v_fmac_f32_e32 v73, v59, v74
	v_fmac_f32_e32 v73, v60, v75
	s_waitcnt vmcnt(2)
	s_delay_alu instid0(VALU_DEP_1) | instskip(SKIP_3) | instid1(VALU_DEP_1)
	v_fmac_f32_e32 v73, v61, v76
	ds_load_b128 v[58:61], v2 offset:192
	s_waitcnt lgkmcnt(1)
	v_fmac_f32_e32 v73, v62, v77
	v_fmac_f32_e32 v73, v63, v78
	s_delay_alu instid0(VALU_DEP_1) | instskip(SKIP_4) | instid1(VALU_DEP_1)
	v_fmac_f32_e32 v73, v64, v79
	ds_load_b96 v[62:64], v2 offset:208
	s_waitcnt vmcnt(1)
	v_fmac_f32_e32 v73, v65, v80
	s_waitcnt lgkmcnt(1)
	v_fmac_f32_e32 v73, v66, v58
	s_delay_alu instid0(VALU_DEP_1) | instskip(NEXT) | instid1(VALU_DEP_1)
	v_fmac_f32_e32 v73, v67, v59
	v_fmac_f32_e32 v73, v68, v60
	s_waitcnt vmcnt(0)
	s_delay_alu instid0(VALU_DEP_1) | instskip(SKIP_1) | instid1(VALU_DEP_1)
	v_fmac_f32_e32 v73, v69, v61
	s_waitcnt lgkmcnt(0)
	v_fmac_f32_e32 v73, v70, v62
	s_delay_alu instid0(VALU_DEP_1) | instskip(NEXT) | instid1(VALU_DEP_1)
	v_fmac_f32_e32 v73, v71, v63
	v_fmac_f32_e32 v73, v72, v64
	s_delay_alu instid0(VALU_DEP_1)
	v_sub_f32_e32 v57, v57, v73
	scratch_store_b32 off, v57, off offset:44
	v_cmpx_lt_u32_e32 10, v0
	s_cbranch_execz .LBB90_149
; %bb.148:
	scratch_load_b32 v57, off, off offset:40
	scratch_store_b32 off, v2, off offset:40
	s_waitcnt vmcnt(0)
	ds_store_b32 v1, v57
.LBB90_149:
	s_or_b32 exec_lo, exec_lo, s0
	s_waitcnt lgkmcnt(0)
	s_waitcnt_vscnt null, 0x0
	s_barrier
	buffer_gl0_inv
	s_clause 0x4
	scratch_load_b128 v[57:60], off, off offset:40
	scratch_load_b128 v[61:64], off, off offset:56
	;; [unrolled: 1-line block ×4, first 2 shown]
	scratch_load_b32 v81, off, off offset:104
	ds_load_2addr_b32 v[73:74], v2 offset0:39 offset1:40
	ds_load_2addr_b32 v[75:76], v2 offset0:41 offset1:42
	ds_load_2addr_b32 v[77:78], v2 offset0:43 offset1:44
	ds_load_2addr_b32 v[79:80], v2 offset0:45 offset1:46
	s_mov_b32 s0, exec_lo
	s_waitcnt vmcnt(4) lgkmcnt(3)
	v_fma_f32 v73, v58, v73, 0
	s_delay_alu instid0(VALU_DEP_1) | instskip(SKIP_4) | instid1(VALU_DEP_1)
	v_fmac_f32_e32 v73, v59, v74
	ds_load_2addr_b32 v[58:59], v2 offset0:47 offset1:48
	s_waitcnt lgkmcnt(3)
	v_fmac_f32_e32 v73, v60, v75
	s_waitcnt vmcnt(3)
	v_fmac_f32_e32 v73, v61, v76
	ds_load_2addr_b32 v[60:61], v2 offset0:49 offset1:50
	s_waitcnt lgkmcnt(3)
	v_fmac_f32_e32 v73, v62, v77
	s_delay_alu instid0(VALU_DEP_1) | instskip(SKIP_1) | instid1(VALU_DEP_1)
	v_fmac_f32_e32 v73, v63, v78
	s_waitcnt lgkmcnt(2)
	v_fmac_f32_e32 v73, v64, v79
	s_waitcnt vmcnt(2)
	s_delay_alu instid0(VALU_DEP_1) | instskip(SKIP_4) | instid1(VALU_DEP_1)
	v_fmac_f32_e32 v73, v65, v80
	ds_load_2addr_b32 v[62:63], v2 offset0:51 offset1:52
	ds_load_2addr_b32 v[64:65], v2 offset0:53 offset1:54
	s_waitcnt lgkmcnt(3)
	v_fmac_f32_e32 v73, v66, v58
	v_fmac_f32_e32 v73, v67, v59
	s_waitcnt lgkmcnt(2)
	s_delay_alu instid0(VALU_DEP_1) | instskip(SKIP_1) | instid1(VALU_DEP_1)
	v_fmac_f32_e32 v73, v68, v60
	s_waitcnt vmcnt(1)
	v_fmac_f32_e32 v73, v69, v61
	s_waitcnt lgkmcnt(1)
	s_delay_alu instid0(VALU_DEP_1) | instskip(NEXT) | instid1(VALU_DEP_1)
	v_fmac_f32_e32 v73, v70, v62
	v_fmac_f32_e32 v73, v71, v63
	s_waitcnt lgkmcnt(0)
	s_delay_alu instid0(VALU_DEP_1) | instskip(SKIP_1) | instid1(VALU_DEP_1)
	v_fmac_f32_e32 v73, v72, v64
	s_waitcnt vmcnt(0)
	v_fmac_f32_e32 v73, v81, v65
	s_delay_alu instid0(VALU_DEP_1)
	v_sub_f32_e32 v2, v57, v73
	scratch_store_b32 off, v2, off offset:40
	v_cmpx_lt_u32_e32 9, v0
	s_cbranch_execz .LBB90_151
; %bb.150:
	scratch_load_b32 v2, off, off offset:36
	v_mov_b32_e32 v57, 0
	scratch_store_b32 off, v57, off offset:36
	s_waitcnt vmcnt(0)
	ds_store_b32 v1, v2
.LBB90_151:
	s_or_b32 exec_lo, exec_lo, s0
	s_waitcnt lgkmcnt(0)
	s_waitcnt_vscnt null, 0x0
	s_barrier
	buffer_gl0_inv
	s_clause 0x4
	scratch_load_b128 v[57:60], off, off offset:36
	scratch_load_b128 v[61:64], off, off offset:52
	;; [unrolled: 1-line block ×4, first 2 shown]
	scratch_load_b64 v[81:82], off, off offset:100
	v_mov_b32_e32 v2, 0
	ds_load_2addr_b64 v[73:76], v2 offset0:19 offset1:20
	ds_load_2addr_b64 v[77:80], v2 offset0:21 offset1:22
	s_mov_b32 s0, exec_lo
	s_waitcnt vmcnt(4) lgkmcnt(1)
	v_fma_f32 v73, v58, v73, 0
	s_delay_alu instid0(VALU_DEP_1) | instskip(NEXT) | instid1(VALU_DEP_1)
	v_fmac_f32_e32 v73, v59, v74
	v_fmac_f32_e32 v73, v60, v75
	s_waitcnt vmcnt(3)
	s_delay_alu instid0(VALU_DEP_1) | instskip(SKIP_3) | instid1(VALU_DEP_1)
	v_fmac_f32_e32 v73, v61, v76
	ds_load_2addr_b64 v[58:61], v2 offset0:23 offset1:24
	s_waitcnt lgkmcnt(1)
	v_fmac_f32_e32 v73, v62, v77
	v_fmac_f32_e32 v73, v63, v78
	s_delay_alu instid0(VALU_DEP_1) | instskip(SKIP_1) | instid1(VALU_DEP_1)
	v_fmac_f32_e32 v73, v64, v79
	s_waitcnt vmcnt(2)
	v_fmac_f32_e32 v73, v65, v80
	ds_load_2addr_b64 v[62:65], v2 offset0:25 offset1:26
	s_waitcnt lgkmcnt(1)
	v_fmac_f32_e32 v73, v66, v58
	ds_load_b32 v58, v2 offset:216
	v_fmac_f32_e32 v73, v67, v59
	s_delay_alu instid0(VALU_DEP_1) | instskip(SKIP_1) | instid1(VALU_DEP_1)
	v_fmac_f32_e32 v73, v68, v60
	s_waitcnt vmcnt(1)
	v_fmac_f32_e32 v73, v69, v61
	s_waitcnt lgkmcnt(1)
	s_delay_alu instid0(VALU_DEP_1) | instskip(NEXT) | instid1(VALU_DEP_1)
	v_fmac_f32_e32 v73, v70, v62
	v_fmac_f32_e32 v73, v71, v63
	s_delay_alu instid0(VALU_DEP_1) | instskip(SKIP_1) | instid1(VALU_DEP_1)
	v_fmac_f32_e32 v73, v72, v64
	s_waitcnt vmcnt(0)
	v_fmac_f32_e32 v73, v81, v65
	s_waitcnt lgkmcnt(0)
	s_delay_alu instid0(VALU_DEP_1) | instskip(NEXT) | instid1(VALU_DEP_1)
	v_fmac_f32_e32 v73, v82, v58
	v_sub_f32_e32 v57, v57, v73
	scratch_store_b32 off, v57, off offset:36
	v_cmpx_lt_u32_e32 8, v0
	s_cbranch_execz .LBB90_153
; %bb.152:
	scratch_load_b32 v57, off, off offset:32
	scratch_store_b32 off, v2, off offset:32
	s_waitcnt vmcnt(0)
	ds_store_b32 v1, v57
.LBB90_153:
	s_or_b32 exec_lo, exec_lo, s0
	s_waitcnt lgkmcnt(0)
	s_waitcnt_vscnt null, 0x0
	s_barrier
	buffer_gl0_inv
	s_clause 0x4
	scratch_load_b128 v[57:60], off, off offset:32
	scratch_load_b128 v[61:64], off, off offset:48
	;; [unrolled: 1-line block ×4, first 2 shown]
	scratch_load_b96 v[73:75], off, off offset:96
	ds_load_2addr_b32 v[76:77], v2 offset0:37 offset1:38
	ds_load_2addr_b32 v[78:79], v2 offset0:39 offset1:40
	;; [unrolled: 1-line block ×4, first 2 shown]
	s_mov_b32 s0, exec_lo
	s_waitcnt vmcnt(4) lgkmcnt(3)
	v_fma_f32 v76, v58, v76, 0
	s_delay_alu instid0(VALU_DEP_1) | instskip(SKIP_4) | instid1(VALU_DEP_1)
	v_fmac_f32_e32 v76, v59, v77
	ds_load_2addr_b32 v[58:59], v2 offset0:45 offset1:46
	s_waitcnt lgkmcnt(3)
	v_fmac_f32_e32 v76, v60, v78
	s_waitcnt vmcnt(3)
	v_fmac_f32_e32 v76, v61, v79
	ds_load_2addr_b32 v[60:61], v2 offset0:47 offset1:48
	s_waitcnt lgkmcnt(3)
	v_fmac_f32_e32 v76, v62, v80
	s_delay_alu instid0(VALU_DEP_1) | instskip(SKIP_1) | instid1(VALU_DEP_1)
	v_fmac_f32_e32 v76, v63, v81
	s_waitcnt lgkmcnt(2)
	v_fmac_f32_e32 v76, v64, v82
	s_waitcnt vmcnt(2)
	s_delay_alu instid0(VALU_DEP_1) | instskip(SKIP_4) | instid1(VALU_DEP_1)
	v_fmac_f32_e32 v76, v65, v83
	ds_load_2addr_b32 v[62:63], v2 offset0:49 offset1:50
	ds_load_2addr_b32 v[64:65], v2 offset0:51 offset1:52
	s_waitcnt lgkmcnt(3)
	v_fmac_f32_e32 v76, v66, v58
	v_fmac_f32_e32 v76, v67, v59
	ds_load_2addr_b32 v[58:59], v2 offset0:53 offset1:54
	s_waitcnt lgkmcnt(3)
	v_fmac_f32_e32 v76, v68, v60
	s_waitcnt vmcnt(1)
	s_delay_alu instid0(VALU_DEP_1) | instskip(SKIP_1) | instid1(VALU_DEP_1)
	v_fmac_f32_e32 v76, v69, v61
	s_waitcnt lgkmcnt(2)
	v_fmac_f32_e32 v76, v70, v62
	s_delay_alu instid0(VALU_DEP_1) | instskip(SKIP_1) | instid1(VALU_DEP_1)
	v_fmac_f32_e32 v76, v71, v63
	s_waitcnt lgkmcnt(1)
	v_fmac_f32_e32 v76, v72, v64
	s_waitcnt vmcnt(0)
	s_delay_alu instid0(VALU_DEP_1) | instskip(SKIP_1) | instid1(VALU_DEP_1)
	v_fmac_f32_e32 v76, v73, v65
	s_waitcnt lgkmcnt(0)
	v_fmac_f32_e32 v76, v74, v58
	s_delay_alu instid0(VALU_DEP_1) | instskip(NEXT) | instid1(VALU_DEP_1)
	v_fmac_f32_e32 v76, v75, v59
	v_sub_f32_e32 v2, v57, v76
	scratch_store_b32 off, v2, off offset:32
	v_cmpx_lt_u32_e32 7, v0
	s_cbranch_execz .LBB90_155
; %bb.154:
	scratch_load_b32 v2, off, off offset:28
	v_mov_b32_e32 v57, 0
	scratch_store_b32 off, v57, off offset:28
	s_waitcnt vmcnt(0)
	ds_store_b32 v1, v2
.LBB90_155:
	s_or_b32 exec_lo, exec_lo, s0
	s_waitcnt lgkmcnt(0)
	s_waitcnt_vscnt null, 0x0
	s_barrier
	buffer_gl0_inv
	s_clause 0x4
	scratch_load_b128 v[57:60], off, off offset:28
	scratch_load_b128 v[61:64], off, off offset:44
	;; [unrolled: 1-line block ×5, first 2 shown]
	v_mov_b32_e32 v2, 0
	ds_load_b128 v[77:80], v2 offset:144
	ds_load_b128 v[81:84], v2 offset:160
	s_mov_b32 s0, exec_lo
	s_waitcnt vmcnt(4) lgkmcnt(1)
	v_fma_f32 v77, v58, v77, 0
	s_delay_alu instid0(VALU_DEP_1) | instskip(NEXT) | instid1(VALU_DEP_1)
	v_fmac_f32_e32 v77, v59, v78
	v_fmac_f32_e32 v77, v60, v79
	s_waitcnt vmcnt(3)
	s_delay_alu instid0(VALU_DEP_1) | instskip(SKIP_3) | instid1(VALU_DEP_1)
	v_fmac_f32_e32 v77, v61, v80
	ds_load_b128 v[58:61], v2 offset:176
	s_waitcnt lgkmcnt(1)
	v_fmac_f32_e32 v77, v62, v81
	v_fmac_f32_e32 v77, v63, v82
	s_delay_alu instid0(VALU_DEP_1) | instskip(SKIP_1) | instid1(VALU_DEP_1)
	v_fmac_f32_e32 v77, v64, v83
	s_waitcnt vmcnt(2)
	v_fmac_f32_e32 v77, v65, v84
	ds_load_b128 v[62:65], v2 offset:192
	s_waitcnt lgkmcnt(1)
	v_fmac_f32_e32 v77, v66, v58
	s_delay_alu instid0(VALU_DEP_1) | instskip(NEXT) | instid1(VALU_DEP_1)
	v_fmac_f32_e32 v77, v67, v59
	v_fmac_f32_e32 v77, v68, v60
	ds_load_b96 v[58:60], v2 offset:208
	s_waitcnt vmcnt(1)
	v_fmac_f32_e32 v77, v69, v61
	s_waitcnt lgkmcnt(1)
	s_delay_alu instid0(VALU_DEP_1) | instskip(NEXT) | instid1(VALU_DEP_1)
	v_fmac_f32_e32 v77, v70, v62
	v_fmac_f32_e32 v77, v71, v63
	s_delay_alu instid0(VALU_DEP_1) | instskip(SKIP_1) | instid1(VALU_DEP_1)
	v_fmac_f32_e32 v77, v72, v64
	s_waitcnt vmcnt(0)
	v_fmac_f32_e32 v77, v73, v65
	s_waitcnt lgkmcnt(0)
	s_delay_alu instid0(VALU_DEP_1) | instskip(NEXT) | instid1(VALU_DEP_1)
	v_fmac_f32_e32 v77, v74, v58
	v_fmac_f32_e32 v77, v75, v59
	s_delay_alu instid0(VALU_DEP_1) | instskip(NEXT) | instid1(VALU_DEP_1)
	v_fmac_f32_e32 v77, v76, v60
	v_sub_f32_e32 v57, v57, v77
	scratch_store_b32 off, v57, off offset:28
	v_cmpx_lt_u32_e32 6, v0
	s_cbranch_execz .LBB90_157
; %bb.156:
	scratch_load_b32 v57, off, off offset:24
	scratch_store_b32 off, v2, off offset:24
	s_waitcnt vmcnt(0)
	ds_store_b32 v1, v57
.LBB90_157:
	s_or_b32 exec_lo, exec_lo, s0
	s_waitcnt lgkmcnt(0)
	s_waitcnt_vscnt null, 0x0
	s_barrier
	buffer_gl0_inv
	s_clause 0x5
	scratch_load_b128 v[57:60], off, off offset:24
	scratch_load_b128 v[61:64], off, off offset:40
	;; [unrolled: 1-line block ×5, first 2 shown]
	scratch_load_b32 v85, off, off offset:104
	ds_load_2addr_b32 v[77:78], v2 offset0:35 offset1:36
	ds_load_2addr_b32 v[79:80], v2 offset0:37 offset1:38
	;; [unrolled: 1-line block ×4, first 2 shown]
	s_mov_b32 s0, exec_lo
	s_waitcnt vmcnt(5) lgkmcnt(3)
	v_fma_f32 v77, v58, v77, 0
	s_delay_alu instid0(VALU_DEP_1) | instskip(SKIP_4) | instid1(VALU_DEP_1)
	v_fmac_f32_e32 v77, v59, v78
	ds_load_2addr_b32 v[58:59], v2 offset0:43 offset1:44
	s_waitcnt lgkmcnt(3)
	v_fmac_f32_e32 v77, v60, v79
	s_waitcnt vmcnt(4)
	v_fmac_f32_e32 v77, v61, v80
	ds_load_2addr_b32 v[60:61], v2 offset0:45 offset1:46
	s_waitcnt lgkmcnt(3)
	v_fmac_f32_e32 v77, v62, v81
	s_delay_alu instid0(VALU_DEP_1) | instskip(SKIP_1) | instid1(VALU_DEP_1)
	v_fmac_f32_e32 v77, v63, v82
	s_waitcnt lgkmcnt(2)
	v_fmac_f32_e32 v77, v64, v83
	s_waitcnt vmcnt(3)
	s_delay_alu instid0(VALU_DEP_1) | instskip(SKIP_4) | instid1(VALU_DEP_1)
	v_fmac_f32_e32 v77, v65, v84
	ds_load_2addr_b32 v[62:63], v2 offset0:47 offset1:48
	ds_load_2addr_b32 v[64:65], v2 offset0:49 offset1:50
	s_waitcnt lgkmcnt(3)
	v_fmac_f32_e32 v77, v66, v58
	v_fmac_f32_e32 v77, v67, v59
	ds_load_2addr_b32 v[58:59], v2 offset0:51 offset1:52
	s_waitcnt lgkmcnt(3)
	v_fmac_f32_e32 v77, v68, v60
	s_waitcnt vmcnt(2)
	s_delay_alu instid0(VALU_DEP_1) | instskip(SKIP_3) | instid1(VALU_DEP_1)
	v_fmac_f32_e32 v77, v69, v61
	ds_load_2addr_b32 v[60:61], v2 offset0:53 offset1:54
	s_waitcnt lgkmcnt(3)
	v_fmac_f32_e32 v77, v70, v62
	v_fmac_f32_e32 v77, v71, v63
	s_waitcnt lgkmcnt(2)
	s_delay_alu instid0(VALU_DEP_1) | instskip(SKIP_1) | instid1(VALU_DEP_1)
	v_fmac_f32_e32 v77, v72, v64
	s_waitcnt vmcnt(1)
	v_fmac_f32_e32 v77, v73, v65
	s_waitcnt lgkmcnt(1)
	s_delay_alu instid0(VALU_DEP_1) | instskip(NEXT) | instid1(VALU_DEP_1)
	v_fmac_f32_e32 v77, v74, v58
	v_fmac_f32_e32 v77, v75, v59
	s_waitcnt lgkmcnt(0)
	s_delay_alu instid0(VALU_DEP_1) | instskip(SKIP_1) | instid1(VALU_DEP_1)
	v_fmac_f32_e32 v77, v76, v60
	s_waitcnt vmcnt(0)
	v_fmac_f32_e32 v77, v85, v61
	s_delay_alu instid0(VALU_DEP_1)
	v_sub_f32_e32 v2, v57, v77
	scratch_store_b32 off, v2, off offset:24
	v_cmpx_lt_u32_e32 5, v0
	s_cbranch_execz .LBB90_159
; %bb.158:
	scratch_load_b32 v2, off, off offset:20
	v_mov_b32_e32 v57, 0
	scratch_store_b32 off, v57, off offset:20
	s_waitcnt vmcnt(0)
	ds_store_b32 v1, v2
.LBB90_159:
	s_or_b32 exec_lo, exec_lo, s0
	s_waitcnt lgkmcnt(0)
	s_waitcnt_vscnt null, 0x0
	s_barrier
	buffer_gl0_inv
	s_clause 0x5
	scratch_load_b128 v[57:60], off, off offset:20
	scratch_load_b128 v[61:64], off, off offset:36
	;; [unrolled: 1-line block ×5, first 2 shown]
	scratch_load_b64 v[85:86], off, off offset:100
	v_mov_b32_e32 v2, 0
	ds_load_2addr_b64 v[77:80], v2 offset0:17 offset1:18
	ds_load_2addr_b64 v[81:84], v2 offset0:19 offset1:20
	s_mov_b32 s0, exec_lo
	s_waitcnt vmcnt(5) lgkmcnt(1)
	v_fma_f32 v77, v58, v77, 0
	s_delay_alu instid0(VALU_DEP_1) | instskip(NEXT) | instid1(VALU_DEP_1)
	v_fmac_f32_e32 v77, v59, v78
	v_fmac_f32_e32 v77, v60, v79
	s_waitcnt vmcnt(4)
	s_delay_alu instid0(VALU_DEP_1) | instskip(SKIP_3) | instid1(VALU_DEP_1)
	v_fmac_f32_e32 v77, v61, v80
	ds_load_2addr_b64 v[58:61], v2 offset0:21 offset1:22
	s_waitcnt lgkmcnt(1)
	v_fmac_f32_e32 v77, v62, v81
	v_fmac_f32_e32 v77, v63, v82
	s_delay_alu instid0(VALU_DEP_1) | instskip(SKIP_1) | instid1(VALU_DEP_1)
	v_fmac_f32_e32 v77, v64, v83
	s_waitcnt vmcnt(3)
	v_fmac_f32_e32 v77, v65, v84
	ds_load_2addr_b64 v[62:65], v2 offset0:23 offset1:24
	s_waitcnt lgkmcnt(1)
	v_fmac_f32_e32 v77, v66, v58
	s_delay_alu instid0(VALU_DEP_1) | instskip(NEXT) | instid1(VALU_DEP_1)
	v_fmac_f32_e32 v77, v67, v59
	v_fmac_f32_e32 v77, v68, v60
	s_waitcnt vmcnt(2)
	s_delay_alu instid0(VALU_DEP_1)
	v_fmac_f32_e32 v77, v69, v61
	ds_load_2addr_b64 v[58:61], v2 offset0:25 offset1:26
	s_waitcnt lgkmcnt(1)
	v_fmac_f32_e32 v77, v70, v62
	ds_load_b32 v62, v2 offset:216
	v_fmac_f32_e32 v77, v71, v63
	s_delay_alu instid0(VALU_DEP_1) | instskip(SKIP_1) | instid1(VALU_DEP_1)
	v_fmac_f32_e32 v77, v72, v64
	s_waitcnt vmcnt(1)
	v_fmac_f32_e32 v77, v73, v65
	s_waitcnt lgkmcnt(1)
	s_delay_alu instid0(VALU_DEP_1) | instskip(NEXT) | instid1(VALU_DEP_1)
	v_fmac_f32_e32 v77, v74, v58
	v_fmac_f32_e32 v77, v75, v59
	s_delay_alu instid0(VALU_DEP_1) | instskip(SKIP_1) | instid1(VALU_DEP_1)
	v_fmac_f32_e32 v77, v76, v60
	s_waitcnt vmcnt(0)
	v_fmac_f32_e32 v77, v85, v61
	s_waitcnt lgkmcnt(0)
	s_delay_alu instid0(VALU_DEP_1) | instskip(NEXT) | instid1(VALU_DEP_1)
	v_fmac_f32_e32 v77, v86, v62
	v_sub_f32_e32 v57, v57, v77
	scratch_store_b32 off, v57, off offset:20
	v_cmpx_lt_u32_e32 4, v0
	s_cbranch_execz .LBB90_161
; %bb.160:
	scratch_load_b32 v57, off, off offset:16
	scratch_store_b32 off, v2, off offset:16
	s_waitcnt vmcnt(0)
	ds_store_b32 v1, v57
.LBB90_161:
	s_or_b32 exec_lo, exec_lo, s0
	s_waitcnt lgkmcnt(0)
	s_waitcnt_vscnt null, 0x0
	s_barrier
	buffer_gl0_inv
	s_clause 0x5
	scratch_load_b128 v[57:60], off, off offset:16
	scratch_load_b128 v[61:64], off, off offset:32
	;; [unrolled: 1-line block ×5, first 2 shown]
	scratch_load_b96 v[77:79], off, off offset:96
	ds_load_2addr_b32 v[80:81], v2 offset0:33 offset1:34
	ds_load_2addr_b32 v[82:83], v2 offset0:35 offset1:36
	;; [unrolled: 1-line block ×4, first 2 shown]
	s_mov_b32 s0, exec_lo
	s_waitcnt vmcnt(5) lgkmcnt(3)
	v_fma_f32 v80, v58, v80, 0
	s_delay_alu instid0(VALU_DEP_1) | instskip(SKIP_4) | instid1(VALU_DEP_1)
	v_fmac_f32_e32 v80, v59, v81
	ds_load_2addr_b32 v[58:59], v2 offset0:41 offset1:42
	s_waitcnt lgkmcnt(3)
	v_fmac_f32_e32 v80, v60, v82
	s_waitcnt vmcnt(4)
	v_fmac_f32_e32 v80, v61, v83
	ds_load_2addr_b32 v[60:61], v2 offset0:43 offset1:44
	s_waitcnt lgkmcnt(3)
	v_fmac_f32_e32 v80, v62, v84
	s_delay_alu instid0(VALU_DEP_1) | instskip(SKIP_1) | instid1(VALU_DEP_1)
	v_fmac_f32_e32 v80, v63, v85
	s_waitcnt lgkmcnt(2)
	v_fmac_f32_e32 v80, v64, v86
	s_waitcnt vmcnt(3)
	s_delay_alu instid0(VALU_DEP_1) | instskip(SKIP_4) | instid1(VALU_DEP_1)
	v_fmac_f32_e32 v80, v65, v87
	ds_load_2addr_b32 v[62:63], v2 offset0:45 offset1:46
	ds_load_2addr_b32 v[64:65], v2 offset0:47 offset1:48
	s_waitcnt lgkmcnt(3)
	v_fmac_f32_e32 v80, v66, v58
	v_fmac_f32_e32 v80, v67, v59
	ds_load_2addr_b32 v[58:59], v2 offset0:49 offset1:50
	s_waitcnt lgkmcnt(3)
	v_fmac_f32_e32 v80, v68, v60
	s_waitcnt vmcnt(2)
	s_delay_alu instid0(VALU_DEP_1) | instskip(SKIP_3) | instid1(VALU_DEP_1)
	v_fmac_f32_e32 v80, v69, v61
	ds_load_2addr_b32 v[60:61], v2 offset0:51 offset1:52
	s_waitcnt lgkmcnt(3)
	v_fmac_f32_e32 v80, v70, v62
	v_fmac_f32_e32 v80, v71, v63
	ds_load_2addr_b32 v[62:63], v2 offset0:53 offset1:54
	s_waitcnt lgkmcnt(3)
	v_fmac_f32_e32 v80, v72, v64
	s_waitcnt vmcnt(1)
	s_delay_alu instid0(VALU_DEP_1) | instskip(SKIP_1) | instid1(VALU_DEP_1)
	v_fmac_f32_e32 v80, v73, v65
	s_waitcnt lgkmcnt(2)
	v_fmac_f32_e32 v80, v74, v58
	s_delay_alu instid0(VALU_DEP_1) | instskip(SKIP_1) | instid1(VALU_DEP_1)
	v_fmac_f32_e32 v80, v75, v59
	s_waitcnt lgkmcnt(1)
	v_fmac_f32_e32 v80, v76, v60
	s_waitcnt vmcnt(0)
	s_delay_alu instid0(VALU_DEP_1) | instskip(SKIP_1) | instid1(VALU_DEP_1)
	v_fmac_f32_e32 v80, v77, v61
	s_waitcnt lgkmcnt(0)
	v_fmac_f32_e32 v80, v78, v62
	s_delay_alu instid0(VALU_DEP_1) | instskip(NEXT) | instid1(VALU_DEP_1)
	v_fmac_f32_e32 v80, v79, v63
	v_sub_f32_e32 v2, v57, v80
	scratch_store_b32 off, v2, off offset:16
	v_cmpx_lt_u32_e32 3, v0
	s_cbranch_execz .LBB90_163
; %bb.162:
	scratch_load_b32 v2, off, off offset:12
	v_mov_b32_e32 v57, 0
	scratch_store_b32 off, v57, off offset:12
	s_waitcnt vmcnt(0)
	ds_store_b32 v1, v2
.LBB90_163:
	s_or_b32 exec_lo, exec_lo, s0
	s_waitcnt lgkmcnt(0)
	s_waitcnt_vscnt null, 0x0
	s_barrier
	buffer_gl0_inv
	s_clause 0x5
	scratch_load_b128 v[57:60], off, off offset:12
	scratch_load_b128 v[61:64], off, off offset:28
	;; [unrolled: 1-line block ×6, first 2 shown]
	v_mov_b32_e32 v2, 0
	ds_load_b128 v[81:84], v2 offset:128
	ds_load_b128 v[85:88], v2 offset:144
	s_mov_b32 s0, exec_lo
	s_waitcnt vmcnt(5) lgkmcnt(1)
	v_fma_f32 v81, v58, v81, 0
	s_delay_alu instid0(VALU_DEP_1) | instskip(NEXT) | instid1(VALU_DEP_1)
	v_fmac_f32_e32 v81, v59, v82
	v_fmac_f32_e32 v81, v60, v83
	s_waitcnt vmcnt(4)
	s_delay_alu instid0(VALU_DEP_1) | instskip(SKIP_3) | instid1(VALU_DEP_1)
	v_fmac_f32_e32 v81, v61, v84
	ds_load_b128 v[58:61], v2 offset:160
	s_waitcnt lgkmcnt(1)
	v_fmac_f32_e32 v81, v62, v85
	v_fmac_f32_e32 v81, v63, v86
	s_delay_alu instid0(VALU_DEP_1) | instskip(SKIP_1) | instid1(VALU_DEP_1)
	v_fmac_f32_e32 v81, v64, v87
	s_waitcnt vmcnt(3)
	v_fmac_f32_e32 v81, v65, v88
	ds_load_b128 v[62:65], v2 offset:176
	s_waitcnt lgkmcnt(1)
	v_fmac_f32_e32 v81, v66, v58
	s_delay_alu instid0(VALU_DEP_1) | instskip(NEXT) | instid1(VALU_DEP_1)
	v_fmac_f32_e32 v81, v67, v59
	v_fmac_f32_e32 v81, v68, v60
	s_waitcnt vmcnt(2)
	s_delay_alu instid0(VALU_DEP_1) | instskip(SKIP_3) | instid1(VALU_DEP_1)
	v_fmac_f32_e32 v81, v69, v61
	ds_load_b128 v[58:61], v2 offset:192
	s_waitcnt lgkmcnt(1)
	v_fmac_f32_e32 v81, v70, v62
	v_fmac_f32_e32 v81, v71, v63
	s_delay_alu instid0(VALU_DEP_1) | instskip(SKIP_4) | instid1(VALU_DEP_1)
	v_fmac_f32_e32 v81, v72, v64
	ds_load_b96 v[62:64], v2 offset:208
	s_waitcnt vmcnt(1)
	v_fmac_f32_e32 v81, v73, v65
	s_waitcnt lgkmcnt(1)
	v_fmac_f32_e32 v81, v74, v58
	s_delay_alu instid0(VALU_DEP_1) | instskip(NEXT) | instid1(VALU_DEP_1)
	v_fmac_f32_e32 v81, v75, v59
	v_fmac_f32_e32 v81, v76, v60
	s_waitcnt vmcnt(0)
	s_delay_alu instid0(VALU_DEP_1) | instskip(SKIP_1) | instid1(VALU_DEP_1)
	v_fmac_f32_e32 v81, v77, v61
	s_waitcnt lgkmcnt(0)
	v_fmac_f32_e32 v81, v78, v62
	s_delay_alu instid0(VALU_DEP_1) | instskip(NEXT) | instid1(VALU_DEP_1)
	v_fmac_f32_e32 v81, v79, v63
	v_fmac_f32_e32 v81, v80, v64
	s_delay_alu instid0(VALU_DEP_1)
	v_sub_f32_e32 v57, v57, v81
	scratch_store_b32 off, v57, off offset:12
	v_cmpx_lt_u32_e32 2, v0
	s_cbranch_execz .LBB90_165
; %bb.164:
	scratch_load_b32 v57, off, off offset:8
	scratch_store_b32 off, v2, off offset:8
	s_waitcnt vmcnt(0)
	ds_store_b32 v1, v57
.LBB90_165:
	s_or_b32 exec_lo, exec_lo, s0
	s_waitcnt lgkmcnt(0)
	s_waitcnt_vscnt null, 0x0
	s_barrier
	buffer_gl0_inv
	s_clause 0x6
	scratch_load_b128 v[57:60], off, off offset:8
	scratch_load_b128 v[61:64], off, off offset:24
	;; [unrolled: 1-line block ×6, first 2 shown]
	scratch_load_b32 v89, off, off offset:104
	ds_load_2addr_b32 v[81:82], v2 offset0:31 offset1:32
	ds_load_2addr_b32 v[83:84], v2 offset0:33 offset1:34
	;; [unrolled: 1-line block ×4, first 2 shown]
	s_mov_b32 s0, exec_lo
	s_waitcnt vmcnt(6) lgkmcnt(3)
	v_fma_f32 v81, v58, v81, 0
	s_delay_alu instid0(VALU_DEP_1) | instskip(SKIP_4) | instid1(VALU_DEP_1)
	v_fmac_f32_e32 v81, v59, v82
	ds_load_2addr_b32 v[58:59], v2 offset0:39 offset1:40
	s_waitcnt lgkmcnt(3)
	v_fmac_f32_e32 v81, v60, v83
	s_waitcnt vmcnt(5)
	v_fmac_f32_e32 v81, v61, v84
	ds_load_2addr_b32 v[60:61], v2 offset0:41 offset1:42
	s_waitcnt lgkmcnt(3)
	v_fmac_f32_e32 v81, v62, v85
	s_delay_alu instid0(VALU_DEP_1) | instskip(SKIP_1) | instid1(VALU_DEP_1)
	v_fmac_f32_e32 v81, v63, v86
	s_waitcnt lgkmcnt(2)
	v_fmac_f32_e32 v81, v64, v87
	s_waitcnt vmcnt(4)
	s_delay_alu instid0(VALU_DEP_1) | instskip(SKIP_4) | instid1(VALU_DEP_1)
	v_fmac_f32_e32 v81, v65, v88
	ds_load_2addr_b32 v[62:63], v2 offset0:43 offset1:44
	ds_load_2addr_b32 v[64:65], v2 offset0:45 offset1:46
	s_waitcnt lgkmcnt(3)
	v_fmac_f32_e32 v81, v66, v58
	v_fmac_f32_e32 v81, v67, v59
	ds_load_2addr_b32 v[58:59], v2 offset0:47 offset1:48
	s_waitcnt lgkmcnt(3)
	v_fmac_f32_e32 v81, v68, v60
	s_waitcnt vmcnt(3)
	s_delay_alu instid0(VALU_DEP_1) | instskip(SKIP_3) | instid1(VALU_DEP_1)
	v_fmac_f32_e32 v81, v69, v61
	ds_load_2addr_b32 v[60:61], v2 offset0:49 offset1:50
	s_waitcnt lgkmcnt(3)
	v_fmac_f32_e32 v81, v70, v62
	v_fmac_f32_e32 v81, v71, v63
	s_waitcnt lgkmcnt(2)
	s_delay_alu instid0(VALU_DEP_1) | instskip(SKIP_1) | instid1(VALU_DEP_1)
	v_fmac_f32_e32 v81, v72, v64
	s_waitcnt vmcnt(2)
	v_fmac_f32_e32 v81, v73, v65
	ds_load_2addr_b32 v[62:63], v2 offset0:51 offset1:52
	ds_load_2addr_b32 v[64:65], v2 offset0:53 offset1:54
	s_waitcnt lgkmcnt(3)
	v_fmac_f32_e32 v81, v74, v58
	s_delay_alu instid0(VALU_DEP_1) | instskip(SKIP_1) | instid1(VALU_DEP_1)
	v_fmac_f32_e32 v81, v75, v59
	s_waitcnt lgkmcnt(2)
	v_fmac_f32_e32 v81, v76, v60
	s_waitcnt vmcnt(1)
	s_delay_alu instid0(VALU_DEP_1) | instskip(SKIP_1) | instid1(VALU_DEP_1)
	v_fmac_f32_e32 v81, v77, v61
	s_waitcnt lgkmcnt(1)
	v_fmac_f32_e32 v81, v78, v62
	s_delay_alu instid0(VALU_DEP_1) | instskip(SKIP_1) | instid1(VALU_DEP_1)
	v_fmac_f32_e32 v81, v79, v63
	s_waitcnt lgkmcnt(0)
	v_fmac_f32_e32 v81, v80, v64
	s_waitcnt vmcnt(0)
	s_delay_alu instid0(VALU_DEP_1) | instskip(NEXT) | instid1(VALU_DEP_1)
	v_fmac_f32_e32 v81, v89, v65
	v_sub_f32_e32 v2, v57, v81
	scratch_store_b32 off, v2, off offset:8
	v_cmpx_lt_u32_e32 1, v0
	s_cbranch_execz .LBB90_167
; %bb.166:
	scratch_load_b32 v2, off, off offset:4
	v_mov_b32_e32 v57, 0
	scratch_store_b32 off, v57, off offset:4
	s_waitcnt vmcnt(0)
	ds_store_b32 v1, v2
.LBB90_167:
	s_or_b32 exec_lo, exec_lo, s0
	s_waitcnt lgkmcnt(0)
	s_waitcnt_vscnt null, 0x0
	s_barrier
	buffer_gl0_inv
	s_clause 0x6
	scratch_load_b128 v[58:61], off, off offset:4
	scratch_load_b128 v[62:65], off, off offset:20
	;; [unrolled: 1-line block ×6, first 2 shown]
	scratch_load_b64 v[90:91], off, off offset:100
	v_mov_b32_e32 v57, 0
	ds_load_2addr_b64 v[82:85], v57 offset0:15 offset1:16
	ds_load_2addr_b64 v[86:89], v57 offset0:17 offset1:18
	s_mov_b32 s0, exec_lo
	s_waitcnt vmcnt(6) lgkmcnt(1)
	v_fma_f32 v2, v59, v82, 0
	s_delay_alu instid0(VALU_DEP_1) | instskip(NEXT) | instid1(VALU_DEP_1)
	v_fmac_f32_e32 v2, v60, v83
	v_fmac_f32_e32 v2, v61, v84
	s_waitcnt vmcnt(5)
	s_delay_alu instid0(VALU_DEP_1) | instskip(SKIP_3) | instid1(VALU_DEP_1)
	v_fmac_f32_e32 v2, v62, v85
	ds_load_2addr_b64 v[59:62], v57 offset0:19 offset1:20
	s_waitcnt lgkmcnt(1)
	v_fmac_f32_e32 v2, v63, v86
	v_fmac_f32_e32 v2, v64, v87
	s_delay_alu instid0(VALU_DEP_1) | instskip(SKIP_1) | instid1(VALU_DEP_1)
	v_fmac_f32_e32 v2, v65, v88
	s_waitcnt vmcnt(4)
	v_fmac_f32_e32 v2, v66, v89
	ds_load_2addr_b64 v[63:66], v57 offset0:21 offset1:22
	s_waitcnt lgkmcnt(1)
	v_fmac_f32_e32 v2, v67, v59
	s_delay_alu instid0(VALU_DEP_1) | instskip(NEXT) | instid1(VALU_DEP_1)
	v_fmac_f32_e32 v2, v68, v60
	v_fmac_f32_e32 v2, v69, v61
	s_waitcnt vmcnt(3)
	s_delay_alu instid0(VALU_DEP_1) | instskip(SKIP_3) | instid1(VALU_DEP_1)
	v_fmac_f32_e32 v2, v70, v62
	ds_load_2addr_b64 v[59:62], v57 offset0:23 offset1:24
	s_waitcnt lgkmcnt(1)
	v_fmac_f32_e32 v2, v71, v63
	v_fmac_f32_e32 v2, v72, v64
	s_delay_alu instid0(VALU_DEP_1) | instskip(SKIP_1) | instid1(VALU_DEP_1)
	v_fmac_f32_e32 v2, v73, v65
	s_waitcnt vmcnt(2)
	v_fmac_f32_e32 v2, v74, v66
	ds_load_2addr_b64 v[63:66], v57 offset0:25 offset1:26
	s_waitcnt lgkmcnt(1)
	v_fmac_f32_e32 v2, v75, v59
	ds_load_b32 v59, v57 offset:216
	v_fmac_f32_e32 v2, v76, v60
	s_delay_alu instid0(VALU_DEP_1) | instskip(SKIP_1) | instid1(VALU_DEP_1)
	v_fmac_f32_e32 v2, v77, v61
	s_waitcnt vmcnt(1)
	v_fmac_f32_e32 v2, v78, v62
	s_waitcnt lgkmcnt(1)
	s_delay_alu instid0(VALU_DEP_1) | instskip(NEXT) | instid1(VALU_DEP_1)
	v_fmac_f32_e32 v2, v79, v63
	v_fmac_f32_e32 v2, v80, v64
	s_delay_alu instid0(VALU_DEP_1) | instskip(SKIP_1) | instid1(VALU_DEP_1)
	v_fmac_f32_e32 v2, v81, v65
	s_waitcnt vmcnt(0)
	v_fmac_f32_e32 v2, v90, v66
	s_waitcnt lgkmcnt(0)
	s_delay_alu instid0(VALU_DEP_1) | instskip(NEXT) | instid1(VALU_DEP_1)
	v_fmac_f32_e32 v2, v91, v59
	v_sub_f32_e32 v2, v58, v2
	scratch_store_b32 off, v2, off offset:4
	v_cmpx_ne_u32_e32 0, v0
	s_cbranch_execz .LBB90_169
; %bb.168:
	scratch_load_b32 v0, off, off
	scratch_store_b32 off, v57, off
	s_waitcnt vmcnt(0)
	ds_store_b32 v1, v0
.LBB90_169:
	s_or_b32 exec_lo, exec_lo, s0
	s_waitcnt lgkmcnt(0)
	s_waitcnt_vscnt null, 0x0
	s_barrier
	buffer_gl0_inv
	s_clause 0x6
	scratch_load_b128 v[58:61], off, off
	scratch_load_b128 v[62:65], off, off offset:16
	scratch_load_b128 v[66:69], off, off offset:32
	;; [unrolled: 1-line block ×5, first 2 shown]
	scratch_load_b96 v[0:2], off, off offset:96
	ds_load_2addr_b32 v[82:83], v57 offset0:29 offset1:30
	ds_load_2addr_b32 v[84:85], v57 offset0:31 offset1:32
	ds_load_2addr_b32 v[86:87], v57 offset0:33 offset1:34
	ds_load_2addr_b32 v[88:89], v57 offset0:35 offset1:36
	s_and_b32 vcc_lo, exec_lo, s12
	s_waitcnt vmcnt(6) lgkmcnt(3)
	v_fma_f32 v82, v59, v82, 0
	s_delay_alu instid0(VALU_DEP_1) | instskip(SKIP_4) | instid1(VALU_DEP_1)
	v_fmac_f32_e32 v82, v60, v83
	ds_load_2addr_b32 v[59:60], v57 offset0:37 offset1:38
	s_waitcnt lgkmcnt(3)
	v_fmac_f32_e32 v82, v61, v84
	s_waitcnt vmcnt(5)
	v_fmac_f32_e32 v82, v62, v85
	ds_load_2addr_b32 v[61:62], v57 offset0:39 offset1:40
	s_waitcnt lgkmcnt(3)
	v_fmac_f32_e32 v82, v63, v86
	s_delay_alu instid0(VALU_DEP_1) | instskip(SKIP_1) | instid1(VALU_DEP_1)
	v_fmac_f32_e32 v82, v64, v87
	s_waitcnt lgkmcnt(2)
	v_fmac_f32_e32 v82, v65, v88
	s_waitcnt vmcnt(4)
	s_delay_alu instid0(VALU_DEP_1) | instskip(SKIP_4) | instid1(VALU_DEP_1)
	v_fmac_f32_e32 v82, v66, v89
	ds_load_2addr_b32 v[63:64], v57 offset0:41 offset1:42
	ds_load_2addr_b32 v[65:66], v57 offset0:43 offset1:44
	s_waitcnt lgkmcnt(3)
	v_fmac_f32_e32 v82, v67, v59
	v_fmac_f32_e32 v82, v68, v60
	ds_load_2addr_b32 v[59:60], v57 offset0:45 offset1:46
	s_waitcnt lgkmcnt(3)
	v_fmac_f32_e32 v82, v69, v61
	s_waitcnt vmcnt(3)
	s_delay_alu instid0(VALU_DEP_1) | instskip(SKIP_3) | instid1(VALU_DEP_1)
	v_fmac_f32_e32 v82, v70, v62
	ds_load_2addr_b32 v[61:62], v57 offset0:47 offset1:48
	s_waitcnt lgkmcnt(3)
	v_fmac_f32_e32 v82, v71, v63
	v_fmac_f32_e32 v82, v72, v64
	s_waitcnt lgkmcnt(2)
	s_delay_alu instid0(VALU_DEP_1) | instskip(SKIP_1) | instid1(VALU_DEP_1)
	v_fmac_f32_e32 v82, v73, v65
	s_waitcnt vmcnt(2)
	v_fmac_f32_e32 v82, v74, v66
	ds_load_2addr_b32 v[63:64], v57 offset0:49 offset1:50
	ds_load_2addr_b32 v[65:66], v57 offset0:51 offset1:52
	s_waitcnt lgkmcnt(3)
	v_fmac_f32_e32 v82, v75, v59
	s_delay_alu instid0(VALU_DEP_1) | instskip(SKIP_4) | instid1(VALU_DEP_1)
	v_fmac_f32_e32 v82, v76, v60
	ds_load_2addr_b32 v[59:60], v57 offset0:53 offset1:54
	s_waitcnt lgkmcnt(3)
	v_fmac_f32_e32 v82, v77, v61
	s_waitcnt vmcnt(1)
	v_fmac_f32_e32 v82, v78, v62
	s_waitcnt lgkmcnt(2)
	s_delay_alu instid0(VALU_DEP_1) | instskip(NEXT) | instid1(VALU_DEP_1)
	v_fmac_f32_e32 v82, v79, v63
	v_fmac_f32_e32 v82, v80, v64
	s_waitcnt lgkmcnt(1)
	s_delay_alu instid0(VALU_DEP_1) | instskip(SKIP_1) | instid1(VALU_DEP_1)
	v_fmac_f32_e32 v82, v81, v65
	s_waitcnt vmcnt(0)
	v_fmac_f32_e32 v82, v0, v66
	s_waitcnt lgkmcnt(0)
	s_delay_alu instid0(VALU_DEP_1) | instskip(NEXT) | instid1(VALU_DEP_1)
	v_fmac_f32_e32 v82, v1, v59
	v_fmac_f32_e32 v82, v2, v60
	s_delay_alu instid0(VALU_DEP_1)
	v_sub_f32_e32 v0, v58, v82
	scratch_store_b32 off, v0, off
	s_cbranch_vccz .LBB90_223
; %bb.170:
	v_dual_mov_b32 v58, s3 :: v_dual_mov_b32 v57, s2
	s_mov_b32 s0, exec_lo
	flat_load_b32 v0, v[57:58] offset:100
	s_waitcnt vmcnt(0) lgkmcnt(0)
	v_cmpx_ne_u32_e32 26, v0
	s_cbranch_execz .LBB90_172
; %bb.171:
	v_lshl_add_u32 v0, v0, 2, 0
	scratch_load_b32 v2, v0, off offset:-4
	s_waitcnt vmcnt(0)
	scratch_store_b32 off, v2, off offset:100
	scratch_store_b32 v0, v1, off offset:-4
.LBB90_172:
	s_or_b32 exec_lo, exec_lo, s0
	v_dual_mov_b32 v0, s2 :: v_dual_mov_b32 v1, s3
	s_mov_b32 s0, exec_lo
	flat_load_b32 v0, v[0:1] offset:96
	s_waitcnt vmcnt(0) lgkmcnt(0)
	v_cmpx_ne_u32_e32 25, v0
	s_cbranch_execz .LBB90_174
; %bb.173:
	v_lshl_add_u32 v0, v0, 2, 0
	scratch_load_b32 v1, v0, off offset:-4
	scratch_load_b32 v2, off, off offset:96
	s_waitcnt vmcnt(1)
	scratch_store_b32 off, v1, off offset:96
	s_waitcnt vmcnt(0)
	scratch_store_b32 v0, v2, off offset:-4
.LBB90_174:
	s_or_b32 exec_lo, exec_lo, s0
	v_dual_mov_b32 v0, s2 :: v_dual_mov_b32 v1, s3
	s_mov_b32 s0, exec_lo
	flat_load_b32 v0, v[0:1] offset:92
	s_waitcnt vmcnt(0) lgkmcnt(0)
	v_cmpx_ne_u32_e32 24, v0
	s_cbranch_execz .LBB90_176
; %bb.175:
	v_lshl_add_u32 v0, v0, 2, 0
	scratch_load_b32 v1, v0, off offset:-4
	scratch_load_b32 v2, off, off offset:92
	s_waitcnt vmcnt(1)
	scratch_store_b32 off, v1, off offset:92
	s_waitcnt vmcnt(0)
	scratch_store_b32 v0, v2, off offset:-4
.LBB90_176:
	;; [unrolled: 16-line block ×24, first 2 shown]
	s_or_b32 exec_lo, exec_lo, s0
	v_dual_mov_b32 v0, s2 :: v_dual_mov_b32 v1, s3
	s_mov_b32 s0, exec_lo
	flat_load_b32 v1, v[0:1]
	scratch_load_b32 v0, off, off
	s_waitcnt vmcnt(1) lgkmcnt(0)
	v_cmpx_ne_u32_e32 1, v1
	s_cbranch_execz .LBB90_222
; %bb.221:
	v_lshl_add_u32 v1, v1, 2, 0
	scratch_load_b32 v2, v1, off offset:-4
	s_waitcnt vmcnt(0)
	scratch_store_b32 off, v2, off
	scratch_store_b32 v1, v0, off offset:-4
	scratch_load_b32 v0, off, off
.LBB90_222:
	s_or_b32 exec_lo, exec_lo, s0
.LBB90_223:
	s_clause 0x6
	scratch_load_b128 v[57:60], off, off offset:4
	scratch_load_b128 v[61:64], off, off offset:20
	;; [unrolled: 1-line block ×6, first 2 shown]
	scratch_load_b64 v[1:2], off, off offset:100
	s_waitcnt vmcnt(7)
	global_store_b32 v[3:4], v0, off
	s_waitcnt vmcnt(6)
	s_clause 0x3
	global_store_b32 v[5:6], v57, off
	global_store_b32 v[7:8], v58, off
	global_store_b32 v[9:10], v59, off
	global_store_b32 v[11:12], v60, off
	s_waitcnt vmcnt(5)
	s_clause 0x3
	global_store_b32 v[13:14], v61, off
	global_store_b32 v[15:16], v62, off
	global_store_b32 v[17:18], v63, off
	;; [unrolled: 6-line block ×6, first 2 shown]
	global_store_b32 v[51:52], v80, off
	s_waitcnt vmcnt(0)
	s_clause 0x1
	global_store_b32 v[53:54], v1, off
	global_store_b32 v[55:56], v2, off
	s_endpgm
	.section	.rodata,"a",@progbits
	.p2align	6, 0x0
	.amdhsa_kernel _ZN9rocsolver6v33100L18getri_kernel_smallILi27EfPKPfEEvT1_iilPiilS6_bb
		.amdhsa_group_segment_fixed_size 220
		.amdhsa_private_segment_fixed_size 112
		.amdhsa_kernarg_size 60
		.amdhsa_user_sgpr_count 15
		.amdhsa_user_sgpr_dispatch_ptr 0
		.amdhsa_user_sgpr_queue_ptr 0
		.amdhsa_user_sgpr_kernarg_segment_ptr 1
		.amdhsa_user_sgpr_dispatch_id 0
		.amdhsa_user_sgpr_private_segment_size 0
		.amdhsa_wavefront_size32 1
		.amdhsa_uses_dynamic_stack 0
		.amdhsa_enable_private_segment 1
		.amdhsa_system_sgpr_workgroup_id_x 1
		.amdhsa_system_sgpr_workgroup_id_y 0
		.amdhsa_system_sgpr_workgroup_id_z 0
		.amdhsa_system_sgpr_workgroup_info 0
		.amdhsa_system_vgpr_workitem_id 0
		.amdhsa_next_free_vgpr 92
		.amdhsa_next_free_sgpr 17
		.amdhsa_reserve_vcc 1
		.amdhsa_float_round_mode_32 0
		.amdhsa_float_round_mode_16_64 0
		.amdhsa_float_denorm_mode_32 3
		.amdhsa_float_denorm_mode_16_64 3
		.amdhsa_dx10_clamp 1
		.amdhsa_ieee_mode 1
		.amdhsa_fp16_overflow 0
		.amdhsa_workgroup_processor_mode 1
		.amdhsa_memory_ordered 1
		.amdhsa_forward_progress 0
		.amdhsa_shared_vgpr_count 0
		.amdhsa_exception_fp_ieee_invalid_op 0
		.amdhsa_exception_fp_denorm_src 0
		.amdhsa_exception_fp_ieee_div_zero 0
		.amdhsa_exception_fp_ieee_overflow 0
		.amdhsa_exception_fp_ieee_underflow 0
		.amdhsa_exception_fp_ieee_inexact 0
		.amdhsa_exception_int_div_zero 0
	.end_amdhsa_kernel
	.section	.text._ZN9rocsolver6v33100L18getri_kernel_smallILi27EfPKPfEEvT1_iilPiilS6_bb,"axG",@progbits,_ZN9rocsolver6v33100L18getri_kernel_smallILi27EfPKPfEEvT1_iilPiilS6_bb,comdat
.Lfunc_end90:
	.size	_ZN9rocsolver6v33100L18getri_kernel_smallILi27EfPKPfEEvT1_iilPiilS6_bb, .Lfunc_end90-_ZN9rocsolver6v33100L18getri_kernel_smallILi27EfPKPfEEvT1_iilPiilS6_bb
                                        ; -- End function
	.section	.AMDGPU.csdata,"",@progbits
; Kernel info:
; codeLenInByte = 16032
; NumSgprs: 19
; NumVgprs: 92
; ScratchSize: 112
; MemoryBound: 0
; FloatMode: 240
; IeeeMode: 1
; LDSByteSize: 220 bytes/workgroup (compile time only)
; SGPRBlocks: 2
; VGPRBlocks: 11
; NumSGPRsForWavesPerEU: 19
; NumVGPRsForWavesPerEU: 92
; Occupancy: 16
; WaveLimiterHint : 1
; COMPUTE_PGM_RSRC2:SCRATCH_EN: 1
; COMPUTE_PGM_RSRC2:USER_SGPR: 15
; COMPUTE_PGM_RSRC2:TRAP_HANDLER: 0
; COMPUTE_PGM_RSRC2:TGID_X_EN: 1
; COMPUTE_PGM_RSRC2:TGID_Y_EN: 0
; COMPUTE_PGM_RSRC2:TGID_Z_EN: 0
; COMPUTE_PGM_RSRC2:TIDIG_COMP_CNT: 0
	.section	.text._ZN9rocsolver6v33100L18getri_kernel_smallILi28EfPKPfEEvT1_iilPiilS6_bb,"axG",@progbits,_ZN9rocsolver6v33100L18getri_kernel_smallILi28EfPKPfEEvT1_iilPiilS6_bb,comdat
	.globl	_ZN9rocsolver6v33100L18getri_kernel_smallILi28EfPKPfEEvT1_iilPiilS6_bb ; -- Begin function _ZN9rocsolver6v33100L18getri_kernel_smallILi28EfPKPfEEvT1_iilPiilS6_bb
	.p2align	8
	.type	_ZN9rocsolver6v33100L18getri_kernel_smallILi28EfPKPfEEvT1_iilPiilS6_bb,@function
_ZN9rocsolver6v33100L18getri_kernel_smallILi28EfPKPfEEvT1_iilPiilS6_bb: ; @_ZN9rocsolver6v33100L18getri_kernel_smallILi28EfPKPfEEvT1_iilPiilS6_bb
; %bb.0:
	s_mov_b32 s2, exec_lo
	v_cmpx_gt_u32_e32 28, v0
	s_cbranch_execz .LBB91_120
; %bb.1:
	s_clause 0x1
	s_load_b32 s13, s[0:1], 0x38
	s_load_b64 s[2:3], s[0:1], 0x0
	s_mov_b32 s8, s15
	s_load_b128 s[4:7], s[0:1], 0x28
	s_waitcnt lgkmcnt(0)
	s_bitcmp1_b32 s13, 8
	s_cselect_b32 s12, -1, 0
	s_ashr_i32 s9, s15, 31
	s_delay_alu instid0(SALU_CYCLE_1) | instskip(NEXT) | instid1(SALU_CYCLE_1)
	s_lshl_b64 s[10:11], s[8:9], 3
	s_add_u32 s2, s2, s10
	s_addc_u32 s3, s3, s11
	s_load_b64 s[10:11], s[2:3], 0x0
	s_bfe_u32 s2, s13, 0x10008
	s_delay_alu instid0(SALU_CYCLE_1)
	s_cmp_eq_u32 s2, 0
                                        ; implicit-def: $sgpr2_sgpr3
	s_cbranch_scc1 .LBB91_3
; %bb.2:
	s_clause 0x1
	s_load_b32 s2, s[0:1], 0x20
	s_load_b64 s[14:15], s[0:1], 0x18
	s_mul_i32 s3, s8, s5
	s_mul_hi_u32 s5, s8, s4
	s_mul_i32 s16, s9, s4
	s_add_i32 s3, s5, s3
	s_mul_i32 s4, s8, s4
	s_add_i32 s5, s3, s16
	s_delay_alu instid0(SALU_CYCLE_1)
	s_lshl_b64 s[4:5], s[4:5], 2
	s_waitcnt lgkmcnt(0)
	s_ashr_i32 s3, s2, 31
	s_add_u32 s4, s14, s4
	s_addc_u32 s5, s15, s5
	s_lshl_b64 s[2:3], s[2:3], 2
	s_delay_alu instid0(SALU_CYCLE_1)
	s_add_u32 s2, s4, s2
	s_addc_u32 s3, s5, s3
.LBB91_3:
	s_load_b64 s[0:1], s[0:1], 0x8
	v_lshlrev_b32_e32 v1, 2, v0
	s_waitcnt lgkmcnt(0)
	v_add3_u32 v2, s1, s1, v0
	s_ashr_i32 s5, s0, 31
	s_mov_b32 s4, s0
	s_mov_b32 s14, s1
	s_lshl_b64 s[4:5], s[4:5], 2
	v_add_nc_u32_e32 v8, s1, v2
	v_ashrrev_i32_e32 v3, 31, v2
	s_add_u32 s4, s10, s4
	s_addc_u32 s5, s11, s5
	v_add_co_u32 v4, s0, s4, v1
	v_add_nc_u32_e32 v10, s1, v8
	s_ashr_i32 s15, s1, 31
	v_add_co_ci_u32_e64 v5, null, s5, 0, s0
	v_lshlrev_b64 v[2:3], 2, v[2:3]
	s_delay_alu instid0(VALU_DEP_3)
	v_add_nc_u32_e32 v14, s1, v10
	v_ashrrev_i32_e32 v9, 31, v8
	s_lshl_b64 s[10:11], s[14:15], 2
	v_ashrrev_i32_e32 v11, 31, v10
	v_add_co_u32 v6, vcc_lo, v4, s10
	v_add_nc_u32_e32 v16, s1, v14
	v_add_co_ci_u32_e32 v7, vcc_lo, s11, v5, vcc_lo
	v_lshlrev_b64 v[12:13], 2, v[8:9]
	v_add_co_u32 v8, vcc_lo, s4, v2
	s_delay_alu instid0(VALU_DEP_4) | instskip(SKIP_3) | instid1(VALU_DEP_4)
	v_add_nc_u32_e32 v18, s1, v16
	v_add_co_ci_u32_e32 v9, vcc_lo, s5, v3, vcc_lo
	v_lshlrev_b64 v[2:3], 2, v[10:11]
	v_ashrrev_i32_e32 v15, 31, v14
	v_add_nc_u32_e32 v20, s1, v18
	v_add_co_u32 v10, vcc_lo, s4, v12
	v_ashrrev_i32_e32 v17, 31, v16
	v_add_co_ci_u32_e32 v11, vcc_lo, s5, v13, vcc_lo
	v_lshlrev_b64 v[14:15], 2, v[14:15]
	v_add_co_u32 v12, vcc_lo, s4, v2
	v_add_nc_u32_e32 v22, s1, v20
	v_add_co_ci_u32_e32 v13, vcc_lo, s5, v3, vcc_lo
	v_lshlrev_b64 v[2:3], 2, v[16:17]
	v_ashrrev_i32_e32 v19, 31, v18
	v_add_co_u32 v14, vcc_lo, s4, v14
	v_ashrrev_i32_e32 v21, 31, v20
	v_add_nc_u32_e32 v24, s1, v22
	v_add_co_ci_u32_e32 v15, vcc_lo, s5, v15, vcc_lo
	v_lshlrev_b64 v[18:19], 2, v[18:19]
	v_add_co_u32 v16, vcc_lo, s4, v2
	v_add_co_ci_u32_e32 v17, vcc_lo, s5, v3, vcc_lo
	v_lshlrev_b64 v[2:3], 2, v[20:21]
	v_add_nc_u32_e32 v26, s1, v24
	v_add_co_u32 v18, vcc_lo, s4, v18
	v_ashrrev_i32_e32 v23, 31, v22
	v_add_co_ci_u32_e32 v19, vcc_lo, s5, v19, vcc_lo
	s_delay_alu instid0(VALU_DEP_4)
	v_add_nc_u32_e32 v28, s1, v26
	v_add_co_u32 v20, vcc_lo, s4, v2
	v_add_co_ci_u32_e32 v21, vcc_lo, s5, v3, vcc_lo
	v_lshlrev_b64 v[2:3], 2, v[22:23]
	v_ashrrev_i32_e32 v25, 31, v24
	v_add_nc_u32_e32 v30, s1, v28
	v_ashrrev_i32_e32 v27, 31, v26
	v_ashrrev_i32_e32 v29, 31, v28
	global_load_b32 v60, v1, s[4:5]
	v_lshlrev_b64 v[24:25], 2, v[24:25]
	v_add_co_u32 v22, vcc_lo, s4, v2
	v_add_nc_u32_e32 v32, s1, v30
	v_add_co_ci_u32_e32 v23, vcc_lo, s5, v3, vcc_lo
	v_lshlrev_b64 v[2:3], 2, v[26:27]
	v_add_co_u32 v24, vcc_lo, s4, v24
	v_ashrrev_i32_e32 v31, 31, v30
	v_add_nc_u32_e32 v34, s1, v32
	v_add_co_ci_u32_e32 v25, vcc_lo, s5, v25, vcc_lo
	v_lshlrev_b64 v[28:29], 2, v[28:29]
	v_add_co_u32 v26, vcc_lo, s4, v2
	v_add_co_ci_u32_e32 v27, vcc_lo, s5, v3, vcc_lo
	v_lshlrev_b64 v[2:3], 2, v[30:31]
	v_ashrrev_i32_e32 v33, 31, v32
	v_add_nc_u32_e32 v36, s1, v34
	v_add_co_u32 v28, vcc_lo, s4, v28
	v_ashrrev_i32_e32 v35, 31, v34
	v_add_co_ci_u32_e32 v29, vcc_lo, s5, v29, vcc_lo
	v_lshlrev_b64 v[32:33], 2, v[32:33]
	v_add_co_u32 v30, vcc_lo, s4, v2
	v_ashrrev_i32_e32 v37, 31, v36
	v_add_co_ci_u32_e32 v31, vcc_lo, s5, v3, vcc_lo
	v_lshlrev_b64 v[2:3], 2, v[34:35]
	v_add_nc_u32_e32 v39, s1, v36
	v_add_co_u32 v32, vcc_lo, s4, v32
	v_lshlrev_b64 v[37:38], 2, v[36:37]
	v_add_co_ci_u32_e32 v33, vcc_lo, s5, v33, vcc_lo
	v_add_co_u32 v34, vcc_lo, s4, v2
	v_ashrrev_i32_e32 v40, 31, v39
	v_add_nc_u32_e32 v2, s1, v39
	v_add_co_ci_u32_e32 v35, vcc_lo, s5, v3, vcc_lo
	v_add_co_u32 v36, vcc_lo, s4, v37
	v_add_co_ci_u32_e32 v37, vcc_lo, s5, v38, vcc_lo
	v_lshlrev_b64 v[38:39], 2, v[39:40]
	v_add_nc_u32_e32 v40, s1, v2
	v_ashrrev_i32_e32 v3, 31, v2
	s_clause 0xf
	global_load_b32 v61, v[6:7], off
	global_load_b32 v62, v[8:9], off
	;; [unrolled: 1-line block ×16, first 2 shown]
	s_bitcmp0_b32 s13, 0
	v_add_nc_u32_e32 v42, s1, v40
	v_lshlrev_b64 v[2:3], 2, v[2:3]
	v_ashrrev_i32_e32 v41, 31, v40
	v_add_co_u32 v38, vcc_lo, s4, v38
	s_delay_alu instid0(VALU_DEP_4) | instskip(SKIP_3) | instid1(VALU_DEP_4)
	v_add_nc_u32_e32 v46, s1, v42
	v_ashrrev_i32_e32 v43, 31, v42
	v_add_co_ci_u32_e32 v39, vcc_lo, s5, v39, vcc_lo
	v_lshlrev_b64 v[44:45], 2, v[40:41]
	v_add_nc_u32_e32 v48, s1, v46
	v_add_co_u32 v40, vcc_lo, s4, v2
	v_add_co_ci_u32_e32 v41, vcc_lo, s5, v3, vcc_lo
	s_delay_alu instid0(VALU_DEP_3) | instskip(SKIP_3) | instid1(VALU_DEP_4)
	v_add_nc_u32_e32 v50, s1, v48
	v_lshlrev_b64 v[2:3], 2, v[42:43]
	v_ashrrev_i32_e32 v47, 31, v46
	v_add_co_u32 v42, vcc_lo, s4, v44
	v_add_nc_u32_e32 v52, s1, v50
	v_ashrrev_i32_e32 v49, 31, v48
	v_add_co_ci_u32_e32 v43, vcc_lo, s5, v45, vcc_lo
	v_lshlrev_b64 v[46:47], 2, v[46:47]
	v_add_co_u32 v44, vcc_lo, s4, v2
	v_add_nc_u32_e32 v54, s1, v52
	v_add_co_ci_u32_e32 v45, vcc_lo, s5, v3, vcc_lo
	v_lshlrev_b64 v[2:3], 2, v[48:49]
	v_ashrrev_i32_e32 v51, 31, v50
	v_add_co_u32 v46, vcc_lo, s4, v46
	v_ashrrev_i32_e32 v53, 31, v52
	v_add_nc_u32_e32 v56, s1, v54
	v_add_co_ci_u32_e32 v47, vcc_lo, s5, v47, vcc_lo
	v_lshlrev_b64 v[50:51], 2, v[50:51]
	v_add_co_u32 v48, vcc_lo, s4, v2
	v_add_co_ci_u32_e32 v49, vcc_lo, s5, v3, vcc_lo
	v_lshlrev_b64 v[2:3], 2, v[52:53]
	v_ashrrev_i32_e32 v55, 31, v54
	v_add_nc_u32_e32 v58, s1, v56
	v_add_co_u32 v50, vcc_lo, s4, v50
	v_ashrrev_i32_e32 v57, 31, v56
	v_add_co_ci_u32_e32 v51, vcc_lo, s5, v51, vcc_lo
	v_lshlrev_b64 v[54:55], 2, v[54:55]
	v_add_co_u32 v52, vcc_lo, s4, v2
	v_ashrrev_i32_e32 v59, 31, v58
	v_add_co_ci_u32_e32 v53, vcc_lo, s5, v3, vcc_lo
	v_lshlrev_b64 v[2:3], 2, v[56:57]
	v_add_co_u32 v54, vcc_lo, s4, v54
	s_delay_alu instid0(VALU_DEP_4) | instskip(SKIP_1) | instid1(VALU_DEP_4)
	v_lshlrev_b64 v[58:59], 2, v[58:59]
	v_add_co_ci_u32_e32 v55, vcc_lo, s5, v55, vcc_lo
	v_add_co_u32 v56, vcc_lo, s4, v2
	v_add_co_ci_u32_e32 v57, vcc_lo, s5, v3, vcc_lo
	s_delay_alu instid0(VALU_DEP_4)
	v_add_co_u32 v58, vcc_lo, s4, v58
	v_add_co_ci_u32_e32 v59, vcc_lo, s5, v59, vcc_lo
	s_clause 0xa
	global_load_b32 v77, v[38:39], off
	global_load_b32 v78, v[40:41], off
	;; [unrolled: 1-line block ×11, first 2 shown]
	s_mov_b32 s1, -1
	s_waitcnt vmcnt(24)
	scratch_store_b128 off, v[60:63], off
	s_waitcnt vmcnt(20)
	scratch_store_b128 off, v[64:67], off offset:16
	s_waitcnt vmcnt(16)
	scratch_store_b128 off, v[68:71], off offset:32
	;; [unrolled: 2-line block ×6, first 2 shown]
	s_cbranch_scc1 .LBB91_118
; %bb.4:
	v_cmp_eq_u32_e64 s0, 0, v0
	s_delay_alu instid0(VALU_DEP_1)
	s_and_saveexec_b32 s1, s0
	s_cbranch_execz .LBB91_6
; %bb.5:
	v_mov_b32_e32 v2, 0
	ds_store_b32 v2, v2 offset:224
.LBB91_6:
	s_or_b32 exec_lo, exec_lo, s1
	s_waitcnt lgkmcnt(0)
	s_waitcnt_vscnt null, 0x0
	s_barrier
	buffer_gl0_inv
	scratch_load_b32 v2, v1, off
	s_mov_b32 s4, exec_lo
	s_waitcnt vmcnt(0)
	v_cmpx_eq_f32_e32 0, v2
	s_cbranch_execz .LBB91_10
; %bb.7:
	v_mov_b32_e32 v2, 0
	s_mov_b32 s5, 0
	ds_load_b32 v3, v2 offset:224
	s_waitcnt lgkmcnt(0)
	v_readfirstlane_b32 s1, v3
	v_add_nc_u32_e32 v3, 1, v0
	s_delay_alu instid0(VALU_DEP_2) | instskip(NEXT) | instid1(VALU_DEP_1)
	s_cmp_eq_u32 s1, 0
	v_cmp_gt_i32_e32 vcc_lo, s1, v3
	s_cselect_b32 s10, -1, 0
	s_delay_alu instid0(SALU_CYCLE_1) | instskip(NEXT) | instid1(SALU_CYCLE_1)
	s_or_b32 s10, s10, vcc_lo
	s_and_b32 exec_lo, exec_lo, s10
	s_cbranch_execz .LBB91_10
; %bb.8:
	v_mov_b32_e32 v60, s1
.LBB91_9:                               ; =>This Inner Loop Header: Depth=1
	ds_cmpstore_rtn_b32 v60, v2, v3, v60 offset:224
	s_waitcnt lgkmcnt(0)
	v_cmp_ne_u32_e32 vcc_lo, 0, v60
	v_cmp_le_i32_e64 s1, v60, v3
	s_delay_alu instid0(VALU_DEP_1) | instskip(NEXT) | instid1(SALU_CYCLE_1)
	s_and_b32 s1, vcc_lo, s1
	s_and_b32 s1, exec_lo, s1
	s_delay_alu instid0(SALU_CYCLE_1) | instskip(NEXT) | instid1(SALU_CYCLE_1)
	s_or_b32 s5, s1, s5
	s_and_not1_b32 exec_lo, exec_lo, s5
	s_cbranch_execnz .LBB91_9
.LBB91_10:
	s_or_b32 exec_lo, exec_lo, s4
	v_mov_b32_e32 v2, 0
	s_barrier
	buffer_gl0_inv
	ds_load_b32 v3, v2 offset:224
	s_and_saveexec_b32 s1, s0
	s_cbranch_execz .LBB91_12
; %bb.11:
	s_lshl_b64 s[4:5], s[8:9], 2
	s_delay_alu instid0(SALU_CYCLE_1)
	s_add_u32 s4, s6, s4
	s_addc_u32 s5, s7, s5
	s_waitcnt lgkmcnt(0)
	global_store_b32 v2, v3, s[4:5]
.LBB91_12:
	s_or_b32 exec_lo, exec_lo, s1
	s_waitcnt lgkmcnt(0)
	v_cmp_ne_u32_e32 vcc_lo, 0, v3
	s_mov_b32 s1, 0
	s_cbranch_vccnz .LBB91_118
; %bb.13:
	v_add_nc_u32_e32 v2, 0, v1
	scratch_load_b32 v3, v2, off
	s_waitcnt vmcnt(0)
	v_div_scale_f32 v60, null, v3, v3, 1.0
	v_div_scale_f32 v63, vcc_lo, 1.0, v3, 1.0
	s_delay_alu instid0(VALU_DEP_2) | instskip(SKIP_2) | instid1(VALU_DEP_1)
	v_rcp_f32_e32 v61, v60
	s_waitcnt_depctr 0xfff
	v_fma_f32 v62, -v60, v61, 1.0
	v_fmac_f32_e32 v61, v62, v61
	s_delay_alu instid0(VALU_DEP_1) | instskip(NEXT) | instid1(VALU_DEP_1)
	v_mul_f32_e32 v62, v63, v61
	v_fma_f32 v64, -v60, v62, v63
	s_delay_alu instid0(VALU_DEP_1) | instskip(NEXT) | instid1(VALU_DEP_1)
	v_fmac_f32_e32 v62, v64, v61
	v_fma_f32 v60, -v60, v62, v63
	s_delay_alu instid0(VALU_DEP_1) | instskip(NEXT) | instid1(VALU_DEP_1)
	v_div_fmas_f32 v60, v60, v61, v62
	v_div_fixup_f32 v3, v60, v3, 1.0
	scratch_store_b32 v2, v3, off
	scratch_load_b32 v60, off, off offset:4
	v_xor_b32_e32 v61, 0x80000000, v3
	v_add_nc_u32_e32 v3, 0x70, v1
	s_waitcnt vmcnt(0)
	ds_store_2addr_b32 v1, v61, v60 offset1:28
	s_waitcnt lgkmcnt(0)
	s_waitcnt_vscnt null, 0x0
	s_barrier
	buffer_gl0_inv
	s_and_saveexec_b32 s1, s0
	s_cbranch_execz .LBB91_15
; %bb.14:
	scratch_load_b32 v60, v2, off
	ds_load_b32 v61, v3
	v_mov_b32_e32 v62, 0
	ds_load_b32 v62, v62 offset:4
	s_waitcnt vmcnt(0) lgkmcnt(1)
	v_fma_f32 v60, v60, v61, 0
	s_waitcnt lgkmcnt(0)
	s_delay_alu instid0(VALU_DEP_1)
	v_mul_f32_e32 v60, v60, v62
	scratch_store_b32 off, v60, off offset:4
.LBB91_15:
	s_or_b32 exec_lo, exec_lo, s1
	s_waitcnt_vscnt null, 0x0
	s_barrier
	buffer_gl0_inv
	scratch_load_b32 v60, off, off offset:8
	s_mov_b32 s1, exec_lo
	s_waitcnt vmcnt(0)
	ds_store_b32 v3, v60
	s_waitcnt lgkmcnt(0)
	s_barrier
	buffer_gl0_inv
	v_cmpx_gt_u32_e32 2, v0
	s_cbranch_execz .LBB91_17
; %bb.16:
	scratch_load_b32 v62, v2, off
	scratch_load_b32 v63, off, off offset:4
	ds_load_b32 v64, v3
	v_mov_b32_e32 v60, 0
	ds_load_2addr_b32 v[60:61], v60 offset0:2 offset1:29
	s_waitcnt vmcnt(1) lgkmcnt(1)
	v_fma_f32 v62, v62, v64, 0
	s_waitcnt vmcnt(0) lgkmcnt(0)
	s_delay_alu instid0(VALU_DEP_1) | instskip(NEXT) | instid1(VALU_DEP_1)
	v_fma_f32 v61, v63, v61, v62
	v_cndmask_b32_e64 v61, v62, v61, s0
	s_delay_alu instid0(VALU_DEP_1)
	v_mul_f32_e32 v60, v61, v60
	scratch_store_b32 off, v60, off offset:8
.LBB91_17:
	s_or_b32 exec_lo, exec_lo, s1
	s_waitcnt_vscnt null, 0x0
	s_barrier
	buffer_gl0_inv
	scratch_load_b32 v61, off, off offset:12
	v_add_nc_u32_e32 v60, -1, v0
	s_mov_b32 s0, exec_lo
	s_waitcnt vmcnt(0)
	ds_store_b32 v3, v61
	s_waitcnt lgkmcnt(0)
	s_barrier
	buffer_gl0_inv
	v_cmpx_gt_u32_e32 3, v0
	s_cbranch_execz .LBB91_21
; %bb.18:
	v_dual_mov_b32 v61, 0 :: v_dual_add_nc_u32 v62, -1, v0
	v_add_nc_u32_e32 v63, 0x70, v1
	v_add_nc_u32_e32 v64, 0, v1
	s_mov_b32 s1, 0
.LBB91_19:                              ; =>This Inner Loop Header: Depth=1
	scratch_load_b32 v65, v64, off
	ds_load_b32 v66, v63
	v_add_nc_u32_e32 v62, 1, v62
	v_add_nc_u32_e32 v63, 4, v63
	v_add_nc_u32_e32 v64, 4, v64
	s_delay_alu instid0(VALU_DEP_3)
	v_cmp_lt_u32_e32 vcc_lo, 1, v62
	s_or_b32 s1, vcc_lo, s1
	s_waitcnt vmcnt(0) lgkmcnt(0)
	v_fmac_f32_e32 v61, v65, v66
	s_and_not1_b32 exec_lo, exec_lo, s1
	s_cbranch_execnz .LBB91_19
; %bb.20:
	s_or_b32 exec_lo, exec_lo, s1
	v_mov_b32_e32 v62, 0
	ds_load_b32 v62, v62 offset:12
	s_waitcnt lgkmcnt(0)
	v_mul_f32_e32 v61, v61, v62
	scratch_store_b32 off, v61, off offset:12
.LBB91_21:
	s_or_b32 exec_lo, exec_lo, s0
	s_waitcnt_vscnt null, 0x0
	s_barrier
	buffer_gl0_inv
	scratch_load_b32 v61, off, off offset:16
	s_mov_b32 s0, exec_lo
	s_waitcnt vmcnt(0)
	ds_store_b32 v3, v61
	s_waitcnt lgkmcnt(0)
	s_barrier
	buffer_gl0_inv
	v_cmpx_gt_u32_e32 4, v0
	s_cbranch_execz .LBB91_25
; %bb.22:
	v_dual_mov_b32 v61, 0 :: v_dual_add_nc_u32 v62, -1, v0
	v_add_nc_u32_e32 v63, 0x70, v1
	v_add_nc_u32_e32 v64, 0, v1
	s_mov_b32 s1, 0
.LBB91_23:                              ; =>This Inner Loop Header: Depth=1
	scratch_load_b32 v65, v64, off
	ds_load_b32 v66, v63
	v_add_nc_u32_e32 v62, 1, v62
	v_add_nc_u32_e32 v63, 4, v63
	v_add_nc_u32_e32 v64, 4, v64
	s_delay_alu instid0(VALU_DEP_3)
	v_cmp_lt_u32_e32 vcc_lo, 2, v62
	s_or_b32 s1, vcc_lo, s1
	s_waitcnt vmcnt(0) lgkmcnt(0)
	v_fmac_f32_e32 v61, v65, v66
	s_and_not1_b32 exec_lo, exec_lo, s1
	s_cbranch_execnz .LBB91_23
; %bb.24:
	s_or_b32 exec_lo, exec_lo, s1
	v_mov_b32_e32 v62, 0
	ds_load_b32 v62, v62 offset:16
	s_waitcnt lgkmcnt(0)
	v_mul_f32_e32 v61, v61, v62
	scratch_store_b32 off, v61, off offset:16
.LBB91_25:
	s_or_b32 exec_lo, exec_lo, s0
	s_waitcnt_vscnt null, 0x0
	s_barrier
	buffer_gl0_inv
	scratch_load_b32 v61, off, off offset:20
	;; [unrolled: 39-line block ×21, first 2 shown]
	s_mov_b32 s0, exec_lo
	s_waitcnt vmcnt(0)
	ds_store_b32 v3, v61
	s_waitcnt lgkmcnt(0)
	s_barrier
	buffer_gl0_inv
	v_cmpx_gt_u32_e32 24, v0
	s_cbranch_execz .LBB91_105
; %bb.102:
	v_dual_mov_b32 v61, 0 :: v_dual_add_nc_u32 v62, -1, v0
	v_add_nc_u32_e32 v63, 0x70, v1
	v_add_nc_u32_e32 v64, 0, v1
	s_mov_b32 s1, 0
.LBB91_103:                             ; =>This Inner Loop Header: Depth=1
	scratch_load_b32 v65, v64, off
	ds_load_b32 v66, v63
	v_add_nc_u32_e32 v62, 1, v62
	v_add_nc_u32_e32 v63, 4, v63
	v_add_nc_u32_e32 v64, 4, v64
	s_delay_alu instid0(VALU_DEP_3)
	v_cmp_lt_u32_e32 vcc_lo, 22, v62
	s_or_b32 s1, vcc_lo, s1
	s_waitcnt vmcnt(0) lgkmcnt(0)
	v_fmac_f32_e32 v61, v65, v66
	s_and_not1_b32 exec_lo, exec_lo, s1
	s_cbranch_execnz .LBB91_103
; %bb.104:
	s_or_b32 exec_lo, exec_lo, s1
	v_mov_b32_e32 v62, 0
	ds_load_b32 v62, v62 offset:96
	s_waitcnt lgkmcnt(0)
	v_mul_f32_e32 v61, v61, v62
	scratch_store_b32 off, v61, off offset:96
.LBB91_105:
	s_or_b32 exec_lo, exec_lo, s0
	s_waitcnt_vscnt null, 0x0
	s_barrier
	buffer_gl0_inv
	scratch_load_b32 v61, off, off offset:100
	s_mov_b32 s0, exec_lo
	s_waitcnt vmcnt(0)
	ds_store_b32 v3, v61
	s_waitcnt lgkmcnt(0)
	s_barrier
	buffer_gl0_inv
	v_cmpx_gt_u32_e32 25, v0
	s_cbranch_execz .LBB91_109
; %bb.106:
	v_dual_mov_b32 v61, 0 :: v_dual_add_nc_u32 v62, -1, v0
	v_add_nc_u32_e32 v63, 0x70, v1
	v_add_nc_u32_e32 v64, 0, v1
	s_mov_b32 s1, 0
.LBB91_107:                             ; =>This Inner Loop Header: Depth=1
	scratch_load_b32 v65, v64, off
	ds_load_b32 v66, v63
	v_add_nc_u32_e32 v62, 1, v62
	v_add_nc_u32_e32 v63, 4, v63
	;; [unrolled: 1-line block ×3, first 2 shown]
	s_delay_alu instid0(VALU_DEP_3)
	v_cmp_lt_u32_e32 vcc_lo, 23, v62
	s_or_b32 s1, vcc_lo, s1
	s_waitcnt vmcnt(0) lgkmcnt(0)
	v_fmac_f32_e32 v61, v65, v66
	s_and_not1_b32 exec_lo, exec_lo, s1
	s_cbranch_execnz .LBB91_107
; %bb.108:
	s_or_b32 exec_lo, exec_lo, s1
	v_mov_b32_e32 v62, 0
	ds_load_b32 v62, v62 offset:100
	s_waitcnt lgkmcnt(0)
	v_mul_f32_e32 v61, v61, v62
	scratch_store_b32 off, v61, off offset:100
.LBB91_109:
	s_or_b32 exec_lo, exec_lo, s0
	s_waitcnt_vscnt null, 0x0
	s_barrier
	buffer_gl0_inv
	scratch_load_b32 v61, off, off offset:104
	s_mov_b32 s0, exec_lo
	s_waitcnt vmcnt(0)
	ds_store_b32 v3, v61
	s_waitcnt lgkmcnt(0)
	s_barrier
	buffer_gl0_inv
	v_cmpx_gt_u32_e32 26, v0
	s_cbranch_execz .LBB91_113
; %bb.110:
	v_add_nc_u32_e32 v61, -1, v0
	v_add_nc_u32_e32 v62, 0x70, v1
	v_add_nc_u32_e32 v63, 0, v1
	v_mov_b32_e32 v1, 0
	s_mov_b32 s1, 0
.LBB91_111:                             ; =>This Inner Loop Header: Depth=1
	scratch_load_b32 v64, v63, off
	ds_load_b32 v65, v62
	v_add_nc_u32_e32 v61, 1, v61
	v_add_nc_u32_e32 v62, 4, v62
	;; [unrolled: 1-line block ×3, first 2 shown]
	s_delay_alu instid0(VALU_DEP_3)
	v_cmp_lt_u32_e32 vcc_lo, 24, v61
	s_or_b32 s1, vcc_lo, s1
	s_waitcnt vmcnt(0) lgkmcnt(0)
	v_fmac_f32_e32 v1, v64, v65
	s_and_not1_b32 exec_lo, exec_lo, s1
	s_cbranch_execnz .LBB91_111
; %bb.112:
	s_or_b32 exec_lo, exec_lo, s1
	v_mov_b32_e32 v61, 0
	ds_load_b32 v61, v61 offset:104
	s_waitcnt lgkmcnt(0)
	v_mul_f32_e32 v1, v1, v61
	scratch_store_b32 off, v1, off offset:104
.LBB91_113:
	s_or_b32 exec_lo, exec_lo, s0
	s_waitcnt_vscnt null, 0x0
	s_barrier
	buffer_gl0_inv
	scratch_load_b32 v1, off, off offset:108
	s_mov_b32 s0, exec_lo
	s_waitcnt vmcnt(0)
	ds_store_b32 v3, v1
	s_waitcnt lgkmcnt(0)
	s_barrier
	buffer_gl0_inv
	v_cmpx_ne_u32_e32 27, v0
	s_cbranch_execz .LBB91_117
; %bb.114:
	v_mov_b32_e32 v1, 0
	s_mov_b32 s1, 0
.LBB91_115:                             ; =>This Inner Loop Header: Depth=1
	scratch_load_b32 v61, v2, off
	ds_load_b32 v62, v3
	v_add_nc_u32_e32 v60, 1, v60
	v_add_nc_u32_e32 v3, 4, v3
	;; [unrolled: 1-line block ×3, first 2 shown]
	s_waitcnt vmcnt(0) lgkmcnt(0)
	v_fmac_f32_e32 v1, v61, v62
	v_cmp_lt_u32_e32 vcc_lo, 25, v60
	s_or_b32 s1, vcc_lo, s1
	s_delay_alu instid0(SALU_CYCLE_1)
	s_and_not1_b32 exec_lo, exec_lo, s1
	s_cbranch_execnz .LBB91_115
; %bb.116:
	s_or_b32 exec_lo, exec_lo, s1
	v_mov_b32_e32 v2, 0
	ds_load_b32 v2, v2 offset:108
	s_waitcnt lgkmcnt(0)
	v_mul_f32_e32 v1, v1, v2
	scratch_store_b32 off, v1, off offset:108
.LBB91_117:
	s_or_b32 exec_lo, exec_lo, s0
	s_mov_b32 s1, -1
	s_waitcnt_vscnt null, 0x0
	s_barrier
	buffer_gl0_inv
.LBB91_118:
	s_and_b32 vcc_lo, exec_lo, s1
	s_cbranch_vccz .LBB91_120
; %bb.119:
	s_lshl_b64 s[0:1], s[8:9], 2
	v_mov_b32_e32 v1, 0
	s_add_u32 s0, s6, s0
	s_addc_u32 s1, s7, s1
	global_load_b32 v1, v1, s[0:1]
	s_waitcnt vmcnt(0)
	v_cmp_ne_u32_e32 vcc_lo, 0, v1
	s_cbranch_vccz .LBB91_121
.LBB91_120:
	s_endpgm
.LBB91_121:
	v_lshl_add_u32 v1, v0, 2, 0x70
	s_mov_b32 s0, exec_lo
	v_cmpx_eq_u32_e32 27, v0
	s_cbranch_execz .LBB91_123
; %bb.122:
	scratch_load_b32 v2, off, off offset:104
	v_mov_b32_e32 v3, 0
	scratch_store_b32 off, v3, off offset:104
	s_waitcnt vmcnt(0)
	ds_store_b32 v1, v2
.LBB91_123:
	s_or_b32 exec_lo, exec_lo, s0
	s_waitcnt lgkmcnt(0)
	s_waitcnt_vscnt null, 0x0
	s_barrier
	buffer_gl0_inv
	scratch_load_b64 v[60:61], off, off offset:104
	v_mov_b32_e32 v2, 0
	s_mov_b32 s0, exec_lo
	ds_load_b32 v3, v2 offset:220
	s_waitcnt vmcnt(0) lgkmcnt(0)
	v_fma_f32 v3, v61, v3, 0
	s_delay_alu instid0(VALU_DEP_1)
	v_sub_f32_e32 v3, v60, v3
	scratch_store_b32 off, v3, off offset:104
	v_cmpx_lt_u32_e32 25, v0
	s_cbranch_execz .LBB91_125
; %bb.124:
	scratch_load_b32 v3, off, off offset:100
	scratch_store_b32 off, v2, off offset:100
	s_waitcnt vmcnt(0)
	ds_store_b32 v1, v3
.LBB91_125:
	s_or_b32 exec_lo, exec_lo, s0
	s_waitcnt lgkmcnt(0)
	s_waitcnt_vscnt null, 0x0
	s_barrier
	buffer_gl0_inv
	scratch_load_b96 v[60:62], off, off offset:100
	ds_load_b64 v[2:3], v2 offset:216
	s_mov_b32 s0, exec_lo
	s_waitcnt vmcnt(0) lgkmcnt(0)
	v_fma_f32 v2, v61, v2, 0
	s_delay_alu instid0(VALU_DEP_1) | instskip(NEXT) | instid1(VALU_DEP_1)
	v_fmac_f32_e32 v2, v62, v3
	v_sub_f32_e32 v2, v60, v2
	scratch_store_b32 off, v2, off offset:100
	v_cmpx_lt_u32_e32 24, v0
	s_cbranch_execz .LBB91_127
; %bb.126:
	scratch_load_b32 v2, off, off offset:96
	v_mov_b32_e32 v3, 0
	scratch_store_b32 off, v3, off offset:96
	s_waitcnt vmcnt(0)
	ds_store_b32 v1, v2
.LBB91_127:
	s_or_b32 exec_lo, exec_lo, s0
	s_waitcnt lgkmcnt(0)
	s_waitcnt_vscnt null, 0x0
	s_barrier
	buffer_gl0_inv
	scratch_load_b128 v[60:63], off, off offset:96
	v_mov_b32_e32 v2, 0
	ds_load_2addr_b32 v[64:65], v2 offset0:53 offset1:54
	ds_load_b32 v3, v2 offset:220
	s_mov_b32 s0, exec_lo
	s_waitcnt vmcnt(0) lgkmcnt(1)
	v_fma_f32 v61, v61, v64, 0
	s_delay_alu instid0(VALU_DEP_1) | instskip(SKIP_1) | instid1(VALU_DEP_1)
	v_fmac_f32_e32 v61, v62, v65
	s_waitcnt lgkmcnt(0)
	v_fmac_f32_e32 v61, v63, v3
	s_delay_alu instid0(VALU_DEP_1)
	v_sub_f32_e32 v3, v60, v61
	scratch_store_b32 off, v3, off offset:96
	v_cmpx_lt_u32_e32 23, v0
	s_cbranch_execz .LBB91_129
; %bb.128:
	scratch_load_b32 v3, off, off offset:92
	scratch_store_b32 off, v2, off offset:92
	s_waitcnt vmcnt(0)
	ds_store_b32 v1, v3
.LBB91_129:
	s_or_b32 exec_lo, exec_lo, s0
	s_waitcnt lgkmcnt(0)
	s_waitcnt_vscnt null, 0x0
	s_barrier
	buffer_gl0_inv
	s_clause 0x1
	scratch_load_b128 v[60:63], off, off offset:92
	scratch_load_b32 v3, off, off offset:108
	ds_load_b128 v[64:67], v2 offset:208
	s_mov_b32 s0, exec_lo
	s_waitcnt vmcnt(1) lgkmcnt(0)
	v_fma_f32 v2, v61, v64, 0
	s_delay_alu instid0(VALU_DEP_1) | instskip(NEXT) | instid1(VALU_DEP_1)
	v_fmac_f32_e32 v2, v62, v65
	v_fmac_f32_e32 v2, v63, v66
	s_waitcnt vmcnt(0)
	s_delay_alu instid0(VALU_DEP_1) | instskip(NEXT) | instid1(VALU_DEP_1)
	v_fmac_f32_e32 v2, v3, v67
	v_sub_f32_e32 v2, v60, v2
	scratch_store_b32 off, v2, off offset:92
	v_cmpx_lt_u32_e32 22, v0
	s_cbranch_execz .LBB91_131
; %bb.130:
	scratch_load_b32 v2, off, off offset:88
	v_mov_b32_e32 v3, 0
	scratch_store_b32 off, v3, off offset:88
	s_waitcnt vmcnt(0)
	ds_store_b32 v1, v2
.LBB91_131:
	s_or_b32 exec_lo, exec_lo, s0
	s_waitcnt lgkmcnt(0)
	s_waitcnt_vscnt null, 0x0
	s_barrier
	buffer_gl0_inv
	s_clause 0x1
	scratch_load_b128 v[60:63], off, off offset:88
	scratch_load_b64 v[64:65], off, off offset:104
	v_mov_b32_e32 v2, 0
	ds_load_2addr_b32 v[66:67], v2 offset0:51 offset1:52
	ds_load_2addr_b32 v[68:69], v2 offset0:53 offset1:54
	ds_load_b32 v3, v2 offset:220
	s_mov_b32 s0, exec_lo
	s_waitcnt vmcnt(1) lgkmcnt(2)
	v_fma_f32 v61, v61, v66, 0
	s_delay_alu instid0(VALU_DEP_1) | instskip(SKIP_1) | instid1(VALU_DEP_1)
	v_fmac_f32_e32 v61, v62, v67
	s_waitcnt lgkmcnt(1)
	v_fmac_f32_e32 v61, v63, v68
	s_waitcnt vmcnt(0)
	s_delay_alu instid0(VALU_DEP_1) | instskip(SKIP_1) | instid1(VALU_DEP_1)
	v_fmac_f32_e32 v61, v64, v69
	s_waitcnt lgkmcnt(0)
	v_fmac_f32_e32 v61, v65, v3
	s_delay_alu instid0(VALU_DEP_1)
	v_sub_f32_e32 v3, v60, v61
	scratch_store_b32 off, v3, off offset:88
	v_cmpx_lt_u32_e32 21, v0
	s_cbranch_execz .LBB91_133
; %bb.132:
	scratch_load_b32 v3, off, off offset:84
	scratch_store_b32 off, v2, off offset:84
	s_waitcnt vmcnt(0)
	ds_store_b32 v1, v3
.LBB91_133:
	s_or_b32 exec_lo, exec_lo, s0
	s_waitcnt lgkmcnt(0)
	s_waitcnt_vscnt null, 0x0
	s_barrier
	buffer_gl0_inv
	s_clause 0x1
	scratch_load_b128 v[60:63], off, off offset:84
	scratch_load_b96 v[68:70], off, off offset:100
	ds_load_2addr_b64 v[64:67], v2 offset0:25 offset1:26
	ds_load_b64 v[2:3], v2 offset:216
	s_mov_b32 s0, exec_lo
	s_waitcnt vmcnt(1) lgkmcnt(1)
	v_fma_f32 v61, v61, v64, 0
	s_delay_alu instid0(VALU_DEP_1) | instskip(NEXT) | instid1(VALU_DEP_1)
	v_fmac_f32_e32 v61, v62, v65
	v_fmac_f32_e32 v61, v63, v66
	s_waitcnt vmcnt(0)
	s_delay_alu instid0(VALU_DEP_1) | instskip(SKIP_1) | instid1(VALU_DEP_1)
	v_fmac_f32_e32 v61, v68, v67
	s_waitcnt lgkmcnt(0)
	v_fmac_f32_e32 v61, v69, v2
	s_delay_alu instid0(VALU_DEP_1) | instskip(NEXT) | instid1(VALU_DEP_1)
	v_fmac_f32_e32 v61, v70, v3
	v_sub_f32_e32 v2, v60, v61
	scratch_store_b32 off, v2, off offset:84
	v_cmpx_lt_u32_e32 20, v0
	s_cbranch_execz .LBB91_135
; %bb.134:
	scratch_load_b32 v2, off, off offset:80
	v_mov_b32_e32 v3, 0
	scratch_store_b32 off, v3, off offset:80
	s_waitcnt vmcnt(0)
	ds_store_b32 v1, v2
.LBB91_135:
	s_or_b32 exec_lo, exec_lo, s0
	s_waitcnt lgkmcnt(0)
	s_waitcnt_vscnt null, 0x0
	s_barrier
	buffer_gl0_inv
	s_clause 0x1
	scratch_load_b128 v[60:63], off, off offset:80
	scratch_load_b128 v[64:67], off, off offset:96
	v_mov_b32_e32 v2, 0
	ds_load_2addr_b32 v[68:69], v2 offset0:49 offset1:50
	ds_load_2addr_b32 v[70:71], v2 offset0:51 offset1:52
	;; [unrolled: 1-line block ×3, first 2 shown]
	ds_load_b32 v3, v2 offset:220
	s_mov_b32 s0, exec_lo
	s_waitcnt vmcnt(1) lgkmcnt(3)
	v_fma_f32 v61, v61, v68, 0
	s_delay_alu instid0(VALU_DEP_1) | instskip(SKIP_1) | instid1(VALU_DEP_1)
	v_fmac_f32_e32 v61, v62, v69
	s_waitcnt lgkmcnt(2)
	v_fmac_f32_e32 v61, v63, v70
	s_waitcnt vmcnt(0)
	s_delay_alu instid0(VALU_DEP_1) | instskip(SKIP_1) | instid1(VALU_DEP_1)
	v_fmac_f32_e32 v61, v64, v71
	s_waitcnt lgkmcnt(1)
	v_fmac_f32_e32 v61, v65, v72
	s_delay_alu instid0(VALU_DEP_1) | instskip(SKIP_1) | instid1(VALU_DEP_1)
	v_fmac_f32_e32 v61, v66, v73
	s_waitcnt lgkmcnt(0)
	v_fmac_f32_e32 v61, v67, v3
	s_delay_alu instid0(VALU_DEP_1)
	v_sub_f32_e32 v3, v60, v61
	scratch_store_b32 off, v3, off offset:80
	v_cmpx_lt_u32_e32 19, v0
	s_cbranch_execz .LBB91_137
; %bb.136:
	scratch_load_b32 v3, off, off offset:76
	scratch_store_b32 off, v2, off offset:76
	s_waitcnt vmcnt(0)
	ds_store_b32 v1, v3
.LBB91_137:
	s_or_b32 exec_lo, exec_lo, s0
	s_waitcnt lgkmcnt(0)
	s_waitcnt_vscnt null, 0x0
	s_barrier
	buffer_gl0_inv
	s_clause 0x2
	scratch_load_b128 v[60:63], off, off offset:76
	scratch_load_b128 v[64:67], off, off offset:92
	scratch_load_b32 v3, off, off offset:108
	ds_load_b128 v[68:71], v2 offset:192
	ds_load_b128 v[72:75], v2 offset:208
	s_mov_b32 s0, exec_lo
	s_waitcnt vmcnt(2) lgkmcnt(1)
	v_fma_f32 v2, v61, v68, 0
	s_delay_alu instid0(VALU_DEP_1) | instskip(NEXT) | instid1(VALU_DEP_1)
	v_fmac_f32_e32 v2, v62, v69
	v_fmac_f32_e32 v2, v63, v70
	s_waitcnt vmcnt(1)
	s_delay_alu instid0(VALU_DEP_1) | instskip(SKIP_1) | instid1(VALU_DEP_1)
	v_fmac_f32_e32 v2, v64, v71
	s_waitcnt lgkmcnt(0)
	v_fmac_f32_e32 v2, v65, v72
	s_delay_alu instid0(VALU_DEP_1) | instskip(NEXT) | instid1(VALU_DEP_1)
	v_fmac_f32_e32 v2, v66, v73
	v_fmac_f32_e32 v2, v67, v74
	s_waitcnt vmcnt(0)
	s_delay_alu instid0(VALU_DEP_1) | instskip(NEXT) | instid1(VALU_DEP_1)
	v_fmac_f32_e32 v2, v3, v75
	v_sub_f32_e32 v2, v60, v2
	scratch_store_b32 off, v2, off offset:76
	v_cmpx_lt_u32_e32 18, v0
	s_cbranch_execz .LBB91_139
; %bb.138:
	scratch_load_b32 v2, off, off offset:72
	v_mov_b32_e32 v3, 0
	scratch_store_b32 off, v3, off offset:72
	s_waitcnt vmcnt(0)
	ds_store_b32 v1, v2
.LBB91_139:
	s_or_b32 exec_lo, exec_lo, s0
	s_waitcnt lgkmcnt(0)
	s_waitcnt_vscnt null, 0x0
	s_barrier
	buffer_gl0_inv
	s_clause 0x2
	scratch_load_b128 v[60:63], off, off offset:72
	scratch_load_b128 v[64:67], off, off offset:88
	scratch_load_b64 v[68:69], off, off offset:104
	v_mov_b32_e32 v2, 0
	ds_load_2addr_b32 v[70:71], v2 offset0:47 offset1:48
	ds_load_2addr_b32 v[72:73], v2 offset0:49 offset1:50
	;; [unrolled: 1-line block ×4, first 2 shown]
	s_mov_b32 s0, exec_lo
	s_waitcnt vmcnt(2) lgkmcnt(3)
	v_fma_f32 v3, v61, v70, 0
	s_delay_alu instid0(VALU_DEP_1) | instskip(SKIP_4) | instid1(VALU_DEP_1)
	v_fmac_f32_e32 v3, v62, v71
	ds_load_b32 v61, v2 offset:220
	s_waitcnt lgkmcnt(3)
	v_fmac_f32_e32 v3, v63, v72
	s_waitcnt vmcnt(1)
	v_fmac_f32_e32 v3, v64, v73
	s_waitcnt lgkmcnt(2)
	s_delay_alu instid0(VALU_DEP_1) | instskip(NEXT) | instid1(VALU_DEP_1)
	v_fmac_f32_e32 v3, v65, v74
	v_fmac_f32_e32 v3, v66, v75
	s_waitcnt lgkmcnt(1)
	s_delay_alu instid0(VALU_DEP_1) | instskip(SKIP_1) | instid1(VALU_DEP_1)
	v_fmac_f32_e32 v3, v67, v76
	s_waitcnt vmcnt(0)
	v_fmac_f32_e32 v3, v68, v77
	s_waitcnt lgkmcnt(0)
	s_delay_alu instid0(VALU_DEP_1) | instskip(NEXT) | instid1(VALU_DEP_1)
	v_fmac_f32_e32 v3, v69, v61
	v_sub_f32_e32 v3, v60, v3
	scratch_store_b32 off, v3, off offset:72
	v_cmpx_lt_u32_e32 17, v0
	s_cbranch_execz .LBB91_141
; %bb.140:
	scratch_load_b32 v3, off, off offset:68
	scratch_store_b32 off, v2, off offset:68
	s_waitcnt vmcnt(0)
	ds_store_b32 v1, v3
.LBB91_141:
	s_or_b32 exec_lo, exec_lo, s0
	s_waitcnt lgkmcnt(0)
	s_waitcnt_vscnt null, 0x0
	s_barrier
	buffer_gl0_inv
	s_clause 0x2
	scratch_load_b128 v[60:63], off, off offset:68
	scratch_load_b128 v[64:67], off, off offset:84
	scratch_load_b96 v[76:78], off, off offset:100
	ds_load_2addr_b64 v[68:71], v2 offset0:23 offset1:24
	ds_load_2addr_b64 v[72:75], v2 offset0:25 offset1:26
	ds_load_b64 v[2:3], v2 offset:216
	s_mov_b32 s0, exec_lo
	s_waitcnt vmcnt(2) lgkmcnt(2)
	v_fma_f32 v61, v61, v68, 0
	s_delay_alu instid0(VALU_DEP_1) | instskip(NEXT) | instid1(VALU_DEP_1)
	v_fmac_f32_e32 v61, v62, v69
	v_fmac_f32_e32 v61, v63, v70
	s_waitcnt vmcnt(1)
	s_delay_alu instid0(VALU_DEP_1) | instskip(SKIP_1) | instid1(VALU_DEP_1)
	v_fmac_f32_e32 v61, v64, v71
	s_waitcnt lgkmcnt(1)
	v_fmac_f32_e32 v61, v65, v72
	s_delay_alu instid0(VALU_DEP_1) | instskip(NEXT) | instid1(VALU_DEP_1)
	v_fmac_f32_e32 v61, v66, v73
	v_fmac_f32_e32 v61, v67, v74
	s_waitcnt vmcnt(0)
	s_delay_alu instid0(VALU_DEP_1) | instskip(SKIP_1) | instid1(VALU_DEP_1)
	v_fmac_f32_e32 v61, v76, v75
	s_waitcnt lgkmcnt(0)
	v_fmac_f32_e32 v61, v77, v2
	s_delay_alu instid0(VALU_DEP_1) | instskip(NEXT) | instid1(VALU_DEP_1)
	v_fmac_f32_e32 v61, v78, v3
	v_sub_f32_e32 v2, v60, v61
	scratch_store_b32 off, v2, off offset:68
	v_cmpx_lt_u32_e32 16, v0
	s_cbranch_execz .LBB91_143
; %bb.142:
	scratch_load_b32 v2, off, off offset:64
	v_mov_b32_e32 v3, 0
	scratch_store_b32 off, v3, off offset:64
	s_waitcnt vmcnt(0)
	ds_store_b32 v1, v2
.LBB91_143:
	s_or_b32 exec_lo, exec_lo, s0
	s_waitcnt lgkmcnt(0)
	s_waitcnt_vscnt null, 0x0
	s_barrier
	buffer_gl0_inv
	s_clause 0x2
	scratch_load_b128 v[60:63], off, off offset:64
	scratch_load_b128 v[64:67], off, off offset:80
	;; [unrolled: 1-line block ×3, first 2 shown]
	v_mov_b32_e32 v2, 0
	ds_load_2addr_b32 v[72:73], v2 offset0:45 offset1:46
	ds_load_2addr_b32 v[74:75], v2 offset0:47 offset1:48
	;; [unrolled: 1-line block ×4, first 2 shown]
	s_mov_b32 s0, exec_lo
	s_waitcnt vmcnt(2) lgkmcnt(3)
	v_fma_f32 v3, v61, v72, 0
	s_delay_alu instid0(VALU_DEP_1)
	v_fmac_f32_e32 v3, v62, v73
	ds_load_2addr_b32 v[61:62], v2 offset0:53 offset1:54
	s_waitcnt lgkmcnt(3)
	v_fmac_f32_e32 v3, v63, v74
	ds_load_b32 v63, v2 offset:220
	s_waitcnt vmcnt(1)
	v_fmac_f32_e32 v3, v64, v75
	s_waitcnt lgkmcnt(3)
	s_delay_alu instid0(VALU_DEP_1) | instskip(NEXT) | instid1(VALU_DEP_1)
	v_fmac_f32_e32 v3, v65, v76
	v_fmac_f32_e32 v3, v66, v77
	s_waitcnt lgkmcnt(2)
	s_delay_alu instid0(VALU_DEP_1) | instskip(SKIP_1) | instid1(VALU_DEP_1)
	v_fmac_f32_e32 v3, v67, v78
	s_waitcnt vmcnt(0)
	v_fmac_f32_e32 v3, v68, v79
	s_waitcnt lgkmcnt(1)
	s_delay_alu instid0(VALU_DEP_1) | instskip(NEXT) | instid1(VALU_DEP_1)
	v_fmac_f32_e32 v3, v69, v61
	v_fmac_f32_e32 v3, v70, v62
	s_waitcnt lgkmcnt(0)
	s_delay_alu instid0(VALU_DEP_1) | instskip(NEXT) | instid1(VALU_DEP_1)
	v_fmac_f32_e32 v3, v71, v63
	v_sub_f32_e32 v3, v60, v3
	scratch_store_b32 off, v3, off offset:64
	v_cmpx_lt_u32_e32 15, v0
	s_cbranch_execz .LBB91_145
; %bb.144:
	scratch_load_b32 v3, off, off offset:60
	scratch_store_b32 off, v2, off offset:60
	s_waitcnt vmcnt(0)
	ds_store_b32 v1, v3
.LBB91_145:
	s_or_b32 exec_lo, exec_lo, s0
	s_waitcnt lgkmcnt(0)
	s_waitcnt_vscnt null, 0x0
	s_barrier
	buffer_gl0_inv
	s_clause 0x3
	scratch_load_b128 v[60:63], off, off offset:60
	scratch_load_b128 v[64:67], off, off offset:76
	;; [unrolled: 1-line block ×3, first 2 shown]
	scratch_load_b32 v3, off, off offset:108
	ds_load_b128 v[72:75], v2 offset:176
	ds_load_b128 v[76:79], v2 offset:192
	s_mov_b32 s0, exec_lo
	s_waitcnt vmcnt(3) lgkmcnt(1)
	v_fma_f32 v72, v61, v72, 0
	s_delay_alu instid0(VALU_DEP_1) | instskip(NEXT) | instid1(VALU_DEP_1)
	v_fmac_f32_e32 v72, v62, v73
	v_fmac_f32_e32 v72, v63, v74
	s_waitcnt vmcnt(2)
	s_delay_alu instid0(VALU_DEP_1) | instskip(SKIP_3) | instid1(VALU_DEP_1)
	v_fmac_f32_e32 v72, v64, v75
	ds_load_b128 v[61:64], v2 offset:208
	s_waitcnt lgkmcnt(1)
	v_fmac_f32_e32 v72, v65, v76
	v_fmac_f32_e32 v72, v66, v77
	s_delay_alu instid0(VALU_DEP_1) | instskip(SKIP_1) | instid1(VALU_DEP_1)
	v_fmac_f32_e32 v72, v67, v78
	s_waitcnt vmcnt(1)
	v_fmac_f32_e32 v72, v68, v79
	s_waitcnt lgkmcnt(0)
	s_delay_alu instid0(VALU_DEP_1) | instskip(NEXT) | instid1(VALU_DEP_1)
	v_fmac_f32_e32 v72, v69, v61
	v_fmac_f32_e32 v72, v70, v62
	s_delay_alu instid0(VALU_DEP_1) | instskip(SKIP_1) | instid1(VALU_DEP_1)
	v_fmac_f32_e32 v72, v71, v63
	s_waitcnt vmcnt(0)
	v_fmac_f32_e32 v72, v3, v64
	s_delay_alu instid0(VALU_DEP_1)
	v_sub_f32_e32 v2, v60, v72
	scratch_store_b32 off, v2, off offset:60
	v_cmpx_lt_u32_e32 14, v0
	s_cbranch_execz .LBB91_147
; %bb.146:
	scratch_load_b32 v2, off, off offset:56
	v_mov_b32_e32 v3, 0
	scratch_store_b32 off, v3, off offset:56
	s_waitcnt vmcnt(0)
	ds_store_b32 v1, v2
.LBB91_147:
	s_or_b32 exec_lo, exec_lo, s0
	s_waitcnt lgkmcnt(0)
	s_waitcnt_vscnt null, 0x0
	s_barrier
	buffer_gl0_inv
	s_clause 0x3
	scratch_load_b128 v[60:63], off, off offset:56
	scratch_load_b128 v[64:67], off, off offset:72
	scratch_load_b128 v[68:71], off, off offset:88
	scratch_load_b64 v[72:73], off, off offset:104
	v_mov_b32_e32 v2, 0
	ds_load_2addr_b32 v[74:75], v2 offset0:43 offset1:44
	ds_load_2addr_b32 v[76:77], v2 offset0:45 offset1:46
	;; [unrolled: 1-line block ×4, first 2 shown]
	s_mov_b32 s0, exec_lo
	s_waitcnt vmcnt(3) lgkmcnt(3)
	v_fma_f32 v3, v61, v74, 0
	s_delay_alu instid0(VALU_DEP_1) | instskip(SKIP_4) | instid1(VALU_DEP_1)
	v_fmac_f32_e32 v3, v62, v75
	ds_load_2addr_b32 v[61:62], v2 offset0:51 offset1:52
	s_waitcnt lgkmcnt(3)
	v_fmac_f32_e32 v3, v63, v76
	s_waitcnt vmcnt(2)
	v_fmac_f32_e32 v3, v64, v77
	ds_load_2addr_b32 v[63:64], v2 offset0:53 offset1:54
	s_waitcnt lgkmcnt(3)
	v_fmac_f32_e32 v3, v65, v78
	ds_load_b32 v65, v2 offset:220
	v_fmac_f32_e32 v3, v66, v79
	s_waitcnt lgkmcnt(3)
	s_delay_alu instid0(VALU_DEP_1) | instskip(SKIP_1) | instid1(VALU_DEP_1)
	v_fmac_f32_e32 v3, v67, v80
	s_waitcnt vmcnt(1)
	v_fmac_f32_e32 v3, v68, v81
	s_waitcnt lgkmcnt(2)
	s_delay_alu instid0(VALU_DEP_1) | instskip(NEXT) | instid1(VALU_DEP_1)
	v_fmac_f32_e32 v3, v69, v61
	v_fmac_f32_e32 v3, v70, v62
	s_waitcnt lgkmcnt(1)
	s_delay_alu instid0(VALU_DEP_1) | instskip(SKIP_1) | instid1(VALU_DEP_1)
	v_fmac_f32_e32 v3, v71, v63
	s_waitcnt vmcnt(0)
	v_fmac_f32_e32 v3, v72, v64
	s_waitcnt lgkmcnt(0)
	s_delay_alu instid0(VALU_DEP_1) | instskip(NEXT) | instid1(VALU_DEP_1)
	v_fmac_f32_e32 v3, v73, v65
	v_sub_f32_e32 v3, v60, v3
	scratch_store_b32 off, v3, off offset:56
	v_cmpx_lt_u32_e32 13, v0
	s_cbranch_execz .LBB91_149
; %bb.148:
	scratch_load_b32 v3, off, off offset:52
	scratch_store_b32 off, v2, off offset:52
	s_waitcnt vmcnt(0)
	ds_store_b32 v1, v3
.LBB91_149:
	s_or_b32 exec_lo, exec_lo, s0
	s_waitcnt lgkmcnt(0)
	s_waitcnt_vscnt null, 0x0
	s_barrier
	buffer_gl0_inv
	s_clause 0x3
	scratch_load_b128 v[60:63], off, off offset:52
	scratch_load_b128 v[64:67], off, off offset:68
	;; [unrolled: 1-line block ×3, first 2 shown]
	scratch_load_b96 v[80:82], off, off offset:100
	ds_load_2addr_b64 v[72:75], v2 offset0:21 offset1:22
	ds_load_2addr_b64 v[76:79], v2 offset0:23 offset1:24
	s_mov_b32 s0, exec_lo
	s_waitcnt vmcnt(3) lgkmcnt(1)
	v_fma_f32 v72, v61, v72, 0
	s_delay_alu instid0(VALU_DEP_1) | instskip(NEXT) | instid1(VALU_DEP_1)
	v_fmac_f32_e32 v72, v62, v73
	v_fmac_f32_e32 v72, v63, v74
	s_waitcnt vmcnt(2)
	s_delay_alu instid0(VALU_DEP_1) | instskip(SKIP_4) | instid1(VALU_DEP_1)
	v_fmac_f32_e32 v72, v64, v75
	ds_load_2addr_b64 v[61:64], v2 offset0:25 offset1:26
	ds_load_b64 v[2:3], v2 offset:216
	s_waitcnt lgkmcnt(2)
	v_fmac_f32_e32 v72, v65, v76
	v_fmac_f32_e32 v72, v66, v77
	s_delay_alu instid0(VALU_DEP_1) | instskip(SKIP_1) | instid1(VALU_DEP_1)
	v_fmac_f32_e32 v72, v67, v78
	s_waitcnt vmcnt(1)
	v_fmac_f32_e32 v72, v68, v79
	s_waitcnt lgkmcnt(1)
	s_delay_alu instid0(VALU_DEP_1) | instskip(NEXT) | instid1(VALU_DEP_1)
	v_fmac_f32_e32 v72, v69, v61
	v_fmac_f32_e32 v72, v70, v62
	s_delay_alu instid0(VALU_DEP_1) | instskip(SKIP_1) | instid1(VALU_DEP_1)
	v_fmac_f32_e32 v72, v71, v63
	s_waitcnt vmcnt(0)
	v_fmac_f32_e32 v72, v80, v64
	s_waitcnt lgkmcnt(0)
	s_delay_alu instid0(VALU_DEP_1) | instskip(NEXT) | instid1(VALU_DEP_1)
	v_fmac_f32_e32 v72, v81, v2
	v_fmac_f32_e32 v72, v82, v3
	s_delay_alu instid0(VALU_DEP_1)
	v_sub_f32_e32 v2, v60, v72
	scratch_store_b32 off, v2, off offset:52
	v_cmpx_lt_u32_e32 12, v0
	s_cbranch_execz .LBB91_151
; %bb.150:
	scratch_load_b32 v2, off, off offset:48
	v_mov_b32_e32 v3, 0
	scratch_store_b32 off, v3, off offset:48
	s_waitcnt vmcnt(0)
	ds_store_b32 v1, v2
.LBB91_151:
	s_or_b32 exec_lo, exec_lo, s0
	s_waitcnt lgkmcnt(0)
	s_waitcnt_vscnt null, 0x0
	s_barrier
	buffer_gl0_inv
	s_clause 0x3
	scratch_load_b128 v[60:63], off, off offset:48
	scratch_load_b128 v[64:67], off, off offset:64
	;; [unrolled: 1-line block ×4, first 2 shown]
	v_mov_b32_e32 v2, 0
	ds_load_2addr_b32 v[76:77], v2 offset0:41 offset1:42
	ds_load_2addr_b32 v[78:79], v2 offset0:43 offset1:44
	;; [unrolled: 1-line block ×4, first 2 shown]
	s_mov_b32 s0, exec_lo
	s_waitcnt vmcnt(3) lgkmcnt(3)
	v_fma_f32 v3, v61, v76, 0
	s_delay_alu instid0(VALU_DEP_1) | instskip(SKIP_4) | instid1(VALU_DEP_1)
	v_fmac_f32_e32 v3, v62, v77
	ds_load_2addr_b32 v[61:62], v2 offset0:49 offset1:50
	s_waitcnt lgkmcnt(3)
	v_fmac_f32_e32 v3, v63, v78
	s_waitcnt vmcnt(2)
	v_fmac_f32_e32 v3, v64, v79
	ds_load_2addr_b32 v[63:64], v2 offset0:51 offset1:52
	s_waitcnt lgkmcnt(3)
	v_fmac_f32_e32 v3, v65, v80
	s_delay_alu instid0(VALU_DEP_1) | instskip(SKIP_1) | instid1(VALU_DEP_1)
	v_fmac_f32_e32 v3, v66, v81
	s_waitcnt lgkmcnt(2)
	v_fmac_f32_e32 v3, v67, v82
	ds_load_2addr_b32 v[65:66], v2 offset0:53 offset1:54
	ds_load_b32 v67, v2 offset:220
	s_waitcnt vmcnt(1)
	v_fmac_f32_e32 v3, v68, v83
	s_waitcnt lgkmcnt(3)
	s_delay_alu instid0(VALU_DEP_1) | instskip(NEXT) | instid1(VALU_DEP_1)
	v_fmac_f32_e32 v3, v69, v61
	v_fmac_f32_e32 v3, v70, v62
	s_waitcnt lgkmcnt(2)
	s_delay_alu instid0(VALU_DEP_1) | instskip(SKIP_1) | instid1(VALU_DEP_1)
	v_fmac_f32_e32 v3, v71, v63
	s_waitcnt vmcnt(0)
	v_fmac_f32_e32 v3, v72, v64
	s_waitcnt lgkmcnt(1)
	s_delay_alu instid0(VALU_DEP_1) | instskip(NEXT) | instid1(VALU_DEP_1)
	v_fmac_f32_e32 v3, v73, v65
	v_fmac_f32_e32 v3, v74, v66
	s_waitcnt lgkmcnt(0)
	s_delay_alu instid0(VALU_DEP_1) | instskip(NEXT) | instid1(VALU_DEP_1)
	v_fmac_f32_e32 v3, v75, v67
	v_sub_f32_e32 v3, v60, v3
	scratch_store_b32 off, v3, off offset:48
	v_cmpx_lt_u32_e32 11, v0
	s_cbranch_execz .LBB91_153
; %bb.152:
	scratch_load_b32 v3, off, off offset:44
	scratch_store_b32 off, v2, off offset:44
	s_waitcnt vmcnt(0)
	ds_store_b32 v1, v3
.LBB91_153:
	s_or_b32 exec_lo, exec_lo, s0
	s_waitcnt lgkmcnt(0)
	s_waitcnt_vscnt null, 0x0
	s_barrier
	buffer_gl0_inv
	s_clause 0x4
	scratch_load_b128 v[60:63], off, off offset:44
	scratch_load_b128 v[64:67], off, off offset:60
	;; [unrolled: 1-line block ×4, first 2 shown]
	scratch_load_b32 v3, off, off offset:108
	ds_load_b128 v[76:79], v2 offset:160
	ds_load_b128 v[80:83], v2 offset:176
	s_mov_b32 s0, exec_lo
	s_waitcnt vmcnt(4) lgkmcnt(1)
	v_fma_f32 v76, v61, v76, 0
	s_delay_alu instid0(VALU_DEP_1) | instskip(NEXT) | instid1(VALU_DEP_1)
	v_fmac_f32_e32 v76, v62, v77
	v_fmac_f32_e32 v76, v63, v78
	s_waitcnt vmcnt(3)
	s_delay_alu instid0(VALU_DEP_1) | instskip(SKIP_3) | instid1(VALU_DEP_1)
	v_fmac_f32_e32 v76, v64, v79
	ds_load_b128 v[61:64], v2 offset:192
	s_waitcnt lgkmcnt(1)
	v_fmac_f32_e32 v76, v65, v80
	v_fmac_f32_e32 v76, v66, v81
	s_delay_alu instid0(VALU_DEP_1) | instskip(SKIP_1) | instid1(VALU_DEP_1)
	v_fmac_f32_e32 v76, v67, v82
	s_waitcnt vmcnt(2)
	v_fmac_f32_e32 v76, v68, v83
	ds_load_b128 v[65:68], v2 offset:208
	s_waitcnt lgkmcnt(1)
	v_fmac_f32_e32 v76, v69, v61
	s_delay_alu instid0(VALU_DEP_1) | instskip(NEXT) | instid1(VALU_DEP_1)
	v_fmac_f32_e32 v76, v70, v62
	v_fmac_f32_e32 v76, v71, v63
	s_waitcnt vmcnt(1)
	s_delay_alu instid0(VALU_DEP_1) | instskip(SKIP_1) | instid1(VALU_DEP_1)
	v_fmac_f32_e32 v76, v72, v64
	s_waitcnt lgkmcnt(0)
	v_fmac_f32_e32 v76, v73, v65
	s_delay_alu instid0(VALU_DEP_1) | instskip(NEXT) | instid1(VALU_DEP_1)
	v_fmac_f32_e32 v76, v74, v66
	v_fmac_f32_e32 v76, v75, v67
	s_waitcnt vmcnt(0)
	s_delay_alu instid0(VALU_DEP_1) | instskip(NEXT) | instid1(VALU_DEP_1)
	v_fmac_f32_e32 v76, v3, v68
	v_sub_f32_e32 v2, v60, v76
	scratch_store_b32 off, v2, off offset:44
	v_cmpx_lt_u32_e32 10, v0
	s_cbranch_execz .LBB91_155
; %bb.154:
	scratch_load_b32 v2, off, off offset:40
	v_mov_b32_e32 v3, 0
	scratch_store_b32 off, v3, off offset:40
	s_waitcnt vmcnt(0)
	ds_store_b32 v1, v2
.LBB91_155:
	s_or_b32 exec_lo, exec_lo, s0
	s_waitcnt lgkmcnt(0)
	s_waitcnt_vscnt null, 0x0
	s_barrier
	buffer_gl0_inv
	s_clause 0x4
	scratch_load_b128 v[60:63], off, off offset:40
	scratch_load_b128 v[64:67], off, off offset:56
	;; [unrolled: 1-line block ×4, first 2 shown]
	scratch_load_b64 v[76:77], off, off offset:104
	v_mov_b32_e32 v2, 0
	ds_load_2addr_b32 v[78:79], v2 offset0:39 offset1:40
	ds_load_2addr_b32 v[80:81], v2 offset0:41 offset1:42
	;; [unrolled: 1-line block ×4, first 2 shown]
	s_mov_b32 s0, exec_lo
	s_waitcnt vmcnt(4) lgkmcnt(3)
	v_fma_f32 v3, v61, v78, 0
	s_delay_alu instid0(VALU_DEP_1) | instskip(SKIP_4) | instid1(VALU_DEP_1)
	v_fmac_f32_e32 v3, v62, v79
	ds_load_2addr_b32 v[61:62], v2 offset0:47 offset1:48
	s_waitcnt lgkmcnt(3)
	v_fmac_f32_e32 v3, v63, v80
	s_waitcnt vmcnt(3)
	v_fmac_f32_e32 v3, v64, v81
	ds_load_2addr_b32 v[63:64], v2 offset0:49 offset1:50
	s_waitcnt lgkmcnt(3)
	v_fmac_f32_e32 v3, v65, v82
	s_delay_alu instid0(VALU_DEP_1) | instskip(SKIP_1) | instid1(VALU_DEP_1)
	v_fmac_f32_e32 v3, v66, v83
	s_waitcnt lgkmcnt(2)
	v_fmac_f32_e32 v3, v67, v84
	s_waitcnt vmcnt(2)
	s_delay_alu instid0(VALU_DEP_1)
	v_fmac_f32_e32 v3, v68, v85
	ds_load_2addr_b32 v[65:66], v2 offset0:51 offset1:52
	ds_load_2addr_b32 v[67:68], v2 offset0:53 offset1:54
	s_waitcnt lgkmcnt(3)
	v_fmac_f32_e32 v3, v69, v61
	ds_load_b32 v61, v2 offset:220
	v_fmac_f32_e32 v3, v70, v62
	s_waitcnt lgkmcnt(3)
	s_delay_alu instid0(VALU_DEP_1) | instskip(SKIP_1) | instid1(VALU_DEP_1)
	v_fmac_f32_e32 v3, v71, v63
	s_waitcnt vmcnt(1)
	v_fmac_f32_e32 v3, v72, v64
	s_waitcnt lgkmcnt(2)
	s_delay_alu instid0(VALU_DEP_1) | instskip(NEXT) | instid1(VALU_DEP_1)
	v_fmac_f32_e32 v3, v73, v65
	v_fmac_f32_e32 v3, v74, v66
	s_waitcnt lgkmcnt(1)
	s_delay_alu instid0(VALU_DEP_1) | instskip(SKIP_1) | instid1(VALU_DEP_1)
	v_fmac_f32_e32 v3, v75, v67
	s_waitcnt vmcnt(0)
	v_fmac_f32_e32 v3, v76, v68
	s_waitcnt lgkmcnt(0)
	s_delay_alu instid0(VALU_DEP_1) | instskip(NEXT) | instid1(VALU_DEP_1)
	v_fmac_f32_e32 v3, v77, v61
	v_sub_f32_e32 v3, v60, v3
	scratch_store_b32 off, v3, off offset:40
	v_cmpx_lt_u32_e32 9, v0
	s_cbranch_execz .LBB91_157
; %bb.156:
	scratch_load_b32 v3, off, off offset:36
	scratch_store_b32 off, v2, off offset:36
	s_waitcnt vmcnt(0)
	ds_store_b32 v1, v3
.LBB91_157:
	s_or_b32 exec_lo, exec_lo, s0
	s_waitcnt lgkmcnt(0)
	s_waitcnt_vscnt null, 0x0
	s_barrier
	buffer_gl0_inv
	s_clause 0x4
	scratch_load_b128 v[60:63], off, off offset:36
	scratch_load_b128 v[64:67], off, off offset:52
	;; [unrolled: 1-line block ×4, first 2 shown]
	scratch_load_b96 v[84:86], off, off offset:100
	ds_load_2addr_b64 v[76:79], v2 offset0:19 offset1:20
	ds_load_2addr_b64 v[80:83], v2 offset0:21 offset1:22
	s_mov_b32 s0, exec_lo
	s_waitcnt vmcnt(4) lgkmcnt(1)
	v_fma_f32 v76, v61, v76, 0
	s_delay_alu instid0(VALU_DEP_1) | instskip(NEXT) | instid1(VALU_DEP_1)
	v_fmac_f32_e32 v76, v62, v77
	v_fmac_f32_e32 v76, v63, v78
	s_waitcnt vmcnt(3)
	s_delay_alu instid0(VALU_DEP_1) | instskip(SKIP_3) | instid1(VALU_DEP_1)
	v_fmac_f32_e32 v76, v64, v79
	ds_load_2addr_b64 v[61:64], v2 offset0:23 offset1:24
	s_waitcnt lgkmcnt(1)
	v_fmac_f32_e32 v76, v65, v80
	v_fmac_f32_e32 v76, v66, v81
	s_delay_alu instid0(VALU_DEP_1) | instskip(SKIP_1) | instid1(VALU_DEP_1)
	v_fmac_f32_e32 v76, v67, v82
	s_waitcnt vmcnt(2)
	v_fmac_f32_e32 v76, v68, v83
	ds_load_2addr_b64 v[65:68], v2 offset0:25 offset1:26
	ds_load_b64 v[2:3], v2 offset:216
	s_waitcnt lgkmcnt(2)
	v_fmac_f32_e32 v76, v69, v61
	s_delay_alu instid0(VALU_DEP_1) | instskip(NEXT) | instid1(VALU_DEP_1)
	v_fmac_f32_e32 v76, v70, v62
	v_fmac_f32_e32 v76, v71, v63
	s_waitcnt vmcnt(1)
	s_delay_alu instid0(VALU_DEP_1) | instskip(SKIP_1) | instid1(VALU_DEP_1)
	v_fmac_f32_e32 v76, v72, v64
	s_waitcnt lgkmcnt(1)
	v_fmac_f32_e32 v76, v73, v65
	s_delay_alu instid0(VALU_DEP_1) | instskip(NEXT) | instid1(VALU_DEP_1)
	v_fmac_f32_e32 v76, v74, v66
	v_fmac_f32_e32 v76, v75, v67
	s_waitcnt vmcnt(0)
	s_delay_alu instid0(VALU_DEP_1) | instskip(SKIP_1) | instid1(VALU_DEP_1)
	v_fmac_f32_e32 v76, v84, v68
	s_waitcnt lgkmcnt(0)
	v_fmac_f32_e32 v76, v85, v2
	s_delay_alu instid0(VALU_DEP_1) | instskip(NEXT) | instid1(VALU_DEP_1)
	v_fmac_f32_e32 v76, v86, v3
	v_sub_f32_e32 v2, v60, v76
	scratch_store_b32 off, v2, off offset:36
	v_cmpx_lt_u32_e32 8, v0
	s_cbranch_execz .LBB91_159
; %bb.158:
	scratch_load_b32 v2, off, off offset:32
	v_mov_b32_e32 v3, 0
	scratch_store_b32 off, v3, off offset:32
	s_waitcnt vmcnt(0)
	ds_store_b32 v1, v2
.LBB91_159:
	s_or_b32 exec_lo, exec_lo, s0
	s_waitcnt lgkmcnt(0)
	s_waitcnt_vscnt null, 0x0
	s_barrier
	buffer_gl0_inv
	s_clause 0x4
	scratch_load_b128 v[60:63], off, off offset:32
	scratch_load_b128 v[64:67], off, off offset:48
	;; [unrolled: 1-line block ×5, first 2 shown]
	v_mov_b32_e32 v2, 0
	ds_load_2addr_b32 v[80:81], v2 offset0:37 offset1:38
	ds_load_2addr_b32 v[82:83], v2 offset0:39 offset1:40
	ds_load_2addr_b32 v[84:85], v2 offset0:41 offset1:42
	ds_load_2addr_b32 v[86:87], v2 offset0:43 offset1:44
	s_mov_b32 s0, exec_lo
	s_waitcnt vmcnt(4) lgkmcnt(3)
	v_fma_f32 v3, v61, v80, 0
	s_delay_alu instid0(VALU_DEP_1) | instskip(SKIP_4) | instid1(VALU_DEP_1)
	v_fmac_f32_e32 v3, v62, v81
	ds_load_2addr_b32 v[61:62], v2 offset0:45 offset1:46
	s_waitcnt lgkmcnt(3)
	v_fmac_f32_e32 v3, v63, v82
	s_waitcnt vmcnt(3)
	v_fmac_f32_e32 v3, v64, v83
	ds_load_2addr_b32 v[63:64], v2 offset0:47 offset1:48
	s_waitcnt lgkmcnt(3)
	v_fmac_f32_e32 v3, v65, v84
	s_delay_alu instid0(VALU_DEP_1) | instskip(SKIP_1) | instid1(VALU_DEP_1)
	v_fmac_f32_e32 v3, v66, v85
	s_waitcnt lgkmcnt(2)
	v_fmac_f32_e32 v3, v67, v86
	s_waitcnt vmcnt(2)
	s_delay_alu instid0(VALU_DEP_1) | instskip(SKIP_4) | instid1(VALU_DEP_1)
	v_fmac_f32_e32 v3, v68, v87
	ds_load_2addr_b32 v[65:66], v2 offset0:49 offset1:50
	ds_load_2addr_b32 v[67:68], v2 offset0:51 offset1:52
	s_waitcnt lgkmcnt(3)
	v_fmac_f32_e32 v3, v69, v61
	v_fmac_f32_e32 v3, v70, v62
	ds_load_2addr_b32 v[61:62], v2 offset0:53 offset1:54
	s_waitcnt lgkmcnt(3)
	v_fmac_f32_e32 v3, v71, v63
	ds_load_b32 v63, v2 offset:220
	s_waitcnt vmcnt(1)
	v_fmac_f32_e32 v3, v72, v64
	s_waitcnt lgkmcnt(3)
	s_delay_alu instid0(VALU_DEP_1) | instskip(NEXT) | instid1(VALU_DEP_1)
	v_fmac_f32_e32 v3, v73, v65
	v_fmac_f32_e32 v3, v74, v66
	s_waitcnt lgkmcnt(2)
	s_delay_alu instid0(VALU_DEP_1) | instskip(SKIP_1) | instid1(VALU_DEP_1)
	v_fmac_f32_e32 v3, v75, v67
	s_waitcnt vmcnt(0)
	v_fmac_f32_e32 v3, v76, v68
	s_waitcnt lgkmcnt(1)
	s_delay_alu instid0(VALU_DEP_1) | instskip(NEXT) | instid1(VALU_DEP_1)
	v_fmac_f32_e32 v3, v77, v61
	v_fmac_f32_e32 v3, v78, v62
	s_waitcnt lgkmcnt(0)
	s_delay_alu instid0(VALU_DEP_1) | instskip(NEXT) | instid1(VALU_DEP_1)
	v_fmac_f32_e32 v3, v79, v63
	v_sub_f32_e32 v3, v60, v3
	scratch_store_b32 off, v3, off offset:32
	v_cmpx_lt_u32_e32 7, v0
	s_cbranch_execz .LBB91_161
; %bb.160:
	scratch_load_b32 v3, off, off offset:28
	scratch_store_b32 off, v2, off offset:28
	s_waitcnt vmcnt(0)
	ds_store_b32 v1, v3
.LBB91_161:
	s_or_b32 exec_lo, exec_lo, s0
	s_waitcnt lgkmcnt(0)
	s_waitcnt_vscnt null, 0x0
	s_barrier
	buffer_gl0_inv
	s_clause 0x5
	scratch_load_b128 v[60:63], off, off offset:28
	scratch_load_b128 v[64:67], off, off offset:44
	;; [unrolled: 1-line block ×5, first 2 shown]
	scratch_load_b32 v3, off, off offset:108
	ds_load_b128 v[80:83], v2 offset:144
	ds_load_b128 v[84:87], v2 offset:160
	s_mov_b32 s0, exec_lo
	s_waitcnt vmcnt(5) lgkmcnt(1)
	v_fma_f32 v80, v61, v80, 0
	s_delay_alu instid0(VALU_DEP_1) | instskip(NEXT) | instid1(VALU_DEP_1)
	v_fmac_f32_e32 v80, v62, v81
	v_fmac_f32_e32 v80, v63, v82
	s_waitcnt vmcnt(4)
	s_delay_alu instid0(VALU_DEP_1) | instskip(SKIP_3) | instid1(VALU_DEP_1)
	v_fmac_f32_e32 v80, v64, v83
	ds_load_b128 v[61:64], v2 offset:176
	s_waitcnt lgkmcnt(1)
	v_fmac_f32_e32 v80, v65, v84
	v_fmac_f32_e32 v80, v66, v85
	s_delay_alu instid0(VALU_DEP_1) | instskip(SKIP_1) | instid1(VALU_DEP_1)
	v_fmac_f32_e32 v80, v67, v86
	s_waitcnt vmcnt(3)
	v_fmac_f32_e32 v80, v68, v87
	ds_load_b128 v[65:68], v2 offset:192
	s_waitcnt lgkmcnt(1)
	v_fmac_f32_e32 v80, v69, v61
	s_delay_alu instid0(VALU_DEP_1) | instskip(NEXT) | instid1(VALU_DEP_1)
	v_fmac_f32_e32 v80, v70, v62
	v_fmac_f32_e32 v80, v71, v63
	s_waitcnt vmcnt(2)
	s_delay_alu instid0(VALU_DEP_1) | instskip(SKIP_3) | instid1(VALU_DEP_1)
	v_fmac_f32_e32 v80, v72, v64
	ds_load_b128 v[61:64], v2 offset:208
	s_waitcnt lgkmcnt(1)
	v_fmac_f32_e32 v80, v73, v65
	v_fmac_f32_e32 v80, v74, v66
	s_delay_alu instid0(VALU_DEP_1) | instskip(SKIP_1) | instid1(VALU_DEP_1)
	v_fmac_f32_e32 v80, v75, v67
	s_waitcnt vmcnt(1)
	v_fmac_f32_e32 v80, v76, v68
	s_waitcnt lgkmcnt(0)
	s_delay_alu instid0(VALU_DEP_1) | instskip(NEXT) | instid1(VALU_DEP_1)
	v_fmac_f32_e32 v80, v77, v61
	v_fmac_f32_e32 v80, v78, v62
	s_delay_alu instid0(VALU_DEP_1) | instskip(SKIP_1) | instid1(VALU_DEP_1)
	v_fmac_f32_e32 v80, v79, v63
	s_waitcnt vmcnt(0)
	v_fmac_f32_e32 v80, v3, v64
	s_delay_alu instid0(VALU_DEP_1)
	v_sub_f32_e32 v2, v60, v80
	scratch_store_b32 off, v2, off offset:28
	v_cmpx_lt_u32_e32 6, v0
	s_cbranch_execz .LBB91_163
; %bb.162:
	scratch_load_b32 v2, off, off offset:24
	v_mov_b32_e32 v3, 0
	scratch_store_b32 off, v3, off offset:24
	s_waitcnt vmcnt(0)
	ds_store_b32 v1, v2
.LBB91_163:
	s_or_b32 exec_lo, exec_lo, s0
	s_waitcnt lgkmcnt(0)
	s_waitcnt_vscnt null, 0x0
	s_barrier
	buffer_gl0_inv
	s_clause 0x5
	scratch_load_b128 v[60:63], off, off offset:24
	scratch_load_b128 v[64:67], off, off offset:40
	;; [unrolled: 1-line block ×5, first 2 shown]
	scratch_load_b64 v[80:81], off, off offset:104
	v_mov_b32_e32 v2, 0
	ds_load_2addr_b32 v[82:83], v2 offset0:35 offset1:36
	ds_load_2addr_b32 v[84:85], v2 offset0:37 offset1:38
	;; [unrolled: 1-line block ×4, first 2 shown]
	s_mov_b32 s0, exec_lo
	s_waitcnt vmcnt(5) lgkmcnt(3)
	v_fma_f32 v3, v61, v82, 0
	s_delay_alu instid0(VALU_DEP_1) | instskip(SKIP_4) | instid1(VALU_DEP_1)
	v_fmac_f32_e32 v3, v62, v83
	ds_load_2addr_b32 v[61:62], v2 offset0:43 offset1:44
	s_waitcnt lgkmcnt(3)
	v_fmac_f32_e32 v3, v63, v84
	s_waitcnt vmcnt(4)
	v_fmac_f32_e32 v3, v64, v85
	ds_load_2addr_b32 v[63:64], v2 offset0:45 offset1:46
	s_waitcnt lgkmcnt(3)
	v_fmac_f32_e32 v3, v65, v86
	s_delay_alu instid0(VALU_DEP_1) | instskip(SKIP_1) | instid1(VALU_DEP_1)
	v_fmac_f32_e32 v3, v66, v87
	s_waitcnt lgkmcnt(2)
	v_fmac_f32_e32 v3, v67, v88
	s_waitcnt vmcnt(3)
	s_delay_alu instid0(VALU_DEP_1) | instskip(SKIP_4) | instid1(VALU_DEP_1)
	v_fmac_f32_e32 v3, v68, v89
	ds_load_2addr_b32 v[65:66], v2 offset0:47 offset1:48
	ds_load_2addr_b32 v[67:68], v2 offset0:49 offset1:50
	s_waitcnt lgkmcnt(3)
	v_fmac_f32_e32 v3, v69, v61
	v_fmac_f32_e32 v3, v70, v62
	ds_load_2addr_b32 v[61:62], v2 offset0:51 offset1:52
	s_waitcnt lgkmcnt(3)
	v_fmac_f32_e32 v3, v71, v63
	s_waitcnt vmcnt(2)
	s_delay_alu instid0(VALU_DEP_1)
	v_fmac_f32_e32 v3, v72, v64
	ds_load_2addr_b32 v[63:64], v2 offset0:53 offset1:54
	s_waitcnt lgkmcnt(3)
	v_fmac_f32_e32 v3, v73, v65
	ds_load_b32 v65, v2 offset:220
	v_fmac_f32_e32 v3, v74, v66
	s_waitcnt lgkmcnt(3)
	s_delay_alu instid0(VALU_DEP_1) | instskip(SKIP_1) | instid1(VALU_DEP_1)
	v_fmac_f32_e32 v3, v75, v67
	s_waitcnt vmcnt(1)
	v_fmac_f32_e32 v3, v76, v68
	s_waitcnt lgkmcnt(2)
	s_delay_alu instid0(VALU_DEP_1) | instskip(NEXT) | instid1(VALU_DEP_1)
	v_fmac_f32_e32 v3, v77, v61
	v_fmac_f32_e32 v3, v78, v62
	s_waitcnt lgkmcnt(1)
	s_delay_alu instid0(VALU_DEP_1) | instskip(SKIP_1) | instid1(VALU_DEP_1)
	v_fmac_f32_e32 v3, v79, v63
	s_waitcnt vmcnt(0)
	v_fmac_f32_e32 v3, v80, v64
	s_waitcnt lgkmcnt(0)
	s_delay_alu instid0(VALU_DEP_1) | instskip(NEXT) | instid1(VALU_DEP_1)
	v_fmac_f32_e32 v3, v81, v65
	v_sub_f32_e32 v3, v60, v3
	scratch_store_b32 off, v3, off offset:24
	v_cmpx_lt_u32_e32 5, v0
	s_cbranch_execz .LBB91_165
; %bb.164:
	scratch_load_b32 v3, off, off offset:20
	scratch_store_b32 off, v2, off offset:20
	s_waitcnt vmcnt(0)
	ds_store_b32 v1, v3
.LBB91_165:
	s_or_b32 exec_lo, exec_lo, s0
	s_waitcnt lgkmcnt(0)
	s_waitcnt_vscnt null, 0x0
	s_barrier
	buffer_gl0_inv
	s_clause 0x5
	scratch_load_b128 v[60:63], off, off offset:20
	scratch_load_b128 v[64:67], off, off offset:36
	;; [unrolled: 1-line block ×5, first 2 shown]
	scratch_load_b96 v[88:90], off, off offset:100
	ds_load_2addr_b64 v[80:83], v2 offset0:17 offset1:18
	ds_load_2addr_b64 v[84:87], v2 offset0:19 offset1:20
	s_mov_b32 s0, exec_lo
	s_waitcnt vmcnt(5) lgkmcnt(1)
	v_fma_f32 v80, v61, v80, 0
	s_delay_alu instid0(VALU_DEP_1) | instskip(NEXT) | instid1(VALU_DEP_1)
	v_fmac_f32_e32 v80, v62, v81
	v_fmac_f32_e32 v80, v63, v82
	s_waitcnt vmcnt(4)
	s_delay_alu instid0(VALU_DEP_1) | instskip(SKIP_3) | instid1(VALU_DEP_1)
	v_fmac_f32_e32 v80, v64, v83
	ds_load_2addr_b64 v[61:64], v2 offset0:21 offset1:22
	s_waitcnt lgkmcnt(1)
	v_fmac_f32_e32 v80, v65, v84
	v_fmac_f32_e32 v80, v66, v85
	s_delay_alu instid0(VALU_DEP_1) | instskip(SKIP_1) | instid1(VALU_DEP_1)
	v_fmac_f32_e32 v80, v67, v86
	s_waitcnt vmcnt(3)
	v_fmac_f32_e32 v80, v68, v87
	ds_load_2addr_b64 v[65:68], v2 offset0:23 offset1:24
	s_waitcnt lgkmcnt(1)
	v_fmac_f32_e32 v80, v69, v61
	s_delay_alu instid0(VALU_DEP_1) | instskip(NEXT) | instid1(VALU_DEP_1)
	v_fmac_f32_e32 v80, v70, v62
	v_fmac_f32_e32 v80, v71, v63
	s_waitcnt vmcnt(2)
	s_delay_alu instid0(VALU_DEP_1) | instskip(SKIP_4) | instid1(VALU_DEP_1)
	v_fmac_f32_e32 v80, v72, v64
	ds_load_2addr_b64 v[61:64], v2 offset0:25 offset1:26
	ds_load_b64 v[2:3], v2 offset:216
	s_waitcnt lgkmcnt(2)
	v_fmac_f32_e32 v80, v73, v65
	v_fmac_f32_e32 v80, v74, v66
	s_delay_alu instid0(VALU_DEP_1) | instskip(SKIP_1) | instid1(VALU_DEP_1)
	v_fmac_f32_e32 v80, v75, v67
	s_waitcnt vmcnt(1)
	v_fmac_f32_e32 v80, v76, v68
	s_waitcnt lgkmcnt(1)
	s_delay_alu instid0(VALU_DEP_1) | instskip(NEXT) | instid1(VALU_DEP_1)
	v_fmac_f32_e32 v80, v77, v61
	v_fmac_f32_e32 v80, v78, v62
	s_delay_alu instid0(VALU_DEP_1) | instskip(SKIP_1) | instid1(VALU_DEP_1)
	v_fmac_f32_e32 v80, v79, v63
	s_waitcnt vmcnt(0)
	v_fmac_f32_e32 v80, v88, v64
	s_waitcnt lgkmcnt(0)
	s_delay_alu instid0(VALU_DEP_1) | instskip(NEXT) | instid1(VALU_DEP_1)
	v_fmac_f32_e32 v80, v89, v2
	v_fmac_f32_e32 v80, v90, v3
	s_delay_alu instid0(VALU_DEP_1)
	v_sub_f32_e32 v2, v60, v80
	scratch_store_b32 off, v2, off offset:20
	v_cmpx_lt_u32_e32 4, v0
	s_cbranch_execz .LBB91_167
; %bb.166:
	scratch_load_b32 v2, off, off offset:16
	v_mov_b32_e32 v3, 0
	scratch_store_b32 off, v3, off offset:16
	s_waitcnt vmcnt(0)
	ds_store_b32 v1, v2
.LBB91_167:
	s_or_b32 exec_lo, exec_lo, s0
	s_waitcnt lgkmcnt(0)
	s_waitcnt_vscnt null, 0x0
	s_barrier
	buffer_gl0_inv
	s_clause 0x5
	scratch_load_b128 v[60:63], off, off offset:16
	scratch_load_b128 v[64:67], off, off offset:32
	;; [unrolled: 1-line block ×6, first 2 shown]
	v_mov_b32_e32 v2, 0
	ds_load_2addr_b32 v[84:85], v2 offset0:33 offset1:34
	ds_load_2addr_b32 v[86:87], v2 offset0:35 offset1:36
	;; [unrolled: 1-line block ×4, first 2 shown]
	s_mov_b32 s0, exec_lo
	s_waitcnt vmcnt(5) lgkmcnt(3)
	v_fma_f32 v3, v61, v84, 0
	s_delay_alu instid0(VALU_DEP_1) | instskip(SKIP_4) | instid1(VALU_DEP_1)
	v_fmac_f32_e32 v3, v62, v85
	ds_load_2addr_b32 v[61:62], v2 offset0:41 offset1:42
	s_waitcnt lgkmcnt(3)
	v_fmac_f32_e32 v3, v63, v86
	s_waitcnt vmcnt(4)
	v_fmac_f32_e32 v3, v64, v87
	ds_load_2addr_b32 v[63:64], v2 offset0:43 offset1:44
	s_waitcnt lgkmcnt(3)
	v_fmac_f32_e32 v3, v65, v88
	s_delay_alu instid0(VALU_DEP_1) | instskip(SKIP_1) | instid1(VALU_DEP_1)
	v_fmac_f32_e32 v3, v66, v89
	s_waitcnt lgkmcnt(2)
	v_fmac_f32_e32 v3, v67, v90
	s_waitcnt vmcnt(3)
	s_delay_alu instid0(VALU_DEP_1) | instskip(SKIP_4) | instid1(VALU_DEP_1)
	v_fmac_f32_e32 v3, v68, v91
	ds_load_2addr_b32 v[65:66], v2 offset0:45 offset1:46
	ds_load_2addr_b32 v[67:68], v2 offset0:47 offset1:48
	s_waitcnt lgkmcnt(3)
	v_fmac_f32_e32 v3, v69, v61
	v_fmac_f32_e32 v3, v70, v62
	ds_load_2addr_b32 v[61:62], v2 offset0:49 offset1:50
	s_waitcnt lgkmcnt(3)
	v_fmac_f32_e32 v3, v71, v63
	s_waitcnt vmcnt(2)
	s_delay_alu instid0(VALU_DEP_1) | instskip(SKIP_3) | instid1(VALU_DEP_1)
	v_fmac_f32_e32 v3, v72, v64
	ds_load_2addr_b32 v[63:64], v2 offset0:51 offset1:52
	s_waitcnt lgkmcnt(3)
	v_fmac_f32_e32 v3, v73, v65
	v_fmac_f32_e32 v3, v74, v66
	s_waitcnt lgkmcnt(2)
	s_delay_alu instid0(VALU_DEP_1)
	v_fmac_f32_e32 v3, v75, v67
	ds_load_2addr_b32 v[65:66], v2 offset0:53 offset1:54
	ds_load_b32 v67, v2 offset:220
	s_waitcnt vmcnt(1)
	v_fmac_f32_e32 v3, v76, v68
	s_waitcnt lgkmcnt(3)
	s_delay_alu instid0(VALU_DEP_1) | instskip(NEXT) | instid1(VALU_DEP_1)
	v_fmac_f32_e32 v3, v77, v61
	v_fmac_f32_e32 v3, v78, v62
	s_waitcnt lgkmcnt(2)
	s_delay_alu instid0(VALU_DEP_1) | instskip(SKIP_1) | instid1(VALU_DEP_1)
	v_fmac_f32_e32 v3, v79, v63
	s_waitcnt vmcnt(0)
	v_fmac_f32_e32 v3, v80, v64
	s_waitcnt lgkmcnt(1)
	s_delay_alu instid0(VALU_DEP_1) | instskip(NEXT) | instid1(VALU_DEP_1)
	v_fmac_f32_e32 v3, v81, v65
	v_fmac_f32_e32 v3, v82, v66
	s_waitcnt lgkmcnt(0)
	s_delay_alu instid0(VALU_DEP_1) | instskip(NEXT) | instid1(VALU_DEP_1)
	v_fmac_f32_e32 v3, v83, v67
	v_sub_f32_e32 v3, v60, v3
	scratch_store_b32 off, v3, off offset:16
	v_cmpx_lt_u32_e32 3, v0
	s_cbranch_execz .LBB91_169
; %bb.168:
	scratch_load_b32 v3, off, off offset:12
	scratch_store_b32 off, v2, off offset:12
	s_waitcnt vmcnt(0)
	ds_store_b32 v1, v3
.LBB91_169:
	s_or_b32 exec_lo, exec_lo, s0
	s_waitcnt lgkmcnt(0)
	s_waitcnt_vscnt null, 0x0
	s_barrier
	buffer_gl0_inv
	s_clause 0x6
	scratch_load_b128 v[60:63], off, off offset:12
	scratch_load_b128 v[64:67], off, off offset:28
	;; [unrolled: 1-line block ×6, first 2 shown]
	scratch_load_b32 v3, off, off offset:108
	ds_load_b128 v[84:87], v2 offset:128
	ds_load_b128 v[88:91], v2 offset:144
	s_mov_b32 s0, exec_lo
	s_waitcnt vmcnt(6) lgkmcnt(1)
	v_fma_f32 v84, v61, v84, 0
	s_delay_alu instid0(VALU_DEP_1) | instskip(NEXT) | instid1(VALU_DEP_1)
	v_fmac_f32_e32 v84, v62, v85
	v_fmac_f32_e32 v84, v63, v86
	s_waitcnt vmcnt(5)
	s_delay_alu instid0(VALU_DEP_1) | instskip(SKIP_3) | instid1(VALU_DEP_1)
	v_fmac_f32_e32 v84, v64, v87
	ds_load_b128 v[61:64], v2 offset:160
	s_waitcnt lgkmcnt(1)
	v_fmac_f32_e32 v84, v65, v88
	v_fmac_f32_e32 v84, v66, v89
	s_delay_alu instid0(VALU_DEP_1) | instskip(SKIP_1) | instid1(VALU_DEP_1)
	v_fmac_f32_e32 v84, v67, v90
	s_waitcnt vmcnt(4)
	v_fmac_f32_e32 v84, v68, v91
	ds_load_b128 v[65:68], v2 offset:176
	s_waitcnt lgkmcnt(1)
	v_fmac_f32_e32 v84, v69, v61
	s_delay_alu instid0(VALU_DEP_1) | instskip(NEXT) | instid1(VALU_DEP_1)
	v_fmac_f32_e32 v84, v70, v62
	v_fmac_f32_e32 v84, v71, v63
	s_waitcnt vmcnt(3)
	s_delay_alu instid0(VALU_DEP_1) | instskip(SKIP_3) | instid1(VALU_DEP_1)
	v_fmac_f32_e32 v84, v72, v64
	ds_load_b128 v[61:64], v2 offset:192
	s_waitcnt lgkmcnt(1)
	v_fmac_f32_e32 v84, v73, v65
	v_fmac_f32_e32 v84, v74, v66
	s_delay_alu instid0(VALU_DEP_1) | instskip(SKIP_1) | instid1(VALU_DEP_1)
	v_fmac_f32_e32 v84, v75, v67
	s_waitcnt vmcnt(2)
	v_fmac_f32_e32 v84, v76, v68
	ds_load_b128 v[65:68], v2 offset:208
	s_waitcnt lgkmcnt(1)
	v_fmac_f32_e32 v84, v77, v61
	s_delay_alu instid0(VALU_DEP_1) | instskip(NEXT) | instid1(VALU_DEP_1)
	v_fmac_f32_e32 v84, v78, v62
	v_fmac_f32_e32 v84, v79, v63
	s_waitcnt vmcnt(1)
	s_delay_alu instid0(VALU_DEP_1) | instskip(SKIP_1) | instid1(VALU_DEP_1)
	v_fmac_f32_e32 v84, v80, v64
	s_waitcnt lgkmcnt(0)
	v_fmac_f32_e32 v84, v81, v65
	s_delay_alu instid0(VALU_DEP_1) | instskip(NEXT) | instid1(VALU_DEP_1)
	v_fmac_f32_e32 v84, v82, v66
	v_fmac_f32_e32 v84, v83, v67
	s_waitcnt vmcnt(0)
	s_delay_alu instid0(VALU_DEP_1) | instskip(NEXT) | instid1(VALU_DEP_1)
	v_fmac_f32_e32 v84, v3, v68
	v_sub_f32_e32 v2, v60, v84
	scratch_store_b32 off, v2, off offset:12
	v_cmpx_lt_u32_e32 2, v0
	s_cbranch_execz .LBB91_171
; %bb.170:
	scratch_load_b32 v2, off, off offset:8
	v_mov_b32_e32 v3, 0
	scratch_store_b32 off, v3, off offset:8
	s_waitcnt vmcnt(0)
	ds_store_b32 v1, v2
.LBB91_171:
	s_or_b32 exec_lo, exec_lo, s0
	s_waitcnt lgkmcnt(0)
	s_waitcnt_vscnt null, 0x0
	s_barrier
	buffer_gl0_inv
	s_clause 0x6
	scratch_load_b128 v[60:63], off, off offset:8
	scratch_load_b128 v[64:67], off, off offset:24
	;; [unrolled: 1-line block ×6, first 2 shown]
	scratch_load_b64 v[84:85], off, off offset:104
	v_mov_b32_e32 v2, 0
	ds_load_2addr_b32 v[86:87], v2 offset0:31 offset1:32
	ds_load_2addr_b32 v[88:89], v2 offset0:33 offset1:34
	;; [unrolled: 1-line block ×4, first 2 shown]
	s_mov_b32 s0, exec_lo
	s_waitcnt vmcnt(6) lgkmcnt(3)
	v_fma_f32 v3, v61, v86, 0
	s_delay_alu instid0(VALU_DEP_1) | instskip(SKIP_4) | instid1(VALU_DEP_1)
	v_fmac_f32_e32 v3, v62, v87
	ds_load_2addr_b32 v[61:62], v2 offset0:39 offset1:40
	s_waitcnt lgkmcnt(3)
	v_fmac_f32_e32 v3, v63, v88
	s_waitcnt vmcnt(5)
	v_fmac_f32_e32 v3, v64, v89
	ds_load_2addr_b32 v[63:64], v2 offset0:41 offset1:42
	s_waitcnt lgkmcnt(3)
	v_fmac_f32_e32 v3, v65, v90
	s_delay_alu instid0(VALU_DEP_1) | instskip(SKIP_1) | instid1(VALU_DEP_1)
	v_fmac_f32_e32 v3, v66, v91
	s_waitcnt lgkmcnt(2)
	v_fmac_f32_e32 v3, v67, v92
	s_waitcnt vmcnt(4)
	s_delay_alu instid0(VALU_DEP_1) | instskip(SKIP_4) | instid1(VALU_DEP_1)
	v_fmac_f32_e32 v3, v68, v93
	ds_load_2addr_b32 v[65:66], v2 offset0:43 offset1:44
	ds_load_2addr_b32 v[67:68], v2 offset0:45 offset1:46
	s_waitcnt lgkmcnt(3)
	v_fmac_f32_e32 v3, v69, v61
	v_fmac_f32_e32 v3, v70, v62
	ds_load_2addr_b32 v[61:62], v2 offset0:47 offset1:48
	s_waitcnt lgkmcnt(3)
	v_fmac_f32_e32 v3, v71, v63
	s_waitcnt vmcnt(3)
	s_delay_alu instid0(VALU_DEP_1) | instskip(SKIP_3) | instid1(VALU_DEP_1)
	v_fmac_f32_e32 v3, v72, v64
	ds_load_2addr_b32 v[63:64], v2 offset0:49 offset1:50
	s_waitcnt lgkmcnt(3)
	v_fmac_f32_e32 v3, v73, v65
	v_fmac_f32_e32 v3, v74, v66
	s_waitcnt lgkmcnt(2)
	s_delay_alu instid0(VALU_DEP_1) | instskip(SKIP_1) | instid1(VALU_DEP_1)
	v_fmac_f32_e32 v3, v75, v67
	s_waitcnt vmcnt(2)
	v_fmac_f32_e32 v3, v76, v68
	ds_load_2addr_b32 v[65:66], v2 offset0:51 offset1:52
	ds_load_2addr_b32 v[67:68], v2 offset0:53 offset1:54
	s_waitcnt lgkmcnt(3)
	v_fmac_f32_e32 v3, v77, v61
	ds_load_b32 v61, v2 offset:220
	v_fmac_f32_e32 v3, v78, v62
	s_waitcnt lgkmcnt(3)
	s_delay_alu instid0(VALU_DEP_1) | instskip(SKIP_1) | instid1(VALU_DEP_1)
	v_fmac_f32_e32 v3, v79, v63
	s_waitcnt vmcnt(1)
	v_fmac_f32_e32 v3, v80, v64
	s_waitcnt lgkmcnt(2)
	s_delay_alu instid0(VALU_DEP_1) | instskip(NEXT) | instid1(VALU_DEP_1)
	v_fmac_f32_e32 v3, v81, v65
	v_fmac_f32_e32 v3, v82, v66
	s_waitcnt lgkmcnt(1)
	s_delay_alu instid0(VALU_DEP_1) | instskip(SKIP_1) | instid1(VALU_DEP_1)
	v_fmac_f32_e32 v3, v83, v67
	s_waitcnt vmcnt(0)
	v_fmac_f32_e32 v3, v84, v68
	s_waitcnt lgkmcnt(0)
	s_delay_alu instid0(VALU_DEP_1) | instskip(NEXT) | instid1(VALU_DEP_1)
	v_fmac_f32_e32 v3, v85, v61
	v_sub_f32_e32 v3, v60, v3
	scratch_store_b32 off, v3, off offset:8
	v_cmpx_lt_u32_e32 1, v0
	s_cbranch_execz .LBB91_173
; %bb.172:
	scratch_load_b32 v3, off, off offset:4
	scratch_store_b32 off, v2, off offset:4
	s_waitcnt vmcnt(0)
	ds_store_b32 v1, v3
.LBB91_173:
	s_or_b32 exec_lo, exec_lo, s0
	s_waitcnt lgkmcnt(0)
	s_waitcnt_vscnt null, 0x0
	s_barrier
	buffer_gl0_inv
	s_clause 0x6
	scratch_load_b128 v[60:63], off, off offset:4
	scratch_load_b128 v[64:67], off, off offset:20
	;; [unrolled: 1-line block ×6, first 2 shown]
	scratch_load_b96 v[92:94], off, off offset:100
	ds_load_2addr_b64 v[84:87], v2 offset0:15 offset1:16
	ds_load_2addr_b64 v[88:91], v2 offset0:17 offset1:18
	s_mov_b32 s0, exec_lo
	s_waitcnt vmcnt(6) lgkmcnt(1)
	v_fma_f32 v84, v61, v84, 0
	s_delay_alu instid0(VALU_DEP_1) | instskip(NEXT) | instid1(VALU_DEP_1)
	v_fmac_f32_e32 v84, v62, v85
	v_fmac_f32_e32 v84, v63, v86
	s_waitcnt vmcnt(5)
	s_delay_alu instid0(VALU_DEP_1) | instskip(SKIP_3) | instid1(VALU_DEP_1)
	v_fmac_f32_e32 v84, v64, v87
	ds_load_2addr_b64 v[61:64], v2 offset0:19 offset1:20
	s_waitcnt lgkmcnt(1)
	v_fmac_f32_e32 v84, v65, v88
	v_fmac_f32_e32 v84, v66, v89
	s_delay_alu instid0(VALU_DEP_1) | instskip(SKIP_1) | instid1(VALU_DEP_1)
	v_fmac_f32_e32 v84, v67, v90
	s_waitcnt vmcnt(4)
	v_fmac_f32_e32 v84, v68, v91
	ds_load_2addr_b64 v[65:68], v2 offset0:21 offset1:22
	s_waitcnt lgkmcnt(1)
	v_fmac_f32_e32 v84, v69, v61
	s_delay_alu instid0(VALU_DEP_1) | instskip(NEXT) | instid1(VALU_DEP_1)
	v_fmac_f32_e32 v84, v70, v62
	v_fmac_f32_e32 v84, v71, v63
	s_waitcnt vmcnt(3)
	s_delay_alu instid0(VALU_DEP_1) | instskip(SKIP_3) | instid1(VALU_DEP_1)
	v_fmac_f32_e32 v84, v72, v64
	ds_load_2addr_b64 v[61:64], v2 offset0:23 offset1:24
	s_waitcnt lgkmcnt(1)
	v_fmac_f32_e32 v84, v73, v65
	v_fmac_f32_e32 v84, v74, v66
	s_delay_alu instid0(VALU_DEP_1) | instskip(SKIP_1) | instid1(VALU_DEP_1)
	v_fmac_f32_e32 v84, v75, v67
	s_waitcnt vmcnt(2)
	v_fmac_f32_e32 v84, v76, v68
	ds_load_2addr_b64 v[65:68], v2 offset0:25 offset1:26
	ds_load_b64 v[2:3], v2 offset:216
	s_waitcnt lgkmcnt(2)
	v_fmac_f32_e32 v84, v77, v61
	s_delay_alu instid0(VALU_DEP_1) | instskip(NEXT) | instid1(VALU_DEP_1)
	v_fmac_f32_e32 v84, v78, v62
	v_fmac_f32_e32 v84, v79, v63
	s_waitcnt vmcnt(1)
	s_delay_alu instid0(VALU_DEP_1) | instskip(SKIP_1) | instid1(VALU_DEP_1)
	v_fmac_f32_e32 v84, v80, v64
	s_waitcnt lgkmcnt(1)
	v_fmac_f32_e32 v84, v81, v65
	s_delay_alu instid0(VALU_DEP_1) | instskip(NEXT) | instid1(VALU_DEP_1)
	v_fmac_f32_e32 v84, v82, v66
	v_fmac_f32_e32 v84, v83, v67
	s_waitcnt vmcnt(0)
	s_delay_alu instid0(VALU_DEP_1) | instskip(SKIP_1) | instid1(VALU_DEP_1)
	v_fmac_f32_e32 v84, v92, v68
	s_waitcnt lgkmcnt(0)
	v_fmac_f32_e32 v84, v93, v2
	s_delay_alu instid0(VALU_DEP_1) | instskip(NEXT) | instid1(VALU_DEP_1)
	v_fmac_f32_e32 v84, v94, v3
	v_sub_f32_e32 v2, v60, v84
	scratch_store_b32 off, v2, off offset:4
	v_cmpx_ne_u32_e32 0, v0
	s_cbranch_execz .LBB91_175
; %bb.174:
	scratch_load_b32 v0, off, off
	v_mov_b32_e32 v2, 0
	scratch_store_b32 off, v2, off
	s_waitcnt vmcnt(0)
	ds_store_b32 v1, v0
.LBB91_175:
	s_or_b32 exec_lo, exec_lo, s0
	s_waitcnt lgkmcnt(0)
	s_waitcnt_vscnt null, 0x0
	s_barrier
	buffer_gl0_inv
	s_clause 0x6
	scratch_load_b128 v[60:63], off, off
	scratch_load_b128 v[64:67], off, off offset:16
	scratch_load_b128 v[68:71], off, off offset:32
	;; [unrolled: 1-line block ×6, first 2 shown]
	v_mov_b32_e32 v92, 0
	ds_load_2addr_b32 v[84:85], v92 offset0:29 offset1:30
	ds_load_2addr_b32 v[86:87], v92 offset0:31 offset1:32
	;; [unrolled: 1-line block ×4, first 2 shown]
	s_and_b32 vcc_lo, exec_lo, s12
	s_waitcnt vmcnt(6) lgkmcnt(3)
	v_fma_f32 v84, v61, v84, 0
	s_delay_alu instid0(VALU_DEP_1) | instskip(SKIP_4) | instid1(VALU_DEP_1)
	v_fmac_f32_e32 v84, v62, v85
	ds_load_2addr_b32 v[61:62], v92 offset0:37 offset1:38
	s_waitcnt lgkmcnt(3)
	v_fmac_f32_e32 v84, v63, v86
	s_waitcnt vmcnt(5)
	v_fmac_f32_e32 v84, v64, v87
	ds_load_2addr_b32 v[63:64], v92 offset0:39 offset1:40
	s_waitcnt lgkmcnt(3)
	v_fmac_f32_e32 v84, v65, v88
	s_delay_alu instid0(VALU_DEP_1) | instskip(SKIP_1) | instid1(VALU_DEP_1)
	v_fmac_f32_e32 v84, v66, v89
	s_waitcnt lgkmcnt(2)
	v_fmac_f32_e32 v84, v67, v90
	s_waitcnt vmcnt(4)
	s_delay_alu instid0(VALU_DEP_1) | instskip(SKIP_4) | instid1(VALU_DEP_1)
	v_fmac_f32_e32 v84, v68, v91
	ds_load_2addr_b32 v[65:66], v92 offset0:41 offset1:42
	ds_load_2addr_b32 v[67:68], v92 offset0:43 offset1:44
	s_waitcnt lgkmcnt(3)
	v_fmac_f32_e32 v84, v69, v61
	v_fmac_f32_e32 v84, v70, v62
	ds_load_2addr_b32 v[61:62], v92 offset0:45 offset1:46
	s_waitcnt lgkmcnt(3)
	v_fmac_f32_e32 v84, v71, v63
	s_waitcnt vmcnt(3)
	s_delay_alu instid0(VALU_DEP_1) | instskip(SKIP_3) | instid1(VALU_DEP_1)
	v_fmac_f32_e32 v84, v72, v64
	ds_load_2addr_b32 v[63:64], v92 offset0:47 offset1:48
	s_waitcnt lgkmcnt(3)
	v_fmac_f32_e32 v84, v73, v65
	v_fmac_f32_e32 v84, v74, v66
	s_waitcnt lgkmcnt(2)
	s_delay_alu instid0(VALU_DEP_1) | instskip(SKIP_1) | instid1(VALU_DEP_1)
	v_fmac_f32_e32 v84, v75, v67
	s_waitcnt vmcnt(2)
	v_fmac_f32_e32 v84, v76, v68
	ds_load_2addr_b32 v[65:66], v92 offset0:49 offset1:50
	ds_load_2addr_b32 v[67:68], v92 offset0:51 offset1:52
	s_waitcnt lgkmcnt(3)
	v_fmac_f32_e32 v84, v77, v61
	s_delay_alu instid0(VALU_DEP_1)
	v_fmac_f32_e32 v84, v78, v62
	ds_load_2addr_b32 v[61:62], v92 offset0:53 offset1:54
	s_waitcnt lgkmcnt(3)
	v_fmac_f32_e32 v84, v79, v63
	ds_load_b32 v63, v92 offset:220
	s_waitcnt vmcnt(1)
	v_fmac_f32_e32 v84, v80, v64
	s_waitcnt lgkmcnt(3)
	s_delay_alu instid0(VALU_DEP_1) | instskip(NEXT) | instid1(VALU_DEP_1)
	v_fmac_f32_e32 v84, v81, v65
	v_fmac_f32_e32 v84, v82, v66
	s_waitcnt lgkmcnt(2)
	s_delay_alu instid0(VALU_DEP_1) | instskip(SKIP_1) | instid1(VALU_DEP_1)
	v_fmac_f32_e32 v84, v83, v67
	s_waitcnt vmcnt(0)
	v_fmac_f32_e32 v84, v0, v68
	s_waitcnt lgkmcnt(1)
	s_delay_alu instid0(VALU_DEP_1) | instskip(NEXT) | instid1(VALU_DEP_1)
	v_fmac_f32_e32 v84, v1, v61
	v_fmac_f32_e32 v84, v2, v62
	s_waitcnt lgkmcnt(0)
	s_delay_alu instid0(VALU_DEP_1) | instskip(NEXT) | instid1(VALU_DEP_1)
	v_fmac_f32_e32 v84, v3, v63
	v_sub_f32_e32 v0, v60, v84
	scratch_store_b32 off, v0, off
	s_cbranch_vccz .LBB91_231
; %bb.176:
	v_dual_mov_b32 v0, s2 :: v_dual_mov_b32 v1, s3
	s_mov_b32 s0, exec_lo
	flat_load_b32 v0, v[0:1] offset:104
	s_waitcnt vmcnt(0) lgkmcnt(0)
	v_cmpx_ne_u32_e32 27, v0
	s_cbranch_execz .LBB91_178
; %bb.177:
	v_lshl_add_u32 v0, v0, 2, 0
	scratch_load_b32 v1, v0, off offset:-4
	s_waitcnt vmcnt(0)
	scratch_store_b32 off, v1, off offset:104
	scratch_store_b32 v0, v2, off offset:-4
.LBB91_178:
	s_or_b32 exec_lo, exec_lo, s0
	v_dual_mov_b32 v0, s2 :: v_dual_mov_b32 v1, s3
	s_mov_b32 s0, exec_lo
	flat_load_b32 v0, v[0:1] offset:100
	s_waitcnt vmcnt(0) lgkmcnt(0)
	v_cmpx_ne_u32_e32 26, v0
	s_cbranch_execz .LBB91_180
; %bb.179:
	v_lshl_add_u32 v0, v0, 2, 0
	scratch_load_b32 v1, v0, off offset:-4
	scratch_load_b32 v2, off, off offset:100
	s_waitcnt vmcnt(1)
	scratch_store_b32 off, v1, off offset:100
	s_waitcnt vmcnt(0)
	scratch_store_b32 v0, v2, off offset:-4
.LBB91_180:
	s_or_b32 exec_lo, exec_lo, s0
	v_dual_mov_b32 v0, s2 :: v_dual_mov_b32 v1, s3
	s_mov_b32 s0, exec_lo
	flat_load_b32 v0, v[0:1] offset:96
	s_waitcnt vmcnt(0) lgkmcnt(0)
	v_cmpx_ne_u32_e32 25, v0
	s_cbranch_execz .LBB91_182
; %bb.181:
	v_lshl_add_u32 v0, v0, 2, 0
	scratch_load_b32 v1, v0, off offset:-4
	scratch_load_b32 v2, off, off offset:96
	s_waitcnt vmcnt(1)
	scratch_store_b32 off, v1, off offset:96
	s_waitcnt vmcnt(0)
	scratch_store_b32 v0, v2, off offset:-4
.LBB91_182:
	;; [unrolled: 16-line block ×25, first 2 shown]
	s_or_b32 exec_lo, exec_lo, s0
	v_dual_mov_b32 v0, s2 :: v_dual_mov_b32 v1, s3
	s_mov_b32 s0, exec_lo
	flat_load_b32 v1, v[0:1]
	scratch_load_b32 v0, off, off
	s_waitcnt vmcnt(1) lgkmcnt(0)
	v_cmpx_ne_u32_e32 1, v1
	s_cbranch_execz .LBB91_230
; %bb.229:
	v_lshl_add_u32 v1, v1, 2, 0
	scratch_load_b32 v2, v1, off offset:-4
	s_waitcnt vmcnt(0)
	scratch_store_b32 off, v2, off
	scratch_store_b32 v1, v0, off offset:-4
	scratch_load_b32 v0, off, off
.LBB91_230:
	s_or_b32 exec_lo, exec_lo, s0
.LBB91_231:
	s_clause 0x6
	scratch_load_b128 v[60:63], off, off offset:4
	scratch_load_b128 v[64:67], off, off offset:20
	;; [unrolled: 1-line block ×6, first 2 shown]
	scratch_load_b96 v[1:3], off, off offset:100
	s_waitcnt vmcnt(7)
	global_store_b32 v[4:5], v0, off
	s_waitcnt vmcnt(6)
	s_clause 0x3
	global_store_b32 v[6:7], v60, off
	global_store_b32 v[8:9], v61, off
	global_store_b32 v[10:11], v62, off
	global_store_b32 v[12:13], v63, off
	s_waitcnt vmcnt(5)
	s_clause 0x3
	global_store_b32 v[14:15], v64, off
	global_store_b32 v[16:17], v65, off
	global_store_b32 v[18:19], v66, off
	;; [unrolled: 6-line block ×7, first 2 shown]
	s_endpgm
	.section	.rodata,"a",@progbits
	.p2align	6, 0x0
	.amdhsa_kernel _ZN9rocsolver6v33100L18getri_kernel_smallILi28EfPKPfEEvT1_iilPiilS6_bb
		.amdhsa_group_segment_fixed_size 228
		.amdhsa_private_segment_fixed_size 128
		.amdhsa_kernarg_size 60
		.amdhsa_user_sgpr_count 15
		.amdhsa_user_sgpr_dispatch_ptr 0
		.amdhsa_user_sgpr_queue_ptr 0
		.amdhsa_user_sgpr_kernarg_segment_ptr 1
		.amdhsa_user_sgpr_dispatch_id 0
		.amdhsa_user_sgpr_private_segment_size 0
		.amdhsa_wavefront_size32 1
		.amdhsa_uses_dynamic_stack 0
		.amdhsa_enable_private_segment 1
		.amdhsa_system_sgpr_workgroup_id_x 1
		.amdhsa_system_sgpr_workgroup_id_y 0
		.amdhsa_system_sgpr_workgroup_id_z 0
		.amdhsa_system_sgpr_workgroup_info 0
		.amdhsa_system_vgpr_workitem_id 0
		.amdhsa_next_free_vgpr 95
		.amdhsa_next_free_sgpr 17
		.amdhsa_reserve_vcc 1
		.amdhsa_float_round_mode_32 0
		.amdhsa_float_round_mode_16_64 0
		.amdhsa_float_denorm_mode_32 3
		.amdhsa_float_denorm_mode_16_64 3
		.amdhsa_dx10_clamp 1
		.amdhsa_ieee_mode 1
		.amdhsa_fp16_overflow 0
		.amdhsa_workgroup_processor_mode 1
		.amdhsa_memory_ordered 1
		.amdhsa_forward_progress 0
		.amdhsa_shared_vgpr_count 0
		.amdhsa_exception_fp_ieee_invalid_op 0
		.amdhsa_exception_fp_denorm_src 0
		.amdhsa_exception_fp_ieee_div_zero 0
		.amdhsa_exception_fp_ieee_overflow 0
		.amdhsa_exception_fp_ieee_underflow 0
		.amdhsa_exception_fp_ieee_inexact 0
		.amdhsa_exception_int_div_zero 0
	.end_amdhsa_kernel
	.section	.text._ZN9rocsolver6v33100L18getri_kernel_smallILi28EfPKPfEEvT1_iilPiilS6_bb,"axG",@progbits,_ZN9rocsolver6v33100L18getri_kernel_smallILi28EfPKPfEEvT1_iilPiilS6_bb,comdat
.Lfunc_end91:
	.size	_ZN9rocsolver6v33100L18getri_kernel_smallILi28EfPKPfEEvT1_iilPiilS6_bb, .Lfunc_end91-_ZN9rocsolver6v33100L18getri_kernel_smallILi28EfPKPfEEvT1_iilPiilS6_bb
                                        ; -- End function
	.section	.AMDGPU.csdata,"",@progbits
; Kernel info:
; codeLenInByte = 16820
; NumSgprs: 19
; NumVgprs: 95
; ScratchSize: 128
; MemoryBound: 0
; FloatMode: 240
; IeeeMode: 1
; LDSByteSize: 228 bytes/workgroup (compile time only)
; SGPRBlocks: 2
; VGPRBlocks: 11
; NumSGPRsForWavesPerEU: 19
; NumVGPRsForWavesPerEU: 95
; Occupancy: 16
; WaveLimiterHint : 1
; COMPUTE_PGM_RSRC2:SCRATCH_EN: 1
; COMPUTE_PGM_RSRC2:USER_SGPR: 15
; COMPUTE_PGM_RSRC2:TRAP_HANDLER: 0
; COMPUTE_PGM_RSRC2:TGID_X_EN: 1
; COMPUTE_PGM_RSRC2:TGID_Y_EN: 0
; COMPUTE_PGM_RSRC2:TGID_Z_EN: 0
; COMPUTE_PGM_RSRC2:TIDIG_COMP_CNT: 0
	.section	.text._ZN9rocsolver6v33100L18getri_kernel_smallILi29EfPKPfEEvT1_iilPiilS6_bb,"axG",@progbits,_ZN9rocsolver6v33100L18getri_kernel_smallILi29EfPKPfEEvT1_iilPiilS6_bb,comdat
	.globl	_ZN9rocsolver6v33100L18getri_kernel_smallILi29EfPKPfEEvT1_iilPiilS6_bb ; -- Begin function _ZN9rocsolver6v33100L18getri_kernel_smallILi29EfPKPfEEvT1_iilPiilS6_bb
	.p2align	8
	.type	_ZN9rocsolver6v33100L18getri_kernel_smallILi29EfPKPfEEvT1_iilPiilS6_bb,@function
_ZN9rocsolver6v33100L18getri_kernel_smallILi29EfPKPfEEvT1_iilPiilS6_bb: ; @_ZN9rocsolver6v33100L18getri_kernel_smallILi29EfPKPfEEvT1_iilPiilS6_bb
; %bb.0:
	s_mov_b32 s2, exec_lo
	v_cmpx_gt_u32_e32 29, v0
	s_cbranch_execz .LBB92_124
; %bb.1:
	s_clause 0x1
	s_load_b32 s13, s[0:1], 0x38
	s_load_b64 s[2:3], s[0:1], 0x0
	s_mov_b32 s8, s15
	s_load_b128 s[4:7], s[0:1], 0x28
	s_waitcnt lgkmcnt(0)
	s_bitcmp1_b32 s13, 8
	s_cselect_b32 s12, -1, 0
	s_ashr_i32 s9, s15, 31
	s_delay_alu instid0(SALU_CYCLE_1) | instskip(NEXT) | instid1(SALU_CYCLE_1)
	s_lshl_b64 s[10:11], s[8:9], 3
	s_add_u32 s2, s2, s10
	s_addc_u32 s3, s3, s11
	s_load_b64 s[10:11], s[2:3], 0x0
	s_bfe_u32 s2, s13, 0x10008
	s_delay_alu instid0(SALU_CYCLE_1)
	s_cmp_eq_u32 s2, 0
                                        ; implicit-def: $sgpr2_sgpr3
	s_cbranch_scc1 .LBB92_3
; %bb.2:
	s_clause 0x1
	s_load_b32 s2, s[0:1], 0x20
	s_load_b64 s[14:15], s[0:1], 0x18
	s_mul_i32 s3, s8, s5
	s_mul_hi_u32 s5, s8, s4
	s_mul_i32 s16, s9, s4
	s_add_i32 s3, s5, s3
	s_mul_i32 s4, s8, s4
	s_add_i32 s5, s3, s16
	s_delay_alu instid0(SALU_CYCLE_1)
	s_lshl_b64 s[4:5], s[4:5], 2
	s_waitcnt lgkmcnt(0)
	s_ashr_i32 s3, s2, 31
	s_add_u32 s4, s14, s4
	s_addc_u32 s5, s15, s5
	s_lshl_b64 s[2:3], s[2:3], 2
	s_delay_alu instid0(SALU_CYCLE_1)
	s_add_u32 s2, s4, s2
	s_addc_u32 s3, s5, s3
.LBB92_3:
	s_load_b64 s[0:1], s[0:1], 0x8
	v_lshlrev_b32_e32 v1, 2, v0
	s_waitcnt lgkmcnt(0)
	v_add3_u32 v2, s1, s1, v0
	s_ashr_i32 s5, s0, 31
	s_mov_b32 s4, s0
	s_mov_b32 s14, s1
	s_lshl_b64 s[4:5], s[4:5], 2
	v_add_nc_u32_e32 v8, s1, v2
	v_ashrrev_i32_e32 v3, 31, v2
	s_add_u32 s4, s10, s4
	s_addc_u32 s5, s11, s5
	v_add_co_u32 v4, s0, s4, v1
	v_add_nc_u32_e32 v10, s1, v8
	s_ashr_i32 s15, s1, 31
	v_add_co_ci_u32_e64 v5, null, s5, 0, s0
	v_lshlrev_b64 v[2:3], 2, v[2:3]
	s_delay_alu instid0(VALU_DEP_3)
	v_add_nc_u32_e32 v14, s1, v10
	v_ashrrev_i32_e32 v9, 31, v8
	s_lshl_b64 s[10:11], s[14:15], 2
	v_ashrrev_i32_e32 v11, 31, v10
	v_add_co_u32 v6, vcc_lo, v4, s10
	v_add_nc_u32_e32 v16, s1, v14
	v_add_co_ci_u32_e32 v7, vcc_lo, s11, v5, vcc_lo
	v_lshlrev_b64 v[12:13], 2, v[8:9]
	v_add_co_u32 v8, vcc_lo, s4, v2
	s_delay_alu instid0(VALU_DEP_4) | instskip(SKIP_3) | instid1(VALU_DEP_4)
	v_add_nc_u32_e32 v18, s1, v16
	v_add_co_ci_u32_e32 v9, vcc_lo, s5, v3, vcc_lo
	v_lshlrev_b64 v[2:3], 2, v[10:11]
	v_ashrrev_i32_e32 v15, 31, v14
	v_add_nc_u32_e32 v20, s1, v18
	v_add_co_u32 v10, vcc_lo, s4, v12
	v_ashrrev_i32_e32 v17, 31, v16
	v_add_co_ci_u32_e32 v11, vcc_lo, s5, v13, vcc_lo
	v_lshlrev_b64 v[14:15], 2, v[14:15]
	v_add_co_u32 v12, vcc_lo, s4, v2
	v_add_nc_u32_e32 v22, s1, v20
	v_add_co_ci_u32_e32 v13, vcc_lo, s5, v3, vcc_lo
	v_lshlrev_b64 v[2:3], 2, v[16:17]
	v_ashrrev_i32_e32 v19, 31, v18
	v_add_co_u32 v14, vcc_lo, s4, v14
	v_ashrrev_i32_e32 v21, 31, v20
	v_add_nc_u32_e32 v24, s1, v22
	v_add_co_ci_u32_e32 v15, vcc_lo, s5, v15, vcc_lo
	v_lshlrev_b64 v[18:19], 2, v[18:19]
	v_add_co_u32 v16, vcc_lo, s4, v2
	v_add_co_ci_u32_e32 v17, vcc_lo, s5, v3, vcc_lo
	v_lshlrev_b64 v[2:3], 2, v[20:21]
	v_add_nc_u32_e32 v26, s1, v24
	v_add_co_u32 v18, vcc_lo, s4, v18
	v_ashrrev_i32_e32 v23, 31, v22
	v_add_co_ci_u32_e32 v19, vcc_lo, s5, v19, vcc_lo
	s_delay_alu instid0(VALU_DEP_4)
	v_add_nc_u32_e32 v28, s1, v26
	v_add_co_u32 v20, vcc_lo, s4, v2
	v_add_co_ci_u32_e32 v21, vcc_lo, s5, v3, vcc_lo
	v_lshlrev_b64 v[2:3], 2, v[22:23]
	v_ashrrev_i32_e32 v25, 31, v24
	v_add_nc_u32_e32 v30, s1, v28
	v_ashrrev_i32_e32 v27, 31, v26
	v_ashrrev_i32_e32 v29, 31, v28
	global_load_b32 v62, v1, s[4:5]
	v_lshlrev_b64 v[24:25], 2, v[24:25]
	v_add_co_u32 v22, vcc_lo, s4, v2
	v_add_nc_u32_e32 v32, s1, v30
	v_add_co_ci_u32_e32 v23, vcc_lo, s5, v3, vcc_lo
	v_lshlrev_b64 v[2:3], 2, v[26:27]
	v_add_co_u32 v24, vcc_lo, s4, v24
	v_ashrrev_i32_e32 v31, 31, v30
	v_add_nc_u32_e32 v34, s1, v32
	v_add_co_ci_u32_e32 v25, vcc_lo, s5, v25, vcc_lo
	v_lshlrev_b64 v[28:29], 2, v[28:29]
	v_add_co_u32 v26, vcc_lo, s4, v2
	v_add_co_ci_u32_e32 v27, vcc_lo, s5, v3, vcc_lo
	v_lshlrev_b64 v[2:3], 2, v[30:31]
	v_ashrrev_i32_e32 v33, 31, v32
	v_add_nc_u32_e32 v36, s1, v34
	v_add_co_u32 v28, vcc_lo, s4, v28
	v_ashrrev_i32_e32 v35, 31, v34
	v_add_co_ci_u32_e32 v29, vcc_lo, s5, v29, vcc_lo
	v_lshlrev_b64 v[32:33], 2, v[32:33]
	v_add_co_u32 v30, vcc_lo, s4, v2
	v_ashrrev_i32_e32 v37, 31, v36
	v_add_co_ci_u32_e32 v31, vcc_lo, s5, v3, vcc_lo
	v_lshlrev_b64 v[2:3], 2, v[34:35]
	v_add_nc_u32_e32 v39, s1, v36
	v_add_co_u32 v32, vcc_lo, s4, v32
	v_lshlrev_b64 v[37:38], 2, v[36:37]
	v_add_co_ci_u32_e32 v33, vcc_lo, s5, v33, vcc_lo
	v_add_co_u32 v34, vcc_lo, s4, v2
	v_ashrrev_i32_e32 v40, 31, v39
	v_add_nc_u32_e32 v2, s1, v39
	v_add_co_ci_u32_e32 v35, vcc_lo, s5, v3, vcc_lo
	v_add_co_u32 v36, vcc_lo, s4, v37
	v_add_co_ci_u32_e32 v37, vcc_lo, s5, v38, vcc_lo
	v_lshlrev_b64 v[38:39], 2, v[39:40]
	v_add_nc_u32_e32 v40, s1, v2
	v_ashrrev_i32_e32 v3, 31, v2
	s_clause 0xf
	global_load_b32 v63, v[6:7], off
	global_load_b32 v64, v[8:9], off
	;; [unrolled: 1-line block ×16, first 2 shown]
	s_bitcmp0_b32 s13, 0
	v_add_nc_u32_e32 v42, s1, v40
	v_lshlrev_b64 v[2:3], 2, v[2:3]
	v_ashrrev_i32_e32 v41, 31, v40
	v_add_co_u32 v38, vcc_lo, s4, v38
	s_delay_alu instid0(VALU_DEP_4) | instskip(SKIP_3) | instid1(VALU_DEP_4)
	v_add_nc_u32_e32 v46, s1, v42
	v_ashrrev_i32_e32 v43, 31, v42
	v_add_co_ci_u32_e32 v39, vcc_lo, s5, v39, vcc_lo
	v_lshlrev_b64 v[44:45], 2, v[40:41]
	v_add_nc_u32_e32 v48, s1, v46
	v_add_co_u32 v40, vcc_lo, s4, v2
	v_add_co_ci_u32_e32 v41, vcc_lo, s5, v3, vcc_lo
	s_delay_alu instid0(VALU_DEP_3) | instskip(SKIP_3) | instid1(VALU_DEP_4)
	v_add_nc_u32_e32 v50, s1, v48
	v_lshlrev_b64 v[2:3], 2, v[42:43]
	v_ashrrev_i32_e32 v47, 31, v46
	v_add_co_u32 v42, vcc_lo, s4, v44
	v_add_nc_u32_e32 v52, s1, v50
	v_ashrrev_i32_e32 v49, 31, v48
	v_add_co_ci_u32_e32 v43, vcc_lo, s5, v45, vcc_lo
	v_lshlrev_b64 v[46:47], 2, v[46:47]
	v_add_co_u32 v44, vcc_lo, s4, v2
	v_add_nc_u32_e32 v54, s1, v52
	v_add_co_ci_u32_e32 v45, vcc_lo, s5, v3, vcc_lo
	v_lshlrev_b64 v[2:3], 2, v[48:49]
	v_ashrrev_i32_e32 v51, 31, v50
	v_add_co_u32 v46, vcc_lo, s4, v46
	v_ashrrev_i32_e32 v53, 31, v52
	v_add_nc_u32_e32 v56, s1, v54
	v_add_co_ci_u32_e32 v47, vcc_lo, s5, v47, vcc_lo
	v_lshlrev_b64 v[50:51], 2, v[50:51]
	v_add_co_u32 v48, vcc_lo, s4, v2
	v_add_co_ci_u32_e32 v49, vcc_lo, s5, v3, vcc_lo
	v_lshlrev_b64 v[2:3], 2, v[52:53]
	v_ashrrev_i32_e32 v55, 31, v54
	v_add_nc_u32_e32 v58, s1, v56
	v_add_co_u32 v50, vcc_lo, s4, v50
	v_ashrrev_i32_e32 v57, 31, v56
	v_add_co_ci_u32_e32 v51, vcc_lo, s5, v51, vcc_lo
	v_lshlrev_b64 v[54:55], 2, v[54:55]
	v_add_co_u32 v52, vcc_lo, s4, v2
	v_add_nc_u32_e32 v60, s1, v58
	v_add_co_ci_u32_e32 v53, vcc_lo, s5, v3, vcc_lo
	v_lshlrev_b64 v[2:3], 2, v[56:57]
	v_ashrrev_i32_e32 v59, 31, v58
	v_add_co_u32 v54, vcc_lo, s4, v54
	v_ashrrev_i32_e32 v61, 31, v60
	v_add_co_ci_u32_e32 v55, vcc_lo, s5, v55, vcc_lo
	s_delay_alu instid0(VALU_DEP_4) | instskip(SKIP_3) | instid1(VALU_DEP_4)
	v_lshlrev_b64 v[58:59], 2, v[58:59]
	v_add_co_u32 v56, vcc_lo, s4, v2
	v_add_co_ci_u32_e32 v57, vcc_lo, s5, v3, vcc_lo
	v_lshlrev_b64 v[2:3], 2, v[60:61]
	v_add_co_u32 v58, vcc_lo, s4, v58
	v_add_co_ci_u32_e32 v59, vcc_lo, s5, v59, vcc_lo
	s_mov_b32 s1, -1
	s_delay_alu instid0(VALU_DEP_3) | instskip(NEXT) | instid1(VALU_DEP_4)
	v_add_co_u32 v60, vcc_lo, s4, v2
	v_add_co_ci_u32_e32 v61, vcc_lo, s5, v3, vcc_lo
	s_clause 0xb
	global_load_b32 v79, v[38:39], off
	global_load_b32 v80, v[40:41], off
	global_load_b32 v81, v[42:43], off
	global_load_b32 v82, v[44:45], off
	global_load_b32 v83, v[46:47], off
	global_load_b32 v84, v[48:49], off
	global_load_b32 v85, v[50:51], off
	global_load_b32 v86, v[52:53], off
	global_load_b32 v87, v[54:55], off
	global_load_b32 v88, v[56:57], off
	global_load_b32 v89, v[58:59], off
	global_load_b32 v2, v[60:61], off
	s_waitcnt vmcnt(25)
	scratch_store_b128 off, v[62:65], off
	s_waitcnt vmcnt(21)
	scratch_store_b128 off, v[66:69], off offset:16
	s_waitcnt vmcnt(17)
	scratch_store_b128 off, v[70:73], off offset:32
	;; [unrolled: 2-line block ×6, first 2 shown]
	s_waitcnt vmcnt(0)
	scratch_store_b32 off, v2, off offset:112
	s_cbranch_scc1 .LBB92_122
; %bb.4:
	v_cmp_eq_u32_e64 s0, 0, v0
	s_delay_alu instid0(VALU_DEP_1)
	s_and_saveexec_b32 s1, s0
	s_cbranch_execz .LBB92_6
; %bb.5:
	v_mov_b32_e32 v2, 0
	ds_store_b32 v2, v2 offset:116
.LBB92_6:
	s_or_b32 exec_lo, exec_lo, s1
	s_waitcnt lgkmcnt(0)
	s_waitcnt_vscnt null, 0x0
	s_barrier
	buffer_gl0_inv
	scratch_load_b32 v2, v1, off
	s_mov_b32 s4, exec_lo
	s_waitcnt vmcnt(0)
	v_cmpx_eq_f32_e32 0, v2
	s_cbranch_execz .LBB92_10
; %bb.7:
	v_mov_b32_e32 v2, 0
	s_mov_b32 s5, 0
	ds_load_b32 v3, v2 offset:116
	s_waitcnt lgkmcnt(0)
	v_readfirstlane_b32 s1, v3
	v_add_nc_u32_e32 v3, 1, v0
	s_delay_alu instid0(VALU_DEP_2) | instskip(NEXT) | instid1(VALU_DEP_1)
	s_cmp_eq_u32 s1, 0
	v_cmp_gt_i32_e32 vcc_lo, s1, v3
	s_cselect_b32 s10, -1, 0
	s_delay_alu instid0(SALU_CYCLE_1) | instskip(NEXT) | instid1(SALU_CYCLE_1)
	s_or_b32 s10, s10, vcc_lo
	s_and_b32 exec_lo, exec_lo, s10
	s_cbranch_execz .LBB92_10
; %bb.8:
	v_mov_b32_e32 v62, s1
.LBB92_9:                               ; =>This Inner Loop Header: Depth=1
	ds_cmpstore_rtn_b32 v62, v2, v3, v62 offset:116
	s_waitcnt lgkmcnt(0)
	v_cmp_ne_u32_e32 vcc_lo, 0, v62
	v_cmp_le_i32_e64 s1, v62, v3
	s_delay_alu instid0(VALU_DEP_1) | instskip(NEXT) | instid1(SALU_CYCLE_1)
	s_and_b32 s1, vcc_lo, s1
	s_and_b32 s1, exec_lo, s1
	s_delay_alu instid0(SALU_CYCLE_1) | instskip(NEXT) | instid1(SALU_CYCLE_1)
	s_or_b32 s5, s1, s5
	s_and_not1_b32 exec_lo, exec_lo, s5
	s_cbranch_execnz .LBB92_9
.LBB92_10:
	s_or_b32 exec_lo, exec_lo, s4
	v_mov_b32_e32 v2, 0
	s_barrier
	buffer_gl0_inv
	ds_load_b32 v3, v2 offset:116
	s_and_saveexec_b32 s1, s0
	s_cbranch_execz .LBB92_12
; %bb.11:
	s_lshl_b64 s[4:5], s[8:9], 2
	s_delay_alu instid0(SALU_CYCLE_1)
	s_add_u32 s4, s6, s4
	s_addc_u32 s5, s7, s5
	s_waitcnt lgkmcnt(0)
	global_store_b32 v2, v3, s[4:5]
.LBB92_12:
	s_or_b32 exec_lo, exec_lo, s1
	s_waitcnt lgkmcnt(0)
	v_cmp_ne_u32_e32 vcc_lo, 0, v3
	s_mov_b32 s1, 0
	s_cbranch_vccnz .LBB92_122
; %bb.13:
	v_add_nc_u32_e32 v2, 0, v1
	scratch_load_b32 v3, v2, off
	s_waitcnt vmcnt(0)
	v_div_scale_f32 v62, null, v3, v3, 1.0
	v_div_scale_f32 v65, vcc_lo, 1.0, v3, 1.0
	s_delay_alu instid0(VALU_DEP_2) | instskip(SKIP_2) | instid1(VALU_DEP_1)
	v_rcp_f32_e32 v63, v62
	s_waitcnt_depctr 0xfff
	v_fma_f32 v64, -v62, v63, 1.0
	v_fmac_f32_e32 v63, v64, v63
	s_delay_alu instid0(VALU_DEP_1) | instskip(NEXT) | instid1(VALU_DEP_1)
	v_mul_f32_e32 v64, v65, v63
	v_fma_f32 v66, -v62, v64, v65
	s_delay_alu instid0(VALU_DEP_1) | instskip(NEXT) | instid1(VALU_DEP_1)
	v_fmac_f32_e32 v64, v66, v63
	v_fma_f32 v62, -v62, v64, v65
	s_delay_alu instid0(VALU_DEP_1) | instskip(NEXT) | instid1(VALU_DEP_1)
	v_div_fmas_f32 v62, v62, v63, v64
	v_div_fixup_f32 v3, v62, v3, 1.0
	scratch_store_b32 v2, v3, off
	scratch_load_b32 v62, off, off offset:4
	v_xor_b32_e32 v63, 0x80000000, v3
	v_add_nc_u32_e32 v3, 0x80, v1
	s_waitcnt vmcnt(0)
	ds_store_2addr_b32 v1, v63, v62 offset1:32
	s_waitcnt lgkmcnt(0)
	s_waitcnt_vscnt null, 0x0
	s_barrier
	buffer_gl0_inv
	s_and_saveexec_b32 s1, s0
	s_cbranch_execz .LBB92_15
; %bb.14:
	scratch_load_b32 v62, v2, off
	ds_load_b32 v63, v3
	v_mov_b32_e32 v64, 0
	ds_load_b32 v64, v64 offset:4
	s_waitcnt vmcnt(0) lgkmcnt(1)
	v_fma_f32 v62, v62, v63, 0
	s_waitcnt lgkmcnt(0)
	s_delay_alu instid0(VALU_DEP_1)
	v_mul_f32_e32 v62, v62, v64
	scratch_store_b32 off, v62, off offset:4
.LBB92_15:
	s_or_b32 exec_lo, exec_lo, s1
	s_waitcnt_vscnt null, 0x0
	s_barrier
	buffer_gl0_inv
	scratch_load_b32 v62, off, off offset:8
	s_mov_b32 s1, exec_lo
	s_waitcnt vmcnt(0)
	ds_store_b32 v3, v62
	s_waitcnt lgkmcnt(0)
	s_barrier
	buffer_gl0_inv
	v_cmpx_gt_u32_e32 2, v0
	s_cbranch_execz .LBB92_17
; %bb.16:
	scratch_load_b32 v64, v2, off
	scratch_load_b32 v65, off, off offset:4
	ds_load_b32 v66, v3
	v_mov_b32_e32 v62, 0
	ds_load_2addr_b32 v[62:63], v62 offset0:2 offset1:33
	s_waitcnt vmcnt(1) lgkmcnt(1)
	v_fma_f32 v64, v64, v66, 0
	s_waitcnt vmcnt(0) lgkmcnt(0)
	s_delay_alu instid0(VALU_DEP_1) | instskip(NEXT) | instid1(VALU_DEP_1)
	v_fma_f32 v63, v65, v63, v64
	v_cndmask_b32_e64 v63, v64, v63, s0
	s_delay_alu instid0(VALU_DEP_1)
	v_mul_f32_e32 v62, v63, v62
	scratch_store_b32 off, v62, off offset:8
.LBB92_17:
	s_or_b32 exec_lo, exec_lo, s1
	s_waitcnt_vscnt null, 0x0
	s_barrier
	buffer_gl0_inv
	scratch_load_b32 v63, off, off offset:12
	v_add_nc_u32_e32 v62, -1, v0
	s_mov_b32 s0, exec_lo
	s_waitcnt vmcnt(0)
	ds_store_b32 v3, v63
	s_waitcnt lgkmcnt(0)
	s_barrier
	buffer_gl0_inv
	v_cmpx_gt_u32_e32 3, v0
	s_cbranch_execz .LBB92_21
; %bb.18:
	v_dual_mov_b32 v63, 0 :: v_dual_add_nc_u32 v64, -1, v0
	v_add_nc_u32_e32 v65, 0x80, v1
	v_add_nc_u32_e32 v66, 0, v1
	s_mov_b32 s1, 0
.LBB92_19:                              ; =>This Inner Loop Header: Depth=1
	scratch_load_b32 v67, v66, off
	ds_load_b32 v68, v65
	v_add_nc_u32_e32 v64, 1, v64
	v_add_nc_u32_e32 v65, 4, v65
	v_add_nc_u32_e32 v66, 4, v66
	s_delay_alu instid0(VALU_DEP_3)
	v_cmp_lt_u32_e32 vcc_lo, 1, v64
	s_or_b32 s1, vcc_lo, s1
	s_waitcnt vmcnt(0) lgkmcnt(0)
	v_fmac_f32_e32 v63, v67, v68
	s_and_not1_b32 exec_lo, exec_lo, s1
	s_cbranch_execnz .LBB92_19
; %bb.20:
	s_or_b32 exec_lo, exec_lo, s1
	v_mov_b32_e32 v64, 0
	ds_load_b32 v64, v64 offset:12
	s_waitcnt lgkmcnt(0)
	v_mul_f32_e32 v63, v63, v64
	scratch_store_b32 off, v63, off offset:12
.LBB92_21:
	s_or_b32 exec_lo, exec_lo, s0
	s_waitcnt_vscnt null, 0x0
	s_barrier
	buffer_gl0_inv
	scratch_load_b32 v63, off, off offset:16
	s_mov_b32 s0, exec_lo
	s_waitcnt vmcnt(0)
	ds_store_b32 v3, v63
	s_waitcnt lgkmcnt(0)
	s_barrier
	buffer_gl0_inv
	v_cmpx_gt_u32_e32 4, v0
	s_cbranch_execz .LBB92_25
; %bb.22:
	v_dual_mov_b32 v63, 0 :: v_dual_add_nc_u32 v64, -1, v0
	v_add_nc_u32_e32 v65, 0x80, v1
	v_add_nc_u32_e32 v66, 0, v1
	s_mov_b32 s1, 0
.LBB92_23:                              ; =>This Inner Loop Header: Depth=1
	scratch_load_b32 v67, v66, off
	ds_load_b32 v68, v65
	v_add_nc_u32_e32 v64, 1, v64
	v_add_nc_u32_e32 v65, 4, v65
	v_add_nc_u32_e32 v66, 4, v66
	s_delay_alu instid0(VALU_DEP_3)
	v_cmp_lt_u32_e32 vcc_lo, 2, v64
	s_or_b32 s1, vcc_lo, s1
	s_waitcnt vmcnt(0) lgkmcnt(0)
	v_fmac_f32_e32 v63, v67, v68
	s_and_not1_b32 exec_lo, exec_lo, s1
	s_cbranch_execnz .LBB92_23
; %bb.24:
	s_or_b32 exec_lo, exec_lo, s1
	v_mov_b32_e32 v64, 0
	ds_load_b32 v64, v64 offset:16
	s_waitcnt lgkmcnt(0)
	v_mul_f32_e32 v63, v63, v64
	scratch_store_b32 off, v63, off offset:16
.LBB92_25:
	s_or_b32 exec_lo, exec_lo, s0
	s_waitcnt_vscnt null, 0x0
	s_barrier
	buffer_gl0_inv
	scratch_load_b32 v63, off, off offset:20
	;; [unrolled: 39-line block ×21, first 2 shown]
	s_mov_b32 s0, exec_lo
	s_waitcnt vmcnt(0)
	ds_store_b32 v3, v63
	s_waitcnt lgkmcnt(0)
	s_barrier
	buffer_gl0_inv
	v_cmpx_gt_u32_e32 24, v0
	s_cbranch_execz .LBB92_105
; %bb.102:
	v_dual_mov_b32 v63, 0 :: v_dual_add_nc_u32 v64, -1, v0
	v_add_nc_u32_e32 v65, 0x80, v1
	v_add_nc_u32_e32 v66, 0, v1
	s_mov_b32 s1, 0
.LBB92_103:                             ; =>This Inner Loop Header: Depth=1
	scratch_load_b32 v67, v66, off
	ds_load_b32 v68, v65
	v_add_nc_u32_e32 v64, 1, v64
	v_add_nc_u32_e32 v65, 4, v65
	v_add_nc_u32_e32 v66, 4, v66
	s_delay_alu instid0(VALU_DEP_3)
	v_cmp_lt_u32_e32 vcc_lo, 22, v64
	s_or_b32 s1, vcc_lo, s1
	s_waitcnt vmcnt(0) lgkmcnt(0)
	v_fmac_f32_e32 v63, v67, v68
	s_and_not1_b32 exec_lo, exec_lo, s1
	s_cbranch_execnz .LBB92_103
; %bb.104:
	s_or_b32 exec_lo, exec_lo, s1
	v_mov_b32_e32 v64, 0
	ds_load_b32 v64, v64 offset:96
	s_waitcnt lgkmcnt(0)
	v_mul_f32_e32 v63, v63, v64
	scratch_store_b32 off, v63, off offset:96
.LBB92_105:
	s_or_b32 exec_lo, exec_lo, s0
	s_waitcnt_vscnt null, 0x0
	s_barrier
	buffer_gl0_inv
	scratch_load_b32 v63, off, off offset:100
	s_mov_b32 s0, exec_lo
	s_waitcnt vmcnt(0)
	ds_store_b32 v3, v63
	s_waitcnt lgkmcnt(0)
	s_barrier
	buffer_gl0_inv
	v_cmpx_gt_u32_e32 25, v0
	s_cbranch_execz .LBB92_109
; %bb.106:
	v_dual_mov_b32 v63, 0 :: v_dual_add_nc_u32 v64, -1, v0
	v_add_nc_u32_e32 v65, 0x80, v1
	v_add_nc_u32_e32 v66, 0, v1
	s_mov_b32 s1, 0
.LBB92_107:                             ; =>This Inner Loop Header: Depth=1
	scratch_load_b32 v67, v66, off
	ds_load_b32 v68, v65
	v_add_nc_u32_e32 v64, 1, v64
	v_add_nc_u32_e32 v65, 4, v65
	v_add_nc_u32_e32 v66, 4, v66
	s_delay_alu instid0(VALU_DEP_3)
	v_cmp_lt_u32_e32 vcc_lo, 23, v64
	s_or_b32 s1, vcc_lo, s1
	s_waitcnt vmcnt(0) lgkmcnt(0)
	v_fmac_f32_e32 v63, v67, v68
	s_and_not1_b32 exec_lo, exec_lo, s1
	s_cbranch_execnz .LBB92_107
; %bb.108:
	s_or_b32 exec_lo, exec_lo, s1
	v_mov_b32_e32 v64, 0
	ds_load_b32 v64, v64 offset:100
	s_waitcnt lgkmcnt(0)
	v_mul_f32_e32 v63, v63, v64
	scratch_store_b32 off, v63, off offset:100
.LBB92_109:
	s_or_b32 exec_lo, exec_lo, s0
	s_waitcnt_vscnt null, 0x0
	s_barrier
	buffer_gl0_inv
	scratch_load_b32 v63, off, off offset:104
	;; [unrolled: 39-line block ×3, first 2 shown]
	s_mov_b32 s0, exec_lo
	s_waitcnt vmcnt(0)
	ds_store_b32 v3, v63
	s_waitcnt lgkmcnt(0)
	s_barrier
	buffer_gl0_inv
	v_cmpx_gt_u32_e32 27, v0
	s_cbranch_execz .LBB92_117
; %bb.114:
	v_add_nc_u32_e32 v63, -1, v0
	v_add_nc_u32_e32 v64, 0x80, v1
	v_add_nc_u32_e32 v65, 0, v1
	v_mov_b32_e32 v1, 0
	s_mov_b32 s1, 0
.LBB92_115:                             ; =>This Inner Loop Header: Depth=1
	scratch_load_b32 v66, v65, off
	ds_load_b32 v67, v64
	v_add_nc_u32_e32 v63, 1, v63
	v_add_nc_u32_e32 v64, 4, v64
	;; [unrolled: 1-line block ×3, first 2 shown]
	s_delay_alu instid0(VALU_DEP_3)
	v_cmp_lt_u32_e32 vcc_lo, 25, v63
	s_or_b32 s1, vcc_lo, s1
	s_waitcnt vmcnt(0) lgkmcnt(0)
	v_fmac_f32_e32 v1, v66, v67
	s_and_not1_b32 exec_lo, exec_lo, s1
	s_cbranch_execnz .LBB92_115
; %bb.116:
	s_or_b32 exec_lo, exec_lo, s1
	v_mov_b32_e32 v63, 0
	ds_load_b32 v63, v63 offset:108
	s_waitcnt lgkmcnt(0)
	v_mul_f32_e32 v1, v1, v63
	scratch_store_b32 off, v1, off offset:108
.LBB92_117:
	s_or_b32 exec_lo, exec_lo, s0
	s_waitcnt_vscnt null, 0x0
	s_barrier
	buffer_gl0_inv
	scratch_load_b32 v1, off, off offset:112
	s_mov_b32 s0, exec_lo
	s_waitcnt vmcnt(0)
	ds_store_b32 v3, v1
	s_waitcnt lgkmcnt(0)
	s_barrier
	buffer_gl0_inv
	v_cmpx_ne_u32_e32 28, v0
	s_cbranch_execz .LBB92_121
; %bb.118:
	v_mov_b32_e32 v1, 0
	s_mov_b32 s1, 0
.LBB92_119:                             ; =>This Inner Loop Header: Depth=1
	scratch_load_b32 v63, v2, off
	ds_load_b32 v64, v3
	v_add_nc_u32_e32 v62, 1, v62
	v_add_nc_u32_e32 v3, 4, v3
	s_waitcnt vmcnt(0) lgkmcnt(0)
	v_dual_fmac_f32 v1, v63, v64 :: v_dual_add_nc_u32 v2, 4, v2
	s_delay_alu instid0(VALU_DEP_3) | instskip(SKIP_1) | instid1(SALU_CYCLE_1)
	v_cmp_lt_u32_e32 vcc_lo, 26, v62
	s_or_b32 s1, vcc_lo, s1
	s_and_not1_b32 exec_lo, exec_lo, s1
	s_cbranch_execnz .LBB92_119
; %bb.120:
	s_or_b32 exec_lo, exec_lo, s1
	v_mov_b32_e32 v2, 0
	ds_load_b32 v2, v2 offset:112
	s_waitcnt lgkmcnt(0)
	v_mul_f32_e32 v1, v1, v2
	scratch_store_b32 off, v1, off offset:112
.LBB92_121:
	s_or_b32 exec_lo, exec_lo, s0
	s_mov_b32 s1, -1
	s_waitcnt_vscnt null, 0x0
	s_barrier
	buffer_gl0_inv
.LBB92_122:
	s_and_b32 vcc_lo, exec_lo, s1
	s_cbranch_vccz .LBB92_124
; %bb.123:
	s_lshl_b64 s[0:1], s[8:9], 2
	v_mov_b32_e32 v1, 0
	s_add_u32 s0, s6, s0
	s_addc_u32 s1, s7, s1
	global_load_b32 v1, v1, s[0:1]
	s_waitcnt vmcnt(0)
	v_cmp_ne_u32_e32 vcc_lo, 0, v1
	s_cbranch_vccz .LBB92_125
.LBB92_124:
	s_endpgm
.LBB92_125:
	v_lshl_add_u32 v1, v0, 2, 0x80
	s_mov_b32 s0, exec_lo
	v_cmpx_eq_u32_e32 28, v0
	s_cbranch_execz .LBB92_127
; %bb.126:
	scratch_load_b32 v2, off, off offset:108
	v_mov_b32_e32 v3, 0
	scratch_store_b32 off, v3, off offset:108
	s_waitcnt vmcnt(0)
	ds_store_b32 v1, v2
.LBB92_127:
	s_or_b32 exec_lo, exec_lo, s0
	s_waitcnt lgkmcnt(0)
	s_waitcnt_vscnt null, 0x0
	s_barrier
	buffer_gl0_inv
	scratch_load_b64 v[62:63], off, off offset:108
	v_mov_b32_e32 v2, 0
	s_mov_b32 s0, exec_lo
	ds_load_b32 v3, v2 offset:240
	s_waitcnt vmcnt(0) lgkmcnt(0)
	v_fma_f32 v3, v63, v3, 0
	s_delay_alu instid0(VALU_DEP_1)
	v_sub_f32_e32 v3, v62, v3
	scratch_store_b32 off, v3, off offset:108
	v_cmpx_lt_u32_e32 26, v0
	s_cbranch_execz .LBB92_129
; %bb.128:
	scratch_load_b32 v3, off, off offset:104
	scratch_store_b32 off, v2, off offset:104
	s_waitcnt vmcnt(0)
	ds_store_b32 v1, v3
.LBB92_129:
	s_or_b32 exec_lo, exec_lo, s0
	s_waitcnt lgkmcnt(0)
	s_waitcnt_vscnt null, 0x0
	s_barrier
	buffer_gl0_inv
	scratch_load_b96 v[62:64], off, off offset:104
	ds_load_2addr_b32 v[2:3], v2 offset0:59 offset1:60
	s_mov_b32 s0, exec_lo
	s_waitcnt vmcnt(0) lgkmcnt(0)
	v_fma_f32 v2, v63, v2, 0
	s_delay_alu instid0(VALU_DEP_1) | instskip(NEXT) | instid1(VALU_DEP_1)
	v_fmac_f32_e32 v2, v64, v3
	v_sub_f32_e32 v2, v62, v2
	scratch_store_b32 off, v2, off offset:104
	v_cmpx_lt_u32_e32 25, v0
	s_cbranch_execz .LBB92_131
; %bb.130:
	scratch_load_b32 v2, off, off offset:100
	v_mov_b32_e32 v3, 0
	scratch_store_b32 off, v3, off offset:100
	s_waitcnt vmcnt(0)
	ds_store_b32 v1, v2
.LBB92_131:
	s_or_b32 exec_lo, exec_lo, s0
	s_waitcnt lgkmcnt(0)
	s_waitcnt_vscnt null, 0x0
	s_barrier
	buffer_gl0_inv
	scratch_load_b128 v[62:65], off, off offset:100
	v_mov_b32_e32 v2, 0
	ds_load_b64 v[66:67], v2 offset:232
	ds_load_b32 v3, v2 offset:240
	s_mov_b32 s0, exec_lo
	s_waitcnt vmcnt(0) lgkmcnt(1)
	v_fma_f32 v63, v63, v66, 0
	s_delay_alu instid0(VALU_DEP_1) | instskip(SKIP_1) | instid1(VALU_DEP_1)
	v_fmac_f32_e32 v63, v64, v67
	s_waitcnt lgkmcnt(0)
	v_fmac_f32_e32 v63, v65, v3
	s_delay_alu instid0(VALU_DEP_1)
	v_sub_f32_e32 v3, v62, v63
	scratch_store_b32 off, v3, off offset:100
	v_cmpx_lt_u32_e32 24, v0
	s_cbranch_execz .LBB92_133
; %bb.132:
	scratch_load_b32 v3, off, off offset:96
	scratch_store_b32 off, v2, off offset:96
	s_waitcnt vmcnt(0)
	ds_store_b32 v1, v3
.LBB92_133:
	s_or_b32 exec_lo, exec_lo, s0
	s_waitcnt lgkmcnt(0)
	s_waitcnt_vscnt null, 0x0
	s_barrier
	buffer_gl0_inv
	s_clause 0x1
	scratch_load_b128 v[62:65], off, off offset:96
	scratch_load_b32 v68, off, off offset:112
	ds_load_2addr_b32 v[66:67], v2 offset0:57 offset1:58
	ds_load_2addr_b32 v[2:3], v2 offset0:59 offset1:60
	s_mov_b32 s0, exec_lo
	s_waitcnt vmcnt(1) lgkmcnt(1)
	v_fma_f32 v63, v63, v66, 0
	s_delay_alu instid0(VALU_DEP_1) | instskip(SKIP_1) | instid1(VALU_DEP_1)
	v_fmac_f32_e32 v63, v64, v67
	s_waitcnt lgkmcnt(0)
	v_fmac_f32_e32 v63, v65, v2
	s_waitcnt vmcnt(0)
	s_delay_alu instid0(VALU_DEP_1) | instskip(NEXT) | instid1(VALU_DEP_1)
	v_fmac_f32_e32 v63, v68, v3
	v_sub_f32_e32 v2, v62, v63
	scratch_store_b32 off, v2, off offset:96
	v_cmpx_lt_u32_e32 23, v0
	s_cbranch_execz .LBB92_135
; %bb.134:
	scratch_load_b32 v2, off, off offset:92
	v_mov_b32_e32 v3, 0
	scratch_store_b32 off, v3, off offset:92
	s_waitcnt vmcnt(0)
	ds_store_b32 v1, v2
.LBB92_135:
	s_or_b32 exec_lo, exec_lo, s0
	s_waitcnt lgkmcnt(0)
	s_waitcnt_vscnt null, 0x0
	s_barrier
	buffer_gl0_inv
	s_clause 0x1
	scratch_load_b128 v[62:65], off, off offset:92
	scratch_load_b64 v[70:71], off, off offset:108
	v_mov_b32_e32 v2, 0
	ds_load_b128 v[66:69], v2 offset:224
	ds_load_b32 v3, v2 offset:240
	s_mov_b32 s0, exec_lo
	s_waitcnt vmcnt(1) lgkmcnt(1)
	v_fma_f32 v63, v63, v66, 0
	s_delay_alu instid0(VALU_DEP_1) | instskip(NEXT) | instid1(VALU_DEP_1)
	v_fmac_f32_e32 v63, v64, v67
	v_fmac_f32_e32 v63, v65, v68
	s_waitcnt vmcnt(0)
	s_delay_alu instid0(VALU_DEP_1) | instskip(SKIP_1) | instid1(VALU_DEP_1)
	v_fmac_f32_e32 v63, v70, v69
	s_waitcnt lgkmcnt(0)
	v_fmac_f32_e32 v63, v71, v3
	s_delay_alu instid0(VALU_DEP_1)
	v_sub_f32_e32 v3, v62, v63
	scratch_store_b32 off, v3, off offset:92
	v_cmpx_lt_u32_e32 22, v0
	s_cbranch_execz .LBB92_137
; %bb.136:
	scratch_load_b32 v3, off, off offset:88
	scratch_store_b32 off, v2, off offset:88
	s_waitcnt vmcnt(0)
	ds_store_b32 v1, v3
.LBB92_137:
	s_or_b32 exec_lo, exec_lo, s0
	s_waitcnt lgkmcnt(0)
	s_waitcnt_vscnt null, 0x0
	s_barrier
	buffer_gl0_inv
	s_clause 0x1
	scratch_load_b128 v[62:65], off, off offset:88
	scratch_load_b96 v[66:68], off, off offset:104
	ds_load_2addr_b32 v[69:70], v2 offset0:55 offset1:56
	ds_load_2addr_b32 v[71:72], v2 offset0:57 offset1:58
	;; [unrolled: 1-line block ×3, first 2 shown]
	s_mov_b32 s0, exec_lo
	s_waitcnt vmcnt(1) lgkmcnt(2)
	v_fma_f32 v63, v63, v69, 0
	s_delay_alu instid0(VALU_DEP_1) | instskip(SKIP_1) | instid1(VALU_DEP_1)
	v_fmac_f32_e32 v63, v64, v70
	s_waitcnt lgkmcnt(1)
	v_fmac_f32_e32 v63, v65, v71
	s_waitcnt vmcnt(0)
	s_delay_alu instid0(VALU_DEP_1) | instskip(SKIP_1) | instid1(VALU_DEP_1)
	v_fmac_f32_e32 v63, v66, v72
	s_waitcnt lgkmcnt(0)
	v_fmac_f32_e32 v63, v67, v2
	s_delay_alu instid0(VALU_DEP_1) | instskip(NEXT) | instid1(VALU_DEP_1)
	v_fmac_f32_e32 v63, v68, v3
	v_sub_f32_e32 v2, v62, v63
	scratch_store_b32 off, v2, off offset:88
	v_cmpx_lt_u32_e32 21, v0
	s_cbranch_execz .LBB92_139
; %bb.138:
	scratch_load_b32 v2, off, off offset:84
	v_mov_b32_e32 v3, 0
	scratch_store_b32 off, v3, off offset:84
	s_waitcnt vmcnt(0)
	ds_store_b32 v1, v2
.LBB92_139:
	s_or_b32 exec_lo, exec_lo, s0
	s_waitcnt lgkmcnt(0)
	s_waitcnt_vscnt null, 0x0
	s_barrier
	buffer_gl0_inv
	s_clause 0x1
	scratch_load_b128 v[62:65], off, off offset:84
	scratch_load_b128 v[66:69], off, off offset:100
	v_mov_b32_e32 v2, 0
	ds_load_2addr_b64 v[70:73], v2 offset0:27 offset1:28
	ds_load_b64 v[74:75], v2 offset:232
	s_mov_b32 s0, exec_lo
	s_waitcnt vmcnt(1) lgkmcnt(1)
	v_fma_f32 v3, v63, v70, 0
	s_delay_alu instid0(VALU_DEP_1) | instskip(SKIP_3) | instid1(VALU_DEP_1)
	v_fmac_f32_e32 v3, v64, v71
	ds_load_b32 v63, v2 offset:240
	v_fmac_f32_e32 v3, v65, v72
	s_waitcnt vmcnt(0)
	v_fmac_f32_e32 v3, v66, v73
	s_waitcnt lgkmcnt(1)
	s_delay_alu instid0(VALU_DEP_1) | instskip(NEXT) | instid1(VALU_DEP_1)
	v_fmac_f32_e32 v3, v67, v74
	v_fmac_f32_e32 v3, v68, v75
	s_waitcnt lgkmcnt(0)
	s_delay_alu instid0(VALU_DEP_1) | instskip(NEXT) | instid1(VALU_DEP_1)
	v_fmac_f32_e32 v3, v69, v63
	v_sub_f32_e32 v3, v62, v3
	scratch_store_b32 off, v3, off offset:84
	v_cmpx_lt_u32_e32 20, v0
	s_cbranch_execz .LBB92_141
; %bb.140:
	scratch_load_b32 v3, off, off offset:80
	scratch_store_b32 off, v2, off offset:80
	s_waitcnt vmcnt(0)
	ds_store_b32 v1, v3
.LBB92_141:
	s_or_b32 exec_lo, exec_lo, s0
	s_waitcnt lgkmcnt(0)
	s_waitcnt_vscnt null, 0x0
	s_barrier
	buffer_gl0_inv
	s_clause 0x2
	scratch_load_b128 v[62:65], off, off offset:80
	scratch_load_b128 v[66:69], off, off offset:96
	scratch_load_b32 v76, off, off offset:112
	ds_load_2addr_b32 v[70:71], v2 offset0:53 offset1:54
	ds_load_2addr_b32 v[72:73], v2 offset0:55 offset1:56
	;; [unrolled: 1-line block ×4, first 2 shown]
	s_mov_b32 s0, exec_lo
	s_waitcnt vmcnt(2) lgkmcnt(3)
	v_fma_f32 v63, v63, v70, 0
	s_delay_alu instid0(VALU_DEP_1) | instskip(SKIP_1) | instid1(VALU_DEP_1)
	v_fmac_f32_e32 v63, v64, v71
	s_waitcnt lgkmcnt(2)
	v_fmac_f32_e32 v63, v65, v72
	s_waitcnt vmcnt(1)
	s_delay_alu instid0(VALU_DEP_1) | instskip(SKIP_1) | instid1(VALU_DEP_1)
	v_fmac_f32_e32 v63, v66, v73
	s_waitcnt lgkmcnt(1)
	v_fmac_f32_e32 v63, v67, v74
	s_delay_alu instid0(VALU_DEP_1) | instskip(SKIP_1) | instid1(VALU_DEP_1)
	v_fmac_f32_e32 v63, v68, v75
	s_waitcnt lgkmcnt(0)
	v_fmac_f32_e32 v63, v69, v2
	s_waitcnt vmcnt(0)
	s_delay_alu instid0(VALU_DEP_1) | instskip(NEXT) | instid1(VALU_DEP_1)
	v_fmac_f32_e32 v63, v76, v3
	v_sub_f32_e32 v2, v62, v63
	scratch_store_b32 off, v2, off offset:80
	v_cmpx_lt_u32_e32 19, v0
	s_cbranch_execz .LBB92_143
; %bb.142:
	scratch_load_b32 v2, off, off offset:76
	v_mov_b32_e32 v3, 0
	scratch_store_b32 off, v3, off offset:76
	s_waitcnt vmcnt(0)
	ds_store_b32 v1, v2
.LBB92_143:
	s_or_b32 exec_lo, exec_lo, s0
	s_waitcnt lgkmcnt(0)
	s_waitcnt_vscnt null, 0x0
	s_barrier
	buffer_gl0_inv
	s_clause 0x2
	scratch_load_b128 v[62:65], off, off offset:76
	scratch_load_b128 v[66:69], off, off offset:92
	scratch_load_b64 v[78:79], off, off offset:108
	v_mov_b32_e32 v2, 0
	ds_load_b128 v[70:73], v2 offset:208
	ds_load_b128 v[74:77], v2 offset:224
	s_mov_b32 s0, exec_lo
	s_waitcnt vmcnt(2) lgkmcnt(1)
	v_fma_f32 v3, v63, v70, 0
	s_delay_alu instid0(VALU_DEP_1) | instskip(SKIP_3) | instid1(VALU_DEP_1)
	v_fmac_f32_e32 v3, v64, v71
	ds_load_b32 v63, v2 offset:240
	v_fmac_f32_e32 v3, v65, v72
	s_waitcnt vmcnt(1)
	v_fmac_f32_e32 v3, v66, v73
	s_waitcnt lgkmcnt(1)
	s_delay_alu instid0(VALU_DEP_1) | instskip(NEXT) | instid1(VALU_DEP_1)
	v_fmac_f32_e32 v3, v67, v74
	v_fmac_f32_e32 v3, v68, v75
	s_delay_alu instid0(VALU_DEP_1) | instskip(SKIP_1) | instid1(VALU_DEP_1)
	v_fmac_f32_e32 v3, v69, v76
	s_waitcnt vmcnt(0)
	v_fmac_f32_e32 v3, v78, v77
	s_waitcnt lgkmcnt(0)
	s_delay_alu instid0(VALU_DEP_1) | instskip(NEXT) | instid1(VALU_DEP_1)
	v_fmac_f32_e32 v3, v79, v63
	v_sub_f32_e32 v3, v62, v3
	scratch_store_b32 off, v3, off offset:76
	v_cmpx_lt_u32_e32 18, v0
	s_cbranch_execz .LBB92_145
; %bb.144:
	scratch_load_b32 v3, off, off offset:72
	scratch_store_b32 off, v2, off offset:72
	s_waitcnt vmcnt(0)
	ds_store_b32 v1, v3
.LBB92_145:
	s_or_b32 exec_lo, exec_lo, s0
	s_waitcnt lgkmcnt(0)
	s_waitcnt_vscnt null, 0x0
	s_barrier
	buffer_gl0_inv
	s_clause 0x2
	scratch_load_b128 v[62:65], off, off offset:72
	scratch_load_b128 v[66:69], off, off offset:88
	scratch_load_b96 v[70:72], off, off offset:104
	ds_load_2addr_b32 v[73:74], v2 offset0:51 offset1:52
	ds_load_2addr_b32 v[75:76], v2 offset0:53 offset1:54
	;; [unrolled: 1-line block ×5, first 2 shown]
	s_mov_b32 s0, exec_lo
	s_waitcnt vmcnt(2) lgkmcnt(4)
	v_fma_f32 v63, v63, v73, 0
	s_delay_alu instid0(VALU_DEP_1) | instskip(SKIP_1) | instid1(VALU_DEP_1)
	v_fmac_f32_e32 v63, v64, v74
	s_waitcnt lgkmcnt(3)
	v_fmac_f32_e32 v63, v65, v75
	s_waitcnt vmcnt(1)
	s_delay_alu instid0(VALU_DEP_1) | instskip(SKIP_1) | instid1(VALU_DEP_1)
	v_fmac_f32_e32 v63, v66, v76
	s_waitcnt lgkmcnt(2)
	v_fmac_f32_e32 v63, v67, v77
	s_delay_alu instid0(VALU_DEP_1) | instskip(SKIP_1) | instid1(VALU_DEP_1)
	v_fmac_f32_e32 v63, v68, v78
	s_waitcnt lgkmcnt(1)
	v_fmac_f32_e32 v63, v69, v79
	s_waitcnt vmcnt(0)
	s_delay_alu instid0(VALU_DEP_1) | instskip(SKIP_1) | instid1(VALU_DEP_1)
	v_fmac_f32_e32 v63, v70, v80
	s_waitcnt lgkmcnt(0)
	v_fmac_f32_e32 v63, v71, v2
	s_delay_alu instid0(VALU_DEP_1) | instskip(NEXT) | instid1(VALU_DEP_1)
	v_fmac_f32_e32 v63, v72, v3
	v_sub_f32_e32 v2, v62, v63
	scratch_store_b32 off, v2, off offset:72
	v_cmpx_lt_u32_e32 17, v0
	s_cbranch_execz .LBB92_147
; %bb.146:
	scratch_load_b32 v2, off, off offset:68
	v_mov_b32_e32 v3, 0
	scratch_store_b32 off, v3, off offset:68
	s_waitcnt vmcnt(0)
	ds_store_b32 v1, v2
.LBB92_147:
	s_or_b32 exec_lo, exec_lo, s0
	s_waitcnt lgkmcnt(0)
	s_waitcnt_vscnt null, 0x0
	s_barrier
	buffer_gl0_inv
	s_clause 0x2
	scratch_load_b128 v[62:65], off, off offset:68
	scratch_load_b128 v[66:69], off, off offset:84
	;; [unrolled: 1-line block ×3, first 2 shown]
	v_mov_b32_e32 v2, 0
	ds_load_2addr_b64 v[74:77], v2 offset0:25 offset1:26
	ds_load_2addr_b64 v[78:81], v2 offset0:27 offset1:28
	s_mov_b32 s0, exec_lo
	s_waitcnt vmcnt(2) lgkmcnt(1)
	v_fma_f32 v3, v63, v74, 0
	s_delay_alu instid0(VALU_DEP_1)
	v_fmac_f32_e32 v3, v64, v75
	ds_load_b64 v[63:64], v2 offset:232
	v_fmac_f32_e32 v3, v65, v76
	ds_load_b32 v65, v2 offset:240
	s_waitcnt vmcnt(1)
	v_fmac_f32_e32 v3, v66, v77
	s_waitcnt lgkmcnt(2)
	s_delay_alu instid0(VALU_DEP_1) | instskip(NEXT) | instid1(VALU_DEP_1)
	v_fmac_f32_e32 v3, v67, v78
	v_fmac_f32_e32 v3, v68, v79
	s_delay_alu instid0(VALU_DEP_1) | instskip(SKIP_1) | instid1(VALU_DEP_1)
	v_fmac_f32_e32 v3, v69, v80
	s_waitcnt vmcnt(0)
	v_fmac_f32_e32 v3, v70, v81
	s_waitcnt lgkmcnt(1)
	s_delay_alu instid0(VALU_DEP_1) | instskip(NEXT) | instid1(VALU_DEP_1)
	v_fmac_f32_e32 v3, v71, v63
	v_fmac_f32_e32 v3, v72, v64
	s_waitcnt lgkmcnt(0)
	s_delay_alu instid0(VALU_DEP_1) | instskip(NEXT) | instid1(VALU_DEP_1)
	v_fmac_f32_e32 v3, v73, v65
	v_sub_f32_e32 v3, v62, v3
	scratch_store_b32 off, v3, off offset:68
	v_cmpx_lt_u32_e32 16, v0
	s_cbranch_execz .LBB92_149
; %bb.148:
	scratch_load_b32 v3, off, off offset:64
	scratch_store_b32 off, v2, off offset:64
	s_waitcnt vmcnt(0)
	ds_store_b32 v1, v3
.LBB92_149:
	s_or_b32 exec_lo, exec_lo, s0
	s_waitcnt lgkmcnt(0)
	s_waitcnt_vscnt null, 0x0
	s_barrier
	buffer_gl0_inv
	s_clause 0x3
	scratch_load_b128 v[62:65], off, off offset:64
	scratch_load_b128 v[66:69], off, off offset:80
	;; [unrolled: 1-line block ×3, first 2 shown]
	scratch_load_b32 v82, off, off offset:112
	ds_load_2addr_b32 v[74:75], v2 offset0:49 offset1:50
	ds_load_2addr_b32 v[76:77], v2 offset0:51 offset1:52
	;; [unrolled: 1-line block ×4, first 2 shown]
	s_mov_b32 s0, exec_lo
	s_waitcnt vmcnt(3) lgkmcnt(3)
	v_fma_f32 v74, v63, v74, 0
	s_delay_alu instid0(VALU_DEP_1)
	v_fmac_f32_e32 v74, v64, v75
	ds_load_2addr_b32 v[63:64], v2 offset0:57 offset1:58
	ds_load_2addr_b32 v[2:3], v2 offset0:59 offset1:60
	s_waitcnt lgkmcnt(4)
	v_fmac_f32_e32 v74, v65, v76
	s_waitcnt vmcnt(2)
	s_delay_alu instid0(VALU_DEP_1) | instskip(SKIP_1) | instid1(VALU_DEP_1)
	v_fmac_f32_e32 v74, v66, v77
	s_waitcnt lgkmcnt(3)
	v_fmac_f32_e32 v74, v67, v78
	s_delay_alu instid0(VALU_DEP_1) | instskip(SKIP_1) | instid1(VALU_DEP_1)
	v_fmac_f32_e32 v74, v68, v79
	s_waitcnt lgkmcnt(2)
	v_fmac_f32_e32 v74, v69, v80
	s_waitcnt vmcnt(1)
	s_delay_alu instid0(VALU_DEP_1) | instskip(SKIP_1) | instid1(VALU_DEP_1)
	v_fmac_f32_e32 v74, v70, v81
	s_waitcnt lgkmcnt(1)
	v_fmac_f32_e32 v74, v71, v63
	s_delay_alu instid0(VALU_DEP_1) | instskip(SKIP_1) | instid1(VALU_DEP_1)
	v_fmac_f32_e32 v74, v72, v64
	s_waitcnt lgkmcnt(0)
	v_fmac_f32_e32 v74, v73, v2
	s_waitcnt vmcnt(0)
	s_delay_alu instid0(VALU_DEP_1) | instskip(NEXT) | instid1(VALU_DEP_1)
	v_fmac_f32_e32 v74, v82, v3
	v_sub_f32_e32 v2, v62, v74
	scratch_store_b32 off, v2, off offset:64
	v_cmpx_lt_u32_e32 15, v0
	s_cbranch_execz .LBB92_151
; %bb.150:
	scratch_load_b32 v2, off, off offset:60
	v_mov_b32_e32 v3, 0
	scratch_store_b32 off, v3, off offset:60
	s_waitcnt vmcnt(0)
	ds_store_b32 v1, v2
.LBB92_151:
	s_or_b32 exec_lo, exec_lo, s0
	s_waitcnt lgkmcnt(0)
	s_waitcnt_vscnt null, 0x0
	s_barrier
	buffer_gl0_inv
	s_clause 0x3
	scratch_load_b128 v[62:65], off, off offset:60
	scratch_load_b128 v[66:69], off, off offset:76
	;; [unrolled: 1-line block ×3, first 2 shown]
	scratch_load_b64 v[82:83], off, off offset:108
	v_mov_b32_e32 v2, 0
	ds_load_b128 v[74:77], v2 offset:192
	ds_load_b128 v[78:81], v2 offset:208
	s_mov_b32 s0, exec_lo
	s_waitcnt vmcnt(3) lgkmcnt(1)
	v_fma_f32 v3, v63, v74, 0
	s_delay_alu instid0(VALU_DEP_1) | instskip(NEXT) | instid1(VALU_DEP_1)
	v_fmac_f32_e32 v3, v64, v75
	v_fmac_f32_e32 v3, v65, v76
	s_waitcnt vmcnt(2)
	s_delay_alu instid0(VALU_DEP_1)
	v_fmac_f32_e32 v3, v66, v77
	ds_load_b128 v[63:66], v2 offset:224
	s_waitcnt lgkmcnt(1)
	v_fmac_f32_e32 v3, v67, v78
	ds_load_b32 v67, v2 offset:240
	v_fmac_f32_e32 v3, v68, v79
	s_delay_alu instid0(VALU_DEP_1) | instskip(SKIP_1) | instid1(VALU_DEP_1)
	v_fmac_f32_e32 v3, v69, v80
	s_waitcnt vmcnt(1)
	v_fmac_f32_e32 v3, v70, v81
	s_waitcnt lgkmcnt(1)
	s_delay_alu instid0(VALU_DEP_1) | instskip(NEXT) | instid1(VALU_DEP_1)
	v_fmac_f32_e32 v3, v71, v63
	v_fmac_f32_e32 v3, v72, v64
	s_delay_alu instid0(VALU_DEP_1) | instskip(SKIP_1) | instid1(VALU_DEP_1)
	v_fmac_f32_e32 v3, v73, v65
	s_waitcnt vmcnt(0)
	v_fmac_f32_e32 v3, v82, v66
	s_waitcnt lgkmcnt(0)
	s_delay_alu instid0(VALU_DEP_1) | instskip(NEXT) | instid1(VALU_DEP_1)
	v_fmac_f32_e32 v3, v83, v67
	v_sub_f32_e32 v3, v62, v3
	scratch_store_b32 off, v3, off offset:60
	v_cmpx_lt_u32_e32 14, v0
	s_cbranch_execz .LBB92_153
; %bb.152:
	scratch_load_b32 v3, off, off offset:56
	scratch_store_b32 off, v2, off offset:56
	s_waitcnt vmcnt(0)
	ds_store_b32 v1, v3
.LBB92_153:
	s_or_b32 exec_lo, exec_lo, s0
	s_waitcnt lgkmcnt(0)
	s_waitcnt_vscnt null, 0x0
	s_barrier
	buffer_gl0_inv
	s_clause 0x3
	scratch_load_b128 v[62:65], off, off offset:56
	scratch_load_b128 v[66:69], off, off offset:72
	;; [unrolled: 1-line block ×3, first 2 shown]
	scratch_load_b96 v[74:76], off, off offset:104
	ds_load_2addr_b32 v[77:78], v2 offset0:47 offset1:48
	ds_load_2addr_b32 v[79:80], v2 offset0:49 offset1:50
	;; [unrolled: 1-line block ×4, first 2 shown]
	s_mov_b32 s0, exec_lo
	s_waitcnt vmcnt(3) lgkmcnt(3)
	v_fma_f32 v77, v63, v77, 0
	s_delay_alu instid0(VALU_DEP_1) | instskip(SKIP_4) | instid1(VALU_DEP_1)
	v_fmac_f32_e32 v77, v64, v78
	ds_load_2addr_b32 v[63:64], v2 offset0:55 offset1:56
	s_waitcnt lgkmcnt(3)
	v_fmac_f32_e32 v77, v65, v79
	s_waitcnt vmcnt(2)
	v_fmac_f32_e32 v77, v66, v80
	ds_load_2addr_b32 v[65:66], v2 offset0:57 offset1:58
	ds_load_2addr_b32 v[2:3], v2 offset0:59 offset1:60
	s_waitcnt lgkmcnt(4)
	v_fmac_f32_e32 v77, v67, v81
	s_delay_alu instid0(VALU_DEP_1) | instskip(SKIP_1) | instid1(VALU_DEP_1)
	v_fmac_f32_e32 v77, v68, v82
	s_waitcnt lgkmcnt(3)
	v_fmac_f32_e32 v77, v69, v83
	s_waitcnt vmcnt(1)
	s_delay_alu instid0(VALU_DEP_1) | instskip(SKIP_1) | instid1(VALU_DEP_1)
	v_fmac_f32_e32 v77, v70, v84
	s_waitcnt lgkmcnt(2)
	v_fmac_f32_e32 v77, v71, v63
	s_delay_alu instid0(VALU_DEP_1) | instskip(SKIP_1) | instid1(VALU_DEP_1)
	v_fmac_f32_e32 v77, v72, v64
	s_waitcnt lgkmcnt(1)
	v_fmac_f32_e32 v77, v73, v65
	s_waitcnt vmcnt(0)
	s_delay_alu instid0(VALU_DEP_1) | instskip(SKIP_1) | instid1(VALU_DEP_1)
	v_fmac_f32_e32 v77, v74, v66
	s_waitcnt lgkmcnt(0)
	v_fmac_f32_e32 v77, v75, v2
	s_delay_alu instid0(VALU_DEP_1) | instskip(NEXT) | instid1(VALU_DEP_1)
	v_fmac_f32_e32 v77, v76, v3
	v_sub_f32_e32 v2, v62, v77
	scratch_store_b32 off, v2, off offset:56
	v_cmpx_lt_u32_e32 13, v0
	s_cbranch_execz .LBB92_155
; %bb.154:
	scratch_load_b32 v2, off, off offset:52
	v_mov_b32_e32 v3, 0
	scratch_store_b32 off, v3, off offset:52
	s_waitcnt vmcnt(0)
	ds_store_b32 v1, v2
.LBB92_155:
	s_or_b32 exec_lo, exec_lo, s0
	s_waitcnt lgkmcnt(0)
	s_waitcnt_vscnt null, 0x0
	s_barrier
	buffer_gl0_inv
	s_clause 0x3
	scratch_load_b128 v[62:65], off, off offset:52
	scratch_load_b128 v[66:69], off, off offset:68
	;; [unrolled: 1-line block ×4, first 2 shown]
	v_mov_b32_e32 v2, 0
	ds_load_2addr_b64 v[78:81], v2 offset0:23 offset1:24
	ds_load_2addr_b64 v[82:85], v2 offset0:25 offset1:26
	s_mov_b32 s0, exec_lo
	s_waitcnt vmcnt(3) lgkmcnt(1)
	v_fma_f32 v3, v63, v78, 0
	s_delay_alu instid0(VALU_DEP_1) | instskip(NEXT) | instid1(VALU_DEP_1)
	v_fmac_f32_e32 v3, v64, v79
	v_fmac_f32_e32 v3, v65, v80
	s_waitcnt vmcnt(2)
	s_delay_alu instid0(VALU_DEP_1) | instskip(SKIP_3) | instid1(VALU_DEP_1)
	v_fmac_f32_e32 v3, v66, v81
	ds_load_2addr_b64 v[63:66], v2 offset0:27 offset1:28
	s_waitcnt lgkmcnt(1)
	v_fmac_f32_e32 v3, v67, v82
	v_fmac_f32_e32 v3, v68, v83
	ds_load_b64 v[67:68], v2 offset:232
	v_fmac_f32_e32 v3, v69, v84
	s_waitcnt vmcnt(1)
	s_delay_alu instid0(VALU_DEP_1) | instskip(SKIP_1) | instid1(VALU_DEP_1)
	v_fmac_f32_e32 v3, v70, v85
	s_waitcnt lgkmcnt(1)
	v_fmac_f32_e32 v3, v71, v63
	ds_load_b32 v63, v2 offset:240
	v_fmac_f32_e32 v3, v72, v64
	s_delay_alu instid0(VALU_DEP_1) | instskip(SKIP_1) | instid1(VALU_DEP_1)
	v_fmac_f32_e32 v3, v73, v65
	s_waitcnt vmcnt(0)
	v_fmac_f32_e32 v3, v74, v66
	s_waitcnt lgkmcnt(1)
	s_delay_alu instid0(VALU_DEP_1) | instskip(NEXT) | instid1(VALU_DEP_1)
	v_fmac_f32_e32 v3, v75, v67
	v_fmac_f32_e32 v3, v76, v68
	s_waitcnt lgkmcnt(0)
	s_delay_alu instid0(VALU_DEP_1) | instskip(NEXT) | instid1(VALU_DEP_1)
	v_fmac_f32_e32 v3, v77, v63
	v_sub_f32_e32 v3, v62, v3
	scratch_store_b32 off, v3, off offset:52
	v_cmpx_lt_u32_e32 12, v0
	s_cbranch_execz .LBB92_157
; %bb.156:
	scratch_load_b32 v3, off, off offset:48
	scratch_store_b32 off, v2, off offset:48
	s_waitcnt vmcnt(0)
	ds_store_b32 v1, v3
.LBB92_157:
	s_or_b32 exec_lo, exec_lo, s0
	s_waitcnt lgkmcnt(0)
	s_waitcnt_vscnt null, 0x0
	s_barrier
	buffer_gl0_inv
	s_clause 0x4
	scratch_load_b128 v[62:65], off, off offset:48
	scratch_load_b128 v[66:69], off, off offset:64
	;; [unrolled: 1-line block ×4, first 2 shown]
	scratch_load_b32 v86, off, off offset:112
	ds_load_2addr_b32 v[78:79], v2 offset0:45 offset1:46
	ds_load_2addr_b32 v[80:81], v2 offset0:47 offset1:48
	;; [unrolled: 1-line block ×4, first 2 shown]
	s_mov_b32 s0, exec_lo
	s_waitcnt vmcnt(4) lgkmcnt(3)
	v_fma_f32 v78, v63, v78, 0
	s_delay_alu instid0(VALU_DEP_1) | instskip(SKIP_4) | instid1(VALU_DEP_1)
	v_fmac_f32_e32 v78, v64, v79
	ds_load_2addr_b32 v[63:64], v2 offset0:53 offset1:54
	s_waitcnt lgkmcnt(3)
	v_fmac_f32_e32 v78, v65, v80
	s_waitcnt vmcnt(3)
	v_fmac_f32_e32 v78, v66, v81
	ds_load_2addr_b32 v[65:66], v2 offset0:55 offset1:56
	s_waitcnt lgkmcnt(3)
	v_fmac_f32_e32 v78, v67, v82
	s_delay_alu instid0(VALU_DEP_1)
	v_fmac_f32_e32 v78, v68, v83
	ds_load_2addr_b32 v[67:68], v2 offset0:57 offset1:58
	ds_load_2addr_b32 v[2:3], v2 offset0:59 offset1:60
	s_waitcnt lgkmcnt(4)
	v_fmac_f32_e32 v78, v69, v84
	s_waitcnt vmcnt(2)
	s_delay_alu instid0(VALU_DEP_1) | instskip(SKIP_1) | instid1(VALU_DEP_1)
	v_fmac_f32_e32 v78, v70, v85
	s_waitcnt lgkmcnt(3)
	v_fmac_f32_e32 v78, v71, v63
	s_delay_alu instid0(VALU_DEP_1) | instskip(SKIP_1) | instid1(VALU_DEP_1)
	v_fmac_f32_e32 v78, v72, v64
	s_waitcnt lgkmcnt(2)
	v_fmac_f32_e32 v78, v73, v65
	s_waitcnt vmcnt(1)
	s_delay_alu instid0(VALU_DEP_1) | instskip(SKIP_1) | instid1(VALU_DEP_1)
	v_fmac_f32_e32 v78, v74, v66
	s_waitcnt lgkmcnt(1)
	v_fmac_f32_e32 v78, v75, v67
	s_delay_alu instid0(VALU_DEP_1) | instskip(SKIP_1) | instid1(VALU_DEP_1)
	v_fmac_f32_e32 v78, v76, v68
	s_waitcnt lgkmcnt(0)
	v_fmac_f32_e32 v78, v77, v2
	s_waitcnt vmcnt(0)
	s_delay_alu instid0(VALU_DEP_1) | instskip(NEXT) | instid1(VALU_DEP_1)
	v_fmac_f32_e32 v78, v86, v3
	v_sub_f32_e32 v2, v62, v78
	scratch_store_b32 off, v2, off offset:48
	v_cmpx_lt_u32_e32 11, v0
	s_cbranch_execz .LBB92_159
; %bb.158:
	scratch_load_b32 v2, off, off offset:44
	v_mov_b32_e32 v3, 0
	scratch_store_b32 off, v3, off offset:44
	s_waitcnt vmcnt(0)
	ds_store_b32 v1, v2
.LBB92_159:
	s_or_b32 exec_lo, exec_lo, s0
	s_waitcnt lgkmcnt(0)
	s_waitcnt_vscnt null, 0x0
	s_barrier
	buffer_gl0_inv
	s_clause 0x4
	scratch_load_b128 v[62:65], off, off offset:44
	scratch_load_b128 v[66:69], off, off offset:60
	;; [unrolled: 1-line block ×4, first 2 shown]
	scratch_load_b64 v[86:87], off, off offset:108
	v_mov_b32_e32 v2, 0
	ds_load_b128 v[78:81], v2 offset:176
	ds_load_b128 v[82:85], v2 offset:192
	s_mov_b32 s0, exec_lo
	s_waitcnt vmcnt(4) lgkmcnt(1)
	v_fma_f32 v3, v63, v78, 0
	s_delay_alu instid0(VALU_DEP_1) | instskip(NEXT) | instid1(VALU_DEP_1)
	v_fmac_f32_e32 v3, v64, v79
	v_fmac_f32_e32 v3, v65, v80
	s_waitcnt vmcnt(3)
	s_delay_alu instid0(VALU_DEP_1) | instskip(SKIP_3) | instid1(VALU_DEP_1)
	v_fmac_f32_e32 v3, v66, v81
	ds_load_b128 v[63:66], v2 offset:208
	s_waitcnt lgkmcnt(1)
	v_fmac_f32_e32 v3, v67, v82
	v_fmac_f32_e32 v3, v68, v83
	s_delay_alu instid0(VALU_DEP_1) | instskip(SKIP_1) | instid1(VALU_DEP_1)
	v_fmac_f32_e32 v3, v69, v84
	s_waitcnt vmcnt(2)
	v_fmac_f32_e32 v3, v70, v85
	ds_load_b128 v[67:70], v2 offset:224
	s_waitcnt lgkmcnt(1)
	v_fmac_f32_e32 v3, v71, v63
	ds_load_b32 v63, v2 offset:240
	v_fmac_f32_e32 v3, v72, v64
	s_delay_alu instid0(VALU_DEP_1) | instskip(SKIP_1) | instid1(VALU_DEP_1)
	v_fmac_f32_e32 v3, v73, v65
	s_waitcnt vmcnt(1)
	v_fmac_f32_e32 v3, v74, v66
	s_waitcnt lgkmcnt(1)
	s_delay_alu instid0(VALU_DEP_1) | instskip(NEXT) | instid1(VALU_DEP_1)
	v_fmac_f32_e32 v3, v75, v67
	v_fmac_f32_e32 v3, v76, v68
	s_delay_alu instid0(VALU_DEP_1) | instskip(SKIP_1) | instid1(VALU_DEP_1)
	v_fmac_f32_e32 v3, v77, v69
	s_waitcnt vmcnt(0)
	v_fmac_f32_e32 v3, v86, v70
	s_waitcnt lgkmcnt(0)
	s_delay_alu instid0(VALU_DEP_1) | instskip(NEXT) | instid1(VALU_DEP_1)
	v_fmac_f32_e32 v3, v87, v63
	v_sub_f32_e32 v3, v62, v3
	scratch_store_b32 off, v3, off offset:44
	v_cmpx_lt_u32_e32 10, v0
	s_cbranch_execz .LBB92_161
; %bb.160:
	scratch_load_b32 v3, off, off offset:40
	scratch_store_b32 off, v2, off offset:40
	s_waitcnt vmcnt(0)
	ds_store_b32 v1, v3
.LBB92_161:
	s_or_b32 exec_lo, exec_lo, s0
	s_waitcnt lgkmcnt(0)
	s_waitcnt_vscnt null, 0x0
	s_barrier
	buffer_gl0_inv
	s_clause 0x4
	scratch_load_b128 v[62:65], off, off offset:40
	scratch_load_b128 v[66:69], off, off offset:56
	;; [unrolled: 1-line block ×4, first 2 shown]
	scratch_load_b96 v[78:80], off, off offset:104
	ds_load_2addr_b32 v[81:82], v2 offset0:43 offset1:44
	ds_load_2addr_b32 v[83:84], v2 offset0:45 offset1:46
	;; [unrolled: 1-line block ×4, first 2 shown]
	s_mov_b32 s0, exec_lo
	s_waitcnt vmcnt(4) lgkmcnt(3)
	v_fma_f32 v81, v63, v81, 0
	s_delay_alu instid0(VALU_DEP_1) | instskip(SKIP_4) | instid1(VALU_DEP_1)
	v_fmac_f32_e32 v81, v64, v82
	ds_load_2addr_b32 v[63:64], v2 offset0:51 offset1:52
	s_waitcnt lgkmcnt(3)
	v_fmac_f32_e32 v81, v65, v83
	s_waitcnt vmcnt(3)
	v_fmac_f32_e32 v81, v66, v84
	ds_load_2addr_b32 v[65:66], v2 offset0:53 offset1:54
	s_waitcnt lgkmcnt(3)
	v_fmac_f32_e32 v81, v67, v85
	s_delay_alu instid0(VALU_DEP_1) | instskip(SKIP_1) | instid1(VALU_DEP_1)
	v_fmac_f32_e32 v81, v68, v86
	s_waitcnt lgkmcnt(2)
	v_fmac_f32_e32 v81, v69, v87
	s_waitcnt vmcnt(2)
	s_delay_alu instid0(VALU_DEP_1)
	v_fmac_f32_e32 v81, v70, v88
	ds_load_2addr_b32 v[67:68], v2 offset0:55 offset1:56
	ds_load_2addr_b32 v[69:70], v2 offset0:57 offset1:58
	;; [unrolled: 1-line block ×3, first 2 shown]
	s_waitcnt lgkmcnt(4)
	v_fmac_f32_e32 v81, v71, v63
	s_delay_alu instid0(VALU_DEP_1) | instskip(SKIP_1) | instid1(VALU_DEP_1)
	v_fmac_f32_e32 v81, v72, v64
	s_waitcnt lgkmcnt(3)
	v_fmac_f32_e32 v81, v73, v65
	s_waitcnt vmcnt(1)
	s_delay_alu instid0(VALU_DEP_1) | instskip(SKIP_1) | instid1(VALU_DEP_1)
	v_fmac_f32_e32 v81, v74, v66
	s_waitcnt lgkmcnt(2)
	v_fmac_f32_e32 v81, v75, v67
	s_delay_alu instid0(VALU_DEP_1) | instskip(SKIP_1) | instid1(VALU_DEP_1)
	v_fmac_f32_e32 v81, v76, v68
	s_waitcnt lgkmcnt(1)
	v_fmac_f32_e32 v81, v77, v69
	s_waitcnt vmcnt(0)
	s_delay_alu instid0(VALU_DEP_1) | instskip(SKIP_1) | instid1(VALU_DEP_1)
	v_fmac_f32_e32 v81, v78, v70
	s_waitcnt lgkmcnt(0)
	v_fmac_f32_e32 v81, v79, v2
	s_delay_alu instid0(VALU_DEP_1) | instskip(NEXT) | instid1(VALU_DEP_1)
	v_fmac_f32_e32 v81, v80, v3
	v_sub_f32_e32 v2, v62, v81
	scratch_store_b32 off, v2, off offset:40
	v_cmpx_lt_u32_e32 9, v0
	s_cbranch_execz .LBB92_163
; %bb.162:
	scratch_load_b32 v2, off, off offset:36
	v_mov_b32_e32 v3, 0
	scratch_store_b32 off, v3, off offset:36
	s_waitcnt vmcnt(0)
	ds_store_b32 v1, v2
.LBB92_163:
	s_or_b32 exec_lo, exec_lo, s0
	s_waitcnt lgkmcnt(0)
	s_waitcnt_vscnt null, 0x0
	s_barrier
	buffer_gl0_inv
	s_clause 0x4
	scratch_load_b128 v[62:65], off, off offset:36
	scratch_load_b128 v[66:69], off, off offset:52
	;; [unrolled: 1-line block ×5, first 2 shown]
	v_mov_b32_e32 v2, 0
	ds_load_2addr_b64 v[82:85], v2 offset0:21 offset1:22
	ds_load_2addr_b64 v[86:89], v2 offset0:23 offset1:24
	s_mov_b32 s0, exec_lo
	s_waitcnt vmcnt(4) lgkmcnt(1)
	v_fma_f32 v3, v63, v82, 0
	s_delay_alu instid0(VALU_DEP_1) | instskip(NEXT) | instid1(VALU_DEP_1)
	v_fmac_f32_e32 v3, v64, v83
	v_fmac_f32_e32 v3, v65, v84
	s_waitcnt vmcnt(3)
	s_delay_alu instid0(VALU_DEP_1) | instskip(SKIP_3) | instid1(VALU_DEP_1)
	v_fmac_f32_e32 v3, v66, v85
	ds_load_2addr_b64 v[63:66], v2 offset0:25 offset1:26
	s_waitcnt lgkmcnt(1)
	v_fmac_f32_e32 v3, v67, v86
	v_fmac_f32_e32 v3, v68, v87
	s_delay_alu instid0(VALU_DEP_1) | instskip(SKIP_1) | instid1(VALU_DEP_1)
	v_fmac_f32_e32 v3, v69, v88
	s_waitcnt vmcnt(2)
	v_fmac_f32_e32 v3, v70, v89
	ds_load_2addr_b64 v[67:70], v2 offset0:27 offset1:28
	s_waitcnt lgkmcnt(1)
	v_fmac_f32_e32 v3, v71, v63
	s_delay_alu instid0(VALU_DEP_1)
	v_fmac_f32_e32 v3, v72, v64
	ds_load_b64 v[63:64], v2 offset:232
	v_fmac_f32_e32 v3, v73, v65
	ds_load_b32 v65, v2 offset:240
	s_waitcnt vmcnt(1)
	v_fmac_f32_e32 v3, v74, v66
	s_waitcnt lgkmcnt(2)
	s_delay_alu instid0(VALU_DEP_1) | instskip(NEXT) | instid1(VALU_DEP_1)
	v_fmac_f32_e32 v3, v75, v67
	v_fmac_f32_e32 v3, v76, v68
	s_delay_alu instid0(VALU_DEP_1) | instskip(SKIP_1) | instid1(VALU_DEP_1)
	v_fmac_f32_e32 v3, v77, v69
	s_waitcnt vmcnt(0)
	v_fmac_f32_e32 v3, v78, v70
	s_waitcnt lgkmcnt(1)
	s_delay_alu instid0(VALU_DEP_1) | instskip(NEXT) | instid1(VALU_DEP_1)
	v_fmac_f32_e32 v3, v79, v63
	v_fmac_f32_e32 v3, v80, v64
	s_waitcnt lgkmcnt(0)
	s_delay_alu instid0(VALU_DEP_1) | instskip(NEXT) | instid1(VALU_DEP_1)
	v_fmac_f32_e32 v3, v81, v65
	v_sub_f32_e32 v3, v62, v3
	scratch_store_b32 off, v3, off offset:36
	v_cmpx_lt_u32_e32 8, v0
	s_cbranch_execz .LBB92_165
; %bb.164:
	scratch_load_b32 v3, off, off offset:32
	scratch_store_b32 off, v2, off offset:32
	s_waitcnt vmcnt(0)
	ds_store_b32 v1, v3
.LBB92_165:
	s_or_b32 exec_lo, exec_lo, s0
	s_waitcnt lgkmcnt(0)
	s_waitcnt_vscnt null, 0x0
	s_barrier
	buffer_gl0_inv
	s_clause 0x5
	scratch_load_b128 v[62:65], off, off offset:32
	scratch_load_b128 v[66:69], off, off offset:48
	;; [unrolled: 1-line block ×5, first 2 shown]
	scratch_load_b32 v90, off, off offset:112
	ds_load_2addr_b32 v[82:83], v2 offset0:41 offset1:42
	ds_load_2addr_b32 v[84:85], v2 offset0:43 offset1:44
	ds_load_2addr_b32 v[86:87], v2 offset0:45 offset1:46
	ds_load_2addr_b32 v[88:89], v2 offset0:47 offset1:48
	s_mov_b32 s0, exec_lo
	s_waitcnt vmcnt(5) lgkmcnt(3)
	v_fma_f32 v82, v63, v82, 0
	s_delay_alu instid0(VALU_DEP_1) | instskip(SKIP_4) | instid1(VALU_DEP_1)
	v_fmac_f32_e32 v82, v64, v83
	ds_load_2addr_b32 v[63:64], v2 offset0:49 offset1:50
	s_waitcnt lgkmcnt(3)
	v_fmac_f32_e32 v82, v65, v84
	s_waitcnt vmcnt(4)
	v_fmac_f32_e32 v82, v66, v85
	ds_load_2addr_b32 v[65:66], v2 offset0:51 offset1:52
	s_waitcnt lgkmcnt(3)
	v_fmac_f32_e32 v82, v67, v86
	s_delay_alu instid0(VALU_DEP_1) | instskip(SKIP_1) | instid1(VALU_DEP_1)
	v_fmac_f32_e32 v82, v68, v87
	s_waitcnt lgkmcnt(2)
	v_fmac_f32_e32 v82, v69, v88
	s_waitcnt vmcnt(3)
	s_delay_alu instid0(VALU_DEP_1) | instskip(SKIP_4) | instid1(VALU_DEP_1)
	v_fmac_f32_e32 v82, v70, v89
	ds_load_2addr_b32 v[67:68], v2 offset0:53 offset1:54
	ds_load_2addr_b32 v[69:70], v2 offset0:55 offset1:56
	s_waitcnt lgkmcnt(3)
	v_fmac_f32_e32 v82, v71, v63
	v_fmac_f32_e32 v82, v72, v64
	ds_load_2addr_b32 v[63:64], v2 offset0:57 offset1:58
	ds_load_2addr_b32 v[2:3], v2 offset0:59 offset1:60
	s_waitcnt lgkmcnt(4)
	v_fmac_f32_e32 v82, v73, v65
	s_waitcnt vmcnt(2)
	s_delay_alu instid0(VALU_DEP_1) | instskip(SKIP_1) | instid1(VALU_DEP_1)
	v_fmac_f32_e32 v82, v74, v66
	s_waitcnt lgkmcnt(3)
	v_fmac_f32_e32 v82, v75, v67
	s_delay_alu instid0(VALU_DEP_1) | instskip(SKIP_1) | instid1(VALU_DEP_1)
	v_fmac_f32_e32 v82, v76, v68
	s_waitcnt lgkmcnt(2)
	v_fmac_f32_e32 v82, v77, v69
	s_waitcnt vmcnt(1)
	s_delay_alu instid0(VALU_DEP_1) | instskip(SKIP_1) | instid1(VALU_DEP_1)
	v_fmac_f32_e32 v82, v78, v70
	s_waitcnt lgkmcnt(1)
	v_fmac_f32_e32 v82, v79, v63
	s_delay_alu instid0(VALU_DEP_1) | instskip(SKIP_1) | instid1(VALU_DEP_1)
	v_fmac_f32_e32 v82, v80, v64
	s_waitcnt lgkmcnt(0)
	v_fmac_f32_e32 v82, v81, v2
	s_waitcnt vmcnt(0)
	s_delay_alu instid0(VALU_DEP_1) | instskip(NEXT) | instid1(VALU_DEP_1)
	v_fmac_f32_e32 v82, v90, v3
	v_sub_f32_e32 v2, v62, v82
	scratch_store_b32 off, v2, off offset:32
	v_cmpx_lt_u32_e32 7, v0
	s_cbranch_execz .LBB92_167
; %bb.166:
	scratch_load_b32 v2, off, off offset:28
	v_mov_b32_e32 v3, 0
	scratch_store_b32 off, v3, off offset:28
	s_waitcnt vmcnt(0)
	ds_store_b32 v1, v2
.LBB92_167:
	s_or_b32 exec_lo, exec_lo, s0
	s_waitcnt lgkmcnt(0)
	s_waitcnt_vscnt null, 0x0
	s_barrier
	buffer_gl0_inv
	s_clause 0x5
	scratch_load_b128 v[62:65], off, off offset:28
	scratch_load_b128 v[66:69], off, off offset:44
	;; [unrolled: 1-line block ×5, first 2 shown]
	scratch_load_b64 v[90:91], off, off offset:108
	v_mov_b32_e32 v2, 0
	ds_load_b128 v[82:85], v2 offset:160
	ds_load_b128 v[86:89], v2 offset:176
	s_mov_b32 s0, exec_lo
	s_waitcnt vmcnt(5) lgkmcnt(1)
	v_fma_f32 v3, v63, v82, 0
	s_delay_alu instid0(VALU_DEP_1) | instskip(NEXT) | instid1(VALU_DEP_1)
	v_fmac_f32_e32 v3, v64, v83
	v_fmac_f32_e32 v3, v65, v84
	s_waitcnt vmcnt(4)
	s_delay_alu instid0(VALU_DEP_1) | instskip(SKIP_3) | instid1(VALU_DEP_1)
	v_fmac_f32_e32 v3, v66, v85
	ds_load_b128 v[63:66], v2 offset:192
	s_waitcnt lgkmcnt(1)
	v_fmac_f32_e32 v3, v67, v86
	v_fmac_f32_e32 v3, v68, v87
	s_delay_alu instid0(VALU_DEP_1) | instskip(SKIP_1) | instid1(VALU_DEP_1)
	v_fmac_f32_e32 v3, v69, v88
	s_waitcnt vmcnt(3)
	v_fmac_f32_e32 v3, v70, v89
	ds_load_b128 v[67:70], v2 offset:208
	s_waitcnt lgkmcnt(1)
	v_fmac_f32_e32 v3, v71, v63
	s_delay_alu instid0(VALU_DEP_1) | instskip(NEXT) | instid1(VALU_DEP_1)
	v_fmac_f32_e32 v3, v72, v64
	v_fmac_f32_e32 v3, v73, v65
	s_waitcnt vmcnt(2)
	s_delay_alu instid0(VALU_DEP_1)
	v_fmac_f32_e32 v3, v74, v66
	ds_load_b128 v[63:66], v2 offset:224
	s_waitcnt lgkmcnt(1)
	v_fmac_f32_e32 v3, v75, v67
	ds_load_b32 v67, v2 offset:240
	v_fmac_f32_e32 v3, v76, v68
	s_delay_alu instid0(VALU_DEP_1) | instskip(SKIP_1) | instid1(VALU_DEP_1)
	v_fmac_f32_e32 v3, v77, v69
	s_waitcnt vmcnt(1)
	v_fmac_f32_e32 v3, v78, v70
	s_waitcnt lgkmcnt(1)
	s_delay_alu instid0(VALU_DEP_1) | instskip(NEXT) | instid1(VALU_DEP_1)
	v_fmac_f32_e32 v3, v79, v63
	v_fmac_f32_e32 v3, v80, v64
	s_delay_alu instid0(VALU_DEP_1) | instskip(SKIP_1) | instid1(VALU_DEP_1)
	v_fmac_f32_e32 v3, v81, v65
	s_waitcnt vmcnt(0)
	v_fmac_f32_e32 v3, v90, v66
	s_waitcnt lgkmcnt(0)
	s_delay_alu instid0(VALU_DEP_1) | instskip(NEXT) | instid1(VALU_DEP_1)
	v_fmac_f32_e32 v3, v91, v67
	v_sub_f32_e32 v3, v62, v3
	scratch_store_b32 off, v3, off offset:28
	v_cmpx_lt_u32_e32 6, v0
	s_cbranch_execz .LBB92_169
; %bb.168:
	scratch_load_b32 v3, off, off offset:24
	scratch_store_b32 off, v2, off offset:24
	s_waitcnt vmcnt(0)
	ds_store_b32 v1, v3
.LBB92_169:
	s_or_b32 exec_lo, exec_lo, s0
	s_waitcnt lgkmcnt(0)
	s_waitcnt_vscnt null, 0x0
	s_barrier
	buffer_gl0_inv
	s_clause 0x5
	scratch_load_b128 v[62:65], off, off offset:24
	scratch_load_b128 v[66:69], off, off offset:40
	;; [unrolled: 1-line block ×5, first 2 shown]
	scratch_load_b96 v[82:84], off, off offset:104
	ds_load_2addr_b32 v[85:86], v2 offset0:39 offset1:40
	ds_load_2addr_b32 v[87:88], v2 offset0:41 offset1:42
	;; [unrolled: 1-line block ×4, first 2 shown]
	s_mov_b32 s0, exec_lo
	s_waitcnt vmcnt(5) lgkmcnt(3)
	v_fma_f32 v85, v63, v85, 0
	s_delay_alu instid0(VALU_DEP_1) | instskip(SKIP_4) | instid1(VALU_DEP_1)
	v_fmac_f32_e32 v85, v64, v86
	ds_load_2addr_b32 v[63:64], v2 offset0:47 offset1:48
	s_waitcnt lgkmcnt(3)
	v_fmac_f32_e32 v85, v65, v87
	s_waitcnt vmcnt(4)
	v_fmac_f32_e32 v85, v66, v88
	ds_load_2addr_b32 v[65:66], v2 offset0:49 offset1:50
	s_waitcnt lgkmcnt(3)
	v_fmac_f32_e32 v85, v67, v89
	s_delay_alu instid0(VALU_DEP_1) | instskip(SKIP_1) | instid1(VALU_DEP_1)
	v_fmac_f32_e32 v85, v68, v90
	s_waitcnt lgkmcnt(2)
	v_fmac_f32_e32 v85, v69, v91
	s_waitcnt vmcnt(3)
	s_delay_alu instid0(VALU_DEP_1) | instskip(SKIP_4) | instid1(VALU_DEP_1)
	v_fmac_f32_e32 v85, v70, v92
	ds_load_2addr_b32 v[67:68], v2 offset0:51 offset1:52
	ds_load_2addr_b32 v[69:70], v2 offset0:53 offset1:54
	s_waitcnt lgkmcnt(3)
	v_fmac_f32_e32 v85, v71, v63
	v_fmac_f32_e32 v85, v72, v64
	ds_load_2addr_b32 v[63:64], v2 offset0:55 offset1:56
	s_waitcnt lgkmcnt(3)
	v_fmac_f32_e32 v85, v73, v65
	s_waitcnt vmcnt(2)
	s_delay_alu instid0(VALU_DEP_1) | instskip(SKIP_4) | instid1(VALU_DEP_1)
	v_fmac_f32_e32 v85, v74, v66
	ds_load_2addr_b32 v[65:66], v2 offset0:57 offset1:58
	ds_load_2addr_b32 v[2:3], v2 offset0:59 offset1:60
	s_waitcnt lgkmcnt(4)
	v_fmac_f32_e32 v85, v75, v67
	v_fmac_f32_e32 v85, v76, v68
	s_waitcnt lgkmcnt(3)
	s_delay_alu instid0(VALU_DEP_1) | instskip(SKIP_1) | instid1(VALU_DEP_1)
	v_fmac_f32_e32 v85, v77, v69
	s_waitcnt vmcnt(1)
	v_fmac_f32_e32 v85, v78, v70
	s_waitcnt lgkmcnt(2)
	s_delay_alu instid0(VALU_DEP_1) | instskip(NEXT) | instid1(VALU_DEP_1)
	v_fmac_f32_e32 v85, v79, v63
	v_fmac_f32_e32 v85, v80, v64
	s_waitcnt lgkmcnt(1)
	s_delay_alu instid0(VALU_DEP_1) | instskip(SKIP_1) | instid1(VALU_DEP_1)
	v_fmac_f32_e32 v85, v81, v65
	s_waitcnt vmcnt(0)
	v_fmac_f32_e32 v85, v82, v66
	s_waitcnt lgkmcnt(0)
	s_delay_alu instid0(VALU_DEP_1) | instskip(NEXT) | instid1(VALU_DEP_1)
	v_fmac_f32_e32 v85, v83, v2
	v_fmac_f32_e32 v85, v84, v3
	s_delay_alu instid0(VALU_DEP_1)
	v_sub_f32_e32 v2, v62, v85
	scratch_store_b32 off, v2, off offset:24
	v_cmpx_lt_u32_e32 5, v0
	s_cbranch_execz .LBB92_171
; %bb.170:
	scratch_load_b32 v2, off, off offset:20
	v_mov_b32_e32 v3, 0
	scratch_store_b32 off, v3, off offset:20
	s_waitcnt vmcnt(0)
	ds_store_b32 v1, v2
.LBB92_171:
	s_or_b32 exec_lo, exec_lo, s0
	s_waitcnt lgkmcnt(0)
	s_waitcnt_vscnt null, 0x0
	s_barrier
	buffer_gl0_inv
	s_clause 0x5
	scratch_load_b128 v[62:65], off, off offset:20
	scratch_load_b128 v[66:69], off, off offset:36
	;; [unrolled: 1-line block ×6, first 2 shown]
	v_mov_b32_e32 v2, 0
	ds_load_2addr_b64 v[86:89], v2 offset0:19 offset1:20
	ds_load_2addr_b64 v[90:93], v2 offset0:21 offset1:22
	s_mov_b32 s0, exec_lo
	s_waitcnt vmcnt(5) lgkmcnt(1)
	v_fma_f32 v3, v63, v86, 0
	s_delay_alu instid0(VALU_DEP_1) | instskip(NEXT) | instid1(VALU_DEP_1)
	v_fmac_f32_e32 v3, v64, v87
	v_fmac_f32_e32 v3, v65, v88
	s_waitcnt vmcnt(4)
	s_delay_alu instid0(VALU_DEP_1) | instskip(SKIP_3) | instid1(VALU_DEP_1)
	v_fmac_f32_e32 v3, v66, v89
	ds_load_2addr_b64 v[63:66], v2 offset0:23 offset1:24
	s_waitcnt lgkmcnt(1)
	v_fmac_f32_e32 v3, v67, v90
	v_fmac_f32_e32 v3, v68, v91
	s_delay_alu instid0(VALU_DEP_1) | instskip(SKIP_1) | instid1(VALU_DEP_1)
	v_fmac_f32_e32 v3, v69, v92
	s_waitcnt vmcnt(3)
	v_fmac_f32_e32 v3, v70, v93
	ds_load_2addr_b64 v[67:70], v2 offset0:25 offset1:26
	s_waitcnt lgkmcnt(1)
	v_fmac_f32_e32 v3, v71, v63
	s_delay_alu instid0(VALU_DEP_1) | instskip(NEXT) | instid1(VALU_DEP_1)
	v_fmac_f32_e32 v3, v72, v64
	v_fmac_f32_e32 v3, v73, v65
	s_waitcnt vmcnt(2)
	s_delay_alu instid0(VALU_DEP_1) | instskip(SKIP_3) | instid1(VALU_DEP_1)
	v_fmac_f32_e32 v3, v74, v66
	ds_load_2addr_b64 v[63:66], v2 offset0:27 offset1:28
	s_waitcnt lgkmcnt(1)
	v_fmac_f32_e32 v3, v75, v67
	v_fmac_f32_e32 v3, v76, v68
	ds_load_b64 v[67:68], v2 offset:232
	v_fmac_f32_e32 v3, v77, v69
	s_waitcnt vmcnt(1)
	s_delay_alu instid0(VALU_DEP_1) | instskip(SKIP_1) | instid1(VALU_DEP_1)
	v_fmac_f32_e32 v3, v78, v70
	s_waitcnt lgkmcnt(1)
	v_fmac_f32_e32 v3, v79, v63
	ds_load_b32 v63, v2 offset:240
	v_fmac_f32_e32 v3, v80, v64
	s_delay_alu instid0(VALU_DEP_1) | instskip(SKIP_1) | instid1(VALU_DEP_1)
	v_fmac_f32_e32 v3, v81, v65
	s_waitcnt vmcnt(0)
	v_fmac_f32_e32 v3, v82, v66
	s_waitcnt lgkmcnt(1)
	s_delay_alu instid0(VALU_DEP_1) | instskip(NEXT) | instid1(VALU_DEP_1)
	v_fmac_f32_e32 v3, v83, v67
	v_fmac_f32_e32 v3, v84, v68
	s_waitcnt lgkmcnt(0)
	s_delay_alu instid0(VALU_DEP_1) | instskip(NEXT) | instid1(VALU_DEP_1)
	v_fmac_f32_e32 v3, v85, v63
	v_sub_f32_e32 v3, v62, v3
	scratch_store_b32 off, v3, off offset:20
	v_cmpx_lt_u32_e32 4, v0
	s_cbranch_execz .LBB92_173
; %bb.172:
	scratch_load_b32 v3, off, off offset:16
	scratch_store_b32 off, v2, off offset:16
	s_waitcnt vmcnt(0)
	ds_store_b32 v1, v3
.LBB92_173:
	s_or_b32 exec_lo, exec_lo, s0
	s_waitcnt lgkmcnt(0)
	s_waitcnt_vscnt null, 0x0
	s_barrier
	buffer_gl0_inv
	s_clause 0x6
	scratch_load_b128 v[62:65], off, off offset:16
	scratch_load_b128 v[66:69], off, off offset:32
	;; [unrolled: 1-line block ×6, first 2 shown]
	scratch_load_b32 v94, off, off offset:112
	ds_load_2addr_b32 v[86:87], v2 offset0:37 offset1:38
	ds_load_2addr_b32 v[88:89], v2 offset0:39 offset1:40
	;; [unrolled: 1-line block ×4, first 2 shown]
	s_mov_b32 s0, exec_lo
	s_waitcnt vmcnt(6) lgkmcnt(3)
	v_fma_f32 v86, v63, v86, 0
	s_delay_alu instid0(VALU_DEP_1) | instskip(SKIP_4) | instid1(VALU_DEP_1)
	v_fmac_f32_e32 v86, v64, v87
	ds_load_2addr_b32 v[63:64], v2 offset0:45 offset1:46
	s_waitcnt lgkmcnt(3)
	v_fmac_f32_e32 v86, v65, v88
	s_waitcnt vmcnt(5)
	v_fmac_f32_e32 v86, v66, v89
	ds_load_2addr_b32 v[65:66], v2 offset0:47 offset1:48
	s_waitcnt lgkmcnt(3)
	v_fmac_f32_e32 v86, v67, v90
	s_delay_alu instid0(VALU_DEP_1) | instskip(SKIP_1) | instid1(VALU_DEP_1)
	v_fmac_f32_e32 v86, v68, v91
	s_waitcnt lgkmcnt(2)
	v_fmac_f32_e32 v86, v69, v92
	s_waitcnt vmcnt(4)
	s_delay_alu instid0(VALU_DEP_1) | instskip(SKIP_4) | instid1(VALU_DEP_1)
	v_fmac_f32_e32 v86, v70, v93
	ds_load_2addr_b32 v[67:68], v2 offset0:49 offset1:50
	ds_load_2addr_b32 v[69:70], v2 offset0:51 offset1:52
	s_waitcnt lgkmcnt(3)
	v_fmac_f32_e32 v86, v71, v63
	v_fmac_f32_e32 v86, v72, v64
	ds_load_2addr_b32 v[63:64], v2 offset0:53 offset1:54
	s_waitcnt lgkmcnt(3)
	v_fmac_f32_e32 v86, v73, v65
	s_waitcnt vmcnt(3)
	s_delay_alu instid0(VALU_DEP_1) | instskip(SKIP_3) | instid1(VALU_DEP_1)
	v_fmac_f32_e32 v86, v74, v66
	ds_load_2addr_b32 v[65:66], v2 offset0:55 offset1:56
	s_waitcnt lgkmcnt(3)
	v_fmac_f32_e32 v86, v75, v67
	v_fmac_f32_e32 v86, v76, v68
	ds_load_2addr_b32 v[67:68], v2 offset0:57 offset1:58
	ds_load_2addr_b32 v[2:3], v2 offset0:59 offset1:60
	s_waitcnt lgkmcnt(4)
	v_fmac_f32_e32 v86, v77, v69
	s_waitcnt vmcnt(2)
	s_delay_alu instid0(VALU_DEP_1) | instskip(SKIP_1) | instid1(VALU_DEP_1)
	v_fmac_f32_e32 v86, v78, v70
	s_waitcnt lgkmcnt(3)
	v_fmac_f32_e32 v86, v79, v63
	s_delay_alu instid0(VALU_DEP_1) | instskip(SKIP_1) | instid1(VALU_DEP_1)
	v_fmac_f32_e32 v86, v80, v64
	s_waitcnt lgkmcnt(2)
	v_fmac_f32_e32 v86, v81, v65
	s_waitcnt vmcnt(1)
	s_delay_alu instid0(VALU_DEP_1) | instskip(SKIP_1) | instid1(VALU_DEP_1)
	v_fmac_f32_e32 v86, v82, v66
	s_waitcnt lgkmcnt(1)
	v_fmac_f32_e32 v86, v83, v67
	s_delay_alu instid0(VALU_DEP_1) | instskip(SKIP_1) | instid1(VALU_DEP_1)
	v_fmac_f32_e32 v86, v84, v68
	s_waitcnt lgkmcnt(0)
	v_fmac_f32_e32 v86, v85, v2
	s_waitcnt vmcnt(0)
	s_delay_alu instid0(VALU_DEP_1) | instskip(NEXT) | instid1(VALU_DEP_1)
	v_fmac_f32_e32 v86, v94, v3
	v_sub_f32_e32 v2, v62, v86
	scratch_store_b32 off, v2, off offset:16
	v_cmpx_lt_u32_e32 3, v0
	s_cbranch_execz .LBB92_175
; %bb.174:
	scratch_load_b32 v2, off, off offset:12
	v_mov_b32_e32 v3, 0
	scratch_store_b32 off, v3, off offset:12
	s_waitcnt vmcnt(0)
	ds_store_b32 v1, v2
.LBB92_175:
	s_or_b32 exec_lo, exec_lo, s0
	s_waitcnt lgkmcnt(0)
	s_waitcnt_vscnt null, 0x0
	s_barrier
	buffer_gl0_inv
	s_clause 0x6
	scratch_load_b128 v[62:65], off, off offset:12
	scratch_load_b128 v[66:69], off, off offset:28
	;; [unrolled: 1-line block ×6, first 2 shown]
	scratch_load_b64 v[94:95], off, off offset:108
	v_mov_b32_e32 v2, 0
	ds_load_b128 v[86:89], v2 offset:144
	ds_load_b128 v[90:93], v2 offset:160
	s_mov_b32 s0, exec_lo
	s_waitcnt vmcnt(6) lgkmcnt(1)
	v_fma_f32 v3, v63, v86, 0
	s_delay_alu instid0(VALU_DEP_1) | instskip(NEXT) | instid1(VALU_DEP_1)
	v_fmac_f32_e32 v3, v64, v87
	v_fmac_f32_e32 v3, v65, v88
	s_waitcnt vmcnt(5)
	s_delay_alu instid0(VALU_DEP_1) | instskip(SKIP_3) | instid1(VALU_DEP_1)
	v_fmac_f32_e32 v3, v66, v89
	ds_load_b128 v[63:66], v2 offset:176
	s_waitcnt lgkmcnt(1)
	v_fmac_f32_e32 v3, v67, v90
	v_fmac_f32_e32 v3, v68, v91
	s_delay_alu instid0(VALU_DEP_1) | instskip(SKIP_1) | instid1(VALU_DEP_1)
	v_fmac_f32_e32 v3, v69, v92
	s_waitcnt vmcnt(4)
	v_fmac_f32_e32 v3, v70, v93
	ds_load_b128 v[67:70], v2 offset:192
	s_waitcnt lgkmcnt(1)
	v_fmac_f32_e32 v3, v71, v63
	s_delay_alu instid0(VALU_DEP_1) | instskip(NEXT) | instid1(VALU_DEP_1)
	v_fmac_f32_e32 v3, v72, v64
	v_fmac_f32_e32 v3, v73, v65
	s_waitcnt vmcnt(3)
	s_delay_alu instid0(VALU_DEP_1) | instskip(SKIP_3) | instid1(VALU_DEP_1)
	v_fmac_f32_e32 v3, v74, v66
	ds_load_b128 v[63:66], v2 offset:208
	s_waitcnt lgkmcnt(1)
	v_fmac_f32_e32 v3, v75, v67
	v_fmac_f32_e32 v3, v76, v68
	s_delay_alu instid0(VALU_DEP_1) | instskip(SKIP_1) | instid1(VALU_DEP_1)
	v_fmac_f32_e32 v3, v77, v69
	s_waitcnt vmcnt(2)
	v_fmac_f32_e32 v3, v78, v70
	ds_load_b128 v[67:70], v2 offset:224
	s_waitcnt lgkmcnt(1)
	v_fmac_f32_e32 v3, v79, v63
	ds_load_b32 v63, v2 offset:240
	v_fmac_f32_e32 v3, v80, v64
	s_delay_alu instid0(VALU_DEP_1) | instskip(SKIP_1) | instid1(VALU_DEP_1)
	v_fmac_f32_e32 v3, v81, v65
	s_waitcnt vmcnt(1)
	v_fmac_f32_e32 v3, v82, v66
	s_waitcnt lgkmcnt(1)
	s_delay_alu instid0(VALU_DEP_1) | instskip(NEXT) | instid1(VALU_DEP_1)
	v_fmac_f32_e32 v3, v83, v67
	v_fmac_f32_e32 v3, v84, v68
	s_delay_alu instid0(VALU_DEP_1) | instskip(SKIP_1) | instid1(VALU_DEP_1)
	v_fmac_f32_e32 v3, v85, v69
	s_waitcnt vmcnt(0)
	v_fmac_f32_e32 v3, v94, v70
	s_waitcnt lgkmcnt(0)
	s_delay_alu instid0(VALU_DEP_1) | instskip(NEXT) | instid1(VALU_DEP_1)
	v_fmac_f32_e32 v3, v95, v63
	v_sub_f32_e32 v3, v62, v3
	scratch_store_b32 off, v3, off offset:12
	v_cmpx_lt_u32_e32 2, v0
	s_cbranch_execz .LBB92_177
; %bb.176:
	scratch_load_b32 v3, off, off offset:8
	scratch_store_b32 off, v2, off offset:8
	s_waitcnt vmcnt(0)
	ds_store_b32 v1, v3
.LBB92_177:
	s_or_b32 exec_lo, exec_lo, s0
	s_waitcnt lgkmcnt(0)
	s_waitcnt_vscnt null, 0x0
	s_barrier
	buffer_gl0_inv
	s_clause 0x6
	scratch_load_b128 v[62:65], off, off offset:8
	scratch_load_b128 v[66:69], off, off offset:24
	;; [unrolled: 1-line block ×6, first 2 shown]
	scratch_load_b96 v[86:88], off, off offset:104
	ds_load_2addr_b32 v[89:90], v2 offset0:35 offset1:36
	ds_load_2addr_b32 v[91:92], v2 offset0:37 offset1:38
	;; [unrolled: 1-line block ×4, first 2 shown]
	s_mov_b32 s0, exec_lo
	s_waitcnt vmcnt(6) lgkmcnt(3)
	v_fma_f32 v89, v63, v89, 0
	s_delay_alu instid0(VALU_DEP_1) | instskip(SKIP_4) | instid1(VALU_DEP_1)
	v_fmac_f32_e32 v89, v64, v90
	ds_load_2addr_b32 v[63:64], v2 offset0:43 offset1:44
	s_waitcnt lgkmcnt(3)
	v_fmac_f32_e32 v89, v65, v91
	s_waitcnt vmcnt(5)
	v_fmac_f32_e32 v89, v66, v92
	ds_load_2addr_b32 v[65:66], v2 offset0:45 offset1:46
	s_waitcnt lgkmcnt(3)
	v_fmac_f32_e32 v89, v67, v93
	s_delay_alu instid0(VALU_DEP_1) | instskip(SKIP_1) | instid1(VALU_DEP_1)
	v_fmac_f32_e32 v89, v68, v94
	s_waitcnt lgkmcnt(2)
	v_fmac_f32_e32 v89, v69, v95
	s_waitcnt vmcnt(4)
	s_delay_alu instid0(VALU_DEP_1) | instskip(SKIP_4) | instid1(VALU_DEP_1)
	v_fmac_f32_e32 v89, v70, v96
	ds_load_2addr_b32 v[67:68], v2 offset0:47 offset1:48
	ds_load_2addr_b32 v[69:70], v2 offset0:49 offset1:50
	s_waitcnt lgkmcnt(3)
	v_fmac_f32_e32 v89, v71, v63
	v_fmac_f32_e32 v89, v72, v64
	ds_load_2addr_b32 v[63:64], v2 offset0:51 offset1:52
	s_waitcnt lgkmcnt(3)
	v_fmac_f32_e32 v89, v73, v65
	s_waitcnt vmcnt(3)
	s_delay_alu instid0(VALU_DEP_1) | instskip(SKIP_3) | instid1(VALU_DEP_1)
	v_fmac_f32_e32 v89, v74, v66
	ds_load_2addr_b32 v[65:66], v2 offset0:53 offset1:54
	s_waitcnt lgkmcnt(3)
	v_fmac_f32_e32 v89, v75, v67
	v_fmac_f32_e32 v89, v76, v68
	s_waitcnt lgkmcnt(2)
	s_delay_alu instid0(VALU_DEP_1) | instskip(SKIP_1) | instid1(VALU_DEP_1)
	v_fmac_f32_e32 v89, v77, v69
	s_waitcnt vmcnt(2)
	v_fmac_f32_e32 v89, v78, v70
	ds_load_2addr_b32 v[67:68], v2 offset0:55 offset1:56
	ds_load_2addr_b32 v[69:70], v2 offset0:57 offset1:58
	;; [unrolled: 1-line block ×3, first 2 shown]
	s_waitcnt lgkmcnt(4)
	v_fmac_f32_e32 v89, v79, v63
	s_delay_alu instid0(VALU_DEP_1) | instskip(SKIP_1) | instid1(VALU_DEP_1)
	v_fmac_f32_e32 v89, v80, v64
	s_waitcnt lgkmcnt(3)
	v_fmac_f32_e32 v89, v81, v65
	s_waitcnt vmcnt(1)
	s_delay_alu instid0(VALU_DEP_1) | instskip(SKIP_1) | instid1(VALU_DEP_1)
	v_fmac_f32_e32 v89, v82, v66
	s_waitcnt lgkmcnt(2)
	v_fmac_f32_e32 v89, v83, v67
	s_delay_alu instid0(VALU_DEP_1) | instskip(SKIP_1) | instid1(VALU_DEP_1)
	v_fmac_f32_e32 v89, v84, v68
	s_waitcnt lgkmcnt(1)
	v_fmac_f32_e32 v89, v85, v69
	s_waitcnt vmcnt(0)
	s_delay_alu instid0(VALU_DEP_1) | instskip(SKIP_1) | instid1(VALU_DEP_1)
	v_fmac_f32_e32 v89, v86, v70
	s_waitcnt lgkmcnt(0)
	v_fmac_f32_e32 v89, v87, v2
	s_delay_alu instid0(VALU_DEP_1) | instskip(NEXT) | instid1(VALU_DEP_1)
	v_fmac_f32_e32 v89, v88, v3
	v_sub_f32_e32 v2, v62, v89
	scratch_store_b32 off, v2, off offset:8
	v_cmpx_lt_u32_e32 1, v0
	s_cbranch_execz .LBB92_179
; %bb.178:
	scratch_load_b32 v2, off, off offset:4
	v_mov_b32_e32 v3, 0
	scratch_store_b32 off, v3, off offset:4
	s_waitcnt vmcnt(0)
	ds_store_b32 v1, v2
.LBB92_179:
	s_or_b32 exec_lo, exec_lo, s0
	s_waitcnt lgkmcnt(0)
	s_waitcnt_vscnt null, 0x0
	s_barrier
	buffer_gl0_inv
	s_clause 0x6
	scratch_load_b128 v[63:66], off, off offset:4
	scratch_load_b128 v[67:70], off, off offset:20
	;; [unrolled: 1-line block ×7, first 2 shown]
	v_mov_b32_e32 v62, 0
	ds_load_2addr_b64 v[91:94], v62 offset0:17 offset1:18
	ds_load_2addr_b64 v[95:98], v62 offset0:19 offset1:20
	s_mov_b32 s0, exec_lo
	s_waitcnt vmcnt(6) lgkmcnt(1)
	v_fma_f32 v91, v64, v91, 0
	s_delay_alu instid0(VALU_DEP_1) | instskip(SKIP_3) | instid1(VALU_DEP_1)
	v_fmac_f32_e32 v91, v65, v92
	ds_load_b64 v[2:3], v62 offset:232
	v_fmac_f32_e32 v91, v66, v93
	s_waitcnt vmcnt(5)
	v_fmac_f32_e32 v91, v67, v94
	ds_load_2addr_b64 v[64:67], v62 offset0:21 offset1:22
	s_waitcnt lgkmcnt(2)
	v_fmac_f32_e32 v91, v68, v95
	s_delay_alu instid0(VALU_DEP_1) | instskip(NEXT) | instid1(VALU_DEP_1)
	v_fmac_f32_e32 v91, v69, v96
	v_fmac_f32_e32 v91, v70, v97
	s_waitcnt vmcnt(4)
	s_delay_alu instid0(VALU_DEP_1) | instskip(SKIP_3) | instid1(VALU_DEP_1)
	v_fmac_f32_e32 v91, v71, v98
	ds_load_2addr_b64 v[68:71], v62 offset0:23 offset1:24
	s_waitcnt lgkmcnt(1)
	v_fmac_f32_e32 v91, v72, v64
	v_fmac_f32_e32 v91, v73, v65
	s_delay_alu instid0(VALU_DEP_1) | instskip(SKIP_1) | instid1(VALU_DEP_1)
	v_fmac_f32_e32 v91, v74, v66
	s_waitcnt vmcnt(3)
	v_fmac_f32_e32 v91, v75, v67
	ds_load_2addr_b64 v[64:67], v62 offset0:25 offset1:26
	s_waitcnt lgkmcnt(1)
	v_fmac_f32_e32 v91, v76, v68
	s_delay_alu instid0(VALU_DEP_1) | instskip(NEXT) | instid1(VALU_DEP_1)
	v_fmac_f32_e32 v91, v77, v69
	v_fmac_f32_e32 v91, v78, v70
	s_waitcnt vmcnt(2)
	s_delay_alu instid0(VALU_DEP_1)
	v_fmac_f32_e32 v91, v79, v71
	ds_load_2addr_b64 v[68:71], v62 offset0:27 offset1:28
	s_waitcnt lgkmcnt(1)
	v_fmac_f32_e32 v91, v80, v64
	ds_load_b32 v64, v62 offset:240
	v_fmac_f32_e32 v91, v81, v65
	s_delay_alu instid0(VALU_DEP_1) | instskip(SKIP_1) | instid1(VALU_DEP_1)
	v_fmac_f32_e32 v91, v82, v66
	s_waitcnt vmcnt(1)
	v_fmac_f32_e32 v91, v83, v67
	s_waitcnt lgkmcnt(1)
	s_delay_alu instid0(VALU_DEP_1) | instskip(NEXT) | instid1(VALU_DEP_1)
	v_fmac_f32_e32 v91, v84, v68
	v_fmac_f32_e32 v91, v85, v69
	s_delay_alu instid0(VALU_DEP_1) | instskip(SKIP_1) | instid1(VALU_DEP_1)
	v_fmac_f32_e32 v91, v86, v70
	s_waitcnt vmcnt(0)
	v_fmac_f32_e32 v91, v87, v71
	s_delay_alu instid0(VALU_DEP_1) | instskip(NEXT) | instid1(VALU_DEP_1)
	v_fmac_f32_e32 v91, v88, v2
	v_fmac_f32_e32 v91, v89, v3
	s_waitcnt lgkmcnt(0)
	s_delay_alu instid0(VALU_DEP_1) | instskip(NEXT) | instid1(VALU_DEP_1)
	v_fmac_f32_e32 v91, v90, v64
	v_sub_f32_e32 v2, v63, v91
	scratch_store_b32 off, v2, off offset:4
	v_cmpx_ne_u32_e32 0, v0
	s_cbranch_execz .LBB92_181
; %bb.180:
	scratch_load_b32 v0, off, off
	scratch_store_b32 off, v62, off
	s_waitcnt vmcnt(0)
	ds_store_b32 v1, v0
.LBB92_181:
	s_or_b32 exec_lo, exec_lo, s0
	s_waitcnt lgkmcnt(0)
	s_waitcnt_vscnt null, 0x0
	s_barrier
	buffer_gl0_inv
	s_clause 0x7
	scratch_load_b128 v[63:66], off, off
	scratch_load_b128 v[67:70], off, off offset:16
	scratch_load_b128 v[71:74], off, off offset:32
	;; [unrolled: 1-line block ×6, first 2 shown]
	scratch_load_b32 v95, off, off offset:112
	ds_load_2addr_b32 v[87:88], v62 offset0:33 offset1:34
	ds_load_2addr_b32 v[89:90], v62 offset0:35 offset1:36
	;; [unrolled: 1-line block ×4, first 2 shown]
	s_and_b32 vcc_lo, exec_lo, s12
	s_waitcnt vmcnt(7) lgkmcnt(3)
	v_fma_f32 v87, v64, v87, 0
	s_delay_alu instid0(VALU_DEP_1) | instskip(SKIP_4) | instid1(VALU_DEP_1)
	v_fmac_f32_e32 v87, v65, v88
	ds_load_2addr_b32 v[64:65], v62 offset0:41 offset1:42
	s_waitcnt lgkmcnt(3)
	v_fmac_f32_e32 v87, v66, v89
	s_waitcnt vmcnt(6)
	v_fmac_f32_e32 v87, v67, v90
	ds_load_2addr_b32 v[66:67], v62 offset0:43 offset1:44
	s_waitcnt lgkmcnt(3)
	v_fmac_f32_e32 v87, v68, v91
	s_delay_alu instid0(VALU_DEP_1) | instskip(SKIP_1) | instid1(VALU_DEP_1)
	v_fmac_f32_e32 v87, v69, v92
	s_waitcnt lgkmcnt(2)
	v_fmac_f32_e32 v87, v70, v93
	s_waitcnt vmcnt(5)
	s_delay_alu instid0(VALU_DEP_1) | instskip(SKIP_4) | instid1(VALU_DEP_1)
	v_fmac_f32_e32 v87, v71, v94
	ds_load_2addr_b32 v[68:69], v62 offset0:45 offset1:46
	ds_load_2addr_b32 v[70:71], v62 offset0:47 offset1:48
	s_waitcnt lgkmcnt(3)
	v_fmac_f32_e32 v87, v72, v64
	v_fmac_f32_e32 v87, v73, v65
	ds_load_2addr_b32 v[64:65], v62 offset0:49 offset1:50
	s_waitcnt lgkmcnt(3)
	v_fmac_f32_e32 v87, v74, v66
	s_waitcnt vmcnt(4)
	s_delay_alu instid0(VALU_DEP_1) | instskip(SKIP_3) | instid1(VALU_DEP_1)
	v_fmac_f32_e32 v87, v75, v67
	ds_load_2addr_b32 v[66:67], v62 offset0:51 offset1:52
	s_waitcnt lgkmcnt(3)
	v_fmac_f32_e32 v87, v76, v68
	v_fmac_f32_e32 v87, v77, v69
	s_waitcnt lgkmcnt(2)
	s_delay_alu instid0(VALU_DEP_1) | instskip(SKIP_1) | instid1(VALU_DEP_1)
	v_fmac_f32_e32 v87, v78, v70
	s_waitcnt vmcnt(3)
	v_fmac_f32_e32 v87, v79, v71
	ds_load_2addr_b32 v[68:69], v62 offset0:53 offset1:54
	ds_load_2addr_b32 v[70:71], v62 offset0:55 offset1:56
	s_waitcnt lgkmcnt(3)
	v_fmac_f32_e32 v87, v80, v64
	s_delay_alu instid0(VALU_DEP_1) | instskip(SKIP_4) | instid1(VALU_DEP_1)
	v_fmac_f32_e32 v87, v81, v65
	ds_load_2addr_b32 v[64:65], v62 offset0:57 offset1:58
	s_waitcnt lgkmcnt(3)
	v_fmac_f32_e32 v87, v82, v66
	s_waitcnt vmcnt(2)
	v_fmac_f32_e32 v87, v83, v67
	ds_load_2addr_b32 v[66:67], v62 offset0:59 offset1:60
	s_waitcnt lgkmcnt(3)
	v_fmac_f32_e32 v87, v84, v68
	s_delay_alu instid0(VALU_DEP_1) | instskip(SKIP_1) | instid1(VALU_DEP_1)
	v_fmac_f32_e32 v87, v85, v69
	s_waitcnt lgkmcnt(2)
	v_fmac_f32_e32 v87, v86, v70
	s_waitcnt vmcnt(1)
	s_delay_alu instid0(VALU_DEP_1) | instskip(SKIP_1) | instid1(VALU_DEP_1)
	v_fmac_f32_e32 v87, v0, v71
	s_waitcnt lgkmcnt(1)
	v_fmac_f32_e32 v87, v1, v64
	s_delay_alu instid0(VALU_DEP_1) | instskip(SKIP_1) | instid1(VALU_DEP_1)
	v_fmac_f32_e32 v87, v2, v65
	s_waitcnt lgkmcnt(0)
	v_fmac_f32_e32 v87, v3, v66
	s_waitcnt vmcnt(0)
	s_delay_alu instid0(VALU_DEP_1) | instskip(NEXT) | instid1(VALU_DEP_1)
	v_fmac_f32_e32 v87, v95, v67
	v_sub_f32_e32 v0, v63, v87
	scratch_store_b32 off, v0, off
	s_cbranch_vccz .LBB92_239
; %bb.182:
	v_dual_mov_b32 v0, s2 :: v_dual_mov_b32 v1, s3
	s_mov_b32 s0, exec_lo
	flat_load_b32 v0, v[0:1] offset:108
	s_waitcnt vmcnt(0) lgkmcnt(0)
	v_cmpx_ne_u32_e32 28, v0
	s_cbranch_execz .LBB92_184
; %bb.183:
	v_lshl_add_u32 v0, v0, 2, 0
	scratch_load_b32 v1, v0, off offset:-4
	s_waitcnt vmcnt(0)
	scratch_store_b32 off, v1, off offset:108
	scratch_store_b32 v0, v3, off offset:-4
.LBB92_184:
	s_or_b32 exec_lo, exec_lo, s0
	v_dual_mov_b32 v0, s2 :: v_dual_mov_b32 v1, s3
	s_mov_b32 s0, exec_lo
	flat_load_b32 v0, v[0:1] offset:104
	s_waitcnt vmcnt(0) lgkmcnt(0)
	v_cmpx_ne_u32_e32 27, v0
	s_cbranch_execz .LBB92_186
; %bb.185:
	v_lshl_add_u32 v0, v0, 2, 0
	scratch_load_b32 v1, v0, off offset:-4
	scratch_load_b32 v2, off, off offset:104
	s_waitcnt vmcnt(1)
	scratch_store_b32 off, v1, off offset:104
	s_waitcnt vmcnt(0)
	scratch_store_b32 v0, v2, off offset:-4
.LBB92_186:
	s_or_b32 exec_lo, exec_lo, s0
	v_dual_mov_b32 v0, s2 :: v_dual_mov_b32 v1, s3
	s_mov_b32 s0, exec_lo
	flat_load_b32 v0, v[0:1] offset:100
	s_waitcnt vmcnt(0) lgkmcnt(0)
	v_cmpx_ne_u32_e32 26, v0
	s_cbranch_execz .LBB92_188
; %bb.187:
	v_lshl_add_u32 v0, v0, 2, 0
	scratch_load_b32 v1, v0, off offset:-4
	scratch_load_b32 v2, off, off offset:100
	s_waitcnt vmcnt(1)
	scratch_store_b32 off, v1, off offset:100
	s_waitcnt vmcnt(0)
	scratch_store_b32 v0, v2, off offset:-4
.LBB92_188:
	;; [unrolled: 16-line block ×26, first 2 shown]
	s_or_b32 exec_lo, exec_lo, s0
	v_dual_mov_b32 v0, s2 :: v_dual_mov_b32 v1, s3
	s_mov_b32 s0, exec_lo
	flat_load_b32 v1, v[0:1]
	scratch_load_b32 v0, off, off
	s_waitcnt vmcnt(1) lgkmcnt(0)
	v_cmpx_ne_u32_e32 1, v1
	s_cbranch_execz .LBB92_238
; %bb.237:
	v_lshl_add_u32 v1, v1, 2, 0
	scratch_load_b32 v2, v1, off offset:-4
	s_waitcnt vmcnt(0)
	scratch_store_b32 off, v2, off
	scratch_store_b32 v1, v0, off offset:-4
	scratch_load_b32 v0, off, off
.LBB92_238:
	s_or_b32 exec_lo, exec_lo, s0
.LBB92_239:
	s_clause 0x6
	scratch_load_b128 v[62:65], off, off offset:4
	scratch_load_b128 v[66:69], off, off offset:20
	;; [unrolled: 1-line block ×7, first 2 shown]
	s_waitcnt vmcnt(7)
	global_store_b32 v[4:5], v0, off
	s_waitcnt vmcnt(6)
	s_clause 0x3
	global_store_b32 v[6:7], v62, off
	global_store_b32 v[8:9], v63, off
	global_store_b32 v[10:11], v64, off
	global_store_b32 v[12:13], v65, off
	s_waitcnt vmcnt(5)
	s_clause 0x3
	global_store_b32 v[14:15], v66, off
	global_store_b32 v[16:17], v67, off
	global_store_b32 v[18:19], v68, off
	global_store_b32 v[20:21], v69, off
	s_waitcnt vmcnt(4)
	s_clause 0x3
	global_store_b32 v[22:23], v70, off
	global_store_b32 v[24:25], v71, off
	global_store_b32 v[26:27], v72, off
	global_store_b32 v[28:29], v73, off
	s_waitcnt vmcnt(3)
	s_clause 0x3
	global_store_b32 v[30:31], v74, off
	global_store_b32 v[32:33], v75, off
	global_store_b32 v[34:35], v76, off
	global_store_b32 v[36:37], v77, off
	s_waitcnt vmcnt(2)
	s_clause 0x3
	global_store_b32 v[38:39], v78, off
	global_store_b32 v[40:41], v79, off
	global_store_b32 v[42:43], v80, off
	global_store_b32 v[44:45], v81, off
	s_waitcnt vmcnt(1)
	s_clause 0x3
	global_store_b32 v[46:47], v82, off
	global_store_b32 v[48:49], v83, off
	global_store_b32 v[50:51], v84, off
	global_store_b32 v[52:53], v85, off
	s_waitcnt vmcnt(0)
	s_clause 0x3
	global_store_b32 v[54:55], v86, off
	global_store_b32 v[56:57], v87, off
	global_store_b32 v[58:59], v88, off
	global_store_b32 v[60:61], v89, off
	s_endpgm
	.section	.rodata,"a",@progbits
	.p2align	6, 0x0
	.amdhsa_kernel _ZN9rocsolver6v33100L18getri_kernel_smallILi29EfPKPfEEvT1_iilPiilS6_bb
		.amdhsa_group_segment_fixed_size 244
		.amdhsa_private_segment_fixed_size 128
		.amdhsa_kernarg_size 60
		.amdhsa_user_sgpr_count 15
		.amdhsa_user_sgpr_dispatch_ptr 0
		.amdhsa_user_sgpr_queue_ptr 0
		.amdhsa_user_sgpr_kernarg_segment_ptr 1
		.amdhsa_user_sgpr_dispatch_id 0
		.amdhsa_user_sgpr_private_segment_size 0
		.amdhsa_wavefront_size32 1
		.amdhsa_uses_dynamic_stack 0
		.amdhsa_enable_private_segment 1
		.amdhsa_system_sgpr_workgroup_id_x 1
		.amdhsa_system_sgpr_workgroup_id_y 0
		.amdhsa_system_sgpr_workgroup_id_z 0
		.amdhsa_system_sgpr_workgroup_info 0
		.amdhsa_system_vgpr_workitem_id 0
		.amdhsa_next_free_vgpr 99
		.amdhsa_next_free_sgpr 17
		.amdhsa_reserve_vcc 1
		.amdhsa_float_round_mode_32 0
		.amdhsa_float_round_mode_16_64 0
		.amdhsa_float_denorm_mode_32 3
		.amdhsa_float_denorm_mode_16_64 3
		.amdhsa_dx10_clamp 1
		.amdhsa_ieee_mode 1
		.amdhsa_fp16_overflow 0
		.amdhsa_workgroup_processor_mode 1
		.amdhsa_memory_ordered 1
		.amdhsa_forward_progress 0
		.amdhsa_shared_vgpr_count 0
		.amdhsa_exception_fp_ieee_invalid_op 0
		.amdhsa_exception_fp_denorm_src 0
		.amdhsa_exception_fp_ieee_div_zero 0
		.amdhsa_exception_fp_ieee_overflow 0
		.amdhsa_exception_fp_ieee_underflow 0
		.amdhsa_exception_fp_ieee_inexact 0
		.amdhsa_exception_int_div_zero 0
	.end_amdhsa_kernel
	.section	.text._ZN9rocsolver6v33100L18getri_kernel_smallILi29EfPKPfEEvT1_iilPiilS6_bb,"axG",@progbits,_ZN9rocsolver6v33100L18getri_kernel_smallILi29EfPKPfEEvT1_iilPiilS6_bb,comdat
.Lfunc_end92:
	.size	_ZN9rocsolver6v33100L18getri_kernel_smallILi29EfPKPfEEvT1_iilPiilS6_bb, .Lfunc_end92-_ZN9rocsolver6v33100L18getri_kernel_smallILi29EfPKPfEEvT1_iilPiilS6_bb
                                        ; -- End function
	.section	.AMDGPU.csdata,"",@progbits
; Kernel info:
; codeLenInByte = 17628
; NumSgprs: 19
; NumVgprs: 99
; ScratchSize: 128
; MemoryBound: 0
; FloatMode: 240
; IeeeMode: 1
; LDSByteSize: 244 bytes/workgroup (compile time only)
; SGPRBlocks: 2
; VGPRBlocks: 12
; NumSGPRsForWavesPerEU: 19
; NumVGPRsForWavesPerEU: 99
; Occupancy: 12
; WaveLimiterHint : 1
; COMPUTE_PGM_RSRC2:SCRATCH_EN: 1
; COMPUTE_PGM_RSRC2:USER_SGPR: 15
; COMPUTE_PGM_RSRC2:TRAP_HANDLER: 0
; COMPUTE_PGM_RSRC2:TGID_X_EN: 1
; COMPUTE_PGM_RSRC2:TGID_Y_EN: 0
; COMPUTE_PGM_RSRC2:TGID_Z_EN: 0
; COMPUTE_PGM_RSRC2:TIDIG_COMP_CNT: 0
	.section	.text._ZN9rocsolver6v33100L18getri_kernel_smallILi30EfPKPfEEvT1_iilPiilS6_bb,"axG",@progbits,_ZN9rocsolver6v33100L18getri_kernel_smallILi30EfPKPfEEvT1_iilPiilS6_bb,comdat
	.globl	_ZN9rocsolver6v33100L18getri_kernel_smallILi30EfPKPfEEvT1_iilPiilS6_bb ; -- Begin function _ZN9rocsolver6v33100L18getri_kernel_smallILi30EfPKPfEEvT1_iilPiilS6_bb
	.p2align	8
	.type	_ZN9rocsolver6v33100L18getri_kernel_smallILi30EfPKPfEEvT1_iilPiilS6_bb,@function
_ZN9rocsolver6v33100L18getri_kernel_smallILi30EfPKPfEEvT1_iilPiilS6_bb: ; @_ZN9rocsolver6v33100L18getri_kernel_smallILi30EfPKPfEEvT1_iilPiilS6_bb
; %bb.0:
	s_mov_b32 s2, exec_lo
	v_cmpx_gt_u32_e32 30, v0
	s_cbranch_execz .LBB93_128
; %bb.1:
	s_clause 0x1
	s_load_b32 s13, s[0:1], 0x38
	s_load_b64 s[2:3], s[0:1], 0x0
	s_mov_b32 s8, s15
	s_load_b128 s[4:7], s[0:1], 0x28
	s_waitcnt lgkmcnt(0)
	s_bitcmp1_b32 s13, 8
	s_cselect_b32 s12, -1, 0
	s_ashr_i32 s9, s15, 31
	s_delay_alu instid0(SALU_CYCLE_1) | instskip(NEXT) | instid1(SALU_CYCLE_1)
	s_lshl_b64 s[10:11], s[8:9], 3
	s_add_u32 s2, s2, s10
	s_addc_u32 s3, s3, s11
	s_load_b64 s[10:11], s[2:3], 0x0
	s_bfe_u32 s2, s13, 0x10008
	s_delay_alu instid0(SALU_CYCLE_1)
	s_cmp_eq_u32 s2, 0
                                        ; implicit-def: $sgpr2_sgpr3
	s_cbranch_scc1 .LBB93_3
; %bb.2:
	s_clause 0x1
	s_load_b32 s2, s[0:1], 0x20
	s_load_b64 s[14:15], s[0:1], 0x18
	s_mul_i32 s3, s8, s5
	s_mul_hi_u32 s5, s8, s4
	s_mul_i32 s16, s9, s4
	s_add_i32 s3, s5, s3
	s_mul_i32 s4, s8, s4
	s_add_i32 s5, s3, s16
	s_delay_alu instid0(SALU_CYCLE_1)
	s_lshl_b64 s[4:5], s[4:5], 2
	s_waitcnt lgkmcnt(0)
	s_ashr_i32 s3, s2, 31
	s_add_u32 s4, s14, s4
	s_addc_u32 s5, s15, s5
	s_lshl_b64 s[2:3], s[2:3], 2
	s_delay_alu instid0(SALU_CYCLE_1)
	s_add_u32 s2, s4, s2
	s_addc_u32 s3, s5, s3
.LBB93_3:
	s_load_b64 s[0:1], s[0:1], 0x8
	v_lshlrev_b32_e32 v61, 2, v0
	s_waitcnt lgkmcnt(0)
	v_add3_u32 v3, s1, s1, v0
	s_ashr_i32 s5, s0, 31
	s_mov_b32 s4, s0
	s_mov_b32 s14, s1
	s_lshl_b64 s[4:5], s[4:5], 2
	v_add_nc_u32_e32 v5, s1, v3
	v_ashrrev_i32_e32 v4, 31, v3
	s_add_u32 s4, s10, s4
	s_addc_u32 s5, s11, s5
	v_add_co_u32 v1, s0, s4, v61
	v_add_nc_u32_e32 v9, s1, v5
	v_ashrrev_i32_e32 v6, 31, v5
	s_ashr_i32 s15, s1, 31
	v_add_co_ci_u32_e64 v2, null, s5, 0, s0
	v_lshlrev_b64 v[7:8], 2, v[3:4]
	s_lshl_b64 s[10:11], s[14:15], 2
	v_add_nc_u32_e32 v13, s1, v9
	v_add_co_u32 v3, vcc_lo, v1, s10
	v_lshlrev_b64 v[11:12], 2, v[5:6]
	v_add_co_ci_u32_e32 v4, vcc_lo, s11, v2, vcc_lo
	v_add_co_u32 v5, vcc_lo, s4, v7
	v_ashrrev_i32_e32 v14, 31, v13
	v_add_nc_u32_e32 v15, s1, v13
	v_ashrrev_i32_e32 v10, 31, v9
	v_add_co_ci_u32_e32 v6, vcc_lo, s5, v8, vcc_lo
	v_add_co_u32 v7, vcc_lo, s4, v11
	v_add_co_ci_u32_e32 v8, vcc_lo, s5, v12, vcc_lo
	v_lshlrev_b64 v[11:12], 2, v[13:14]
	v_add_nc_u32_e32 v13, s1, v15
	v_lshlrev_b64 v[9:10], 2, v[9:10]
	v_ashrrev_i32_e32 v16, 31, v15
	global_load_b32 v62, v61, s[4:5]
	s_bitcmp0_b32 s13, 0
	v_ashrrev_i32_e32 v14, 31, v13
	v_add_nc_u32_e32 v17, s1, v13
	v_add_co_u32 v9, vcc_lo, s4, v9
	v_lshlrev_b64 v[15:16], 2, v[15:16]
	v_add_co_ci_u32_e32 v10, vcc_lo, s5, v10, vcc_lo
	v_add_co_u32 v11, vcc_lo, s4, v11
	v_lshlrev_b64 v[19:20], 2, v[13:14]
	v_add_nc_u32_e32 v21, s1, v17
	v_add_co_ci_u32_e32 v12, vcc_lo, s5, v12, vcc_lo
	v_add_co_u32 v13, vcc_lo, s4, v15
	v_add_co_ci_u32_e32 v14, vcc_lo, s5, v16, vcc_lo
	v_add_co_u32 v15, vcc_lo, s4, v19
	v_add_nc_u32_e32 v19, s1, v21
	v_ashrrev_i32_e32 v18, 31, v17
	v_ashrrev_i32_e32 v22, 31, v21
	v_add_co_ci_u32_e32 v16, vcc_lo, s5, v20, vcc_lo
	s_delay_alu instid0(VALU_DEP_4) | instskip(NEXT) | instid1(VALU_DEP_4)
	v_add_nc_u32_e32 v23, s1, v19
	v_lshlrev_b64 v[17:18], 2, v[17:18]
	v_ashrrev_i32_e32 v20, 31, v19
	v_lshlrev_b64 v[21:22], 2, v[21:22]
	s_delay_alu instid0(VALU_DEP_4)
	v_add_nc_u32_e32 v27, s1, v23
	v_ashrrev_i32_e32 v24, 31, v23
	v_add_co_u32 v17, vcc_lo, s4, v17
	v_lshlrev_b64 v[25:26], 2, v[19:20]
	v_add_co_ci_u32_e32 v18, vcc_lo, s5, v18, vcc_lo
	v_add_co_u32 v19, vcc_lo, s4, v21
	v_ashrrev_i32_e32 v28, 31, v27
	v_add_nc_u32_e32 v29, s1, v27
	v_add_co_ci_u32_e32 v20, vcc_lo, s5, v22, vcc_lo
	v_add_co_u32 v21, vcc_lo, s4, v25
	v_add_co_ci_u32_e32 v22, vcc_lo, s5, v26, vcc_lo
	v_lshlrev_b64 v[25:26], 2, v[27:28]
	v_add_nc_u32_e32 v27, s1, v29
	v_lshlrev_b64 v[23:24], 2, v[23:24]
	v_ashrrev_i32_e32 v30, 31, v29
	s_clause 0x7
	global_load_b32 v63, v[3:4], off
	global_load_b32 v64, v[5:6], off
	;; [unrolled: 1-line block ×8, first 2 shown]
	v_add_nc_u32_e32 v31, s1, v27
	v_ashrrev_i32_e32 v28, 31, v27
	v_add_co_u32 v23, vcc_lo, s4, v23
	v_lshlrev_b64 v[29:30], 2, v[29:30]
	s_delay_alu instid0(VALU_DEP_4)
	v_add_nc_u32_e32 v35, s1, v31
	v_add_co_ci_u32_e32 v24, vcc_lo, s5, v24, vcc_lo
	v_add_co_u32 v25, vcc_lo, s4, v25
	v_lshlrev_b64 v[33:34], 2, v[27:28]
	v_add_co_ci_u32_e32 v26, vcc_lo, s5, v26, vcc_lo
	v_add_co_u32 v27, vcc_lo, s4, v29
	v_ashrrev_i32_e32 v36, 31, v35
	v_add_co_ci_u32_e32 v28, vcc_lo, s5, v30, vcc_lo
	v_add_co_u32 v29, vcc_lo, s4, v33
	v_add_co_ci_u32_e32 v30, vcc_lo, s5, v34, vcc_lo
	s_delay_alu instid0(VALU_DEP_4) | instskip(SKIP_2) | instid1(VALU_DEP_2)
	v_lshlrev_b64 v[33:34], 2, v[35:36]
	v_add_nc_u32_e32 v35, s1, v35
	v_ashrrev_i32_e32 v32, 31, v31
	v_add_nc_u32_e32 v37, s1, v35
	s_delay_alu instid0(VALU_DEP_2) | instskip(SKIP_1) | instid1(VALU_DEP_3)
	v_lshlrev_b64 v[31:32], 2, v[31:32]
	v_ashrrev_i32_e32 v36, 31, v35
	v_add_nc_u32_e32 v39, s1, v37
	v_ashrrev_i32_e32 v38, 31, v37
	s_delay_alu instid0(VALU_DEP_4) | instskip(NEXT) | instid1(VALU_DEP_4)
	v_add_co_u32 v31, vcc_lo, s4, v31
	v_lshlrev_b64 v[35:36], 2, v[35:36]
	s_delay_alu instid0(VALU_DEP_4) | instskip(SKIP_3) | instid1(VALU_DEP_4)
	v_add_nc_u32_e32 v41, s1, v39
	v_ashrrev_i32_e32 v40, 31, v39
	v_add_co_ci_u32_e32 v32, vcc_lo, s5, v32, vcc_lo
	v_add_co_u32 v33, vcc_lo, s4, v33
	v_add_nc_u32_e32 v43, s1, v41
	v_lshlrev_b64 v[37:38], 2, v[37:38]
	v_ashrrev_i32_e32 v42, 31, v41
	v_add_co_ci_u32_e32 v34, vcc_lo, s5, v34, vcc_lo
	s_delay_alu instid0(VALU_DEP_4) | instskip(SKIP_3) | instid1(VALU_DEP_4)
	v_add_nc_u32_e32 v45, s1, v43
	v_add_co_u32 v35, vcc_lo, s4, v35
	v_lshlrev_b64 v[39:40], 2, v[39:40]
	v_ashrrev_i32_e32 v44, 31, v43
	v_add_nc_u32_e32 v47, s1, v45
	v_add_co_ci_u32_e32 v36, vcc_lo, s5, v36, vcc_lo
	v_add_co_u32 v37, vcc_lo, s4, v37
	v_lshlrev_b64 v[41:42], 2, v[41:42]
	v_ashrrev_i32_e32 v46, 31, v45
	v_add_co_ci_u32_e32 v38, vcc_lo, s5, v38, vcc_lo
	v_add_nc_u32_e32 v49, s1, v47
	v_add_co_u32 v39, vcc_lo, s4, v39
	v_lshlrev_b64 v[43:44], 2, v[43:44]
	v_ashrrev_i32_e32 v48, 31, v47
	v_add_co_ci_u32_e32 v40, vcc_lo, s5, v40, vcc_lo
	v_add_co_u32 v41, vcc_lo, s4, v41
	v_lshlrev_b64 v[45:46], 2, v[45:46]
	v_ashrrev_i32_e32 v50, 31, v49
	v_add_co_ci_u32_e32 v42, vcc_lo, s5, v42, vcc_lo
	v_add_co_u32 v43, vcc_lo, s4, v43
	v_lshlrev_b64 v[47:48], 2, v[47:48]
	v_add_nc_u32_e32 v52, s1, v49
	v_add_co_ci_u32_e32 v44, vcc_lo, s5, v44, vcc_lo
	v_add_co_u32 v45, vcc_lo, s4, v45
	v_lshlrev_b64 v[50:51], 2, v[49:50]
	v_add_co_ci_u32_e32 v46, vcc_lo, s5, v46, vcc_lo
	v_add_co_u32 v47, vcc_lo, s4, v47
	v_ashrrev_i32_e32 v53, 31, v52
	v_add_nc_u32_e32 v54, s1, v52
	v_add_co_ci_u32_e32 v48, vcc_lo, s5, v48, vcc_lo
	v_add_co_u32 v49, vcc_lo, s4, v50
	v_add_co_ci_u32_e32 v50, vcc_lo, s5, v51, vcc_lo
	v_lshlrev_b64 v[51:52], 2, v[52:53]
	v_add_nc_u32_e32 v53, s1, v54
	v_ashrrev_i32_e32 v55, 31, v54
	s_clause 0xf
	global_load_b32 v71, v[19:20], off
	global_load_b32 v72, v[21:22], off
	;; [unrolled: 1-line block ×16, first 2 shown]
	v_add_nc_u32_e32 v57, s1, v53
	v_lshlrev_b64 v[55:56], 2, v[54:55]
	v_ashrrev_i32_e32 v54, 31, v53
	v_add_co_u32 v51, vcc_lo, s4, v51
	s_delay_alu instid0(VALU_DEP_4) | instskip(SKIP_1) | instid1(VALU_DEP_4)
	v_add_nc_u32_e32 v87, s1, v57
	v_ashrrev_i32_e32 v58, 31, v57
	v_lshlrev_b64 v[59:60], 2, v[53:54]
	v_add_co_ci_u32_e32 v52, vcc_lo, s5, v52, vcc_lo
	v_add_co_u32 v53, vcc_lo, s4, v55
	v_ashrrev_i32_e32 v88, 31, v87
	v_add_co_ci_u32_e32 v54, vcc_lo, s5, v56, vcc_lo
	v_lshlrev_b64 v[57:58], 2, v[57:58]
	v_add_co_u32 v55, vcc_lo, s4, v59
	v_add_co_ci_u32_e32 v56, vcc_lo, s5, v60, vcc_lo
	v_lshlrev_b64 v[59:60], 2, v[87:88]
	s_delay_alu instid0(VALU_DEP_4) | instskip(SKIP_2) | instid1(VALU_DEP_3)
	v_add_co_u32 v57, vcc_lo, s4, v57
	v_add_co_ci_u32_e32 v58, vcc_lo, s5, v58, vcc_lo
	s_mov_b32 s1, -1
	v_add_co_u32 v59, vcc_lo, s4, v59
	s_delay_alu instid0(VALU_DEP_4)
	v_add_co_ci_u32_e32 v60, vcc_lo, s5, v60, vcc_lo
	s_clause 0x4
	global_load_b32 v87, v[51:52], off
	global_load_b32 v88, v[53:54], off
	;; [unrolled: 1-line block ×5, first 2 shown]
	s_waitcnt vmcnt(26)
	scratch_store_b128 off, v[62:65], off
	s_waitcnt vmcnt(22)
	scratch_store_b128 off, v[66:69], off offset:16
	s_waitcnt vmcnt(18)
	scratch_store_b128 off, v[70:73], off offset:32
	;; [unrolled: 2-line block ×6, first 2 shown]
	s_waitcnt vmcnt(0)
	scratch_store_b64 off, v[90:91], off offset:112
	s_cbranch_scc1 .LBB93_126
; %bb.4:
	v_cmp_eq_u32_e64 s0, 0, v0
	s_delay_alu instid0(VALU_DEP_1)
	s_and_saveexec_b32 s1, s0
	s_cbranch_execz .LBB93_6
; %bb.5:
	v_mov_b32_e32 v62, 0
	ds_store_b32 v62, v62 offset:120
.LBB93_6:
	s_or_b32 exec_lo, exec_lo, s1
	s_waitcnt lgkmcnt(0)
	s_waitcnt_vscnt null, 0x0
	s_barrier
	buffer_gl0_inv
	scratch_load_b32 v62, v61, off
	s_mov_b32 s4, exec_lo
	s_waitcnt vmcnt(0)
	v_cmpx_eq_f32_e32 0, v62
	s_cbranch_execz .LBB93_10
; %bb.7:
	v_mov_b32_e32 v62, 0
	s_mov_b32 s5, 0
	ds_load_b32 v63, v62 offset:120
	s_waitcnt lgkmcnt(0)
	v_readfirstlane_b32 s1, v63
	v_add_nc_u32_e32 v63, 1, v0
	s_delay_alu instid0(VALU_DEP_2) | instskip(NEXT) | instid1(VALU_DEP_1)
	s_cmp_eq_u32 s1, 0
	v_cmp_gt_i32_e32 vcc_lo, s1, v63
	s_cselect_b32 s10, -1, 0
	s_delay_alu instid0(SALU_CYCLE_1) | instskip(NEXT) | instid1(SALU_CYCLE_1)
	s_or_b32 s10, s10, vcc_lo
	s_and_b32 exec_lo, exec_lo, s10
	s_cbranch_execz .LBB93_10
; %bb.8:
	v_mov_b32_e32 v64, s1
.LBB93_9:                               ; =>This Inner Loop Header: Depth=1
	ds_cmpstore_rtn_b32 v64, v62, v63, v64 offset:120
	s_waitcnt lgkmcnt(0)
	v_cmp_ne_u32_e32 vcc_lo, 0, v64
	v_cmp_le_i32_e64 s1, v64, v63
	s_delay_alu instid0(VALU_DEP_1) | instskip(NEXT) | instid1(SALU_CYCLE_1)
	s_and_b32 s1, vcc_lo, s1
	s_and_b32 s1, exec_lo, s1
	s_delay_alu instid0(SALU_CYCLE_1) | instskip(NEXT) | instid1(SALU_CYCLE_1)
	s_or_b32 s5, s1, s5
	s_and_not1_b32 exec_lo, exec_lo, s5
	s_cbranch_execnz .LBB93_9
.LBB93_10:
	s_or_b32 exec_lo, exec_lo, s4
	v_mov_b32_e32 v62, 0
	s_barrier
	buffer_gl0_inv
	ds_load_b32 v63, v62 offset:120
	s_and_saveexec_b32 s1, s0
	s_cbranch_execz .LBB93_12
; %bb.11:
	s_lshl_b64 s[4:5], s[8:9], 2
	s_delay_alu instid0(SALU_CYCLE_1)
	s_add_u32 s4, s6, s4
	s_addc_u32 s5, s7, s5
	s_waitcnt lgkmcnt(0)
	global_store_b32 v62, v63, s[4:5]
.LBB93_12:
	s_or_b32 exec_lo, exec_lo, s1
	s_waitcnt lgkmcnt(0)
	v_cmp_ne_u32_e32 vcc_lo, 0, v63
	s_mov_b32 s1, 0
	s_cbranch_vccnz .LBB93_126
; %bb.13:
	v_add_nc_u32_e32 v62, 0, v61
	scratch_load_b32 v63, v62, off
	s_waitcnt vmcnt(0)
	v_div_scale_f32 v64, null, v63, v63, 1.0
	v_div_scale_f32 v67, vcc_lo, 1.0, v63, 1.0
	s_delay_alu instid0(VALU_DEP_2) | instskip(SKIP_2) | instid1(VALU_DEP_1)
	v_rcp_f32_e32 v65, v64
	s_waitcnt_depctr 0xfff
	v_fma_f32 v66, -v64, v65, 1.0
	v_fmac_f32_e32 v65, v66, v65
	s_delay_alu instid0(VALU_DEP_1) | instskip(NEXT) | instid1(VALU_DEP_1)
	v_mul_f32_e32 v66, v67, v65
	v_fma_f32 v68, -v64, v66, v67
	s_delay_alu instid0(VALU_DEP_1) | instskip(NEXT) | instid1(VALU_DEP_1)
	v_fmac_f32_e32 v66, v68, v65
	v_fma_f32 v64, -v64, v66, v67
	s_delay_alu instid0(VALU_DEP_1) | instskip(NEXT) | instid1(VALU_DEP_1)
	v_div_fmas_f32 v64, v64, v65, v66
	v_div_fixup_f32 v63, v64, v63, 1.0
	scratch_store_b32 v62, v63, off
	scratch_load_b32 v64, off, off offset:4
	v_xor_b32_e32 v65, 0x80000000, v63
	v_add_nc_u32_e32 v63, 0x80, v61
	s_waitcnt vmcnt(0)
	ds_store_2addr_b32 v61, v65, v64 offset1:32
	s_waitcnt lgkmcnt(0)
	s_waitcnt_vscnt null, 0x0
	s_barrier
	buffer_gl0_inv
	s_and_saveexec_b32 s1, s0
	s_cbranch_execz .LBB93_15
; %bb.14:
	scratch_load_b32 v64, v62, off
	ds_load_b32 v65, v63
	v_mov_b32_e32 v66, 0
	ds_load_b32 v66, v66 offset:4
	s_waitcnt vmcnt(0) lgkmcnt(1)
	v_fma_f32 v64, v64, v65, 0
	s_waitcnt lgkmcnt(0)
	s_delay_alu instid0(VALU_DEP_1)
	v_mul_f32_e32 v64, v64, v66
	scratch_store_b32 off, v64, off offset:4
.LBB93_15:
	s_or_b32 exec_lo, exec_lo, s1
	s_waitcnt_vscnt null, 0x0
	s_barrier
	buffer_gl0_inv
	scratch_load_b32 v64, off, off offset:8
	s_mov_b32 s1, exec_lo
	s_waitcnt vmcnt(0)
	ds_store_b32 v63, v64
	s_waitcnt lgkmcnt(0)
	s_barrier
	buffer_gl0_inv
	v_cmpx_gt_u32_e32 2, v0
	s_cbranch_execz .LBB93_17
; %bb.16:
	scratch_load_b32 v66, v62, off
	scratch_load_b32 v67, off, off offset:4
	ds_load_b32 v68, v63
	v_mov_b32_e32 v64, 0
	ds_load_2addr_b32 v[64:65], v64 offset0:2 offset1:33
	s_waitcnt vmcnt(1) lgkmcnt(1)
	v_fma_f32 v66, v66, v68, 0
	s_waitcnt vmcnt(0) lgkmcnt(0)
	s_delay_alu instid0(VALU_DEP_1) | instskip(NEXT) | instid1(VALU_DEP_1)
	v_fma_f32 v65, v67, v65, v66
	v_cndmask_b32_e64 v65, v66, v65, s0
	s_delay_alu instid0(VALU_DEP_1)
	v_mul_f32_e32 v64, v65, v64
	scratch_store_b32 off, v64, off offset:8
.LBB93_17:
	s_or_b32 exec_lo, exec_lo, s1
	s_waitcnt_vscnt null, 0x0
	s_barrier
	buffer_gl0_inv
	scratch_load_b32 v65, off, off offset:12
	v_add_nc_u32_e32 v64, -1, v0
	s_mov_b32 s0, exec_lo
	s_waitcnt vmcnt(0)
	ds_store_b32 v63, v65
	s_waitcnt lgkmcnt(0)
	s_barrier
	buffer_gl0_inv
	v_cmpx_gt_u32_e32 3, v0
	s_cbranch_execz .LBB93_21
; %bb.18:
	v_dual_mov_b32 v65, 0 :: v_dual_add_nc_u32 v66, -1, v0
	v_add_nc_u32_e32 v67, 0x80, v61
	v_add_nc_u32_e32 v68, 0, v61
	s_mov_b32 s1, 0
.LBB93_19:                              ; =>This Inner Loop Header: Depth=1
	scratch_load_b32 v69, v68, off
	ds_load_b32 v70, v67
	v_add_nc_u32_e32 v66, 1, v66
	v_add_nc_u32_e32 v67, 4, v67
	v_add_nc_u32_e32 v68, 4, v68
	s_delay_alu instid0(VALU_DEP_3)
	v_cmp_lt_u32_e32 vcc_lo, 1, v66
	s_or_b32 s1, vcc_lo, s1
	s_waitcnt vmcnt(0) lgkmcnt(0)
	v_fmac_f32_e32 v65, v69, v70
	s_and_not1_b32 exec_lo, exec_lo, s1
	s_cbranch_execnz .LBB93_19
; %bb.20:
	s_or_b32 exec_lo, exec_lo, s1
	v_mov_b32_e32 v66, 0
	ds_load_b32 v66, v66 offset:12
	s_waitcnt lgkmcnt(0)
	v_mul_f32_e32 v65, v65, v66
	scratch_store_b32 off, v65, off offset:12
.LBB93_21:
	s_or_b32 exec_lo, exec_lo, s0
	s_waitcnt_vscnt null, 0x0
	s_barrier
	buffer_gl0_inv
	scratch_load_b32 v65, off, off offset:16
	s_mov_b32 s0, exec_lo
	s_waitcnt vmcnt(0)
	ds_store_b32 v63, v65
	s_waitcnt lgkmcnt(0)
	s_barrier
	buffer_gl0_inv
	v_cmpx_gt_u32_e32 4, v0
	s_cbranch_execz .LBB93_25
; %bb.22:
	v_dual_mov_b32 v65, 0 :: v_dual_add_nc_u32 v66, -1, v0
	v_add_nc_u32_e32 v67, 0x80, v61
	v_add_nc_u32_e32 v68, 0, v61
	s_mov_b32 s1, 0
.LBB93_23:                              ; =>This Inner Loop Header: Depth=1
	scratch_load_b32 v69, v68, off
	ds_load_b32 v70, v67
	v_add_nc_u32_e32 v66, 1, v66
	v_add_nc_u32_e32 v67, 4, v67
	v_add_nc_u32_e32 v68, 4, v68
	s_delay_alu instid0(VALU_DEP_3)
	v_cmp_lt_u32_e32 vcc_lo, 2, v66
	s_or_b32 s1, vcc_lo, s1
	s_waitcnt vmcnt(0) lgkmcnt(0)
	v_fmac_f32_e32 v65, v69, v70
	s_and_not1_b32 exec_lo, exec_lo, s1
	s_cbranch_execnz .LBB93_23
; %bb.24:
	s_or_b32 exec_lo, exec_lo, s1
	v_mov_b32_e32 v66, 0
	ds_load_b32 v66, v66 offset:16
	s_waitcnt lgkmcnt(0)
	v_mul_f32_e32 v65, v65, v66
	scratch_store_b32 off, v65, off offset:16
.LBB93_25:
	s_or_b32 exec_lo, exec_lo, s0
	s_waitcnt_vscnt null, 0x0
	s_barrier
	buffer_gl0_inv
	scratch_load_b32 v65, off, off offset:20
	;; [unrolled: 39-line block ×21, first 2 shown]
	s_mov_b32 s0, exec_lo
	s_waitcnt vmcnt(0)
	ds_store_b32 v63, v65
	s_waitcnt lgkmcnt(0)
	s_barrier
	buffer_gl0_inv
	v_cmpx_gt_u32_e32 24, v0
	s_cbranch_execz .LBB93_105
; %bb.102:
	v_dual_mov_b32 v65, 0 :: v_dual_add_nc_u32 v66, -1, v0
	v_add_nc_u32_e32 v67, 0x80, v61
	v_add_nc_u32_e32 v68, 0, v61
	s_mov_b32 s1, 0
.LBB93_103:                             ; =>This Inner Loop Header: Depth=1
	scratch_load_b32 v69, v68, off
	ds_load_b32 v70, v67
	v_add_nc_u32_e32 v66, 1, v66
	v_add_nc_u32_e32 v67, 4, v67
	v_add_nc_u32_e32 v68, 4, v68
	s_delay_alu instid0(VALU_DEP_3)
	v_cmp_lt_u32_e32 vcc_lo, 22, v66
	s_or_b32 s1, vcc_lo, s1
	s_waitcnt vmcnt(0) lgkmcnt(0)
	v_fmac_f32_e32 v65, v69, v70
	s_and_not1_b32 exec_lo, exec_lo, s1
	s_cbranch_execnz .LBB93_103
; %bb.104:
	s_or_b32 exec_lo, exec_lo, s1
	v_mov_b32_e32 v66, 0
	ds_load_b32 v66, v66 offset:96
	s_waitcnt lgkmcnt(0)
	v_mul_f32_e32 v65, v65, v66
	scratch_store_b32 off, v65, off offset:96
.LBB93_105:
	s_or_b32 exec_lo, exec_lo, s0
	s_waitcnt_vscnt null, 0x0
	s_barrier
	buffer_gl0_inv
	scratch_load_b32 v65, off, off offset:100
	s_mov_b32 s0, exec_lo
	s_waitcnt vmcnt(0)
	ds_store_b32 v63, v65
	s_waitcnt lgkmcnt(0)
	s_barrier
	buffer_gl0_inv
	v_cmpx_gt_u32_e32 25, v0
	s_cbranch_execz .LBB93_109
; %bb.106:
	v_dual_mov_b32 v65, 0 :: v_dual_add_nc_u32 v66, -1, v0
	v_add_nc_u32_e32 v67, 0x80, v61
	v_add_nc_u32_e32 v68, 0, v61
	s_mov_b32 s1, 0
.LBB93_107:                             ; =>This Inner Loop Header: Depth=1
	scratch_load_b32 v69, v68, off
	ds_load_b32 v70, v67
	v_add_nc_u32_e32 v66, 1, v66
	v_add_nc_u32_e32 v67, 4, v67
	v_add_nc_u32_e32 v68, 4, v68
	s_delay_alu instid0(VALU_DEP_3)
	v_cmp_lt_u32_e32 vcc_lo, 23, v66
	s_or_b32 s1, vcc_lo, s1
	s_waitcnt vmcnt(0) lgkmcnt(0)
	v_fmac_f32_e32 v65, v69, v70
	s_and_not1_b32 exec_lo, exec_lo, s1
	s_cbranch_execnz .LBB93_107
; %bb.108:
	s_or_b32 exec_lo, exec_lo, s1
	v_mov_b32_e32 v66, 0
	ds_load_b32 v66, v66 offset:100
	s_waitcnt lgkmcnt(0)
	v_mul_f32_e32 v65, v65, v66
	scratch_store_b32 off, v65, off offset:100
.LBB93_109:
	s_or_b32 exec_lo, exec_lo, s0
	s_waitcnt_vscnt null, 0x0
	s_barrier
	buffer_gl0_inv
	scratch_load_b32 v65, off, off offset:104
	;; [unrolled: 39-line block ×4, first 2 shown]
	s_mov_b32 s0, exec_lo
	s_waitcnt vmcnt(0)
	ds_store_b32 v63, v65
	s_waitcnt lgkmcnt(0)
	s_barrier
	buffer_gl0_inv
	v_cmpx_gt_u32_e32 28, v0
	s_cbranch_execz .LBB93_121
; %bb.118:
	v_add_nc_u32_e32 v65, -1, v0
	v_add_nc_u32_e32 v66, 0x80, v61
	v_add_nc_u32_e32 v67, 0, v61
	v_mov_b32_e32 v61, 0
	s_mov_b32 s1, 0
.LBB93_119:                             ; =>This Inner Loop Header: Depth=1
	scratch_load_b32 v68, v67, off
	ds_load_b32 v69, v66
	v_add_nc_u32_e32 v65, 1, v65
	v_add_nc_u32_e32 v66, 4, v66
	;; [unrolled: 1-line block ×3, first 2 shown]
	s_delay_alu instid0(VALU_DEP_3)
	v_cmp_lt_u32_e32 vcc_lo, 26, v65
	s_or_b32 s1, vcc_lo, s1
	s_waitcnt vmcnt(0) lgkmcnt(0)
	v_fmac_f32_e32 v61, v68, v69
	s_and_not1_b32 exec_lo, exec_lo, s1
	s_cbranch_execnz .LBB93_119
; %bb.120:
	s_or_b32 exec_lo, exec_lo, s1
	v_mov_b32_e32 v65, 0
	ds_load_b32 v65, v65 offset:112
	s_waitcnt lgkmcnt(0)
	v_mul_f32_e32 v61, v61, v65
	scratch_store_b32 off, v61, off offset:112
.LBB93_121:
	s_or_b32 exec_lo, exec_lo, s0
	s_waitcnt_vscnt null, 0x0
	s_barrier
	buffer_gl0_inv
	scratch_load_b32 v61, off, off offset:116
	s_mov_b32 s0, exec_lo
	s_waitcnt vmcnt(0)
	ds_store_b32 v63, v61
	s_waitcnt lgkmcnt(0)
	s_barrier
	buffer_gl0_inv
	v_cmpx_ne_u32_e32 29, v0
	s_cbranch_execz .LBB93_125
; %bb.122:
	v_mov_b32_e32 v61, 0
	s_mov_b32 s1, 0
.LBB93_123:                             ; =>This Inner Loop Header: Depth=1
	scratch_load_b32 v65, v62, off
	ds_load_b32 v66, v63
	v_add_nc_u32_e32 v64, 1, v64
	v_add_nc_u32_e32 v63, 4, v63
	;; [unrolled: 1-line block ×3, first 2 shown]
	s_waitcnt vmcnt(0) lgkmcnt(0)
	v_fmac_f32_e32 v61, v65, v66
	v_cmp_lt_u32_e32 vcc_lo, 27, v64
	s_or_b32 s1, vcc_lo, s1
	s_delay_alu instid0(SALU_CYCLE_1)
	s_and_not1_b32 exec_lo, exec_lo, s1
	s_cbranch_execnz .LBB93_123
; %bb.124:
	s_or_b32 exec_lo, exec_lo, s1
	v_mov_b32_e32 v62, 0
	ds_load_b32 v62, v62 offset:116
	s_waitcnt lgkmcnt(0)
	v_mul_f32_e32 v61, v61, v62
	scratch_store_b32 off, v61, off offset:116
.LBB93_125:
	s_or_b32 exec_lo, exec_lo, s0
	s_mov_b32 s1, -1
	s_waitcnt_vscnt null, 0x0
	s_barrier
	buffer_gl0_inv
.LBB93_126:
	s_and_b32 vcc_lo, exec_lo, s1
	s_cbranch_vccz .LBB93_128
; %bb.127:
	s_lshl_b64 s[0:1], s[8:9], 2
	v_mov_b32_e32 v61, 0
	s_add_u32 s0, s6, s0
	s_addc_u32 s1, s7, s1
	global_load_b32 v61, v61, s[0:1]
	s_waitcnt vmcnt(0)
	v_cmp_ne_u32_e32 vcc_lo, 0, v61
	s_cbranch_vccz .LBB93_129
.LBB93_128:
	s_endpgm
.LBB93_129:
	v_lshl_add_u32 v61, v0, 2, 0x80
	s_mov_b32 s0, exec_lo
	v_cmpx_eq_u32_e32 29, v0
	s_cbranch_execz .LBB93_131
; %bb.130:
	scratch_load_b32 v62, off, off offset:112
	v_mov_b32_e32 v63, 0
	scratch_store_b32 off, v63, off offset:112
	s_waitcnt vmcnt(0)
	ds_store_b32 v61, v62
.LBB93_131:
	s_or_b32 exec_lo, exec_lo, s0
	s_waitcnt lgkmcnt(0)
	s_waitcnt_vscnt null, 0x0
	s_barrier
	buffer_gl0_inv
	scratch_load_b64 v[63:64], off, off offset:112
	v_mov_b32_e32 v62, 0
	s_mov_b32 s0, exec_lo
	ds_load_b32 v65, v62 offset:244
	s_waitcnt vmcnt(0) lgkmcnt(0)
	v_fma_f32 v64, v64, v65, 0
	s_delay_alu instid0(VALU_DEP_1)
	v_sub_f32_e32 v63, v63, v64
	scratch_store_b32 off, v63, off offset:112
	v_cmpx_lt_u32_e32 27, v0
	s_cbranch_execz .LBB93_133
; %bb.132:
	scratch_load_b32 v63, off, off offset:108
	scratch_store_b32 off, v62, off offset:108
	s_waitcnt vmcnt(0)
	ds_store_b32 v61, v63
.LBB93_133:
	s_or_b32 exec_lo, exec_lo, s0
	s_waitcnt lgkmcnt(0)
	s_waitcnt_vscnt null, 0x0
	s_barrier
	buffer_gl0_inv
	scratch_load_b96 v[63:65], off, off offset:108
	ds_load_b64 v[66:67], v62 offset:240
	s_mov_b32 s0, exec_lo
	s_waitcnt vmcnt(0) lgkmcnt(0)
	v_fma_f32 v62, v64, v66, 0
	s_delay_alu instid0(VALU_DEP_1) | instskip(NEXT) | instid1(VALU_DEP_1)
	v_fmac_f32_e32 v62, v65, v67
	v_sub_f32_e32 v62, v63, v62
	scratch_store_b32 off, v62, off offset:108
	v_cmpx_lt_u32_e32 26, v0
	s_cbranch_execz .LBB93_135
; %bb.134:
	scratch_load_b32 v62, off, off offset:104
	v_mov_b32_e32 v63, 0
	scratch_store_b32 off, v63, off offset:104
	s_waitcnt vmcnt(0)
	ds_store_b32 v61, v62
.LBB93_135:
	s_or_b32 exec_lo, exec_lo, s0
	s_waitcnt lgkmcnt(0)
	s_waitcnt_vscnt null, 0x0
	s_barrier
	buffer_gl0_inv
	scratch_load_b128 v[63:66], off, off offset:104
	v_mov_b32_e32 v62, 0
	ds_load_2addr_b32 v[67:68], v62 offset0:59 offset1:60
	ds_load_b32 v69, v62 offset:244
	s_mov_b32 s0, exec_lo
	s_waitcnt vmcnt(0) lgkmcnt(1)
	v_fma_f32 v64, v64, v67, 0
	s_delay_alu instid0(VALU_DEP_1) | instskip(SKIP_1) | instid1(VALU_DEP_1)
	v_fmac_f32_e32 v64, v65, v68
	s_waitcnt lgkmcnt(0)
	v_fmac_f32_e32 v64, v66, v69
	s_delay_alu instid0(VALU_DEP_1)
	v_sub_f32_e32 v63, v63, v64
	scratch_store_b32 off, v63, off offset:104
	v_cmpx_lt_u32_e32 25, v0
	s_cbranch_execz .LBB93_137
; %bb.136:
	scratch_load_b32 v63, off, off offset:100
	scratch_store_b32 off, v62, off offset:100
	s_waitcnt vmcnt(0)
	ds_store_b32 v61, v63
.LBB93_137:
	s_or_b32 exec_lo, exec_lo, s0
	s_waitcnt lgkmcnt(0)
	s_waitcnt_vscnt null, 0x0
	s_barrier
	buffer_gl0_inv
	s_clause 0x1
	scratch_load_b128 v[63:66], off, off offset:100
	scratch_load_b32 v71, off, off offset:116
	ds_load_2addr_b64 v[67:70], v62 offset0:29 offset1:30
	s_mov_b32 s0, exec_lo
	s_waitcnt vmcnt(1) lgkmcnt(0)
	v_fma_f32 v62, v64, v67, 0
	s_delay_alu instid0(VALU_DEP_1) | instskip(NEXT) | instid1(VALU_DEP_1)
	v_fmac_f32_e32 v62, v65, v68
	v_fmac_f32_e32 v62, v66, v69
	s_waitcnt vmcnt(0)
	s_delay_alu instid0(VALU_DEP_1) | instskip(NEXT) | instid1(VALU_DEP_1)
	v_fmac_f32_e32 v62, v71, v70
	v_sub_f32_e32 v62, v63, v62
	scratch_store_b32 off, v62, off offset:100
	v_cmpx_lt_u32_e32 24, v0
	s_cbranch_execz .LBB93_139
; %bb.138:
	scratch_load_b32 v62, off, off offset:96
	v_mov_b32_e32 v63, 0
	scratch_store_b32 off, v63, off offset:96
	s_waitcnt vmcnt(0)
	ds_store_b32 v61, v62
.LBB93_139:
	s_or_b32 exec_lo, exec_lo, s0
	s_waitcnt lgkmcnt(0)
	s_waitcnt_vscnt null, 0x0
	s_barrier
	buffer_gl0_inv
	s_clause 0x1
	scratch_load_b128 v[63:66], off, off offset:96
	scratch_load_b64 v[67:68], off, off offset:112
	v_mov_b32_e32 v62, 0
	ds_load_2addr_b32 v[69:70], v62 offset0:57 offset1:58
	ds_load_2addr_b32 v[71:72], v62 offset0:59 offset1:60
	ds_load_b32 v73, v62 offset:244
	s_mov_b32 s0, exec_lo
	s_waitcnt vmcnt(1) lgkmcnt(2)
	v_fma_f32 v64, v64, v69, 0
	s_delay_alu instid0(VALU_DEP_1) | instskip(SKIP_1) | instid1(VALU_DEP_1)
	v_fmac_f32_e32 v64, v65, v70
	s_waitcnt lgkmcnt(1)
	v_fmac_f32_e32 v64, v66, v71
	s_waitcnt vmcnt(0)
	s_delay_alu instid0(VALU_DEP_1) | instskip(SKIP_1) | instid1(VALU_DEP_1)
	v_fmac_f32_e32 v64, v67, v72
	s_waitcnt lgkmcnt(0)
	v_fmac_f32_e32 v64, v68, v73
	s_delay_alu instid0(VALU_DEP_1)
	v_sub_f32_e32 v63, v63, v64
	scratch_store_b32 off, v63, off offset:96
	v_cmpx_lt_u32_e32 23, v0
	s_cbranch_execz .LBB93_141
; %bb.140:
	scratch_load_b32 v63, off, off offset:92
	scratch_store_b32 off, v62, off offset:92
	s_waitcnt vmcnt(0)
	ds_store_b32 v61, v63
.LBB93_141:
	s_or_b32 exec_lo, exec_lo, s0
	s_waitcnt lgkmcnt(0)
	s_waitcnt_vscnt null, 0x0
	s_barrier
	buffer_gl0_inv
	s_clause 0x1
	scratch_load_b128 v[63:66], off, off offset:92
	scratch_load_b96 v[71:73], off, off offset:108
	ds_load_b128 v[67:70], v62 offset:224
	ds_load_b64 v[74:75], v62 offset:240
	s_mov_b32 s0, exec_lo
	s_waitcnt vmcnt(1) lgkmcnt(1)
	v_fma_f32 v62, v64, v67, 0
	s_delay_alu instid0(VALU_DEP_1) | instskip(NEXT) | instid1(VALU_DEP_1)
	v_fmac_f32_e32 v62, v65, v68
	v_fmac_f32_e32 v62, v66, v69
	s_waitcnt vmcnt(0)
	s_delay_alu instid0(VALU_DEP_1) | instskip(SKIP_1) | instid1(VALU_DEP_1)
	v_fmac_f32_e32 v62, v71, v70
	s_waitcnt lgkmcnt(0)
	v_fmac_f32_e32 v62, v72, v74
	s_delay_alu instid0(VALU_DEP_1) | instskip(NEXT) | instid1(VALU_DEP_1)
	v_fmac_f32_e32 v62, v73, v75
	v_sub_f32_e32 v62, v63, v62
	scratch_store_b32 off, v62, off offset:92
	v_cmpx_lt_u32_e32 22, v0
	s_cbranch_execz .LBB93_143
; %bb.142:
	scratch_load_b32 v62, off, off offset:88
	v_mov_b32_e32 v63, 0
	scratch_store_b32 off, v63, off offset:88
	s_waitcnt vmcnt(0)
	ds_store_b32 v61, v62
.LBB93_143:
	s_or_b32 exec_lo, exec_lo, s0
	s_waitcnt lgkmcnt(0)
	s_waitcnt_vscnt null, 0x0
	s_barrier
	buffer_gl0_inv
	s_clause 0x1
	scratch_load_b128 v[63:66], off, off offset:88
	scratch_load_b128 v[67:70], off, off offset:104
	v_mov_b32_e32 v62, 0
	ds_load_2addr_b32 v[71:72], v62 offset0:55 offset1:56
	ds_load_2addr_b32 v[73:74], v62 offset0:57 offset1:58
	;; [unrolled: 1-line block ×3, first 2 shown]
	ds_load_b32 v77, v62 offset:244
	s_mov_b32 s0, exec_lo
	s_waitcnt vmcnt(1) lgkmcnt(3)
	v_fma_f32 v64, v64, v71, 0
	s_delay_alu instid0(VALU_DEP_1) | instskip(SKIP_1) | instid1(VALU_DEP_1)
	v_fmac_f32_e32 v64, v65, v72
	s_waitcnt lgkmcnt(2)
	v_fmac_f32_e32 v64, v66, v73
	s_waitcnt vmcnt(0)
	s_delay_alu instid0(VALU_DEP_1) | instskip(SKIP_1) | instid1(VALU_DEP_1)
	v_fmac_f32_e32 v64, v67, v74
	s_waitcnt lgkmcnt(1)
	v_fmac_f32_e32 v64, v68, v75
	s_delay_alu instid0(VALU_DEP_1) | instskip(SKIP_1) | instid1(VALU_DEP_1)
	v_fmac_f32_e32 v64, v69, v76
	s_waitcnt lgkmcnt(0)
	v_fmac_f32_e32 v64, v70, v77
	s_delay_alu instid0(VALU_DEP_1)
	v_sub_f32_e32 v63, v63, v64
	scratch_store_b32 off, v63, off offset:88
	v_cmpx_lt_u32_e32 21, v0
	s_cbranch_execz .LBB93_145
; %bb.144:
	scratch_load_b32 v63, off, off offset:84
	scratch_store_b32 off, v62, off offset:84
	s_waitcnt vmcnt(0)
	ds_store_b32 v61, v63
.LBB93_145:
	s_or_b32 exec_lo, exec_lo, s0
	s_waitcnt lgkmcnt(0)
	s_waitcnt_vscnt null, 0x0
	s_barrier
	buffer_gl0_inv
	s_clause 0x2
	scratch_load_b128 v[63:66], off, off offset:84
	scratch_load_b128 v[67:70], off, off offset:100
	scratch_load_b32 v79, off, off offset:116
	ds_load_2addr_b64 v[71:74], v62 offset0:27 offset1:28
	ds_load_2addr_b64 v[75:78], v62 offset0:29 offset1:30
	s_mov_b32 s0, exec_lo
	s_waitcnt vmcnt(2) lgkmcnt(1)
	v_fma_f32 v62, v64, v71, 0
	s_delay_alu instid0(VALU_DEP_1) | instskip(NEXT) | instid1(VALU_DEP_1)
	v_fmac_f32_e32 v62, v65, v72
	v_fmac_f32_e32 v62, v66, v73
	s_waitcnt vmcnt(1)
	s_delay_alu instid0(VALU_DEP_1) | instskip(SKIP_1) | instid1(VALU_DEP_1)
	v_fmac_f32_e32 v62, v67, v74
	s_waitcnt lgkmcnt(0)
	v_fmac_f32_e32 v62, v68, v75
	s_delay_alu instid0(VALU_DEP_1) | instskip(NEXT) | instid1(VALU_DEP_1)
	v_fmac_f32_e32 v62, v69, v76
	v_fmac_f32_e32 v62, v70, v77
	s_waitcnt vmcnt(0)
	s_delay_alu instid0(VALU_DEP_1) | instskip(NEXT) | instid1(VALU_DEP_1)
	v_fmac_f32_e32 v62, v79, v78
	v_sub_f32_e32 v62, v63, v62
	scratch_store_b32 off, v62, off offset:84
	v_cmpx_lt_u32_e32 20, v0
	s_cbranch_execz .LBB93_147
; %bb.146:
	scratch_load_b32 v62, off, off offset:80
	v_mov_b32_e32 v63, 0
	scratch_store_b32 off, v63, off offset:80
	s_waitcnt vmcnt(0)
	ds_store_b32 v61, v62
.LBB93_147:
	s_or_b32 exec_lo, exec_lo, s0
	s_waitcnt lgkmcnt(0)
	s_waitcnt_vscnt null, 0x0
	s_barrier
	buffer_gl0_inv
	s_clause 0x2
	scratch_load_b128 v[63:66], off, off offset:80
	scratch_load_b128 v[67:70], off, off offset:96
	scratch_load_b64 v[71:72], off, off offset:112
	v_mov_b32_e32 v62, 0
	ds_load_2addr_b32 v[73:74], v62 offset0:53 offset1:54
	ds_load_2addr_b32 v[75:76], v62 offset0:55 offset1:56
	;; [unrolled: 1-line block ×4, first 2 shown]
	s_mov_b32 s0, exec_lo
	s_waitcnt vmcnt(2) lgkmcnt(3)
	v_fma_f32 v64, v64, v73, 0
	s_delay_alu instid0(VALU_DEP_1) | instskip(SKIP_4) | instid1(VALU_DEP_1)
	v_fmac_f32_e32 v64, v65, v74
	ds_load_b32 v65, v62 offset:244
	s_waitcnt lgkmcnt(3)
	v_fmac_f32_e32 v64, v66, v75
	s_waitcnt vmcnt(1)
	v_fmac_f32_e32 v64, v67, v76
	s_waitcnt lgkmcnt(2)
	s_delay_alu instid0(VALU_DEP_1) | instskip(NEXT) | instid1(VALU_DEP_1)
	v_fmac_f32_e32 v64, v68, v77
	v_fmac_f32_e32 v64, v69, v78
	s_waitcnt lgkmcnt(1)
	s_delay_alu instid0(VALU_DEP_1) | instskip(SKIP_1) | instid1(VALU_DEP_1)
	v_fmac_f32_e32 v64, v70, v79
	s_waitcnt vmcnt(0)
	v_fmac_f32_e32 v64, v71, v80
	s_waitcnt lgkmcnt(0)
	s_delay_alu instid0(VALU_DEP_1) | instskip(NEXT) | instid1(VALU_DEP_1)
	v_fmac_f32_e32 v64, v72, v65
	v_sub_f32_e32 v63, v63, v64
	scratch_store_b32 off, v63, off offset:80
	v_cmpx_lt_u32_e32 19, v0
	s_cbranch_execz .LBB93_149
; %bb.148:
	scratch_load_b32 v63, off, off offset:76
	scratch_store_b32 off, v62, off offset:76
	s_waitcnt vmcnt(0)
	ds_store_b32 v61, v63
.LBB93_149:
	s_or_b32 exec_lo, exec_lo, s0
	s_waitcnt lgkmcnt(0)
	s_waitcnt_vscnt null, 0x0
	s_barrier
	buffer_gl0_inv
	s_clause 0x2
	scratch_load_b128 v[63:66], off, off offset:76
	scratch_load_b128 v[67:70], off, off offset:92
	scratch_load_b96 v[79:81], off, off offset:108
	ds_load_b128 v[71:74], v62 offset:208
	ds_load_b128 v[75:78], v62 offset:224
	s_mov_b32 s0, exec_lo
	s_waitcnt vmcnt(2) lgkmcnt(1)
	v_fma_f32 v71, v64, v71, 0
	s_delay_alu instid0(VALU_DEP_1) | instskip(SKIP_3) | instid1(VALU_DEP_1)
	v_fmac_f32_e32 v71, v65, v72
	ds_load_b64 v[64:65], v62 offset:240
	v_fmac_f32_e32 v71, v66, v73
	s_waitcnt vmcnt(1)
	v_fmac_f32_e32 v71, v67, v74
	s_waitcnt lgkmcnt(1)
	s_delay_alu instid0(VALU_DEP_1) | instskip(NEXT) | instid1(VALU_DEP_1)
	v_fmac_f32_e32 v71, v68, v75
	v_fmac_f32_e32 v71, v69, v76
	s_delay_alu instid0(VALU_DEP_1) | instskip(SKIP_1) | instid1(VALU_DEP_1)
	v_fmac_f32_e32 v71, v70, v77
	s_waitcnt vmcnt(0)
	v_fmac_f32_e32 v71, v79, v78
	s_waitcnt lgkmcnt(0)
	s_delay_alu instid0(VALU_DEP_1) | instskip(NEXT) | instid1(VALU_DEP_1)
	v_fmac_f32_e32 v71, v80, v64
	v_fmac_f32_e32 v71, v81, v65
	s_delay_alu instid0(VALU_DEP_1)
	v_sub_f32_e32 v62, v63, v71
	scratch_store_b32 off, v62, off offset:76
	v_cmpx_lt_u32_e32 18, v0
	s_cbranch_execz .LBB93_151
; %bb.150:
	scratch_load_b32 v62, off, off offset:72
	v_mov_b32_e32 v63, 0
	scratch_store_b32 off, v63, off offset:72
	s_waitcnt vmcnt(0)
	ds_store_b32 v61, v62
.LBB93_151:
	s_or_b32 exec_lo, exec_lo, s0
	s_waitcnt lgkmcnt(0)
	s_waitcnt_vscnt null, 0x0
	s_barrier
	buffer_gl0_inv
	s_clause 0x2
	scratch_load_b128 v[63:66], off, off offset:72
	scratch_load_b128 v[67:70], off, off offset:88
	;; [unrolled: 1-line block ×3, first 2 shown]
	v_mov_b32_e32 v62, 0
	ds_load_2addr_b32 v[75:76], v62 offset0:51 offset1:52
	ds_load_2addr_b32 v[77:78], v62 offset0:53 offset1:54
	ds_load_2addr_b32 v[79:80], v62 offset0:55 offset1:56
	ds_load_2addr_b32 v[81:82], v62 offset0:57 offset1:58
	s_mov_b32 s0, exec_lo
	s_waitcnt vmcnt(2) lgkmcnt(3)
	v_fma_f32 v75, v64, v75, 0
	s_delay_alu instid0(VALU_DEP_1)
	v_fmac_f32_e32 v75, v65, v76
	ds_load_2addr_b32 v[64:65], v62 offset0:59 offset1:60
	s_waitcnt lgkmcnt(3)
	v_fmac_f32_e32 v75, v66, v77
	ds_load_b32 v66, v62 offset:244
	s_waitcnt vmcnt(1)
	v_fmac_f32_e32 v75, v67, v78
	s_waitcnt lgkmcnt(3)
	s_delay_alu instid0(VALU_DEP_1) | instskip(NEXT) | instid1(VALU_DEP_1)
	v_fmac_f32_e32 v75, v68, v79
	v_fmac_f32_e32 v75, v69, v80
	s_waitcnt lgkmcnt(2)
	s_delay_alu instid0(VALU_DEP_1) | instskip(SKIP_1) | instid1(VALU_DEP_1)
	v_fmac_f32_e32 v75, v70, v81
	s_waitcnt vmcnt(0)
	v_fmac_f32_e32 v75, v71, v82
	s_waitcnt lgkmcnt(1)
	s_delay_alu instid0(VALU_DEP_1) | instskip(NEXT) | instid1(VALU_DEP_1)
	v_fmac_f32_e32 v75, v72, v64
	v_fmac_f32_e32 v75, v73, v65
	s_waitcnt lgkmcnt(0)
	s_delay_alu instid0(VALU_DEP_1) | instskip(NEXT) | instid1(VALU_DEP_1)
	v_fmac_f32_e32 v75, v74, v66
	v_sub_f32_e32 v63, v63, v75
	scratch_store_b32 off, v63, off offset:72
	v_cmpx_lt_u32_e32 17, v0
	s_cbranch_execz .LBB93_153
; %bb.152:
	scratch_load_b32 v63, off, off offset:68
	scratch_store_b32 off, v62, off offset:68
	s_waitcnt vmcnt(0)
	ds_store_b32 v61, v63
.LBB93_153:
	s_or_b32 exec_lo, exec_lo, s0
	s_waitcnt lgkmcnt(0)
	s_waitcnt_vscnt null, 0x0
	s_barrier
	buffer_gl0_inv
	s_clause 0x3
	scratch_load_b128 v[63:66], off, off offset:68
	scratch_load_b128 v[67:70], off, off offset:84
	;; [unrolled: 1-line block ×3, first 2 shown]
	scratch_load_b32 v83, off, off offset:116
	ds_load_2addr_b64 v[75:78], v62 offset0:25 offset1:26
	ds_load_2addr_b64 v[79:82], v62 offset0:27 offset1:28
	s_mov_b32 s0, exec_lo
	s_waitcnt vmcnt(3) lgkmcnt(1)
	v_fma_f32 v75, v64, v75, 0
	s_delay_alu instid0(VALU_DEP_1) | instskip(NEXT) | instid1(VALU_DEP_1)
	v_fmac_f32_e32 v75, v65, v76
	v_fmac_f32_e32 v75, v66, v77
	s_waitcnt vmcnt(2)
	s_delay_alu instid0(VALU_DEP_1) | instskip(SKIP_3) | instid1(VALU_DEP_1)
	v_fmac_f32_e32 v75, v67, v78
	ds_load_2addr_b64 v[64:67], v62 offset0:29 offset1:30
	s_waitcnt lgkmcnt(1)
	v_fmac_f32_e32 v75, v68, v79
	v_fmac_f32_e32 v75, v69, v80
	s_delay_alu instid0(VALU_DEP_1) | instskip(SKIP_1) | instid1(VALU_DEP_1)
	v_fmac_f32_e32 v75, v70, v81
	s_waitcnt vmcnt(1)
	v_fmac_f32_e32 v75, v71, v82
	s_waitcnt lgkmcnt(0)
	s_delay_alu instid0(VALU_DEP_1) | instskip(NEXT) | instid1(VALU_DEP_1)
	v_fmac_f32_e32 v75, v72, v64
	v_fmac_f32_e32 v75, v73, v65
	s_delay_alu instid0(VALU_DEP_1) | instskip(SKIP_1) | instid1(VALU_DEP_1)
	v_fmac_f32_e32 v75, v74, v66
	s_waitcnt vmcnt(0)
	v_fmac_f32_e32 v75, v83, v67
	s_delay_alu instid0(VALU_DEP_1)
	v_sub_f32_e32 v62, v63, v75
	scratch_store_b32 off, v62, off offset:68
	v_cmpx_lt_u32_e32 16, v0
	s_cbranch_execz .LBB93_155
; %bb.154:
	scratch_load_b32 v62, off, off offset:64
	v_mov_b32_e32 v63, 0
	scratch_store_b32 off, v63, off offset:64
	s_waitcnt vmcnt(0)
	ds_store_b32 v61, v62
.LBB93_155:
	s_or_b32 exec_lo, exec_lo, s0
	s_waitcnt lgkmcnt(0)
	s_waitcnt_vscnt null, 0x0
	s_barrier
	buffer_gl0_inv
	s_clause 0x3
	scratch_load_b128 v[63:66], off, off offset:64
	scratch_load_b128 v[67:70], off, off offset:80
	;; [unrolled: 1-line block ×3, first 2 shown]
	scratch_load_b64 v[75:76], off, off offset:112
	v_mov_b32_e32 v62, 0
	ds_load_2addr_b32 v[77:78], v62 offset0:49 offset1:50
	ds_load_2addr_b32 v[79:80], v62 offset0:51 offset1:52
	;; [unrolled: 1-line block ×4, first 2 shown]
	s_mov_b32 s0, exec_lo
	s_waitcnt vmcnt(3) lgkmcnt(3)
	v_fma_f32 v77, v64, v77, 0
	s_delay_alu instid0(VALU_DEP_1) | instskip(SKIP_4) | instid1(VALU_DEP_1)
	v_fmac_f32_e32 v77, v65, v78
	ds_load_2addr_b32 v[64:65], v62 offset0:57 offset1:58
	s_waitcnt lgkmcnt(3)
	v_fmac_f32_e32 v77, v66, v79
	s_waitcnt vmcnt(2)
	v_fmac_f32_e32 v77, v67, v80
	ds_load_2addr_b32 v[66:67], v62 offset0:59 offset1:60
	s_waitcnt lgkmcnt(3)
	v_fmac_f32_e32 v77, v68, v81
	ds_load_b32 v68, v62 offset:244
	v_fmac_f32_e32 v77, v69, v82
	s_waitcnt lgkmcnt(3)
	s_delay_alu instid0(VALU_DEP_1) | instskip(SKIP_1) | instid1(VALU_DEP_1)
	v_fmac_f32_e32 v77, v70, v83
	s_waitcnt vmcnt(1)
	v_fmac_f32_e32 v77, v71, v84
	s_waitcnt lgkmcnt(2)
	s_delay_alu instid0(VALU_DEP_1) | instskip(NEXT) | instid1(VALU_DEP_1)
	v_fmac_f32_e32 v77, v72, v64
	v_fmac_f32_e32 v77, v73, v65
	s_waitcnt lgkmcnt(1)
	s_delay_alu instid0(VALU_DEP_1) | instskip(SKIP_1) | instid1(VALU_DEP_1)
	v_fmac_f32_e32 v77, v74, v66
	s_waitcnt vmcnt(0)
	v_fmac_f32_e32 v77, v75, v67
	s_waitcnt lgkmcnt(0)
	s_delay_alu instid0(VALU_DEP_1) | instskip(NEXT) | instid1(VALU_DEP_1)
	v_fmac_f32_e32 v77, v76, v68
	v_sub_f32_e32 v63, v63, v77
	scratch_store_b32 off, v63, off offset:64
	v_cmpx_lt_u32_e32 15, v0
	s_cbranch_execz .LBB93_157
; %bb.156:
	scratch_load_b32 v63, off, off offset:60
	scratch_store_b32 off, v62, off offset:60
	s_waitcnt vmcnt(0)
	ds_store_b32 v61, v63
.LBB93_157:
	s_or_b32 exec_lo, exec_lo, s0
	s_waitcnt lgkmcnt(0)
	s_waitcnt_vscnt null, 0x0
	s_barrier
	buffer_gl0_inv
	s_clause 0x3
	scratch_load_b128 v[63:66], off, off offset:60
	scratch_load_b128 v[67:70], off, off offset:76
	;; [unrolled: 1-line block ×3, first 2 shown]
	scratch_load_b96 v[83:85], off, off offset:108
	ds_load_b128 v[75:78], v62 offset:192
	ds_load_b128 v[79:82], v62 offset:208
	s_mov_b32 s0, exec_lo
	s_waitcnt vmcnt(3) lgkmcnt(1)
	v_fma_f32 v75, v64, v75, 0
	s_delay_alu instid0(VALU_DEP_1) | instskip(NEXT) | instid1(VALU_DEP_1)
	v_fmac_f32_e32 v75, v65, v76
	v_fmac_f32_e32 v75, v66, v77
	s_waitcnt vmcnt(2)
	s_delay_alu instid0(VALU_DEP_1) | instskip(SKIP_3) | instid1(VALU_DEP_1)
	v_fmac_f32_e32 v75, v67, v78
	ds_load_b128 v[64:67], v62 offset:224
	s_waitcnt lgkmcnt(1)
	v_fmac_f32_e32 v75, v68, v79
	v_fmac_f32_e32 v75, v69, v80
	ds_load_b64 v[68:69], v62 offset:240
	v_fmac_f32_e32 v75, v70, v81
	s_waitcnt vmcnt(1)
	s_delay_alu instid0(VALU_DEP_1) | instskip(SKIP_1) | instid1(VALU_DEP_1)
	v_fmac_f32_e32 v75, v71, v82
	s_waitcnt lgkmcnt(1)
	v_fmac_f32_e32 v75, v72, v64
	s_delay_alu instid0(VALU_DEP_1) | instskip(NEXT) | instid1(VALU_DEP_1)
	v_fmac_f32_e32 v75, v73, v65
	v_fmac_f32_e32 v75, v74, v66
	s_waitcnt vmcnt(0)
	s_delay_alu instid0(VALU_DEP_1) | instskip(SKIP_1) | instid1(VALU_DEP_1)
	v_fmac_f32_e32 v75, v83, v67
	s_waitcnt lgkmcnt(0)
	v_fmac_f32_e32 v75, v84, v68
	s_delay_alu instid0(VALU_DEP_1) | instskip(NEXT) | instid1(VALU_DEP_1)
	v_fmac_f32_e32 v75, v85, v69
	v_sub_f32_e32 v62, v63, v75
	scratch_store_b32 off, v62, off offset:60
	v_cmpx_lt_u32_e32 14, v0
	s_cbranch_execz .LBB93_159
; %bb.158:
	scratch_load_b32 v62, off, off offset:56
	v_mov_b32_e32 v63, 0
	scratch_store_b32 off, v63, off offset:56
	s_waitcnt vmcnt(0)
	ds_store_b32 v61, v62
.LBB93_159:
	s_or_b32 exec_lo, exec_lo, s0
	s_waitcnt lgkmcnt(0)
	s_waitcnt_vscnt null, 0x0
	s_barrier
	buffer_gl0_inv
	s_clause 0x3
	scratch_load_b128 v[63:66], off, off offset:56
	scratch_load_b128 v[67:70], off, off offset:72
	;; [unrolled: 1-line block ×4, first 2 shown]
	v_mov_b32_e32 v62, 0
	ds_load_2addr_b32 v[79:80], v62 offset0:47 offset1:48
	ds_load_2addr_b32 v[81:82], v62 offset0:49 offset1:50
	;; [unrolled: 1-line block ×4, first 2 shown]
	s_mov_b32 s0, exec_lo
	s_waitcnt vmcnt(3) lgkmcnt(3)
	v_fma_f32 v79, v64, v79, 0
	s_delay_alu instid0(VALU_DEP_1) | instskip(SKIP_4) | instid1(VALU_DEP_1)
	v_fmac_f32_e32 v79, v65, v80
	ds_load_2addr_b32 v[64:65], v62 offset0:55 offset1:56
	s_waitcnt lgkmcnt(3)
	v_fmac_f32_e32 v79, v66, v81
	s_waitcnt vmcnt(2)
	v_fmac_f32_e32 v79, v67, v82
	ds_load_2addr_b32 v[66:67], v62 offset0:57 offset1:58
	s_waitcnt lgkmcnt(3)
	v_fmac_f32_e32 v79, v68, v83
	s_delay_alu instid0(VALU_DEP_1) | instskip(SKIP_1) | instid1(VALU_DEP_1)
	v_fmac_f32_e32 v79, v69, v84
	s_waitcnt lgkmcnt(2)
	v_fmac_f32_e32 v79, v70, v85
	ds_load_2addr_b32 v[68:69], v62 offset0:59 offset1:60
	ds_load_b32 v70, v62 offset:244
	s_waitcnt vmcnt(1)
	v_fmac_f32_e32 v79, v71, v86
	s_waitcnt lgkmcnt(3)
	s_delay_alu instid0(VALU_DEP_1) | instskip(NEXT) | instid1(VALU_DEP_1)
	v_fmac_f32_e32 v79, v72, v64
	v_fmac_f32_e32 v79, v73, v65
	s_waitcnt lgkmcnt(2)
	s_delay_alu instid0(VALU_DEP_1) | instskip(SKIP_1) | instid1(VALU_DEP_1)
	v_fmac_f32_e32 v79, v74, v66
	s_waitcnt vmcnt(0)
	v_fmac_f32_e32 v79, v75, v67
	s_waitcnt lgkmcnt(1)
	s_delay_alu instid0(VALU_DEP_1) | instskip(NEXT) | instid1(VALU_DEP_1)
	v_fmac_f32_e32 v79, v76, v68
	v_fmac_f32_e32 v79, v77, v69
	s_waitcnt lgkmcnt(0)
	s_delay_alu instid0(VALU_DEP_1) | instskip(NEXT) | instid1(VALU_DEP_1)
	v_fmac_f32_e32 v79, v78, v70
	v_sub_f32_e32 v63, v63, v79
	scratch_store_b32 off, v63, off offset:56
	v_cmpx_lt_u32_e32 13, v0
	s_cbranch_execz .LBB93_161
; %bb.160:
	scratch_load_b32 v63, off, off offset:52
	scratch_store_b32 off, v62, off offset:52
	s_waitcnt vmcnt(0)
	ds_store_b32 v61, v63
.LBB93_161:
	s_or_b32 exec_lo, exec_lo, s0
	s_waitcnt lgkmcnt(0)
	s_waitcnt_vscnt null, 0x0
	s_barrier
	buffer_gl0_inv
	s_clause 0x4
	scratch_load_b128 v[63:66], off, off offset:52
	scratch_load_b128 v[67:70], off, off offset:68
	scratch_load_b128 v[71:74], off, off offset:84
	scratch_load_b128 v[75:78], off, off offset:100
	scratch_load_b32 v87, off, off offset:116
	ds_load_2addr_b64 v[79:82], v62 offset0:23 offset1:24
	ds_load_2addr_b64 v[83:86], v62 offset0:25 offset1:26
	s_mov_b32 s0, exec_lo
	s_waitcnt vmcnt(4) lgkmcnt(1)
	v_fma_f32 v79, v64, v79, 0
	s_delay_alu instid0(VALU_DEP_1) | instskip(NEXT) | instid1(VALU_DEP_1)
	v_fmac_f32_e32 v79, v65, v80
	v_fmac_f32_e32 v79, v66, v81
	s_waitcnt vmcnt(3)
	s_delay_alu instid0(VALU_DEP_1) | instskip(SKIP_3) | instid1(VALU_DEP_1)
	v_fmac_f32_e32 v79, v67, v82
	ds_load_2addr_b64 v[64:67], v62 offset0:27 offset1:28
	s_waitcnt lgkmcnt(1)
	v_fmac_f32_e32 v79, v68, v83
	v_fmac_f32_e32 v79, v69, v84
	s_delay_alu instid0(VALU_DEP_1) | instskip(SKIP_1) | instid1(VALU_DEP_1)
	v_fmac_f32_e32 v79, v70, v85
	s_waitcnt vmcnt(2)
	v_fmac_f32_e32 v79, v71, v86
	ds_load_2addr_b64 v[68:71], v62 offset0:29 offset1:30
	s_waitcnt lgkmcnt(1)
	v_fmac_f32_e32 v79, v72, v64
	s_delay_alu instid0(VALU_DEP_1) | instskip(NEXT) | instid1(VALU_DEP_1)
	v_fmac_f32_e32 v79, v73, v65
	v_fmac_f32_e32 v79, v74, v66
	s_waitcnt vmcnt(1)
	s_delay_alu instid0(VALU_DEP_1) | instskip(SKIP_1) | instid1(VALU_DEP_1)
	v_fmac_f32_e32 v79, v75, v67
	s_waitcnt lgkmcnt(0)
	v_fmac_f32_e32 v79, v76, v68
	s_delay_alu instid0(VALU_DEP_1) | instskip(NEXT) | instid1(VALU_DEP_1)
	v_fmac_f32_e32 v79, v77, v69
	v_fmac_f32_e32 v79, v78, v70
	s_waitcnt vmcnt(0)
	s_delay_alu instid0(VALU_DEP_1) | instskip(NEXT) | instid1(VALU_DEP_1)
	v_fmac_f32_e32 v79, v87, v71
	v_sub_f32_e32 v62, v63, v79
	scratch_store_b32 off, v62, off offset:52
	v_cmpx_lt_u32_e32 12, v0
	s_cbranch_execz .LBB93_163
; %bb.162:
	scratch_load_b32 v62, off, off offset:48
	v_mov_b32_e32 v63, 0
	scratch_store_b32 off, v63, off offset:48
	s_waitcnt vmcnt(0)
	ds_store_b32 v61, v62
.LBB93_163:
	s_or_b32 exec_lo, exec_lo, s0
	s_waitcnt lgkmcnt(0)
	s_waitcnt_vscnt null, 0x0
	s_barrier
	buffer_gl0_inv
	s_clause 0x4
	scratch_load_b128 v[63:66], off, off offset:48
	scratch_load_b128 v[67:70], off, off offset:64
	;; [unrolled: 1-line block ×4, first 2 shown]
	scratch_load_b64 v[79:80], off, off offset:112
	v_mov_b32_e32 v62, 0
	ds_load_2addr_b32 v[81:82], v62 offset0:45 offset1:46
	ds_load_2addr_b32 v[83:84], v62 offset0:47 offset1:48
	ds_load_2addr_b32 v[85:86], v62 offset0:49 offset1:50
	ds_load_2addr_b32 v[87:88], v62 offset0:51 offset1:52
	s_mov_b32 s0, exec_lo
	s_waitcnt vmcnt(4) lgkmcnt(3)
	v_fma_f32 v81, v64, v81, 0
	s_delay_alu instid0(VALU_DEP_1) | instskip(SKIP_4) | instid1(VALU_DEP_1)
	v_fmac_f32_e32 v81, v65, v82
	ds_load_2addr_b32 v[64:65], v62 offset0:53 offset1:54
	s_waitcnt lgkmcnt(3)
	v_fmac_f32_e32 v81, v66, v83
	s_waitcnt vmcnt(3)
	v_fmac_f32_e32 v81, v67, v84
	ds_load_2addr_b32 v[66:67], v62 offset0:55 offset1:56
	s_waitcnt lgkmcnt(3)
	v_fmac_f32_e32 v81, v68, v85
	s_delay_alu instid0(VALU_DEP_1) | instskip(SKIP_1) | instid1(VALU_DEP_1)
	v_fmac_f32_e32 v81, v69, v86
	s_waitcnt lgkmcnt(2)
	v_fmac_f32_e32 v81, v70, v87
	s_waitcnt vmcnt(2)
	s_delay_alu instid0(VALU_DEP_1)
	v_fmac_f32_e32 v81, v71, v88
	ds_load_2addr_b32 v[68:69], v62 offset0:57 offset1:58
	ds_load_2addr_b32 v[70:71], v62 offset0:59 offset1:60
	s_waitcnt lgkmcnt(3)
	v_fmac_f32_e32 v81, v72, v64
	ds_load_b32 v64, v62 offset:244
	v_fmac_f32_e32 v81, v73, v65
	s_waitcnt lgkmcnt(3)
	s_delay_alu instid0(VALU_DEP_1) | instskip(SKIP_1) | instid1(VALU_DEP_1)
	v_fmac_f32_e32 v81, v74, v66
	s_waitcnt vmcnt(1)
	v_fmac_f32_e32 v81, v75, v67
	s_waitcnt lgkmcnt(2)
	s_delay_alu instid0(VALU_DEP_1) | instskip(NEXT) | instid1(VALU_DEP_1)
	v_fmac_f32_e32 v81, v76, v68
	v_fmac_f32_e32 v81, v77, v69
	s_waitcnt lgkmcnt(1)
	s_delay_alu instid0(VALU_DEP_1) | instskip(SKIP_1) | instid1(VALU_DEP_1)
	v_fmac_f32_e32 v81, v78, v70
	s_waitcnt vmcnt(0)
	v_fmac_f32_e32 v81, v79, v71
	s_waitcnt lgkmcnt(0)
	s_delay_alu instid0(VALU_DEP_1) | instskip(NEXT) | instid1(VALU_DEP_1)
	v_fmac_f32_e32 v81, v80, v64
	v_sub_f32_e32 v63, v63, v81
	scratch_store_b32 off, v63, off offset:48
	v_cmpx_lt_u32_e32 11, v0
	s_cbranch_execz .LBB93_165
; %bb.164:
	scratch_load_b32 v63, off, off offset:44
	scratch_store_b32 off, v62, off offset:44
	s_waitcnt vmcnt(0)
	ds_store_b32 v61, v63
.LBB93_165:
	s_or_b32 exec_lo, exec_lo, s0
	s_waitcnt lgkmcnt(0)
	s_waitcnt_vscnt null, 0x0
	s_barrier
	buffer_gl0_inv
	s_clause 0x4
	scratch_load_b128 v[63:66], off, off offset:44
	scratch_load_b128 v[67:70], off, off offset:60
	;; [unrolled: 1-line block ×4, first 2 shown]
	scratch_load_b96 v[87:89], off, off offset:108
	ds_load_b128 v[79:82], v62 offset:176
	ds_load_b128 v[83:86], v62 offset:192
	s_mov_b32 s0, exec_lo
	s_waitcnt vmcnt(4) lgkmcnt(1)
	v_fma_f32 v79, v64, v79, 0
	s_delay_alu instid0(VALU_DEP_1) | instskip(NEXT) | instid1(VALU_DEP_1)
	v_fmac_f32_e32 v79, v65, v80
	v_fmac_f32_e32 v79, v66, v81
	s_waitcnt vmcnt(3)
	s_delay_alu instid0(VALU_DEP_1) | instskip(SKIP_3) | instid1(VALU_DEP_1)
	v_fmac_f32_e32 v79, v67, v82
	ds_load_b128 v[64:67], v62 offset:208
	s_waitcnt lgkmcnt(1)
	v_fmac_f32_e32 v79, v68, v83
	v_fmac_f32_e32 v79, v69, v84
	s_delay_alu instid0(VALU_DEP_1) | instskip(SKIP_1) | instid1(VALU_DEP_1)
	v_fmac_f32_e32 v79, v70, v85
	s_waitcnt vmcnt(2)
	v_fmac_f32_e32 v79, v71, v86
	ds_load_b128 v[68:71], v62 offset:224
	s_waitcnt lgkmcnt(1)
	v_fmac_f32_e32 v79, v72, v64
	s_delay_alu instid0(VALU_DEP_1) | instskip(SKIP_3) | instid1(VALU_DEP_1)
	v_fmac_f32_e32 v79, v73, v65
	ds_load_b64 v[64:65], v62 offset:240
	v_fmac_f32_e32 v79, v74, v66
	s_waitcnt vmcnt(1)
	v_fmac_f32_e32 v79, v75, v67
	s_waitcnt lgkmcnt(1)
	s_delay_alu instid0(VALU_DEP_1) | instskip(NEXT) | instid1(VALU_DEP_1)
	v_fmac_f32_e32 v79, v76, v68
	v_fmac_f32_e32 v79, v77, v69
	s_delay_alu instid0(VALU_DEP_1) | instskip(SKIP_1) | instid1(VALU_DEP_1)
	v_fmac_f32_e32 v79, v78, v70
	s_waitcnt vmcnt(0)
	v_fmac_f32_e32 v79, v87, v71
	s_waitcnt lgkmcnt(0)
	s_delay_alu instid0(VALU_DEP_1) | instskip(NEXT) | instid1(VALU_DEP_1)
	v_fmac_f32_e32 v79, v88, v64
	v_fmac_f32_e32 v79, v89, v65
	s_delay_alu instid0(VALU_DEP_1)
	v_sub_f32_e32 v62, v63, v79
	scratch_store_b32 off, v62, off offset:44
	v_cmpx_lt_u32_e32 10, v0
	s_cbranch_execz .LBB93_167
; %bb.166:
	scratch_load_b32 v62, off, off offset:40
	v_mov_b32_e32 v63, 0
	scratch_store_b32 off, v63, off offset:40
	s_waitcnt vmcnt(0)
	ds_store_b32 v61, v62
.LBB93_167:
	s_or_b32 exec_lo, exec_lo, s0
	s_waitcnt lgkmcnt(0)
	s_waitcnt_vscnt null, 0x0
	s_barrier
	buffer_gl0_inv
	s_clause 0x4
	scratch_load_b128 v[63:66], off, off offset:40
	scratch_load_b128 v[67:70], off, off offset:56
	;; [unrolled: 1-line block ×5, first 2 shown]
	v_mov_b32_e32 v62, 0
	ds_load_2addr_b32 v[83:84], v62 offset0:43 offset1:44
	ds_load_2addr_b32 v[85:86], v62 offset0:45 offset1:46
	;; [unrolled: 1-line block ×4, first 2 shown]
	s_mov_b32 s0, exec_lo
	s_waitcnt vmcnt(4) lgkmcnt(3)
	v_fma_f32 v83, v64, v83, 0
	s_delay_alu instid0(VALU_DEP_1) | instskip(SKIP_4) | instid1(VALU_DEP_1)
	v_fmac_f32_e32 v83, v65, v84
	ds_load_2addr_b32 v[64:65], v62 offset0:51 offset1:52
	s_waitcnt lgkmcnt(3)
	v_fmac_f32_e32 v83, v66, v85
	s_waitcnt vmcnt(3)
	v_fmac_f32_e32 v83, v67, v86
	ds_load_2addr_b32 v[66:67], v62 offset0:53 offset1:54
	s_waitcnt lgkmcnt(3)
	v_fmac_f32_e32 v83, v68, v87
	s_delay_alu instid0(VALU_DEP_1) | instskip(SKIP_1) | instid1(VALU_DEP_1)
	v_fmac_f32_e32 v83, v69, v88
	s_waitcnt lgkmcnt(2)
	v_fmac_f32_e32 v83, v70, v89
	s_waitcnt vmcnt(2)
	s_delay_alu instid0(VALU_DEP_1) | instskip(SKIP_4) | instid1(VALU_DEP_1)
	v_fmac_f32_e32 v83, v71, v90
	ds_load_2addr_b32 v[68:69], v62 offset0:55 offset1:56
	ds_load_2addr_b32 v[70:71], v62 offset0:57 offset1:58
	s_waitcnt lgkmcnt(3)
	v_fmac_f32_e32 v83, v72, v64
	v_fmac_f32_e32 v83, v73, v65
	ds_load_2addr_b32 v[64:65], v62 offset0:59 offset1:60
	s_waitcnt lgkmcnt(3)
	v_fmac_f32_e32 v83, v74, v66
	ds_load_b32 v66, v62 offset:244
	s_waitcnt vmcnt(1)
	v_fmac_f32_e32 v83, v75, v67
	s_waitcnt lgkmcnt(3)
	s_delay_alu instid0(VALU_DEP_1) | instskip(NEXT) | instid1(VALU_DEP_1)
	v_fmac_f32_e32 v83, v76, v68
	v_fmac_f32_e32 v83, v77, v69
	s_waitcnt lgkmcnt(2)
	s_delay_alu instid0(VALU_DEP_1) | instskip(SKIP_1) | instid1(VALU_DEP_1)
	v_fmac_f32_e32 v83, v78, v70
	s_waitcnt vmcnt(0)
	v_fmac_f32_e32 v83, v79, v71
	s_waitcnt lgkmcnt(1)
	s_delay_alu instid0(VALU_DEP_1) | instskip(NEXT) | instid1(VALU_DEP_1)
	v_fmac_f32_e32 v83, v80, v64
	v_fmac_f32_e32 v83, v81, v65
	s_waitcnt lgkmcnt(0)
	s_delay_alu instid0(VALU_DEP_1) | instskip(NEXT) | instid1(VALU_DEP_1)
	v_fmac_f32_e32 v83, v82, v66
	v_sub_f32_e32 v63, v63, v83
	scratch_store_b32 off, v63, off offset:40
	v_cmpx_lt_u32_e32 9, v0
	s_cbranch_execz .LBB93_169
; %bb.168:
	scratch_load_b32 v63, off, off offset:36
	scratch_store_b32 off, v62, off offset:36
	s_waitcnt vmcnt(0)
	ds_store_b32 v61, v63
.LBB93_169:
	s_or_b32 exec_lo, exec_lo, s0
	s_waitcnt lgkmcnt(0)
	s_waitcnt_vscnt null, 0x0
	s_barrier
	buffer_gl0_inv
	s_clause 0x5
	scratch_load_b128 v[63:66], off, off offset:36
	scratch_load_b128 v[67:70], off, off offset:52
	;; [unrolled: 1-line block ×5, first 2 shown]
	scratch_load_b32 v91, off, off offset:116
	ds_load_2addr_b64 v[83:86], v62 offset0:21 offset1:22
	ds_load_2addr_b64 v[87:90], v62 offset0:23 offset1:24
	s_mov_b32 s0, exec_lo
	s_waitcnt vmcnt(5) lgkmcnt(1)
	v_fma_f32 v83, v64, v83, 0
	s_delay_alu instid0(VALU_DEP_1) | instskip(NEXT) | instid1(VALU_DEP_1)
	v_fmac_f32_e32 v83, v65, v84
	v_fmac_f32_e32 v83, v66, v85
	s_waitcnt vmcnt(4)
	s_delay_alu instid0(VALU_DEP_1) | instskip(SKIP_3) | instid1(VALU_DEP_1)
	v_fmac_f32_e32 v83, v67, v86
	ds_load_2addr_b64 v[64:67], v62 offset0:25 offset1:26
	s_waitcnt lgkmcnt(1)
	v_fmac_f32_e32 v83, v68, v87
	v_fmac_f32_e32 v83, v69, v88
	s_delay_alu instid0(VALU_DEP_1) | instskip(SKIP_1) | instid1(VALU_DEP_1)
	v_fmac_f32_e32 v83, v70, v89
	s_waitcnt vmcnt(3)
	v_fmac_f32_e32 v83, v71, v90
	ds_load_2addr_b64 v[68:71], v62 offset0:27 offset1:28
	s_waitcnt lgkmcnt(1)
	v_fmac_f32_e32 v83, v72, v64
	s_delay_alu instid0(VALU_DEP_1) | instskip(NEXT) | instid1(VALU_DEP_1)
	v_fmac_f32_e32 v83, v73, v65
	v_fmac_f32_e32 v83, v74, v66
	s_waitcnt vmcnt(2)
	s_delay_alu instid0(VALU_DEP_1) | instskip(SKIP_3) | instid1(VALU_DEP_1)
	v_fmac_f32_e32 v83, v75, v67
	ds_load_2addr_b64 v[64:67], v62 offset0:29 offset1:30
	s_waitcnt lgkmcnt(1)
	v_fmac_f32_e32 v83, v76, v68
	v_fmac_f32_e32 v83, v77, v69
	s_delay_alu instid0(VALU_DEP_1) | instskip(SKIP_1) | instid1(VALU_DEP_1)
	v_fmac_f32_e32 v83, v78, v70
	s_waitcnt vmcnt(1)
	v_fmac_f32_e32 v83, v79, v71
	s_waitcnt lgkmcnt(0)
	s_delay_alu instid0(VALU_DEP_1) | instskip(NEXT) | instid1(VALU_DEP_1)
	v_fmac_f32_e32 v83, v80, v64
	v_fmac_f32_e32 v83, v81, v65
	s_delay_alu instid0(VALU_DEP_1) | instskip(SKIP_1) | instid1(VALU_DEP_1)
	v_fmac_f32_e32 v83, v82, v66
	s_waitcnt vmcnt(0)
	v_fmac_f32_e32 v83, v91, v67
	s_delay_alu instid0(VALU_DEP_1)
	v_sub_f32_e32 v62, v63, v83
	scratch_store_b32 off, v62, off offset:36
	v_cmpx_lt_u32_e32 8, v0
	s_cbranch_execz .LBB93_171
; %bb.170:
	scratch_load_b32 v62, off, off offset:32
	v_mov_b32_e32 v63, 0
	scratch_store_b32 off, v63, off offset:32
	s_waitcnt vmcnt(0)
	ds_store_b32 v61, v62
.LBB93_171:
	s_or_b32 exec_lo, exec_lo, s0
	s_waitcnt lgkmcnt(0)
	s_waitcnt_vscnt null, 0x0
	s_barrier
	buffer_gl0_inv
	s_clause 0x5
	scratch_load_b128 v[63:66], off, off offset:32
	scratch_load_b128 v[67:70], off, off offset:48
	;; [unrolled: 1-line block ×5, first 2 shown]
	scratch_load_b64 v[83:84], off, off offset:112
	v_mov_b32_e32 v62, 0
	ds_load_2addr_b32 v[85:86], v62 offset0:41 offset1:42
	ds_load_2addr_b32 v[87:88], v62 offset0:43 offset1:44
	;; [unrolled: 1-line block ×4, first 2 shown]
	s_mov_b32 s0, exec_lo
	s_waitcnt vmcnt(5) lgkmcnt(3)
	v_fma_f32 v85, v64, v85, 0
	s_delay_alu instid0(VALU_DEP_1) | instskip(SKIP_4) | instid1(VALU_DEP_1)
	v_fmac_f32_e32 v85, v65, v86
	ds_load_2addr_b32 v[64:65], v62 offset0:49 offset1:50
	s_waitcnt lgkmcnt(3)
	v_fmac_f32_e32 v85, v66, v87
	s_waitcnt vmcnt(4)
	v_fmac_f32_e32 v85, v67, v88
	ds_load_2addr_b32 v[66:67], v62 offset0:51 offset1:52
	s_waitcnt lgkmcnt(3)
	v_fmac_f32_e32 v85, v68, v89
	s_delay_alu instid0(VALU_DEP_1) | instskip(SKIP_1) | instid1(VALU_DEP_1)
	v_fmac_f32_e32 v85, v69, v90
	s_waitcnt lgkmcnt(2)
	v_fmac_f32_e32 v85, v70, v91
	s_waitcnt vmcnt(3)
	s_delay_alu instid0(VALU_DEP_1) | instskip(SKIP_4) | instid1(VALU_DEP_1)
	v_fmac_f32_e32 v85, v71, v92
	ds_load_2addr_b32 v[68:69], v62 offset0:53 offset1:54
	ds_load_2addr_b32 v[70:71], v62 offset0:55 offset1:56
	s_waitcnt lgkmcnt(3)
	v_fmac_f32_e32 v85, v72, v64
	v_fmac_f32_e32 v85, v73, v65
	ds_load_2addr_b32 v[64:65], v62 offset0:57 offset1:58
	s_waitcnt lgkmcnt(3)
	v_fmac_f32_e32 v85, v74, v66
	s_waitcnt vmcnt(2)
	s_delay_alu instid0(VALU_DEP_1)
	v_fmac_f32_e32 v85, v75, v67
	ds_load_2addr_b32 v[66:67], v62 offset0:59 offset1:60
	s_waitcnt lgkmcnt(3)
	v_fmac_f32_e32 v85, v76, v68
	ds_load_b32 v68, v62 offset:244
	v_fmac_f32_e32 v85, v77, v69
	s_waitcnt lgkmcnt(3)
	s_delay_alu instid0(VALU_DEP_1) | instskip(SKIP_1) | instid1(VALU_DEP_1)
	v_fmac_f32_e32 v85, v78, v70
	s_waitcnt vmcnt(1)
	v_fmac_f32_e32 v85, v79, v71
	s_waitcnt lgkmcnt(2)
	s_delay_alu instid0(VALU_DEP_1) | instskip(NEXT) | instid1(VALU_DEP_1)
	v_fmac_f32_e32 v85, v80, v64
	v_fmac_f32_e32 v85, v81, v65
	s_waitcnt lgkmcnt(1)
	s_delay_alu instid0(VALU_DEP_1) | instskip(SKIP_1) | instid1(VALU_DEP_1)
	v_fmac_f32_e32 v85, v82, v66
	s_waitcnt vmcnt(0)
	v_fmac_f32_e32 v85, v83, v67
	s_waitcnt lgkmcnt(0)
	s_delay_alu instid0(VALU_DEP_1) | instskip(NEXT) | instid1(VALU_DEP_1)
	v_fmac_f32_e32 v85, v84, v68
	v_sub_f32_e32 v63, v63, v85
	scratch_store_b32 off, v63, off offset:32
	v_cmpx_lt_u32_e32 7, v0
	s_cbranch_execz .LBB93_173
; %bb.172:
	scratch_load_b32 v63, off, off offset:28
	scratch_store_b32 off, v62, off offset:28
	s_waitcnt vmcnt(0)
	ds_store_b32 v61, v63
.LBB93_173:
	s_or_b32 exec_lo, exec_lo, s0
	s_waitcnt lgkmcnt(0)
	s_waitcnt_vscnt null, 0x0
	s_barrier
	buffer_gl0_inv
	s_clause 0x5
	scratch_load_b128 v[63:66], off, off offset:28
	scratch_load_b128 v[67:70], off, off offset:44
	;; [unrolled: 1-line block ×5, first 2 shown]
	scratch_load_b96 v[91:93], off, off offset:108
	ds_load_b128 v[83:86], v62 offset:160
	ds_load_b128 v[87:90], v62 offset:176
	s_mov_b32 s0, exec_lo
	s_waitcnt vmcnt(5) lgkmcnt(1)
	v_fma_f32 v83, v64, v83, 0
	s_delay_alu instid0(VALU_DEP_1) | instskip(NEXT) | instid1(VALU_DEP_1)
	v_fmac_f32_e32 v83, v65, v84
	v_fmac_f32_e32 v83, v66, v85
	s_waitcnt vmcnt(4)
	s_delay_alu instid0(VALU_DEP_1) | instskip(SKIP_3) | instid1(VALU_DEP_1)
	v_fmac_f32_e32 v83, v67, v86
	ds_load_b128 v[64:67], v62 offset:192
	s_waitcnt lgkmcnt(1)
	v_fmac_f32_e32 v83, v68, v87
	v_fmac_f32_e32 v83, v69, v88
	s_delay_alu instid0(VALU_DEP_1) | instskip(SKIP_1) | instid1(VALU_DEP_1)
	v_fmac_f32_e32 v83, v70, v89
	s_waitcnt vmcnt(3)
	v_fmac_f32_e32 v83, v71, v90
	ds_load_b128 v[68:71], v62 offset:208
	s_waitcnt lgkmcnt(1)
	v_fmac_f32_e32 v83, v72, v64
	s_delay_alu instid0(VALU_DEP_1) | instskip(NEXT) | instid1(VALU_DEP_1)
	v_fmac_f32_e32 v83, v73, v65
	v_fmac_f32_e32 v83, v74, v66
	s_waitcnt vmcnt(2)
	s_delay_alu instid0(VALU_DEP_1) | instskip(SKIP_3) | instid1(VALU_DEP_1)
	v_fmac_f32_e32 v83, v75, v67
	ds_load_b128 v[64:67], v62 offset:224
	s_waitcnt lgkmcnt(1)
	v_fmac_f32_e32 v83, v76, v68
	v_fmac_f32_e32 v83, v77, v69
	ds_load_b64 v[68:69], v62 offset:240
	v_fmac_f32_e32 v83, v78, v70
	s_waitcnt vmcnt(1)
	s_delay_alu instid0(VALU_DEP_1) | instskip(SKIP_1) | instid1(VALU_DEP_1)
	v_fmac_f32_e32 v83, v79, v71
	s_waitcnt lgkmcnt(1)
	v_fmac_f32_e32 v83, v80, v64
	s_delay_alu instid0(VALU_DEP_1) | instskip(NEXT) | instid1(VALU_DEP_1)
	v_fmac_f32_e32 v83, v81, v65
	v_fmac_f32_e32 v83, v82, v66
	s_waitcnt vmcnt(0)
	s_delay_alu instid0(VALU_DEP_1) | instskip(SKIP_1) | instid1(VALU_DEP_1)
	v_fmac_f32_e32 v83, v91, v67
	s_waitcnt lgkmcnt(0)
	v_fmac_f32_e32 v83, v92, v68
	s_delay_alu instid0(VALU_DEP_1) | instskip(NEXT) | instid1(VALU_DEP_1)
	v_fmac_f32_e32 v83, v93, v69
	v_sub_f32_e32 v62, v63, v83
	scratch_store_b32 off, v62, off offset:28
	v_cmpx_lt_u32_e32 6, v0
	s_cbranch_execz .LBB93_175
; %bb.174:
	scratch_load_b32 v62, off, off offset:24
	v_mov_b32_e32 v63, 0
	scratch_store_b32 off, v63, off offset:24
	s_waitcnt vmcnt(0)
	ds_store_b32 v61, v62
.LBB93_175:
	s_or_b32 exec_lo, exec_lo, s0
	s_waitcnt lgkmcnt(0)
	s_waitcnt_vscnt null, 0x0
	s_barrier
	buffer_gl0_inv
	s_clause 0x5
	scratch_load_b128 v[63:66], off, off offset:24
	scratch_load_b128 v[67:70], off, off offset:40
	;; [unrolled: 1-line block ×6, first 2 shown]
	v_mov_b32_e32 v62, 0
	ds_load_2addr_b32 v[87:88], v62 offset0:39 offset1:40
	ds_load_2addr_b32 v[89:90], v62 offset0:41 offset1:42
	;; [unrolled: 1-line block ×4, first 2 shown]
	s_mov_b32 s0, exec_lo
	s_waitcnt vmcnt(5) lgkmcnt(3)
	v_fma_f32 v87, v64, v87, 0
	s_delay_alu instid0(VALU_DEP_1) | instskip(SKIP_4) | instid1(VALU_DEP_1)
	v_fmac_f32_e32 v87, v65, v88
	ds_load_2addr_b32 v[64:65], v62 offset0:47 offset1:48
	s_waitcnt lgkmcnt(3)
	v_fmac_f32_e32 v87, v66, v89
	s_waitcnt vmcnt(4)
	v_fmac_f32_e32 v87, v67, v90
	ds_load_2addr_b32 v[66:67], v62 offset0:49 offset1:50
	s_waitcnt lgkmcnt(3)
	v_fmac_f32_e32 v87, v68, v91
	s_delay_alu instid0(VALU_DEP_1) | instskip(SKIP_1) | instid1(VALU_DEP_1)
	v_fmac_f32_e32 v87, v69, v92
	s_waitcnt lgkmcnt(2)
	v_fmac_f32_e32 v87, v70, v93
	s_waitcnt vmcnt(3)
	s_delay_alu instid0(VALU_DEP_1) | instskip(SKIP_4) | instid1(VALU_DEP_1)
	v_fmac_f32_e32 v87, v71, v94
	ds_load_2addr_b32 v[68:69], v62 offset0:51 offset1:52
	ds_load_2addr_b32 v[70:71], v62 offset0:53 offset1:54
	s_waitcnt lgkmcnt(3)
	v_fmac_f32_e32 v87, v72, v64
	v_fmac_f32_e32 v87, v73, v65
	ds_load_2addr_b32 v[64:65], v62 offset0:55 offset1:56
	s_waitcnt lgkmcnt(3)
	v_fmac_f32_e32 v87, v74, v66
	s_waitcnt vmcnt(2)
	s_delay_alu instid0(VALU_DEP_1) | instskip(SKIP_3) | instid1(VALU_DEP_1)
	v_fmac_f32_e32 v87, v75, v67
	ds_load_2addr_b32 v[66:67], v62 offset0:57 offset1:58
	s_waitcnt lgkmcnt(3)
	v_fmac_f32_e32 v87, v76, v68
	v_fmac_f32_e32 v87, v77, v69
	s_waitcnt lgkmcnt(2)
	s_delay_alu instid0(VALU_DEP_1)
	v_fmac_f32_e32 v87, v78, v70
	ds_load_2addr_b32 v[68:69], v62 offset0:59 offset1:60
	ds_load_b32 v70, v62 offset:244
	s_waitcnt vmcnt(1)
	v_fmac_f32_e32 v87, v79, v71
	s_waitcnt lgkmcnt(3)
	s_delay_alu instid0(VALU_DEP_1) | instskip(NEXT) | instid1(VALU_DEP_1)
	v_fmac_f32_e32 v87, v80, v64
	v_fmac_f32_e32 v87, v81, v65
	s_waitcnt lgkmcnt(2)
	s_delay_alu instid0(VALU_DEP_1) | instskip(SKIP_1) | instid1(VALU_DEP_1)
	v_fmac_f32_e32 v87, v82, v66
	s_waitcnt vmcnt(0)
	v_fmac_f32_e32 v87, v83, v67
	s_waitcnt lgkmcnt(1)
	s_delay_alu instid0(VALU_DEP_1) | instskip(NEXT) | instid1(VALU_DEP_1)
	v_fmac_f32_e32 v87, v84, v68
	v_fmac_f32_e32 v87, v85, v69
	s_waitcnt lgkmcnt(0)
	s_delay_alu instid0(VALU_DEP_1) | instskip(NEXT) | instid1(VALU_DEP_1)
	v_fmac_f32_e32 v87, v86, v70
	v_sub_f32_e32 v63, v63, v87
	scratch_store_b32 off, v63, off offset:24
	v_cmpx_lt_u32_e32 5, v0
	s_cbranch_execz .LBB93_177
; %bb.176:
	scratch_load_b32 v63, off, off offset:20
	scratch_store_b32 off, v62, off offset:20
	s_waitcnt vmcnt(0)
	ds_store_b32 v61, v63
.LBB93_177:
	s_or_b32 exec_lo, exec_lo, s0
	s_waitcnt lgkmcnt(0)
	s_waitcnt_vscnt null, 0x0
	s_barrier
	buffer_gl0_inv
	s_clause 0x6
	scratch_load_b128 v[63:66], off, off offset:20
	scratch_load_b128 v[67:70], off, off offset:36
	;; [unrolled: 1-line block ×6, first 2 shown]
	scratch_load_b32 v95, off, off offset:116
	ds_load_2addr_b64 v[87:90], v62 offset0:19 offset1:20
	ds_load_2addr_b64 v[91:94], v62 offset0:21 offset1:22
	s_mov_b32 s0, exec_lo
	s_waitcnt vmcnt(6) lgkmcnt(1)
	v_fma_f32 v87, v64, v87, 0
	s_delay_alu instid0(VALU_DEP_1) | instskip(NEXT) | instid1(VALU_DEP_1)
	v_fmac_f32_e32 v87, v65, v88
	v_fmac_f32_e32 v87, v66, v89
	s_waitcnt vmcnt(5)
	s_delay_alu instid0(VALU_DEP_1) | instskip(SKIP_3) | instid1(VALU_DEP_1)
	v_fmac_f32_e32 v87, v67, v90
	ds_load_2addr_b64 v[64:67], v62 offset0:23 offset1:24
	s_waitcnt lgkmcnt(1)
	v_fmac_f32_e32 v87, v68, v91
	v_fmac_f32_e32 v87, v69, v92
	s_delay_alu instid0(VALU_DEP_1) | instskip(SKIP_1) | instid1(VALU_DEP_1)
	v_fmac_f32_e32 v87, v70, v93
	s_waitcnt vmcnt(4)
	v_fmac_f32_e32 v87, v71, v94
	ds_load_2addr_b64 v[68:71], v62 offset0:25 offset1:26
	s_waitcnt lgkmcnt(1)
	v_fmac_f32_e32 v87, v72, v64
	s_delay_alu instid0(VALU_DEP_1) | instskip(NEXT) | instid1(VALU_DEP_1)
	v_fmac_f32_e32 v87, v73, v65
	v_fmac_f32_e32 v87, v74, v66
	s_waitcnt vmcnt(3)
	s_delay_alu instid0(VALU_DEP_1) | instskip(SKIP_3) | instid1(VALU_DEP_1)
	v_fmac_f32_e32 v87, v75, v67
	ds_load_2addr_b64 v[64:67], v62 offset0:27 offset1:28
	s_waitcnt lgkmcnt(1)
	v_fmac_f32_e32 v87, v76, v68
	v_fmac_f32_e32 v87, v77, v69
	s_delay_alu instid0(VALU_DEP_1) | instskip(SKIP_1) | instid1(VALU_DEP_1)
	v_fmac_f32_e32 v87, v78, v70
	s_waitcnt vmcnt(2)
	v_fmac_f32_e32 v87, v79, v71
	ds_load_2addr_b64 v[68:71], v62 offset0:29 offset1:30
	s_waitcnt lgkmcnt(1)
	v_fmac_f32_e32 v87, v80, v64
	s_delay_alu instid0(VALU_DEP_1) | instskip(NEXT) | instid1(VALU_DEP_1)
	v_fmac_f32_e32 v87, v81, v65
	v_fmac_f32_e32 v87, v82, v66
	s_waitcnt vmcnt(1)
	s_delay_alu instid0(VALU_DEP_1) | instskip(SKIP_1) | instid1(VALU_DEP_1)
	v_fmac_f32_e32 v87, v83, v67
	s_waitcnt lgkmcnt(0)
	v_fmac_f32_e32 v87, v84, v68
	s_delay_alu instid0(VALU_DEP_1) | instskip(NEXT) | instid1(VALU_DEP_1)
	v_fmac_f32_e32 v87, v85, v69
	v_fmac_f32_e32 v87, v86, v70
	s_waitcnt vmcnt(0)
	s_delay_alu instid0(VALU_DEP_1) | instskip(NEXT) | instid1(VALU_DEP_1)
	v_fmac_f32_e32 v87, v95, v71
	v_sub_f32_e32 v62, v63, v87
	scratch_store_b32 off, v62, off offset:20
	v_cmpx_lt_u32_e32 4, v0
	s_cbranch_execz .LBB93_179
; %bb.178:
	scratch_load_b32 v62, off, off offset:16
	v_mov_b32_e32 v63, 0
	scratch_store_b32 off, v63, off offset:16
	s_waitcnt vmcnt(0)
	ds_store_b32 v61, v62
.LBB93_179:
	s_or_b32 exec_lo, exec_lo, s0
	s_waitcnt lgkmcnt(0)
	s_waitcnt_vscnt null, 0x0
	s_barrier
	buffer_gl0_inv
	s_clause 0x6
	scratch_load_b128 v[63:66], off, off offset:16
	scratch_load_b128 v[67:70], off, off offset:32
	;; [unrolled: 1-line block ×6, first 2 shown]
	scratch_load_b64 v[87:88], off, off offset:112
	v_mov_b32_e32 v62, 0
	ds_load_2addr_b32 v[89:90], v62 offset0:37 offset1:38
	ds_load_2addr_b32 v[91:92], v62 offset0:39 offset1:40
	;; [unrolled: 1-line block ×4, first 2 shown]
	s_mov_b32 s0, exec_lo
	s_waitcnt vmcnt(6) lgkmcnt(3)
	v_fma_f32 v89, v64, v89, 0
	s_delay_alu instid0(VALU_DEP_1) | instskip(SKIP_4) | instid1(VALU_DEP_1)
	v_fmac_f32_e32 v89, v65, v90
	ds_load_2addr_b32 v[64:65], v62 offset0:45 offset1:46
	s_waitcnt lgkmcnt(3)
	v_fmac_f32_e32 v89, v66, v91
	s_waitcnt vmcnt(5)
	v_fmac_f32_e32 v89, v67, v92
	ds_load_2addr_b32 v[66:67], v62 offset0:47 offset1:48
	s_waitcnt lgkmcnt(3)
	v_fmac_f32_e32 v89, v68, v93
	s_delay_alu instid0(VALU_DEP_1) | instskip(SKIP_1) | instid1(VALU_DEP_1)
	v_fmac_f32_e32 v89, v69, v94
	s_waitcnt lgkmcnt(2)
	v_fmac_f32_e32 v89, v70, v95
	s_waitcnt vmcnt(4)
	s_delay_alu instid0(VALU_DEP_1) | instskip(SKIP_4) | instid1(VALU_DEP_1)
	v_fmac_f32_e32 v89, v71, v96
	ds_load_2addr_b32 v[68:69], v62 offset0:49 offset1:50
	ds_load_2addr_b32 v[70:71], v62 offset0:51 offset1:52
	s_waitcnt lgkmcnt(3)
	v_fmac_f32_e32 v89, v72, v64
	v_fmac_f32_e32 v89, v73, v65
	ds_load_2addr_b32 v[64:65], v62 offset0:53 offset1:54
	s_waitcnt lgkmcnt(3)
	v_fmac_f32_e32 v89, v74, v66
	s_waitcnt vmcnt(3)
	s_delay_alu instid0(VALU_DEP_1) | instskip(SKIP_3) | instid1(VALU_DEP_1)
	v_fmac_f32_e32 v89, v75, v67
	ds_load_2addr_b32 v[66:67], v62 offset0:55 offset1:56
	s_waitcnt lgkmcnt(3)
	v_fmac_f32_e32 v89, v76, v68
	v_fmac_f32_e32 v89, v77, v69
	s_waitcnt lgkmcnt(2)
	s_delay_alu instid0(VALU_DEP_1) | instskip(SKIP_1) | instid1(VALU_DEP_1)
	v_fmac_f32_e32 v89, v78, v70
	s_waitcnt vmcnt(2)
	v_fmac_f32_e32 v89, v79, v71
	ds_load_2addr_b32 v[68:69], v62 offset0:57 offset1:58
	ds_load_2addr_b32 v[70:71], v62 offset0:59 offset1:60
	s_waitcnt lgkmcnt(3)
	v_fmac_f32_e32 v89, v80, v64
	ds_load_b32 v64, v62 offset:244
	v_fmac_f32_e32 v89, v81, v65
	s_waitcnt lgkmcnt(3)
	s_delay_alu instid0(VALU_DEP_1) | instskip(SKIP_1) | instid1(VALU_DEP_1)
	v_fmac_f32_e32 v89, v82, v66
	s_waitcnt vmcnt(1)
	v_fmac_f32_e32 v89, v83, v67
	s_waitcnt lgkmcnt(2)
	s_delay_alu instid0(VALU_DEP_1) | instskip(NEXT) | instid1(VALU_DEP_1)
	v_fmac_f32_e32 v89, v84, v68
	v_fmac_f32_e32 v89, v85, v69
	s_waitcnt lgkmcnt(1)
	s_delay_alu instid0(VALU_DEP_1) | instskip(SKIP_1) | instid1(VALU_DEP_1)
	v_fmac_f32_e32 v89, v86, v70
	s_waitcnt vmcnt(0)
	v_fmac_f32_e32 v89, v87, v71
	s_waitcnt lgkmcnt(0)
	s_delay_alu instid0(VALU_DEP_1) | instskip(NEXT) | instid1(VALU_DEP_1)
	v_fmac_f32_e32 v89, v88, v64
	v_sub_f32_e32 v63, v63, v89
	scratch_store_b32 off, v63, off offset:16
	v_cmpx_lt_u32_e32 3, v0
	s_cbranch_execz .LBB93_181
; %bb.180:
	scratch_load_b32 v63, off, off offset:12
	scratch_store_b32 off, v62, off offset:12
	s_waitcnt vmcnt(0)
	ds_store_b32 v61, v63
.LBB93_181:
	s_or_b32 exec_lo, exec_lo, s0
	s_waitcnt lgkmcnt(0)
	s_waitcnt_vscnt null, 0x0
	s_barrier
	buffer_gl0_inv
	s_clause 0x6
	scratch_load_b128 v[63:66], off, off offset:12
	scratch_load_b128 v[67:70], off, off offset:28
	;; [unrolled: 1-line block ×6, first 2 shown]
	scratch_load_b96 v[95:97], off, off offset:108
	ds_load_b128 v[87:90], v62 offset:144
	ds_load_b128 v[91:94], v62 offset:160
	s_mov_b32 s0, exec_lo
	s_waitcnt vmcnt(6) lgkmcnt(1)
	v_fma_f32 v87, v64, v87, 0
	s_delay_alu instid0(VALU_DEP_1) | instskip(NEXT) | instid1(VALU_DEP_1)
	v_fmac_f32_e32 v87, v65, v88
	v_fmac_f32_e32 v87, v66, v89
	s_waitcnt vmcnt(5)
	s_delay_alu instid0(VALU_DEP_1) | instskip(SKIP_3) | instid1(VALU_DEP_1)
	v_fmac_f32_e32 v87, v67, v90
	ds_load_b128 v[64:67], v62 offset:176
	s_waitcnt lgkmcnt(1)
	v_fmac_f32_e32 v87, v68, v91
	v_fmac_f32_e32 v87, v69, v92
	s_delay_alu instid0(VALU_DEP_1) | instskip(SKIP_1) | instid1(VALU_DEP_1)
	v_fmac_f32_e32 v87, v70, v93
	s_waitcnt vmcnt(4)
	v_fmac_f32_e32 v87, v71, v94
	ds_load_b128 v[68:71], v62 offset:192
	s_waitcnt lgkmcnt(1)
	v_fmac_f32_e32 v87, v72, v64
	s_delay_alu instid0(VALU_DEP_1) | instskip(NEXT) | instid1(VALU_DEP_1)
	v_fmac_f32_e32 v87, v73, v65
	v_fmac_f32_e32 v87, v74, v66
	s_waitcnt vmcnt(3)
	s_delay_alu instid0(VALU_DEP_1) | instskip(SKIP_3) | instid1(VALU_DEP_1)
	v_fmac_f32_e32 v87, v75, v67
	ds_load_b128 v[64:67], v62 offset:208
	s_waitcnt lgkmcnt(1)
	v_fmac_f32_e32 v87, v76, v68
	v_fmac_f32_e32 v87, v77, v69
	s_delay_alu instid0(VALU_DEP_1) | instskip(SKIP_1) | instid1(VALU_DEP_1)
	v_fmac_f32_e32 v87, v78, v70
	s_waitcnt vmcnt(2)
	v_fmac_f32_e32 v87, v79, v71
	ds_load_b128 v[68:71], v62 offset:224
	s_waitcnt lgkmcnt(1)
	v_fmac_f32_e32 v87, v80, v64
	s_delay_alu instid0(VALU_DEP_1) | instskip(SKIP_3) | instid1(VALU_DEP_1)
	v_fmac_f32_e32 v87, v81, v65
	ds_load_b64 v[64:65], v62 offset:240
	v_fmac_f32_e32 v87, v82, v66
	s_waitcnt vmcnt(1)
	v_fmac_f32_e32 v87, v83, v67
	s_waitcnt lgkmcnt(1)
	s_delay_alu instid0(VALU_DEP_1) | instskip(NEXT) | instid1(VALU_DEP_1)
	v_fmac_f32_e32 v87, v84, v68
	v_fmac_f32_e32 v87, v85, v69
	s_delay_alu instid0(VALU_DEP_1) | instskip(SKIP_1) | instid1(VALU_DEP_1)
	v_fmac_f32_e32 v87, v86, v70
	s_waitcnt vmcnt(0)
	v_fmac_f32_e32 v87, v95, v71
	s_waitcnt lgkmcnt(0)
	s_delay_alu instid0(VALU_DEP_1) | instskip(NEXT) | instid1(VALU_DEP_1)
	v_fmac_f32_e32 v87, v96, v64
	v_fmac_f32_e32 v87, v97, v65
	s_delay_alu instid0(VALU_DEP_1)
	v_sub_f32_e32 v62, v63, v87
	scratch_store_b32 off, v62, off offset:12
	v_cmpx_lt_u32_e32 2, v0
	s_cbranch_execz .LBB93_183
; %bb.182:
	scratch_load_b32 v62, off, off offset:8
	v_mov_b32_e32 v63, 0
	scratch_store_b32 off, v63, off offset:8
	s_waitcnt vmcnt(0)
	ds_store_b32 v61, v62
.LBB93_183:
	s_or_b32 exec_lo, exec_lo, s0
	s_waitcnt lgkmcnt(0)
	s_waitcnt_vscnt null, 0x0
	s_barrier
	buffer_gl0_inv
	s_clause 0x6
	scratch_load_b128 v[63:66], off, off offset:8
	scratch_load_b128 v[67:70], off, off offset:24
	scratch_load_b128 v[71:74], off, off offset:40
	scratch_load_b128 v[75:78], off, off offset:56
	scratch_load_b128 v[79:82], off, off offset:72
	scratch_load_b128 v[83:86], off, off offset:88
	scratch_load_b128 v[87:90], off, off offset:104
	v_mov_b32_e32 v62, 0
	ds_load_2addr_b32 v[91:92], v62 offset0:35 offset1:36
	ds_load_2addr_b32 v[93:94], v62 offset0:37 offset1:38
	;; [unrolled: 1-line block ×4, first 2 shown]
	s_mov_b32 s0, exec_lo
	s_waitcnt vmcnt(6) lgkmcnt(3)
	v_fma_f32 v91, v64, v91, 0
	s_delay_alu instid0(VALU_DEP_1) | instskip(SKIP_4) | instid1(VALU_DEP_1)
	v_fmac_f32_e32 v91, v65, v92
	ds_load_2addr_b32 v[64:65], v62 offset0:43 offset1:44
	s_waitcnt lgkmcnt(3)
	v_fmac_f32_e32 v91, v66, v93
	s_waitcnt vmcnt(5)
	v_fmac_f32_e32 v91, v67, v94
	ds_load_2addr_b32 v[66:67], v62 offset0:45 offset1:46
	s_waitcnt lgkmcnt(3)
	v_fmac_f32_e32 v91, v68, v95
	s_delay_alu instid0(VALU_DEP_1) | instskip(SKIP_1) | instid1(VALU_DEP_1)
	v_fmac_f32_e32 v91, v69, v96
	s_waitcnt lgkmcnt(2)
	v_fmac_f32_e32 v91, v70, v97
	s_waitcnt vmcnt(4)
	s_delay_alu instid0(VALU_DEP_1) | instskip(SKIP_4) | instid1(VALU_DEP_1)
	v_fmac_f32_e32 v91, v71, v98
	ds_load_2addr_b32 v[68:69], v62 offset0:47 offset1:48
	ds_load_2addr_b32 v[70:71], v62 offset0:49 offset1:50
	s_waitcnt lgkmcnt(3)
	v_fmac_f32_e32 v91, v72, v64
	v_fmac_f32_e32 v91, v73, v65
	ds_load_2addr_b32 v[64:65], v62 offset0:51 offset1:52
	s_waitcnt lgkmcnt(3)
	v_fmac_f32_e32 v91, v74, v66
	s_waitcnt vmcnt(3)
	s_delay_alu instid0(VALU_DEP_1) | instskip(SKIP_3) | instid1(VALU_DEP_1)
	v_fmac_f32_e32 v91, v75, v67
	ds_load_2addr_b32 v[66:67], v62 offset0:53 offset1:54
	s_waitcnt lgkmcnt(3)
	v_fmac_f32_e32 v91, v76, v68
	v_fmac_f32_e32 v91, v77, v69
	s_waitcnt lgkmcnt(2)
	s_delay_alu instid0(VALU_DEP_1) | instskip(SKIP_1) | instid1(VALU_DEP_1)
	v_fmac_f32_e32 v91, v78, v70
	s_waitcnt vmcnt(2)
	v_fmac_f32_e32 v91, v79, v71
	ds_load_2addr_b32 v[68:69], v62 offset0:55 offset1:56
	ds_load_2addr_b32 v[70:71], v62 offset0:57 offset1:58
	s_waitcnt lgkmcnt(3)
	v_fmac_f32_e32 v91, v80, v64
	s_delay_alu instid0(VALU_DEP_1)
	v_fmac_f32_e32 v91, v81, v65
	ds_load_2addr_b32 v[64:65], v62 offset0:59 offset1:60
	s_waitcnt lgkmcnt(3)
	v_fmac_f32_e32 v91, v82, v66
	ds_load_b32 v66, v62 offset:244
	s_waitcnt vmcnt(1)
	v_fmac_f32_e32 v91, v83, v67
	s_waitcnt lgkmcnt(3)
	s_delay_alu instid0(VALU_DEP_1) | instskip(NEXT) | instid1(VALU_DEP_1)
	v_fmac_f32_e32 v91, v84, v68
	v_fmac_f32_e32 v91, v85, v69
	s_waitcnt lgkmcnt(2)
	s_delay_alu instid0(VALU_DEP_1) | instskip(SKIP_1) | instid1(VALU_DEP_1)
	v_fmac_f32_e32 v91, v86, v70
	s_waitcnt vmcnt(0)
	v_fmac_f32_e32 v91, v87, v71
	s_waitcnt lgkmcnt(1)
	s_delay_alu instid0(VALU_DEP_1) | instskip(NEXT) | instid1(VALU_DEP_1)
	v_fmac_f32_e32 v91, v88, v64
	v_fmac_f32_e32 v91, v89, v65
	s_waitcnt lgkmcnt(0)
	s_delay_alu instid0(VALU_DEP_1) | instskip(NEXT) | instid1(VALU_DEP_1)
	v_fmac_f32_e32 v91, v90, v66
	v_sub_f32_e32 v63, v63, v91
	scratch_store_b32 off, v63, off offset:8
	v_cmpx_lt_u32_e32 1, v0
	s_cbranch_execz .LBB93_185
; %bb.184:
	scratch_load_b32 v63, off, off offset:4
	scratch_store_b32 off, v62, off offset:4
	s_waitcnt vmcnt(0)
	ds_store_b32 v61, v63
.LBB93_185:
	s_or_b32 exec_lo, exec_lo, s0
	s_waitcnt lgkmcnt(0)
	s_waitcnt_vscnt null, 0x0
	s_barrier
	buffer_gl0_inv
	s_clause 0x7
	scratch_load_b128 v[63:66], off, off offset:4
	scratch_load_b128 v[67:70], off, off offset:20
	scratch_load_b128 v[71:74], off, off offset:36
	scratch_load_b128 v[75:78], off, off offset:52
	scratch_load_b128 v[79:82], off, off offset:68
	scratch_load_b128 v[83:86], off, off offset:84
	scratch_load_b128 v[87:90], off, off offset:100
	scratch_load_b32 v99, off, off offset:116
	ds_load_2addr_b64 v[91:94], v62 offset0:17 offset1:18
	ds_load_2addr_b64 v[95:98], v62 offset0:19 offset1:20
	s_mov_b32 s0, exec_lo
	s_waitcnt vmcnt(7) lgkmcnt(1)
	v_fma_f32 v91, v64, v91, 0
	s_delay_alu instid0(VALU_DEP_1) | instskip(NEXT) | instid1(VALU_DEP_1)
	v_fmac_f32_e32 v91, v65, v92
	v_fmac_f32_e32 v91, v66, v93
	s_waitcnt vmcnt(6)
	s_delay_alu instid0(VALU_DEP_1) | instskip(SKIP_3) | instid1(VALU_DEP_1)
	v_fmac_f32_e32 v91, v67, v94
	ds_load_2addr_b64 v[64:67], v62 offset0:21 offset1:22
	s_waitcnt lgkmcnt(1)
	v_fmac_f32_e32 v91, v68, v95
	v_fmac_f32_e32 v91, v69, v96
	s_delay_alu instid0(VALU_DEP_1) | instskip(SKIP_1) | instid1(VALU_DEP_1)
	v_fmac_f32_e32 v91, v70, v97
	s_waitcnt vmcnt(5)
	v_fmac_f32_e32 v91, v71, v98
	ds_load_2addr_b64 v[68:71], v62 offset0:23 offset1:24
	s_waitcnt lgkmcnt(1)
	v_fmac_f32_e32 v91, v72, v64
	s_delay_alu instid0(VALU_DEP_1) | instskip(NEXT) | instid1(VALU_DEP_1)
	v_fmac_f32_e32 v91, v73, v65
	v_fmac_f32_e32 v91, v74, v66
	s_waitcnt vmcnt(4)
	s_delay_alu instid0(VALU_DEP_1) | instskip(SKIP_3) | instid1(VALU_DEP_1)
	v_fmac_f32_e32 v91, v75, v67
	ds_load_2addr_b64 v[64:67], v62 offset0:25 offset1:26
	s_waitcnt lgkmcnt(1)
	v_fmac_f32_e32 v91, v76, v68
	v_fmac_f32_e32 v91, v77, v69
	s_delay_alu instid0(VALU_DEP_1) | instskip(SKIP_1) | instid1(VALU_DEP_1)
	v_fmac_f32_e32 v91, v78, v70
	s_waitcnt vmcnt(3)
	v_fmac_f32_e32 v91, v79, v71
	ds_load_2addr_b64 v[68:71], v62 offset0:27 offset1:28
	s_waitcnt lgkmcnt(1)
	v_fmac_f32_e32 v91, v80, v64
	s_delay_alu instid0(VALU_DEP_1) | instskip(NEXT) | instid1(VALU_DEP_1)
	v_fmac_f32_e32 v91, v81, v65
	v_fmac_f32_e32 v91, v82, v66
	s_waitcnt vmcnt(2)
	s_delay_alu instid0(VALU_DEP_1) | instskip(SKIP_3) | instid1(VALU_DEP_1)
	v_fmac_f32_e32 v91, v83, v67
	ds_load_2addr_b64 v[64:67], v62 offset0:29 offset1:30
	s_waitcnt lgkmcnt(1)
	v_fmac_f32_e32 v91, v84, v68
	v_fmac_f32_e32 v91, v85, v69
	s_delay_alu instid0(VALU_DEP_1) | instskip(SKIP_1) | instid1(VALU_DEP_1)
	v_fmac_f32_e32 v91, v86, v70
	s_waitcnt vmcnt(1)
	v_fmac_f32_e32 v91, v87, v71
	s_waitcnt lgkmcnt(0)
	s_delay_alu instid0(VALU_DEP_1) | instskip(NEXT) | instid1(VALU_DEP_1)
	v_fmac_f32_e32 v91, v88, v64
	v_fmac_f32_e32 v91, v89, v65
	s_delay_alu instid0(VALU_DEP_1) | instskip(SKIP_1) | instid1(VALU_DEP_1)
	v_fmac_f32_e32 v91, v90, v66
	s_waitcnt vmcnt(0)
	v_fmac_f32_e32 v91, v99, v67
	s_delay_alu instid0(VALU_DEP_1)
	v_sub_f32_e32 v62, v63, v91
	scratch_store_b32 off, v62, off offset:4
	v_cmpx_ne_u32_e32 0, v0
	s_cbranch_execz .LBB93_187
; %bb.186:
	scratch_load_b32 v0, off, off
	v_mov_b32_e32 v62, 0
	scratch_store_b32 off, v62, off
	s_waitcnt vmcnt(0)
	ds_store_b32 v61, v0
.LBB93_187:
	s_or_b32 exec_lo, exec_lo, s0
	s_waitcnt lgkmcnt(0)
	s_waitcnt_vscnt null, 0x0
	s_barrier
	buffer_gl0_inv
	s_clause 0x7
	scratch_load_b128 v[63:66], off, off
	scratch_load_b128 v[67:70], off, off offset:16
	scratch_load_b128 v[71:74], off, off offset:32
	;; [unrolled: 1-line block ×6, first 2 shown]
	scratch_load_b64 v[61:62], off, off offset:112
	v_mov_b32_e32 v0, 0
	ds_load_2addr_b32 v[91:92], v0 offset0:33 offset1:34
	ds_load_2addr_b32 v[93:94], v0 offset0:35 offset1:36
	;; [unrolled: 1-line block ×4, first 2 shown]
	s_and_b32 vcc_lo, exec_lo, s12
	s_waitcnt vmcnt(7) lgkmcnt(3)
	v_fma_f32 v91, v64, v91, 0
	s_delay_alu instid0(VALU_DEP_1) | instskip(SKIP_4) | instid1(VALU_DEP_1)
	v_fmac_f32_e32 v91, v65, v92
	ds_load_2addr_b32 v[64:65], v0 offset0:41 offset1:42
	s_waitcnt lgkmcnt(3)
	v_fmac_f32_e32 v91, v66, v93
	s_waitcnt vmcnt(6)
	v_fmac_f32_e32 v91, v67, v94
	ds_load_2addr_b32 v[66:67], v0 offset0:43 offset1:44
	s_waitcnt lgkmcnt(3)
	v_fmac_f32_e32 v91, v68, v95
	s_delay_alu instid0(VALU_DEP_1) | instskip(SKIP_1) | instid1(VALU_DEP_1)
	v_fmac_f32_e32 v91, v69, v96
	s_waitcnt lgkmcnt(2)
	v_fmac_f32_e32 v91, v70, v97
	s_waitcnt vmcnt(5)
	s_delay_alu instid0(VALU_DEP_1) | instskip(SKIP_4) | instid1(VALU_DEP_1)
	v_fmac_f32_e32 v91, v71, v98
	ds_load_2addr_b32 v[68:69], v0 offset0:45 offset1:46
	ds_load_2addr_b32 v[70:71], v0 offset0:47 offset1:48
	s_waitcnt lgkmcnt(3)
	v_fmac_f32_e32 v91, v72, v64
	v_fmac_f32_e32 v91, v73, v65
	ds_load_2addr_b32 v[64:65], v0 offset0:49 offset1:50
	s_waitcnt lgkmcnt(3)
	v_fmac_f32_e32 v91, v74, v66
	s_waitcnt vmcnt(4)
	s_delay_alu instid0(VALU_DEP_1) | instskip(SKIP_3) | instid1(VALU_DEP_1)
	v_fmac_f32_e32 v91, v75, v67
	ds_load_2addr_b32 v[66:67], v0 offset0:51 offset1:52
	s_waitcnt lgkmcnt(3)
	v_fmac_f32_e32 v91, v76, v68
	v_fmac_f32_e32 v91, v77, v69
	s_waitcnt lgkmcnt(2)
	s_delay_alu instid0(VALU_DEP_1) | instskip(SKIP_1) | instid1(VALU_DEP_1)
	v_fmac_f32_e32 v91, v78, v70
	s_waitcnt vmcnt(3)
	v_fmac_f32_e32 v91, v79, v71
	ds_load_2addr_b32 v[68:69], v0 offset0:53 offset1:54
	ds_load_2addr_b32 v[70:71], v0 offset0:55 offset1:56
	s_waitcnt lgkmcnt(3)
	v_fmac_f32_e32 v91, v80, v64
	s_delay_alu instid0(VALU_DEP_1) | instskip(SKIP_4) | instid1(VALU_DEP_1)
	v_fmac_f32_e32 v91, v81, v65
	ds_load_2addr_b32 v[64:65], v0 offset0:57 offset1:58
	s_waitcnt lgkmcnt(3)
	v_fmac_f32_e32 v91, v82, v66
	s_waitcnt vmcnt(2)
	v_fmac_f32_e32 v91, v83, v67
	ds_load_2addr_b32 v[66:67], v0 offset0:59 offset1:60
	ds_load_b32 v0, v0 offset:244
	s_waitcnt lgkmcnt(4)
	v_fmac_f32_e32 v91, v84, v68
	s_delay_alu instid0(VALU_DEP_1) | instskip(SKIP_1) | instid1(VALU_DEP_1)
	v_fmac_f32_e32 v91, v85, v69
	s_waitcnt lgkmcnt(3)
	v_fmac_f32_e32 v91, v86, v70
	s_waitcnt vmcnt(1)
	s_delay_alu instid0(VALU_DEP_1) | instskip(SKIP_1) | instid1(VALU_DEP_1)
	v_fmac_f32_e32 v91, v87, v71
	s_waitcnt lgkmcnt(2)
	v_fmac_f32_e32 v91, v88, v64
	s_delay_alu instid0(VALU_DEP_1) | instskip(SKIP_1) | instid1(VALU_DEP_1)
	v_fmac_f32_e32 v91, v89, v65
	s_waitcnt lgkmcnt(1)
	v_fmac_f32_e32 v91, v90, v66
	s_waitcnt vmcnt(0)
	s_delay_alu instid0(VALU_DEP_1) | instskip(SKIP_1) | instid1(VALU_DEP_1)
	v_fmac_f32_e32 v91, v61, v67
	s_waitcnt lgkmcnt(0)
	v_fmac_f32_e32 v91, v62, v0
	s_delay_alu instid0(VALU_DEP_1)
	v_sub_f32_e32 v0, v63, v91
	scratch_store_b32 off, v0, off
	s_cbranch_vccz .LBB93_247
; %bb.188:
	v_dual_mov_b32 v63, s3 :: v_dual_mov_b32 v62, s2
	s_mov_b32 s0, exec_lo
	flat_load_b32 v0, v[62:63] offset:112
	s_waitcnt vmcnt(0) lgkmcnt(0)
	v_cmpx_ne_u32_e32 29, v0
	s_cbranch_execz .LBB93_190
; %bb.189:
	v_lshl_add_u32 v0, v0, 2, 0
	scratch_load_b32 v62, v0, off offset:-4
	s_waitcnt vmcnt(0)
	scratch_store_b32 off, v62, off offset:112
	scratch_store_b32 v0, v61, off offset:-4
.LBB93_190:
	s_or_b32 exec_lo, exec_lo, s0
	v_dual_mov_b32 v62, s3 :: v_dual_mov_b32 v61, s2
	s_mov_b32 s0, exec_lo
	flat_load_b32 v0, v[61:62] offset:108
	s_waitcnt vmcnt(0) lgkmcnt(0)
	v_cmpx_ne_u32_e32 28, v0
	s_cbranch_execz .LBB93_192
; %bb.191:
	v_lshl_add_u32 v0, v0, 2, 0
	scratch_load_b32 v61, v0, off offset:-4
	scratch_load_b32 v62, off, off offset:108
	s_waitcnt vmcnt(1)
	scratch_store_b32 off, v61, off offset:108
	s_waitcnt vmcnt(0)
	scratch_store_b32 v0, v62, off offset:-4
.LBB93_192:
	s_or_b32 exec_lo, exec_lo, s0
	v_dual_mov_b32 v62, s3 :: v_dual_mov_b32 v61, s2
	s_mov_b32 s0, exec_lo
	flat_load_b32 v0, v[61:62] offset:104
	s_waitcnt vmcnt(0) lgkmcnt(0)
	v_cmpx_ne_u32_e32 27, v0
	s_cbranch_execz .LBB93_194
; %bb.193:
	v_lshl_add_u32 v0, v0, 2, 0
	scratch_load_b32 v61, v0, off offset:-4
	scratch_load_b32 v62, off, off offset:104
	s_waitcnt vmcnt(1)
	scratch_store_b32 off, v61, off offset:104
	s_waitcnt vmcnt(0)
	scratch_store_b32 v0, v62, off offset:-4
.LBB93_194:
	;; [unrolled: 16-line block ×27, first 2 shown]
	s_or_b32 exec_lo, exec_lo, s0
	v_dual_mov_b32 v62, s3 :: v_dual_mov_b32 v61, s2
	s_mov_b32 s0, exec_lo
	flat_load_b32 v61, v[61:62]
	scratch_load_b32 v0, off, off
	s_waitcnt vmcnt(1) lgkmcnt(0)
	v_cmpx_ne_u32_e32 1, v61
	s_cbranch_execz .LBB93_246
; %bb.245:
	v_lshl_add_u32 v61, v61, 2, 0
	scratch_load_b32 v62, v61, off offset:-4
	s_waitcnt vmcnt(0)
	scratch_store_b32 off, v62, off
	scratch_store_b32 v61, v0, off offset:-4
	scratch_load_b32 v0, off, off
.LBB93_246:
	s_or_b32 exec_lo, exec_lo, s0
.LBB93_247:
	s_clause 0x7
	scratch_load_b128 v[61:64], off, off offset:4
	scratch_load_b128 v[65:68], off, off offset:20
	;; [unrolled: 1-line block ×7, first 2 shown]
	scratch_load_b32 v89, off, off offset:116
	s_waitcnt vmcnt(8)
	global_store_b32 v[1:2], v0, off
	s_waitcnt vmcnt(7)
	s_clause 0x3
	global_store_b32 v[3:4], v61, off
	global_store_b32 v[5:6], v62, off
	global_store_b32 v[7:8], v63, off
	global_store_b32 v[9:10], v64, off
	s_waitcnt vmcnt(6)
	s_clause 0x3
	global_store_b32 v[11:12], v65, off
	global_store_b32 v[13:14], v66, off
	global_store_b32 v[15:16], v67, off
	;; [unrolled: 6-line block ×7, first 2 shown]
	global_store_b32 v[57:58], v88, off
	s_waitcnt vmcnt(0)
	global_store_b32 v[59:60], v89, off
	s_endpgm
	.section	.rodata,"a",@progbits
	.p2align	6, 0x0
	.amdhsa_kernel _ZN9rocsolver6v33100L18getri_kernel_smallILi30EfPKPfEEvT1_iilPiilS6_bb
		.amdhsa_group_segment_fixed_size 248
		.amdhsa_private_segment_fixed_size 128
		.amdhsa_kernarg_size 60
		.amdhsa_user_sgpr_count 15
		.amdhsa_user_sgpr_dispatch_ptr 0
		.amdhsa_user_sgpr_queue_ptr 0
		.amdhsa_user_sgpr_kernarg_segment_ptr 1
		.amdhsa_user_sgpr_dispatch_id 0
		.amdhsa_user_sgpr_private_segment_size 0
		.amdhsa_wavefront_size32 1
		.amdhsa_uses_dynamic_stack 0
		.amdhsa_enable_private_segment 1
		.amdhsa_system_sgpr_workgroup_id_x 1
		.amdhsa_system_sgpr_workgroup_id_y 0
		.amdhsa_system_sgpr_workgroup_id_z 0
		.amdhsa_system_sgpr_workgroup_info 0
		.amdhsa_system_vgpr_workitem_id 0
		.amdhsa_next_free_vgpr 100
		.amdhsa_next_free_sgpr 17
		.amdhsa_reserve_vcc 1
		.amdhsa_float_round_mode_32 0
		.amdhsa_float_round_mode_16_64 0
		.amdhsa_float_denorm_mode_32 3
		.amdhsa_float_denorm_mode_16_64 3
		.amdhsa_dx10_clamp 1
		.amdhsa_ieee_mode 1
		.amdhsa_fp16_overflow 0
		.amdhsa_workgroup_processor_mode 1
		.amdhsa_memory_ordered 1
		.amdhsa_forward_progress 0
		.amdhsa_shared_vgpr_count 0
		.amdhsa_exception_fp_ieee_invalid_op 0
		.amdhsa_exception_fp_denorm_src 0
		.amdhsa_exception_fp_ieee_div_zero 0
		.amdhsa_exception_fp_ieee_overflow 0
		.amdhsa_exception_fp_ieee_underflow 0
		.amdhsa_exception_fp_ieee_inexact 0
		.amdhsa_exception_int_div_zero 0
	.end_amdhsa_kernel
	.section	.text._ZN9rocsolver6v33100L18getri_kernel_smallILi30EfPKPfEEvT1_iilPiilS6_bb,"axG",@progbits,_ZN9rocsolver6v33100L18getri_kernel_smallILi30EfPKPfEEvT1_iilPiilS6_bb,comdat
.Lfunc_end93:
	.size	_ZN9rocsolver6v33100L18getri_kernel_smallILi30EfPKPfEEvT1_iilPiilS6_bb, .Lfunc_end93-_ZN9rocsolver6v33100L18getri_kernel_smallILi30EfPKPfEEvT1_iilPiilS6_bb
                                        ; -- End function
	.section	.AMDGPU.csdata,"",@progbits
; Kernel info:
; codeLenInByte = 18416
; NumSgprs: 19
; NumVgprs: 100
; ScratchSize: 128
; MemoryBound: 0
; FloatMode: 240
; IeeeMode: 1
; LDSByteSize: 248 bytes/workgroup (compile time only)
; SGPRBlocks: 2
; VGPRBlocks: 12
; NumSGPRsForWavesPerEU: 19
; NumVGPRsForWavesPerEU: 100
; Occupancy: 12
; WaveLimiterHint : 1
; COMPUTE_PGM_RSRC2:SCRATCH_EN: 1
; COMPUTE_PGM_RSRC2:USER_SGPR: 15
; COMPUTE_PGM_RSRC2:TRAP_HANDLER: 0
; COMPUTE_PGM_RSRC2:TGID_X_EN: 1
; COMPUTE_PGM_RSRC2:TGID_Y_EN: 0
; COMPUTE_PGM_RSRC2:TGID_Z_EN: 0
; COMPUTE_PGM_RSRC2:TIDIG_COMP_CNT: 0
	.section	.text._ZN9rocsolver6v33100L18getri_kernel_smallILi31EfPKPfEEvT1_iilPiilS6_bb,"axG",@progbits,_ZN9rocsolver6v33100L18getri_kernel_smallILi31EfPKPfEEvT1_iilPiilS6_bb,comdat
	.globl	_ZN9rocsolver6v33100L18getri_kernel_smallILi31EfPKPfEEvT1_iilPiilS6_bb ; -- Begin function _ZN9rocsolver6v33100L18getri_kernel_smallILi31EfPKPfEEvT1_iilPiilS6_bb
	.p2align	8
	.type	_ZN9rocsolver6v33100L18getri_kernel_smallILi31EfPKPfEEvT1_iilPiilS6_bb,@function
_ZN9rocsolver6v33100L18getri_kernel_smallILi31EfPKPfEEvT1_iilPiilS6_bb: ; @_ZN9rocsolver6v33100L18getri_kernel_smallILi31EfPKPfEEvT1_iilPiilS6_bb
; %bb.0:
	s_mov_b32 s2, exec_lo
	v_cmpx_gt_u32_e32 31, v0
	s_cbranch_execz .LBB94_132
; %bb.1:
	s_clause 0x1
	s_load_b32 s13, s[0:1], 0x38
	s_load_b64 s[2:3], s[0:1], 0x0
	s_mov_b32 s8, s15
	s_load_b128 s[4:7], s[0:1], 0x28
	s_waitcnt lgkmcnt(0)
	s_bitcmp1_b32 s13, 8
	s_cselect_b32 s12, -1, 0
	s_ashr_i32 s9, s15, 31
	s_delay_alu instid0(SALU_CYCLE_1) | instskip(NEXT) | instid1(SALU_CYCLE_1)
	s_lshl_b64 s[10:11], s[8:9], 3
	s_add_u32 s2, s2, s10
	s_addc_u32 s3, s3, s11
	s_load_b64 s[10:11], s[2:3], 0x0
	s_bfe_u32 s2, s13, 0x10008
	s_delay_alu instid0(SALU_CYCLE_1)
	s_cmp_eq_u32 s2, 0
                                        ; implicit-def: $sgpr2_sgpr3
	s_cbranch_scc1 .LBB94_3
; %bb.2:
	s_clause 0x1
	s_load_b32 s2, s[0:1], 0x20
	s_load_b64 s[14:15], s[0:1], 0x18
	s_mul_i32 s3, s8, s5
	s_mul_hi_u32 s5, s8, s4
	s_mul_i32 s16, s9, s4
	s_add_i32 s3, s5, s3
	s_mul_i32 s4, s8, s4
	s_add_i32 s5, s3, s16
	s_delay_alu instid0(SALU_CYCLE_1)
	s_lshl_b64 s[4:5], s[4:5], 2
	s_waitcnt lgkmcnt(0)
	s_ashr_i32 s3, s2, 31
	s_add_u32 s4, s14, s4
	s_addc_u32 s5, s15, s5
	s_lshl_b64 s[2:3], s[2:3], 2
	s_delay_alu instid0(SALU_CYCLE_1)
	s_add_u32 s2, s4, s2
	s_addc_u32 s3, s5, s3
.LBB94_3:
	s_load_b64 s[0:1], s[0:1], 0x8
	v_lshlrev_b32_e32 v1, 2, v0
	s_waitcnt lgkmcnt(0)
	v_add3_u32 v5, s1, s1, v0
	s_ashr_i32 s5, s0, 31
	s_mov_b32 s4, s0
	s_mov_b32 s14, s1
	s_lshl_b64 s[4:5], s[4:5], 2
	v_add_nc_u32_e32 v7, s1, v5
	v_ashrrev_i32_e32 v6, 31, v5
	s_add_u32 s4, s10, s4
	s_addc_u32 s5, s11, s5
	v_add_co_u32 v3, s0, s4, v1
	v_add_nc_u32_e32 v11, s1, v7
	v_ashrrev_i32_e32 v8, 31, v7
	s_ashr_i32 s15, s1, 31
	v_add_co_ci_u32_e64 v4, null, s5, 0, s0
	v_lshlrev_b64 v[9:10], 2, v[5:6]
	s_lshl_b64 s[10:11], s[14:15], 2
	v_add_nc_u32_e32 v15, s1, v11
	v_add_co_u32 v5, vcc_lo, v3, s10
	v_lshlrev_b64 v[13:14], 2, v[7:8]
	v_add_co_ci_u32_e32 v6, vcc_lo, s11, v4, vcc_lo
	v_add_co_u32 v7, vcc_lo, s4, v9
	v_ashrrev_i32_e32 v16, 31, v15
	v_add_nc_u32_e32 v17, s1, v15
	v_add_co_ci_u32_e32 v8, vcc_lo, s5, v10, vcc_lo
	v_ashrrev_i32_e32 v12, 31, v11
	v_add_co_u32 v9, vcc_lo, s4, v13
	v_add_co_ci_u32_e32 v10, vcc_lo, s5, v14, vcc_lo
	v_lshlrev_b64 v[13:14], 2, v[15:16]
	v_add_nc_u32_e32 v15, s1, v17
	v_lshlrev_b64 v[11:12], 2, v[11:12]
	v_ashrrev_i32_e32 v18, 31, v17
	global_load_b32 v65, v1, s[4:5]
	s_bitcmp0_b32 s13, 0
	v_add_nc_u32_e32 v19, s1, v15
	v_ashrrev_i32_e32 v16, 31, v15
	v_add_co_u32 v11, vcc_lo, s4, v11
	v_lshlrev_b64 v[17:18], 2, v[17:18]
	s_delay_alu instid0(VALU_DEP_4)
	v_add_nc_u32_e32 v23, s1, v19
	v_add_co_ci_u32_e32 v12, vcc_lo, s5, v12, vcc_lo
	v_add_co_u32 v13, vcc_lo, s4, v13
	v_lshlrev_b64 v[21:22], 2, v[15:16]
	v_add_co_ci_u32_e32 v14, vcc_lo, s5, v14, vcc_lo
	v_add_co_u32 v15, vcc_lo, s4, v17
	v_ashrrev_i32_e32 v24, 31, v23
	v_add_nc_u32_e32 v25, s1, v23
	v_add_co_ci_u32_e32 v16, vcc_lo, s5, v18, vcc_lo
	v_ashrrev_i32_e32 v20, 31, v19
	v_add_co_u32 v17, vcc_lo, s4, v21
	v_add_co_ci_u32_e32 v18, vcc_lo, s5, v22, vcc_lo
	v_lshlrev_b64 v[21:22], 2, v[23:24]
	v_add_nc_u32_e32 v23, s1, v25
	v_lshlrev_b64 v[19:20], 2, v[19:20]
	v_ashrrev_i32_e32 v26, 31, v25
	s_delay_alu instid0(VALU_DEP_3) | instskip(SKIP_1) | instid1(VALU_DEP_4)
	v_add_nc_u32_e32 v27, s1, v23
	v_ashrrev_i32_e32 v24, 31, v23
	v_add_co_u32 v19, vcc_lo, s4, v19
	s_delay_alu instid0(VALU_DEP_4) | instskip(NEXT) | instid1(VALU_DEP_4)
	v_lshlrev_b64 v[25:26], 2, v[25:26]
	v_add_nc_u32_e32 v31, s1, v27
	v_add_co_ci_u32_e32 v20, vcc_lo, s5, v20, vcc_lo
	v_add_co_u32 v21, vcc_lo, s4, v21
	v_lshlrev_b64 v[29:30], 2, v[23:24]
	v_add_co_ci_u32_e32 v22, vcc_lo, s5, v22, vcc_lo
	v_add_co_u32 v23, vcc_lo, s4, v25
	v_ashrrev_i32_e32 v32, 31, v31
	v_add_nc_u32_e32 v33, s1, v31
	v_add_co_ci_u32_e32 v24, vcc_lo, s5, v26, vcc_lo
	v_ashrrev_i32_e32 v28, 31, v27
	v_add_co_u32 v25, vcc_lo, s4, v29
	v_add_co_ci_u32_e32 v26, vcc_lo, s5, v30, vcc_lo
	v_lshlrev_b64 v[29:30], 2, v[31:32]
	v_add_nc_u32_e32 v31, s1, v33
	v_lshlrev_b64 v[27:28], 2, v[27:28]
	v_ashrrev_i32_e32 v34, 31, v33
	s_clause 0x7
	global_load_b32 v66, v[5:6], off
	global_load_b32 v67, v[7:8], off
	;; [unrolled: 1-line block ×8, first 2 shown]
	v_add_nc_u32_e32 v35, s1, v31
	v_ashrrev_i32_e32 v32, 31, v31
	v_add_co_u32 v27, vcc_lo, s4, v27
	v_lshlrev_b64 v[33:34], 2, v[33:34]
	s_delay_alu instid0(VALU_DEP_4)
	v_add_nc_u32_e32 v39, s1, v35
	v_add_co_ci_u32_e32 v28, vcc_lo, s5, v28, vcc_lo
	v_add_co_u32 v29, vcc_lo, s4, v29
	v_lshlrev_b64 v[37:38], 2, v[31:32]
	v_add_co_ci_u32_e32 v30, vcc_lo, s5, v30, vcc_lo
	v_add_co_u32 v31, vcc_lo, s4, v33
	v_ashrrev_i32_e32 v40, 31, v39
	v_add_nc_u32_e32 v41, s1, v39
	v_add_co_ci_u32_e32 v32, vcc_lo, s5, v34, vcc_lo
	v_add_co_u32 v33, vcc_lo, s4, v37
	v_add_co_ci_u32_e32 v34, vcc_lo, s5, v38, vcc_lo
	v_lshlrev_b64 v[37:38], 2, v[39:40]
	v_add_nc_u32_e32 v39, s1, v41
	v_ashrrev_i32_e32 v36, 31, v35
	v_ashrrev_i32_e32 v42, 31, v41
	s_delay_alu instid0(VALU_DEP_3) | instskip(NEXT) | instid1(VALU_DEP_3)
	v_add_nc_u32_e32 v43, s1, v39
	v_lshlrev_b64 v[35:36], 2, v[35:36]
	v_ashrrev_i32_e32 v40, 31, v39
	s_delay_alu instid0(VALU_DEP_4) | instskip(NEXT) | instid1(VALU_DEP_4)
	v_lshlrev_b64 v[41:42], 2, v[41:42]
	v_add_nc_u32_e32 v45, s1, v43
	v_ashrrev_i32_e32 v44, 31, v43
	v_add_co_u32 v35, vcc_lo, s4, v35
	v_add_co_ci_u32_e32 v36, vcc_lo, s5, v36, vcc_lo
	s_delay_alu instid0(VALU_DEP_4) | instskip(SKIP_3) | instid1(VALU_DEP_4)
	v_add_nc_u32_e32 v49, s1, v45
	v_add_co_u32 v37, vcc_lo, s4, v37
	v_lshlrev_b64 v[47:48], 2, v[39:40]
	v_ashrrev_i32_e32 v46, 31, v45
	v_add_nc_u32_e32 v51, s1, v49
	v_add_co_ci_u32_e32 v38, vcc_lo, s5, v38, vcc_lo
	v_add_co_u32 v39, vcc_lo, s4, v41
	s_delay_alu instid0(VALU_DEP_3) | instskip(SKIP_3) | instid1(VALU_DEP_4)
	v_add_nc_u32_e32 v53, s1, v51
	v_lshlrev_b64 v[43:44], 2, v[43:44]
	v_ashrrev_i32_e32 v50, 31, v49
	v_add_co_ci_u32_e32 v40, vcc_lo, s5, v42, vcc_lo
	v_add_nc_u32_e32 v55, s1, v53
	v_add_co_u32 v41, vcc_lo, s4, v47
	v_lshlrev_b64 v[45:46], 2, v[45:46]
	v_ashrrev_i32_e32 v52, 31, v51
	s_delay_alu instid0(VALU_DEP_4) | instskip(SKIP_2) | instid1(VALU_DEP_3)
	v_add_nc_u32_e32 v57, s1, v55
	v_add_co_ci_u32_e32 v42, vcc_lo, s5, v48, vcc_lo
	v_add_co_u32 v43, vcc_lo, s4, v43
	v_add_nc_u32_e32 v59, s1, v57
	v_lshlrev_b64 v[47:48], 2, v[49:50]
	v_ashrrev_i32_e32 v54, 31, v53
	v_add_co_ci_u32_e32 v44, vcc_lo, s5, v44, vcc_lo
	s_delay_alu instid0(VALU_DEP_4)
	v_add_nc_u32_e32 v61, s1, v59
	v_add_co_u32 v45, vcc_lo, s4, v45
	v_lshlrev_b64 v[49:50], 2, v[51:52]
	v_ashrrev_i32_e32 v56, 31, v55
	v_add_co_ci_u32_e32 v46, vcc_lo, s5, v46, vcc_lo
	v_add_co_u32 v47, vcc_lo, s4, v47
	v_lshlrev_b64 v[51:52], 2, v[53:54]
	v_ashrrev_i32_e32 v58, 31, v57
	v_ashrrev_i32_e32 v60, 31, v59
	v_add_nc_u32_e32 v63, s1, v61
	v_add_co_ci_u32_e32 v48, vcc_lo, s5, v48, vcc_lo
	v_add_co_u32 v49, vcc_lo, s4, v49
	v_lshlrev_b64 v[53:54], 2, v[55:56]
	v_add_co_ci_u32_e32 v50, vcc_lo, s5, v50, vcc_lo
	v_lshlrev_b64 v[55:56], 2, v[57:58]
	v_lshlrev_b64 v[57:58], 2, v[59:60]
	v_add_nc_u32_e32 v59, s1, v63
	v_add_co_u32 v51, vcc_lo, s4, v51
	v_ashrrev_i32_e32 v62, 31, v61
	v_add_co_ci_u32_e32 v52, vcc_lo, s5, v52, vcc_lo
	v_add_co_u32 v53, vcc_lo, s4, v53
	v_ashrrev_i32_e32 v60, 31, v59
	v_add_co_ci_u32_e32 v54, vcc_lo, s5, v54, vcc_lo
	v_add_co_u32 v55, vcc_lo, s4, v55
	v_lshlrev_b64 v[61:62], 2, v[61:62]
	v_ashrrev_i32_e32 v64, 31, v63
	v_add_co_ci_u32_e32 v56, vcc_lo, s5, v56, vcc_lo
	v_add_co_u32 v57, vcc_lo, s4, v57
	v_lshlrev_b64 v[82:83], 2, v[59:60]
	v_add_co_ci_u32_e32 v58, vcc_lo, s5, v58, vcc_lo
	v_lshlrev_b64 v[63:64], 2, v[63:64]
	v_add_co_u32 v59, vcc_lo, s4, v61
	v_add_co_ci_u32_e32 v60, vcc_lo, s5, v62, vcc_lo
	v_add_co_u32 v61, vcc_lo, s4, v82
	v_add_co_ci_u32_e32 v62, vcc_lo, s5, v83, vcc_lo
	v_add_co_u32 v63, vcc_lo, s4, v63
	s_clause 0x7
	global_load_b32 v74, v[21:22], off
	global_load_b32 v75, v[23:24], off
	;; [unrolled: 1-line block ×8, first 2 shown]
	v_add_co_ci_u32_e32 v64, vcc_lo, s5, v64, vcc_lo
	s_clause 0xd
	global_load_b32 v82, v[37:38], off
	global_load_b32 v83, v[39:40], off
	global_load_b32 v84, v[41:42], off
	global_load_b32 v85, v[43:44], off
	global_load_b32 v86, v[45:46], off
	global_load_b32 v87, v[47:48], off
	global_load_b32 v88, v[49:50], off
	global_load_b32 v89, v[51:52], off
	global_load_b32 v90, v[53:54], off
	global_load_b32 v91, v[55:56], off
	global_load_b32 v92, v[57:58], off
	global_load_b32 v93, v[59:60], off
	global_load_b32 v95, v[61:62], off
	global_load_b32 v94, v[63:64], off
	s_mov_b32 s1, -1
	s_waitcnt vmcnt(27)
	scratch_store_b128 off, v[65:68], off
	s_waitcnt vmcnt(23)
	scratch_store_b128 off, v[69:72], off offset:16
	s_waitcnt vmcnt(19)
	scratch_store_b128 off, v[73:76], off offset:32
	;; [unrolled: 2-line block ×6, first 2 shown]
	s_waitcnt vmcnt(0)
	scratch_store_b96 off, v[93:95], off offset:112
	s_cbranch_scc1 .LBB94_130
; %bb.4:
	v_cmp_eq_u32_e64 s0, 0, v0
	s_delay_alu instid0(VALU_DEP_1)
	s_and_saveexec_b32 s1, s0
	s_cbranch_execz .LBB94_6
; %bb.5:
	v_mov_b32_e32 v2, 0
	ds_store_b32 v2, v2 offset:124
.LBB94_6:
	s_or_b32 exec_lo, exec_lo, s1
	s_waitcnt lgkmcnt(0)
	s_waitcnt_vscnt null, 0x0
	s_barrier
	buffer_gl0_inv
	scratch_load_b32 v2, v1, off
	s_mov_b32 s4, exec_lo
	s_waitcnt vmcnt(0)
	v_cmpx_eq_f32_e32 0, v2
	s_cbranch_execz .LBB94_10
; %bb.7:
	v_mov_b32_e32 v2, 0
	s_mov_b32 s5, 0
	ds_load_b32 v65, v2 offset:124
	s_waitcnt lgkmcnt(0)
	v_readfirstlane_b32 s1, v65
	v_add_nc_u32_e32 v65, 1, v0
	s_delay_alu instid0(VALU_DEP_2) | instskip(NEXT) | instid1(VALU_DEP_1)
	s_cmp_eq_u32 s1, 0
	v_cmp_gt_i32_e32 vcc_lo, s1, v65
	s_cselect_b32 s10, -1, 0
	s_delay_alu instid0(SALU_CYCLE_1) | instskip(NEXT) | instid1(SALU_CYCLE_1)
	s_or_b32 s10, s10, vcc_lo
	s_and_b32 exec_lo, exec_lo, s10
	s_cbranch_execz .LBB94_10
; %bb.8:
	v_mov_b32_e32 v66, s1
.LBB94_9:                               ; =>This Inner Loop Header: Depth=1
	ds_cmpstore_rtn_b32 v66, v2, v65, v66 offset:124
	s_waitcnt lgkmcnt(0)
	v_cmp_ne_u32_e32 vcc_lo, 0, v66
	v_cmp_le_i32_e64 s1, v66, v65
	s_delay_alu instid0(VALU_DEP_1) | instskip(NEXT) | instid1(SALU_CYCLE_1)
	s_and_b32 s1, vcc_lo, s1
	s_and_b32 s1, exec_lo, s1
	s_delay_alu instid0(SALU_CYCLE_1) | instskip(NEXT) | instid1(SALU_CYCLE_1)
	s_or_b32 s5, s1, s5
	s_and_not1_b32 exec_lo, exec_lo, s5
	s_cbranch_execnz .LBB94_9
.LBB94_10:
	s_or_b32 exec_lo, exec_lo, s4
	v_mov_b32_e32 v2, 0
	s_barrier
	buffer_gl0_inv
	ds_load_b32 v65, v2 offset:124
	s_and_saveexec_b32 s1, s0
	s_cbranch_execz .LBB94_12
; %bb.11:
	s_lshl_b64 s[4:5], s[8:9], 2
	s_delay_alu instid0(SALU_CYCLE_1)
	s_add_u32 s4, s6, s4
	s_addc_u32 s5, s7, s5
	s_waitcnt lgkmcnt(0)
	global_store_b32 v2, v65, s[4:5]
.LBB94_12:
	s_or_b32 exec_lo, exec_lo, s1
	s_waitcnt lgkmcnt(0)
	v_cmp_ne_u32_e32 vcc_lo, 0, v65
	s_mov_b32 s1, 0
	s_cbranch_vccnz .LBB94_130
; %bb.13:
	v_add_nc_u32_e32 v2, 0, v1
	scratch_load_b32 v65, v2, off
	s_waitcnt vmcnt(0)
	v_div_scale_f32 v66, null, v65, v65, 1.0
	v_div_scale_f32 v69, vcc_lo, 1.0, v65, 1.0
	s_delay_alu instid0(VALU_DEP_2) | instskip(SKIP_2) | instid1(VALU_DEP_1)
	v_rcp_f32_e32 v67, v66
	s_waitcnt_depctr 0xfff
	v_fma_f32 v68, -v66, v67, 1.0
	v_fmac_f32_e32 v67, v68, v67
	s_delay_alu instid0(VALU_DEP_1) | instskip(NEXT) | instid1(VALU_DEP_1)
	v_mul_f32_e32 v68, v69, v67
	v_fma_f32 v70, -v66, v68, v69
	s_delay_alu instid0(VALU_DEP_1) | instskip(NEXT) | instid1(VALU_DEP_1)
	v_fmac_f32_e32 v68, v70, v67
	v_fma_f32 v66, -v66, v68, v69
	s_delay_alu instid0(VALU_DEP_1) | instskip(NEXT) | instid1(VALU_DEP_1)
	v_div_fmas_f32 v66, v66, v67, v68
	v_div_fixup_f32 v65, v66, v65, 1.0
	scratch_store_b32 v2, v65, off
	scratch_load_b32 v66, off, off offset:4
	v_xor_b32_e32 v67, 0x80000000, v65
	v_add_nc_u32_e32 v65, 0x80, v1
	s_waitcnt vmcnt(0)
	ds_store_2addr_b32 v1, v67, v66 offset1:32
	s_waitcnt lgkmcnt(0)
	s_waitcnt_vscnt null, 0x0
	s_barrier
	buffer_gl0_inv
	s_and_saveexec_b32 s1, s0
	s_cbranch_execz .LBB94_15
; %bb.14:
	scratch_load_b32 v66, v2, off
	ds_load_b32 v67, v65
	v_mov_b32_e32 v68, 0
	ds_load_b32 v68, v68 offset:4
	s_waitcnt vmcnt(0) lgkmcnt(1)
	v_fma_f32 v66, v66, v67, 0
	s_waitcnt lgkmcnt(0)
	s_delay_alu instid0(VALU_DEP_1)
	v_mul_f32_e32 v66, v66, v68
	scratch_store_b32 off, v66, off offset:4
.LBB94_15:
	s_or_b32 exec_lo, exec_lo, s1
	s_waitcnt_vscnt null, 0x0
	s_barrier
	buffer_gl0_inv
	scratch_load_b32 v66, off, off offset:8
	s_mov_b32 s1, exec_lo
	s_waitcnt vmcnt(0)
	ds_store_b32 v65, v66
	s_waitcnt lgkmcnt(0)
	s_barrier
	buffer_gl0_inv
	v_cmpx_gt_u32_e32 2, v0
	s_cbranch_execz .LBB94_17
; %bb.16:
	scratch_load_b32 v68, v2, off
	scratch_load_b32 v69, off, off offset:4
	ds_load_b32 v70, v65
	v_mov_b32_e32 v66, 0
	ds_load_2addr_b32 v[66:67], v66 offset0:2 offset1:33
	s_waitcnt vmcnt(1) lgkmcnt(1)
	v_fma_f32 v68, v68, v70, 0
	s_waitcnt vmcnt(0) lgkmcnt(0)
	s_delay_alu instid0(VALU_DEP_1) | instskip(NEXT) | instid1(VALU_DEP_1)
	v_fma_f32 v67, v69, v67, v68
	v_cndmask_b32_e64 v67, v68, v67, s0
	s_delay_alu instid0(VALU_DEP_1)
	v_mul_f32_e32 v66, v67, v66
	scratch_store_b32 off, v66, off offset:8
.LBB94_17:
	s_or_b32 exec_lo, exec_lo, s1
	s_waitcnt_vscnt null, 0x0
	s_barrier
	buffer_gl0_inv
	scratch_load_b32 v67, off, off offset:12
	v_add_nc_u32_e32 v66, -1, v0
	s_mov_b32 s0, exec_lo
	s_waitcnt vmcnt(0)
	ds_store_b32 v65, v67
	s_waitcnt lgkmcnt(0)
	s_barrier
	buffer_gl0_inv
	v_cmpx_gt_u32_e32 3, v0
	s_cbranch_execz .LBB94_21
; %bb.18:
	v_dual_mov_b32 v67, 0 :: v_dual_add_nc_u32 v68, -1, v0
	v_add_nc_u32_e32 v69, 0x80, v1
	v_add_nc_u32_e32 v70, 0, v1
	s_mov_b32 s1, 0
.LBB94_19:                              ; =>This Inner Loop Header: Depth=1
	scratch_load_b32 v71, v70, off
	ds_load_b32 v72, v69
	v_add_nc_u32_e32 v68, 1, v68
	v_add_nc_u32_e32 v69, 4, v69
	v_add_nc_u32_e32 v70, 4, v70
	s_delay_alu instid0(VALU_DEP_3)
	v_cmp_lt_u32_e32 vcc_lo, 1, v68
	s_or_b32 s1, vcc_lo, s1
	s_waitcnt vmcnt(0) lgkmcnt(0)
	v_fmac_f32_e32 v67, v71, v72
	s_and_not1_b32 exec_lo, exec_lo, s1
	s_cbranch_execnz .LBB94_19
; %bb.20:
	s_or_b32 exec_lo, exec_lo, s1
	v_mov_b32_e32 v68, 0
	ds_load_b32 v68, v68 offset:12
	s_waitcnt lgkmcnt(0)
	v_mul_f32_e32 v67, v67, v68
	scratch_store_b32 off, v67, off offset:12
.LBB94_21:
	s_or_b32 exec_lo, exec_lo, s0
	s_waitcnt_vscnt null, 0x0
	s_barrier
	buffer_gl0_inv
	scratch_load_b32 v67, off, off offset:16
	s_mov_b32 s0, exec_lo
	s_waitcnt vmcnt(0)
	ds_store_b32 v65, v67
	s_waitcnt lgkmcnt(0)
	s_barrier
	buffer_gl0_inv
	v_cmpx_gt_u32_e32 4, v0
	s_cbranch_execz .LBB94_25
; %bb.22:
	v_dual_mov_b32 v67, 0 :: v_dual_add_nc_u32 v68, -1, v0
	v_add_nc_u32_e32 v69, 0x80, v1
	v_add_nc_u32_e32 v70, 0, v1
	s_mov_b32 s1, 0
.LBB94_23:                              ; =>This Inner Loop Header: Depth=1
	scratch_load_b32 v71, v70, off
	ds_load_b32 v72, v69
	v_add_nc_u32_e32 v68, 1, v68
	v_add_nc_u32_e32 v69, 4, v69
	v_add_nc_u32_e32 v70, 4, v70
	s_delay_alu instid0(VALU_DEP_3)
	v_cmp_lt_u32_e32 vcc_lo, 2, v68
	s_or_b32 s1, vcc_lo, s1
	s_waitcnt vmcnt(0) lgkmcnt(0)
	v_fmac_f32_e32 v67, v71, v72
	s_and_not1_b32 exec_lo, exec_lo, s1
	s_cbranch_execnz .LBB94_23
; %bb.24:
	s_or_b32 exec_lo, exec_lo, s1
	v_mov_b32_e32 v68, 0
	ds_load_b32 v68, v68 offset:16
	s_waitcnt lgkmcnt(0)
	v_mul_f32_e32 v67, v67, v68
	scratch_store_b32 off, v67, off offset:16
.LBB94_25:
	s_or_b32 exec_lo, exec_lo, s0
	s_waitcnt_vscnt null, 0x0
	s_barrier
	buffer_gl0_inv
	scratch_load_b32 v67, off, off offset:20
	;; [unrolled: 39-line block ×21, first 2 shown]
	s_mov_b32 s0, exec_lo
	s_waitcnt vmcnt(0)
	ds_store_b32 v65, v67
	s_waitcnt lgkmcnt(0)
	s_barrier
	buffer_gl0_inv
	v_cmpx_gt_u32_e32 24, v0
	s_cbranch_execz .LBB94_105
; %bb.102:
	v_dual_mov_b32 v67, 0 :: v_dual_add_nc_u32 v68, -1, v0
	v_add_nc_u32_e32 v69, 0x80, v1
	v_add_nc_u32_e32 v70, 0, v1
	s_mov_b32 s1, 0
.LBB94_103:                             ; =>This Inner Loop Header: Depth=1
	scratch_load_b32 v71, v70, off
	ds_load_b32 v72, v69
	v_add_nc_u32_e32 v68, 1, v68
	v_add_nc_u32_e32 v69, 4, v69
	v_add_nc_u32_e32 v70, 4, v70
	s_delay_alu instid0(VALU_DEP_3)
	v_cmp_lt_u32_e32 vcc_lo, 22, v68
	s_or_b32 s1, vcc_lo, s1
	s_waitcnt vmcnt(0) lgkmcnt(0)
	v_fmac_f32_e32 v67, v71, v72
	s_and_not1_b32 exec_lo, exec_lo, s1
	s_cbranch_execnz .LBB94_103
; %bb.104:
	s_or_b32 exec_lo, exec_lo, s1
	v_mov_b32_e32 v68, 0
	ds_load_b32 v68, v68 offset:96
	s_waitcnt lgkmcnt(0)
	v_mul_f32_e32 v67, v67, v68
	scratch_store_b32 off, v67, off offset:96
.LBB94_105:
	s_or_b32 exec_lo, exec_lo, s0
	s_waitcnt_vscnt null, 0x0
	s_barrier
	buffer_gl0_inv
	scratch_load_b32 v67, off, off offset:100
	s_mov_b32 s0, exec_lo
	s_waitcnt vmcnt(0)
	ds_store_b32 v65, v67
	s_waitcnt lgkmcnt(0)
	s_barrier
	buffer_gl0_inv
	v_cmpx_gt_u32_e32 25, v0
	s_cbranch_execz .LBB94_109
; %bb.106:
	v_dual_mov_b32 v67, 0 :: v_dual_add_nc_u32 v68, -1, v0
	v_add_nc_u32_e32 v69, 0x80, v1
	v_add_nc_u32_e32 v70, 0, v1
	s_mov_b32 s1, 0
.LBB94_107:                             ; =>This Inner Loop Header: Depth=1
	scratch_load_b32 v71, v70, off
	ds_load_b32 v72, v69
	v_add_nc_u32_e32 v68, 1, v68
	v_add_nc_u32_e32 v69, 4, v69
	v_add_nc_u32_e32 v70, 4, v70
	s_delay_alu instid0(VALU_DEP_3)
	v_cmp_lt_u32_e32 vcc_lo, 23, v68
	s_or_b32 s1, vcc_lo, s1
	s_waitcnt vmcnt(0) lgkmcnt(0)
	v_fmac_f32_e32 v67, v71, v72
	s_and_not1_b32 exec_lo, exec_lo, s1
	s_cbranch_execnz .LBB94_107
; %bb.108:
	s_or_b32 exec_lo, exec_lo, s1
	v_mov_b32_e32 v68, 0
	ds_load_b32 v68, v68 offset:100
	s_waitcnt lgkmcnt(0)
	v_mul_f32_e32 v67, v67, v68
	scratch_store_b32 off, v67, off offset:100
.LBB94_109:
	s_or_b32 exec_lo, exec_lo, s0
	s_waitcnt_vscnt null, 0x0
	s_barrier
	buffer_gl0_inv
	scratch_load_b32 v67, off, off offset:104
	;; [unrolled: 39-line block ×5, first 2 shown]
	s_mov_b32 s0, exec_lo
	s_waitcnt vmcnt(0)
	ds_store_b32 v65, v67
	s_waitcnt lgkmcnt(0)
	s_barrier
	buffer_gl0_inv
	v_cmpx_gt_u32_e32 29, v0
	s_cbranch_execz .LBB94_125
; %bb.122:
	v_add_nc_u32_e32 v67, -1, v0
	v_add_nc_u32_e32 v68, 0x80, v1
	v_add_nc_u32_e32 v69, 0, v1
	v_mov_b32_e32 v1, 0
	s_mov_b32 s1, 0
.LBB94_123:                             ; =>This Inner Loop Header: Depth=1
	scratch_load_b32 v70, v69, off
	ds_load_b32 v71, v68
	v_add_nc_u32_e32 v67, 1, v67
	v_add_nc_u32_e32 v68, 4, v68
	;; [unrolled: 1-line block ×3, first 2 shown]
	s_delay_alu instid0(VALU_DEP_3)
	v_cmp_lt_u32_e32 vcc_lo, 27, v67
	s_or_b32 s1, vcc_lo, s1
	s_waitcnt vmcnt(0) lgkmcnt(0)
	v_fmac_f32_e32 v1, v70, v71
	s_and_not1_b32 exec_lo, exec_lo, s1
	s_cbranch_execnz .LBB94_123
; %bb.124:
	s_or_b32 exec_lo, exec_lo, s1
	v_mov_b32_e32 v67, 0
	ds_load_b32 v67, v67 offset:116
	s_waitcnt lgkmcnt(0)
	v_mul_f32_e32 v1, v1, v67
	scratch_store_b32 off, v1, off offset:116
.LBB94_125:
	s_or_b32 exec_lo, exec_lo, s0
	s_waitcnt_vscnt null, 0x0
	s_barrier
	buffer_gl0_inv
	scratch_load_b32 v1, off, off offset:120
	s_mov_b32 s0, exec_lo
	s_waitcnt vmcnt(0)
	ds_store_b32 v65, v1
	s_waitcnt lgkmcnt(0)
	s_barrier
	buffer_gl0_inv
	v_cmpx_ne_u32_e32 30, v0
	s_cbranch_execz .LBB94_129
; %bb.126:
	v_mov_b32_e32 v1, 0
	s_mov_b32 s1, 0
.LBB94_127:                             ; =>This Inner Loop Header: Depth=1
	scratch_load_b32 v67, v2, off
	ds_load_b32 v68, v65
	v_add_nc_u32_e32 v66, 1, v66
	v_add_nc_u32_e32 v65, 4, v65
	s_waitcnt vmcnt(0) lgkmcnt(0)
	v_dual_fmac_f32 v1, v67, v68 :: v_dual_add_nc_u32 v2, 4, v2
	s_delay_alu instid0(VALU_DEP_3) | instskip(SKIP_1) | instid1(SALU_CYCLE_1)
	v_cmp_lt_u32_e32 vcc_lo, 28, v66
	s_or_b32 s1, vcc_lo, s1
	s_and_not1_b32 exec_lo, exec_lo, s1
	s_cbranch_execnz .LBB94_127
; %bb.128:
	s_or_b32 exec_lo, exec_lo, s1
	v_mov_b32_e32 v2, 0
	ds_load_b32 v2, v2 offset:120
	s_waitcnt lgkmcnt(0)
	v_mul_f32_e32 v1, v1, v2
	scratch_store_b32 off, v1, off offset:120
.LBB94_129:
	s_or_b32 exec_lo, exec_lo, s0
	s_mov_b32 s1, -1
	s_waitcnt_vscnt null, 0x0
	s_barrier
	buffer_gl0_inv
.LBB94_130:
	s_and_b32 vcc_lo, exec_lo, s1
	s_cbranch_vccz .LBB94_132
; %bb.131:
	s_lshl_b64 s[0:1], s[8:9], 2
	v_mov_b32_e32 v1, 0
	s_add_u32 s0, s6, s0
	s_addc_u32 s1, s7, s1
	global_load_b32 v1, v1, s[0:1]
	s_waitcnt vmcnt(0)
	v_cmp_ne_u32_e32 vcc_lo, 0, v1
	s_cbranch_vccz .LBB94_133
.LBB94_132:
	s_endpgm
.LBB94_133:
	v_lshl_add_u32 v1, v0, 2, 0x80
	s_mov_b32 s0, exec_lo
	v_cmpx_eq_u32_e32 30, v0
	s_cbranch_execz .LBB94_135
; %bb.134:
	scratch_load_b32 v2, off, off offset:116
	v_mov_b32_e32 v65, 0
	scratch_store_b32 off, v65, off offset:116
	s_waitcnt vmcnt(0)
	ds_store_b32 v1, v2
.LBB94_135:
	s_or_b32 exec_lo, exec_lo, s0
	s_waitcnt lgkmcnt(0)
	s_waitcnt_vscnt null, 0x0
	s_barrier
	buffer_gl0_inv
	scratch_load_b64 v[65:66], off, off offset:116
	v_mov_b32_e32 v2, 0
	s_mov_b32 s0, exec_lo
	ds_load_b32 v67, v2 offset:248
	s_waitcnt vmcnt(0) lgkmcnt(0)
	v_fma_f32 v66, v66, v67, 0
	s_delay_alu instid0(VALU_DEP_1)
	v_sub_f32_e32 v65, v65, v66
	scratch_store_b32 off, v65, off offset:116
	v_cmpx_lt_u32_e32 28, v0
	s_cbranch_execz .LBB94_137
; %bb.136:
	scratch_load_b32 v65, off, off offset:112
	scratch_store_b32 off, v2, off offset:112
	s_waitcnt vmcnt(0)
	ds_store_b32 v1, v65
.LBB94_137:
	s_or_b32 exec_lo, exec_lo, s0
	s_waitcnt lgkmcnt(0)
	s_waitcnt_vscnt null, 0x0
	s_barrier
	buffer_gl0_inv
	scratch_load_b96 v[65:67], off, off offset:112
	ds_load_2addr_b32 v[68:69], v2 offset0:61 offset1:62
	s_mov_b32 s0, exec_lo
	s_waitcnt vmcnt(0) lgkmcnt(0)
	v_fma_f32 v2, v66, v68, 0
	s_delay_alu instid0(VALU_DEP_1) | instskip(NEXT) | instid1(VALU_DEP_1)
	v_fmac_f32_e32 v2, v67, v69
	v_sub_f32_e32 v2, v65, v2
	scratch_store_b32 off, v2, off offset:112
	v_cmpx_lt_u32_e32 27, v0
	s_cbranch_execz .LBB94_139
; %bb.138:
	scratch_load_b32 v2, off, off offset:108
	v_mov_b32_e32 v65, 0
	scratch_store_b32 off, v65, off offset:108
	s_waitcnt vmcnt(0)
	ds_store_b32 v1, v2
.LBB94_139:
	s_or_b32 exec_lo, exec_lo, s0
	s_waitcnt lgkmcnt(0)
	s_waitcnt_vscnt null, 0x0
	s_barrier
	buffer_gl0_inv
	scratch_load_b128 v[65:68], off, off offset:108
	v_mov_b32_e32 v2, 0
	s_mov_b32 s0, exec_lo
	ds_load_b96 v[69:71], v2 offset:240
	s_waitcnt vmcnt(0) lgkmcnt(0)
	v_fma_f32 v66, v66, v69, 0
	s_delay_alu instid0(VALU_DEP_1) | instskip(NEXT) | instid1(VALU_DEP_1)
	v_fmac_f32_e32 v66, v67, v70
	v_fmac_f32_e32 v66, v68, v71
	s_delay_alu instid0(VALU_DEP_1)
	v_sub_f32_e32 v65, v65, v66
	scratch_store_b32 off, v65, off offset:108
	v_cmpx_lt_u32_e32 26, v0
	s_cbranch_execz .LBB94_141
; %bb.140:
	scratch_load_b32 v65, off, off offset:104
	scratch_store_b32 off, v2, off offset:104
	s_waitcnt vmcnt(0)
	ds_store_b32 v1, v65
.LBB94_141:
	s_or_b32 exec_lo, exec_lo, s0
	s_waitcnt lgkmcnt(0)
	s_waitcnt_vscnt null, 0x0
	s_barrier
	buffer_gl0_inv
	s_clause 0x1
	scratch_load_b128 v[65:68], off, off offset:104
	scratch_load_b32 v73, off, off offset:120
	ds_load_2addr_b32 v[69:70], v2 offset0:59 offset1:60
	ds_load_2addr_b32 v[71:72], v2 offset0:61 offset1:62
	s_mov_b32 s0, exec_lo
	s_waitcnt vmcnt(1) lgkmcnt(1)
	v_fma_f32 v2, v66, v69, 0
	s_delay_alu instid0(VALU_DEP_1) | instskip(SKIP_1) | instid1(VALU_DEP_1)
	v_fmac_f32_e32 v2, v67, v70
	s_waitcnt lgkmcnt(0)
	v_fmac_f32_e32 v2, v68, v71
	s_waitcnt vmcnt(0)
	s_delay_alu instid0(VALU_DEP_1) | instskip(NEXT) | instid1(VALU_DEP_1)
	v_fmac_f32_e32 v2, v73, v72
	v_sub_f32_e32 v2, v65, v2
	scratch_store_b32 off, v2, off offset:104
	v_cmpx_lt_u32_e32 25, v0
	s_cbranch_execz .LBB94_143
; %bb.142:
	scratch_load_b32 v2, off, off offset:100
	v_mov_b32_e32 v65, 0
	scratch_store_b32 off, v65, off offset:100
	s_waitcnt vmcnt(0)
	ds_store_b32 v1, v2
.LBB94_143:
	s_or_b32 exec_lo, exec_lo, s0
	s_waitcnt lgkmcnt(0)
	s_waitcnt_vscnt null, 0x0
	s_barrier
	buffer_gl0_inv
	s_clause 0x1
	scratch_load_b128 v[65:68], off, off offset:100
	scratch_load_b64 v[73:74], off, off offset:116
	v_mov_b32_e32 v2, 0
	ds_load_2addr_b64 v[69:72], v2 offset0:29 offset1:30
	ds_load_b32 v75, v2 offset:248
	s_mov_b32 s0, exec_lo
	s_waitcnt vmcnt(1) lgkmcnt(1)
	v_fma_f32 v66, v66, v69, 0
	s_delay_alu instid0(VALU_DEP_1) | instskip(NEXT) | instid1(VALU_DEP_1)
	v_fmac_f32_e32 v66, v67, v70
	v_fmac_f32_e32 v66, v68, v71
	s_waitcnt vmcnt(0)
	s_delay_alu instid0(VALU_DEP_1) | instskip(SKIP_1) | instid1(VALU_DEP_1)
	v_fmac_f32_e32 v66, v73, v72
	s_waitcnt lgkmcnt(0)
	v_fmac_f32_e32 v66, v74, v75
	s_delay_alu instid0(VALU_DEP_1)
	v_sub_f32_e32 v65, v65, v66
	scratch_store_b32 off, v65, off offset:100
	v_cmpx_lt_u32_e32 24, v0
	s_cbranch_execz .LBB94_145
; %bb.144:
	scratch_load_b32 v65, off, off offset:96
	scratch_store_b32 off, v2, off offset:96
	s_waitcnt vmcnt(0)
	ds_store_b32 v1, v65
.LBB94_145:
	s_or_b32 exec_lo, exec_lo, s0
	s_waitcnt lgkmcnt(0)
	s_waitcnt_vscnt null, 0x0
	s_barrier
	buffer_gl0_inv
	s_clause 0x1
	scratch_load_b128 v[65:68], off, off offset:96
	scratch_load_b96 v[69:71], off, off offset:112
	ds_load_2addr_b32 v[72:73], v2 offset0:57 offset1:58
	ds_load_2addr_b32 v[74:75], v2 offset0:59 offset1:60
	ds_load_2addr_b32 v[76:77], v2 offset0:61 offset1:62
	s_mov_b32 s0, exec_lo
	s_waitcnt vmcnt(1) lgkmcnt(2)
	v_fma_f32 v2, v66, v72, 0
	s_delay_alu instid0(VALU_DEP_1) | instskip(SKIP_1) | instid1(VALU_DEP_1)
	v_fmac_f32_e32 v2, v67, v73
	s_waitcnt lgkmcnt(1)
	v_fmac_f32_e32 v2, v68, v74
	s_waitcnt vmcnt(0)
	s_delay_alu instid0(VALU_DEP_1) | instskip(SKIP_1) | instid1(VALU_DEP_1)
	v_fmac_f32_e32 v2, v69, v75
	s_waitcnt lgkmcnt(0)
	v_fmac_f32_e32 v2, v70, v76
	s_delay_alu instid0(VALU_DEP_1) | instskip(NEXT) | instid1(VALU_DEP_1)
	v_fmac_f32_e32 v2, v71, v77
	v_sub_f32_e32 v2, v65, v2
	scratch_store_b32 off, v2, off offset:96
	v_cmpx_lt_u32_e32 23, v0
	s_cbranch_execz .LBB94_147
; %bb.146:
	scratch_load_b32 v2, off, off offset:92
	v_mov_b32_e32 v65, 0
	scratch_store_b32 off, v65, off offset:92
	s_waitcnt vmcnt(0)
	ds_store_b32 v1, v2
.LBB94_147:
	s_or_b32 exec_lo, exec_lo, s0
	s_waitcnt lgkmcnt(0)
	s_waitcnt_vscnt null, 0x0
	s_barrier
	buffer_gl0_inv
	s_clause 0x1
	scratch_load_b128 v[65:68], off, off offset:92
	scratch_load_b128 v[69:72], off, off offset:108
	v_mov_b32_e32 v2, 0
	ds_load_b128 v[73:76], v2 offset:224
	ds_load_b96 v[77:79], v2 offset:240
	s_mov_b32 s0, exec_lo
	s_waitcnt vmcnt(1) lgkmcnt(1)
	v_fma_f32 v66, v66, v73, 0
	s_delay_alu instid0(VALU_DEP_1) | instskip(NEXT) | instid1(VALU_DEP_1)
	v_fmac_f32_e32 v66, v67, v74
	v_fmac_f32_e32 v66, v68, v75
	s_waitcnt vmcnt(0)
	s_delay_alu instid0(VALU_DEP_1) | instskip(SKIP_1) | instid1(VALU_DEP_1)
	v_fmac_f32_e32 v66, v69, v76
	s_waitcnt lgkmcnt(0)
	v_fmac_f32_e32 v66, v70, v77
	s_delay_alu instid0(VALU_DEP_1) | instskip(NEXT) | instid1(VALU_DEP_1)
	v_fmac_f32_e32 v66, v71, v78
	v_fmac_f32_e32 v66, v72, v79
	s_delay_alu instid0(VALU_DEP_1)
	v_sub_f32_e32 v65, v65, v66
	scratch_store_b32 off, v65, off offset:92
	v_cmpx_lt_u32_e32 22, v0
	s_cbranch_execz .LBB94_149
; %bb.148:
	scratch_load_b32 v65, off, off offset:88
	scratch_store_b32 off, v2, off offset:88
	s_waitcnt vmcnt(0)
	ds_store_b32 v1, v65
.LBB94_149:
	s_or_b32 exec_lo, exec_lo, s0
	s_waitcnt lgkmcnt(0)
	s_waitcnt_vscnt null, 0x0
	s_barrier
	buffer_gl0_inv
	s_clause 0x2
	scratch_load_b128 v[65:68], off, off offset:88
	scratch_load_b128 v[69:72], off, off offset:104
	scratch_load_b32 v81, off, off offset:120
	ds_load_2addr_b32 v[73:74], v2 offset0:55 offset1:56
	ds_load_2addr_b32 v[75:76], v2 offset0:57 offset1:58
	;; [unrolled: 1-line block ×4, first 2 shown]
	s_mov_b32 s0, exec_lo
	s_waitcnt vmcnt(2) lgkmcnt(3)
	v_fma_f32 v2, v66, v73, 0
	s_delay_alu instid0(VALU_DEP_1) | instskip(SKIP_1) | instid1(VALU_DEP_1)
	v_fmac_f32_e32 v2, v67, v74
	s_waitcnt lgkmcnt(2)
	v_fmac_f32_e32 v2, v68, v75
	s_waitcnt vmcnt(1)
	s_delay_alu instid0(VALU_DEP_1) | instskip(SKIP_1) | instid1(VALU_DEP_1)
	v_fmac_f32_e32 v2, v69, v76
	s_waitcnt lgkmcnt(1)
	v_fmac_f32_e32 v2, v70, v77
	s_delay_alu instid0(VALU_DEP_1) | instskip(SKIP_1) | instid1(VALU_DEP_1)
	v_fmac_f32_e32 v2, v71, v78
	s_waitcnt lgkmcnt(0)
	v_fmac_f32_e32 v2, v72, v79
	s_waitcnt vmcnt(0)
	s_delay_alu instid0(VALU_DEP_1) | instskip(NEXT) | instid1(VALU_DEP_1)
	v_fmac_f32_e32 v2, v81, v80
	v_sub_f32_e32 v2, v65, v2
	scratch_store_b32 off, v2, off offset:88
	v_cmpx_lt_u32_e32 21, v0
	s_cbranch_execz .LBB94_151
; %bb.150:
	scratch_load_b32 v2, off, off offset:84
	v_mov_b32_e32 v65, 0
	scratch_store_b32 off, v65, off offset:84
	s_waitcnt vmcnt(0)
	ds_store_b32 v1, v2
.LBB94_151:
	s_or_b32 exec_lo, exec_lo, s0
	s_waitcnt lgkmcnt(0)
	s_waitcnt_vscnt null, 0x0
	s_barrier
	buffer_gl0_inv
	s_clause 0x2
	scratch_load_b128 v[65:68], off, off offset:84
	scratch_load_b128 v[69:72], off, off offset:100
	scratch_load_b64 v[81:82], off, off offset:116
	v_mov_b32_e32 v2, 0
	ds_load_2addr_b64 v[73:76], v2 offset0:27 offset1:28
	ds_load_2addr_b64 v[77:80], v2 offset0:29 offset1:30
	s_mov_b32 s0, exec_lo
	s_waitcnt vmcnt(2) lgkmcnt(1)
	v_fma_f32 v66, v66, v73, 0
	s_delay_alu instid0(VALU_DEP_1) | instskip(SKIP_3) | instid1(VALU_DEP_1)
	v_fmac_f32_e32 v66, v67, v74
	ds_load_b32 v67, v2 offset:248
	v_fmac_f32_e32 v66, v68, v75
	s_waitcnt vmcnt(1)
	v_fmac_f32_e32 v66, v69, v76
	s_waitcnt lgkmcnt(1)
	s_delay_alu instid0(VALU_DEP_1) | instskip(NEXT) | instid1(VALU_DEP_1)
	v_fmac_f32_e32 v66, v70, v77
	v_fmac_f32_e32 v66, v71, v78
	s_delay_alu instid0(VALU_DEP_1) | instskip(SKIP_1) | instid1(VALU_DEP_1)
	v_fmac_f32_e32 v66, v72, v79
	s_waitcnt vmcnt(0)
	v_fmac_f32_e32 v66, v81, v80
	s_waitcnt lgkmcnt(0)
	s_delay_alu instid0(VALU_DEP_1) | instskip(NEXT) | instid1(VALU_DEP_1)
	v_fmac_f32_e32 v66, v82, v67
	v_sub_f32_e32 v65, v65, v66
	scratch_store_b32 off, v65, off offset:84
	v_cmpx_lt_u32_e32 20, v0
	s_cbranch_execz .LBB94_153
; %bb.152:
	scratch_load_b32 v65, off, off offset:80
	scratch_store_b32 off, v2, off offset:80
	s_waitcnt vmcnt(0)
	ds_store_b32 v1, v65
.LBB94_153:
	s_or_b32 exec_lo, exec_lo, s0
	s_waitcnt lgkmcnt(0)
	s_waitcnt_vscnt null, 0x0
	s_barrier
	buffer_gl0_inv
	s_clause 0x2
	scratch_load_b128 v[65:68], off, off offset:80
	scratch_load_b128 v[69:72], off, off offset:96
	scratch_load_b96 v[73:75], off, off offset:112
	ds_load_2addr_b32 v[76:77], v2 offset0:53 offset1:54
	ds_load_2addr_b32 v[78:79], v2 offset0:55 offset1:56
	;; [unrolled: 1-line block ×4, first 2 shown]
	s_mov_b32 s0, exec_lo
	s_waitcnt vmcnt(2) lgkmcnt(3)
	v_fma_f32 v76, v66, v76, 0
	s_delay_alu instid0(VALU_DEP_1) | instskip(SKIP_4) | instid1(VALU_DEP_1)
	v_fmac_f32_e32 v76, v67, v77
	ds_load_2addr_b32 v[66:67], v2 offset0:61 offset1:62
	s_waitcnt lgkmcnt(3)
	v_fmac_f32_e32 v76, v68, v78
	s_waitcnt vmcnt(1)
	v_fmac_f32_e32 v76, v69, v79
	s_waitcnt lgkmcnt(2)
	s_delay_alu instid0(VALU_DEP_1) | instskip(NEXT) | instid1(VALU_DEP_1)
	v_fmac_f32_e32 v76, v70, v80
	v_fmac_f32_e32 v76, v71, v81
	s_waitcnt lgkmcnt(1)
	s_delay_alu instid0(VALU_DEP_1) | instskip(SKIP_1) | instid1(VALU_DEP_1)
	v_fmac_f32_e32 v76, v72, v82
	s_waitcnt vmcnt(0)
	v_fmac_f32_e32 v76, v73, v83
	s_waitcnt lgkmcnt(0)
	s_delay_alu instid0(VALU_DEP_1) | instskip(NEXT) | instid1(VALU_DEP_1)
	v_fmac_f32_e32 v76, v74, v66
	v_fmac_f32_e32 v76, v75, v67
	s_delay_alu instid0(VALU_DEP_1)
	v_sub_f32_e32 v2, v65, v76
	scratch_store_b32 off, v2, off offset:80
	v_cmpx_lt_u32_e32 19, v0
	s_cbranch_execz .LBB94_155
; %bb.154:
	scratch_load_b32 v2, off, off offset:76
	v_mov_b32_e32 v65, 0
	scratch_store_b32 off, v65, off offset:76
	s_waitcnt vmcnt(0)
	ds_store_b32 v1, v2
.LBB94_155:
	s_or_b32 exec_lo, exec_lo, s0
	s_waitcnt lgkmcnt(0)
	s_waitcnt_vscnt null, 0x0
	s_barrier
	buffer_gl0_inv
	s_clause 0x2
	scratch_load_b128 v[65:68], off, off offset:76
	scratch_load_b128 v[69:72], off, off offset:92
	;; [unrolled: 1-line block ×3, first 2 shown]
	v_mov_b32_e32 v2, 0
	ds_load_b128 v[77:80], v2 offset:208
	ds_load_b128 v[81:84], v2 offset:224
	s_mov_b32 s0, exec_lo
	s_waitcnt vmcnt(2) lgkmcnt(1)
	v_fma_f32 v77, v66, v77, 0
	s_delay_alu instid0(VALU_DEP_1) | instskip(NEXT) | instid1(VALU_DEP_1)
	v_fmac_f32_e32 v77, v67, v78
	v_fmac_f32_e32 v77, v68, v79
	ds_load_b96 v[66:68], v2 offset:240
	s_waitcnt vmcnt(1)
	v_fmac_f32_e32 v77, v69, v80
	s_waitcnt lgkmcnt(1)
	s_delay_alu instid0(VALU_DEP_1) | instskip(NEXT) | instid1(VALU_DEP_1)
	v_fmac_f32_e32 v77, v70, v81
	v_fmac_f32_e32 v77, v71, v82
	s_delay_alu instid0(VALU_DEP_1) | instskip(SKIP_1) | instid1(VALU_DEP_1)
	v_fmac_f32_e32 v77, v72, v83
	s_waitcnt vmcnt(0)
	v_fmac_f32_e32 v77, v73, v84
	s_waitcnt lgkmcnt(0)
	s_delay_alu instid0(VALU_DEP_1) | instskip(NEXT) | instid1(VALU_DEP_1)
	v_fmac_f32_e32 v77, v74, v66
	v_fmac_f32_e32 v77, v75, v67
	s_delay_alu instid0(VALU_DEP_1) | instskip(NEXT) | instid1(VALU_DEP_1)
	v_fmac_f32_e32 v77, v76, v68
	v_sub_f32_e32 v65, v65, v77
	scratch_store_b32 off, v65, off offset:76
	v_cmpx_lt_u32_e32 18, v0
	s_cbranch_execz .LBB94_157
; %bb.156:
	scratch_load_b32 v65, off, off offset:72
	scratch_store_b32 off, v2, off offset:72
	s_waitcnt vmcnt(0)
	ds_store_b32 v1, v65
.LBB94_157:
	s_or_b32 exec_lo, exec_lo, s0
	s_waitcnt lgkmcnt(0)
	s_waitcnt_vscnt null, 0x0
	s_barrier
	buffer_gl0_inv
	s_clause 0x3
	scratch_load_b128 v[65:68], off, off offset:72
	scratch_load_b128 v[69:72], off, off offset:88
	;; [unrolled: 1-line block ×3, first 2 shown]
	scratch_load_b32 v85, off, off offset:120
	ds_load_2addr_b32 v[77:78], v2 offset0:51 offset1:52
	ds_load_2addr_b32 v[79:80], v2 offset0:53 offset1:54
	;; [unrolled: 1-line block ×4, first 2 shown]
	s_mov_b32 s0, exec_lo
	s_waitcnt vmcnt(3) lgkmcnt(3)
	v_fma_f32 v77, v66, v77, 0
	s_delay_alu instid0(VALU_DEP_1) | instskip(SKIP_4) | instid1(VALU_DEP_1)
	v_fmac_f32_e32 v77, v67, v78
	ds_load_2addr_b32 v[66:67], v2 offset0:59 offset1:60
	s_waitcnt lgkmcnt(3)
	v_fmac_f32_e32 v77, v68, v79
	s_waitcnt vmcnt(2)
	v_fmac_f32_e32 v77, v69, v80
	ds_load_2addr_b32 v[68:69], v2 offset0:61 offset1:62
	s_waitcnt lgkmcnt(3)
	v_fmac_f32_e32 v77, v70, v81
	s_delay_alu instid0(VALU_DEP_1) | instskip(SKIP_1) | instid1(VALU_DEP_1)
	v_fmac_f32_e32 v77, v71, v82
	s_waitcnt lgkmcnt(2)
	v_fmac_f32_e32 v77, v72, v83
	s_waitcnt vmcnt(1)
	s_delay_alu instid0(VALU_DEP_1) | instskip(SKIP_1) | instid1(VALU_DEP_1)
	v_fmac_f32_e32 v77, v73, v84
	s_waitcnt lgkmcnt(1)
	v_fmac_f32_e32 v77, v74, v66
	s_delay_alu instid0(VALU_DEP_1) | instskip(SKIP_1) | instid1(VALU_DEP_1)
	v_fmac_f32_e32 v77, v75, v67
	s_waitcnt lgkmcnt(0)
	v_fmac_f32_e32 v77, v76, v68
	s_waitcnt vmcnt(0)
	s_delay_alu instid0(VALU_DEP_1) | instskip(NEXT) | instid1(VALU_DEP_1)
	v_fmac_f32_e32 v77, v85, v69
	v_sub_f32_e32 v2, v65, v77
	scratch_store_b32 off, v2, off offset:72
	v_cmpx_lt_u32_e32 17, v0
	s_cbranch_execz .LBB94_159
; %bb.158:
	scratch_load_b32 v2, off, off offset:68
	v_mov_b32_e32 v65, 0
	scratch_store_b32 off, v65, off offset:68
	s_waitcnt vmcnt(0)
	ds_store_b32 v1, v2
.LBB94_159:
	s_or_b32 exec_lo, exec_lo, s0
	s_waitcnt lgkmcnt(0)
	s_waitcnt_vscnt null, 0x0
	s_barrier
	buffer_gl0_inv
	s_clause 0x3
	scratch_load_b128 v[65:68], off, off offset:68
	scratch_load_b128 v[69:72], off, off offset:84
	;; [unrolled: 1-line block ×3, first 2 shown]
	scratch_load_b64 v[85:86], off, off offset:116
	v_mov_b32_e32 v2, 0
	ds_load_2addr_b64 v[77:80], v2 offset0:25 offset1:26
	ds_load_2addr_b64 v[81:84], v2 offset0:27 offset1:28
	s_mov_b32 s0, exec_lo
	s_waitcnt vmcnt(3) lgkmcnt(1)
	v_fma_f32 v77, v66, v77, 0
	s_delay_alu instid0(VALU_DEP_1) | instskip(NEXT) | instid1(VALU_DEP_1)
	v_fmac_f32_e32 v77, v67, v78
	v_fmac_f32_e32 v77, v68, v79
	s_waitcnt vmcnt(2)
	s_delay_alu instid0(VALU_DEP_1)
	v_fmac_f32_e32 v77, v69, v80
	ds_load_2addr_b64 v[66:69], v2 offset0:29 offset1:30
	s_waitcnt lgkmcnt(1)
	v_fmac_f32_e32 v77, v70, v81
	ds_load_b32 v70, v2 offset:248
	v_fmac_f32_e32 v77, v71, v82
	s_delay_alu instid0(VALU_DEP_1) | instskip(SKIP_1) | instid1(VALU_DEP_1)
	v_fmac_f32_e32 v77, v72, v83
	s_waitcnt vmcnt(1)
	v_fmac_f32_e32 v77, v73, v84
	s_waitcnt lgkmcnt(1)
	s_delay_alu instid0(VALU_DEP_1) | instskip(NEXT) | instid1(VALU_DEP_1)
	v_fmac_f32_e32 v77, v74, v66
	v_fmac_f32_e32 v77, v75, v67
	s_delay_alu instid0(VALU_DEP_1) | instskip(SKIP_1) | instid1(VALU_DEP_1)
	v_fmac_f32_e32 v77, v76, v68
	s_waitcnt vmcnt(0)
	v_fmac_f32_e32 v77, v85, v69
	s_waitcnt lgkmcnt(0)
	s_delay_alu instid0(VALU_DEP_1) | instskip(NEXT) | instid1(VALU_DEP_1)
	v_fmac_f32_e32 v77, v86, v70
	v_sub_f32_e32 v65, v65, v77
	scratch_store_b32 off, v65, off offset:68
	v_cmpx_lt_u32_e32 16, v0
	s_cbranch_execz .LBB94_161
; %bb.160:
	scratch_load_b32 v65, off, off offset:64
	scratch_store_b32 off, v2, off offset:64
	s_waitcnt vmcnt(0)
	ds_store_b32 v1, v65
.LBB94_161:
	s_or_b32 exec_lo, exec_lo, s0
	s_waitcnt lgkmcnt(0)
	s_waitcnt_vscnt null, 0x0
	s_barrier
	buffer_gl0_inv
	s_clause 0x3
	scratch_load_b128 v[65:68], off, off offset:64
	scratch_load_b128 v[69:72], off, off offset:80
	;; [unrolled: 1-line block ×3, first 2 shown]
	scratch_load_b96 v[77:79], off, off offset:112
	ds_load_2addr_b32 v[80:81], v2 offset0:49 offset1:50
	ds_load_2addr_b32 v[82:83], v2 offset0:51 offset1:52
	;; [unrolled: 1-line block ×4, first 2 shown]
	s_mov_b32 s0, exec_lo
	s_waitcnt vmcnt(3) lgkmcnt(3)
	v_fma_f32 v80, v66, v80, 0
	s_delay_alu instid0(VALU_DEP_1) | instskip(SKIP_4) | instid1(VALU_DEP_1)
	v_fmac_f32_e32 v80, v67, v81
	ds_load_2addr_b32 v[66:67], v2 offset0:57 offset1:58
	s_waitcnt lgkmcnt(3)
	v_fmac_f32_e32 v80, v68, v82
	s_waitcnt vmcnt(2)
	v_fmac_f32_e32 v80, v69, v83
	ds_load_2addr_b32 v[68:69], v2 offset0:59 offset1:60
	s_waitcnt lgkmcnt(3)
	v_fmac_f32_e32 v80, v70, v84
	s_delay_alu instid0(VALU_DEP_1) | instskip(SKIP_4) | instid1(VALU_DEP_1)
	v_fmac_f32_e32 v80, v71, v85
	ds_load_2addr_b32 v[70:71], v2 offset0:61 offset1:62
	s_waitcnt lgkmcnt(3)
	v_fmac_f32_e32 v80, v72, v86
	s_waitcnt vmcnt(1)
	v_fmac_f32_e32 v80, v73, v87
	s_waitcnt lgkmcnt(2)
	s_delay_alu instid0(VALU_DEP_1) | instskip(NEXT) | instid1(VALU_DEP_1)
	v_fmac_f32_e32 v80, v74, v66
	v_fmac_f32_e32 v80, v75, v67
	s_waitcnt lgkmcnt(1)
	s_delay_alu instid0(VALU_DEP_1) | instskip(SKIP_1) | instid1(VALU_DEP_1)
	v_fmac_f32_e32 v80, v76, v68
	s_waitcnt vmcnt(0)
	v_fmac_f32_e32 v80, v77, v69
	s_waitcnt lgkmcnt(0)
	s_delay_alu instid0(VALU_DEP_1) | instskip(NEXT) | instid1(VALU_DEP_1)
	v_fmac_f32_e32 v80, v78, v70
	v_fmac_f32_e32 v80, v79, v71
	s_delay_alu instid0(VALU_DEP_1)
	v_sub_f32_e32 v2, v65, v80
	scratch_store_b32 off, v2, off offset:64
	v_cmpx_lt_u32_e32 15, v0
	s_cbranch_execz .LBB94_163
; %bb.162:
	scratch_load_b32 v2, off, off offset:60
	v_mov_b32_e32 v65, 0
	scratch_store_b32 off, v65, off offset:60
	s_waitcnt vmcnt(0)
	ds_store_b32 v1, v2
.LBB94_163:
	s_or_b32 exec_lo, exec_lo, s0
	s_waitcnt lgkmcnt(0)
	s_waitcnt_vscnt null, 0x0
	s_barrier
	buffer_gl0_inv
	s_clause 0x3
	scratch_load_b128 v[65:68], off, off offset:60
	scratch_load_b128 v[69:72], off, off offset:76
	;; [unrolled: 1-line block ×4, first 2 shown]
	v_mov_b32_e32 v2, 0
	ds_load_b128 v[81:84], v2 offset:192
	ds_load_b128 v[85:88], v2 offset:208
	s_mov_b32 s0, exec_lo
	s_waitcnt vmcnt(3) lgkmcnt(1)
	v_fma_f32 v81, v66, v81, 0
	s_delay_alu instid0(VALU_DEP_1) | instskip(NEXT) | instid1(VALU_DEP_1)
	v_fmac_f32_e32 v81, v67, v82
	v_fmac_f32_e32 v81, v68, v83
	s_waitcnt vmcnt(2)
	s_delay_alu instid0(VALU_DEP_1) | instskip(SKIP_3) | instid1(VALU_DEP_1)
	v_fmac_f32_e32 v81, v69, v84
	ds_load_b128 v[66:69], v2 offset:224
	s_waitcnt lgkmcnt(1)
	v_fmac_f32_e32 v81, v70, v85
	v_fmac_f32_e32 v81, v71, v86
	s_delay_alu instid0(VALU_DEP_1) | instskip(SKIP_4) | instid1(VALU_DEP_1)
	v_fmac_f32_e32 v81, v72, v87
	ds_load_b96 v[70:72], v2 offset:240
	s_waitcnt vmcnt(1)
	v_fmac_f32_e32 v81, v73, v88
	s_waitcnt lgkmcnt(1)
	v_fmac_f32_e32 v81, v74, v66
	s_delay_alu instid0(VALU_DEP_1) | instskip(NEXT) | instid1(VALU_DEP_1)
	v_fmac_f32_e32 v81, v75, v67
	v_fmac_f32_e32 v81, v76, v68
	s_waitcnt vmcnt(0)
	s_delay_alu instid0(VALU_DEP_1) | instskip(SKIP_1) | instid1(VALU_DEP_1)
	v_fmac_f32_e32 v81, v77, v69
	s_waitcnt lgkmcnt(0)
	v_fmac_f32_e32 v81, v78, v70
	s_delay_alu instid0(VALU_DEP_1) | instskip(NEXT) | instid1(VALU_DEP_1)
	v_fmac_f32_e32 v81, v79, v71
	v_fmac_f32_e32 v81, v80, v72
	s_delay_alu instid0(VALU_DEP_1)
	v_sub_f32_e32 v65, v65, v81
	scratch_store_b32 off, v65, off offset:60
	v_cmpx_lt_u32_e32 14, v0
	s_cbranch_execz .LBB94_165
; %bb.164:
	scratch_load_b32 v65, off, off offset:56
	scratch_store_b32 off, v2, off offset:56
	s_waitcnt vmcnt(0)
	ds_store_b32 v1, v65
.LBB94_165:
	s_or_b32 exec_lo, exec_lo, s0
	s_waitcnt lgkmcnt(0)
	s_waitcnt_vscnt null, 0x0
	s_barrier
	buffer_gl0_inv
	s_clause 0x4
	scratch_load_b128 v[65:68], off, off offset:56
	scratch_load_b128 v[69:72], off, off offset:72
	;; [unrolled: 1-line block ×4, first 2 shown]
	scratch_load_b32 v89, off, off offset:120
	ds_load_2addr_b32 v[81:82], v2 offset0:47 offset1:48
	ds_load_2addr_b32 v[83:84], v2 offset0:49 offset1:50
	;; [unrolled: 1-line block ×4, first 2 shown]
	s_mov_b32 s0, exec_lo
	s_waitcnt vmcnt(4) lgkmcnt(3)
	v_fma_f32 v81, v66, v81, 0
	s_delay_alu instid0(VALU_DEP_1) | instskip(SKIP_4) | instid1(VALU_DEP_1)
	v_fmac_f32_e32 v81, v67, v82
	ds_load_2addr_b32 v[66:67], v2 offset0:55 offset1:56
	s_waitcnt lgkmcnt(3)
	v_fmac_f32_e32 v81, v68, v83
	s_waitcnt vmcnt(3)
	v_fmac_f32_e32 v81, v69, v84
	ds_load_2addr_b32 v[68:69], v2 offset0:57 offset1:58
	s_waitcnt lgkmcnt(3)
	v_fmac_f32_e32 v81, v70, v85
	s_delay_alu instid0(VALU_DEP_1) | instskip(SKIP_1) | instid1(VALU_DEP_1)
	v_fmac_f32_e32 v81, v71, v86
	s_waitcnt lgkmcnt(2)
	v_fmac_f32_e32 v81, v72, v87
	s_waitcnt vmcnt(2)
	s_delay_alu instid0(VALU_DEP_1) | instskip(SKIP_4) | instid1(VALU_DEP_1)
	v_fmac_f32_e32 v81, v73, v88
	ds_load_2addr_b32 v[70:71], v2 offset0:59 offset1:60
	ds_load_2addr_b32 v[72:73], v2 offset0:61 offset1:62
	s_waitcnt lgkmcnt(3)
	v_fmac_f32_e32 v81, v74, v66
	v_fmac_f32_e32 v81, v75, v67
	s_waitcnt lgkmcnt(2)
	s_delay_alu instid0(VALU_DEP_1) | instskip(SKIP_1) | instid1(VALU_DEP_1)
	v_fmac_f32_e32 v81, v76, v68
	s_waitcnt vmcnt(1)
	v_fmac_f32_e32 v81, v77, v69
	s_waitcnt lgkmcnt(1)
	s_delay_alu instid0(VALU_DEP_1) | instskip(NEXT) | instid1(VALU_DEP_1)
	v_fmac_f32_e32 v81, v78, v70
	v_fmac_f32_e32 v81, v79, v71
	s_waitcnt lgkmcnt(0)
	s_delay_alu instid0(VALU_DEP_1) | instskip(SKIP_1) | instid1(VALU_DEP_1)
	v_fmac_f32_e32 v81, v80, v72
	s_waitcnt vmcnt(0)
	v_fmac_f32_e32 v81, v89, v73
	s_delay_alu instid0(VALU_DEP_1)
	v_sub_f32_e32 v2, v65, v81
	scratch_store_b32 off, v2, off offset:56
	v_cmpx_lt_u32_e32 13, v0
	s_cbranch_execz .LBB94_167
; %bb.166:
	scratch_load_b32 v2, off, off offset:52
	v_mov_b32_e32 v65, 0
	scratch_store_b32 off, v65, off offset:52
	s_waitcnt vmcnt(0)
	ds_store_b32 v1, v2
.LBB94_167:
	s_or_b32 exec_lo, exec_lo, s0
	s_waitcnt lgkmcnt(0)
	s_waitcnt_vscnt null, 0x0
	s_barrier
	buffer_gl0_inv
	s_clause 0x4
	scratch_load_b128 v[65:68], off, off offset:52
	scratch_load_b128 v[69:72], off, off offset:68
	;; [unrolled: 1-line block ×4, first 2 shown]
	scratch_load_b64 v[89:90], off, off offset:116
	v_mov_b32_e32 v2, 0
	ds_load_2addr_b64 v[81:84], v2 offset0:23 offset1:24
	ds_load_2addr_b64 v[85:88], v2 offset0:25 offset1:26
	s_mov_b32 s0, exec_lo
	s_waitcnt vmcnt(4) lgkmcnt(1)
	v_fma_f32 v81, v66, v81, 0
	s_delay_alu instid0(VALU_DEP_1) | instskip(NEXT) | instid1(VALU_DEP_1)
	v_fmac_f32_e32 v81, v67, v82
	v_fmac_f32_e32 v81, v68, v83
	s_waitcnt vmcnt(3)
	s_delay_alu instid0(VALU_DEP_1) | instskip(SKIP_3) | instid1(VALU_DEP_1)
	v_fmac_f32_e32 v81, v69, v84
	ds_load_2addr_b64 v[66:69], v2 offset0:27 offset1:28
	s_waitcnt lgkmcnt(1)
	v_fmac_f32_e32 v81, v70, v85
	v_fmac_f32_e32 v81, v71, v86
	s_delay_alu instid0(VALU_DEP_1) | instskip(SKIP_1) | instid1(VALU_DEP_1)
	v_fmac_f32_e32 v81, v72, v87
	s_waitcnt vmcnt(2)
	v_fmac_f32_e32 v81, v73, v88
	ds_load_2addr_b64 v[70:73], v2 offset0:29 offset1:30
	s_waitcnt lgkmcnt(1)
	v_fmac_f32_e32 v81, v74, v66
	ds_load_b32 v66, v2 offset:248
	v_fmac_f32_e32 v81, v75, v67
	s_delay_alu instid0(VALU_DEP_1) | instskip(SKIP_1) | instid1(VALU_DEP_1)
	v_fmac_f32_e32 v81, v76, v68
	s_waitcnt vmcnt(1)
	v_fmac_f32_e32 v81, v77, v69
	s_waitcnt lgkmcnt(1)
	s_delay_alu instid0(VALU_DEP_1) | instskip(NEXT) | instid1(VALU_DEP_1)
	v_fmac_f32_e32 v81, v78, v70
	v_fmac_f32_e32 v81, v79, v71
	s_delay_alu instid0(VALU_DEP_1) | instskip(SKIP_1) | instid1(VALU_DEP_1)
	v_fmac_f32_e32 v81, v80, v72
	s_waitcnt vmcnt(0)
	v_fmac_f32_e32 v81, v89, v73
	s_waitcnt lgkmcnt(0)
	s_delay_alu instid0(VALU_DEP_1) | instskip(NEXT) | instid1(VALU_DEP_1)
	v_fmac_f32_e32 v81, v90, v66
	v_sub_f32_e32 v65, v65, v81
	scratch_store_b32 off, v65, off offset:52
	v_cmpx_lt_u32_e32 12, v0
	s_cbranch_execz .LBB94_169
; %bb.168:
	scratch_load_b32 v65, off, off offset:48
	scratch_store_b32 off, v2, off offset:48
	s_waitcnt vmcnt(0)
	ds_store_b32 v1, v65
.LBB94_169:
	s_or_b32 exec_lo, exec_lo, s0
	s_waitcnt lgkmcnt(0)
	s_waitcnt_vscnt null, 0x0
	s_barrier
	buffer_gl0_inv
	s_clause 0x4
	scratch_load_b128 v[65:68], off, off offset:48
	scratch_load_b128 v[69:72], off, off offset:64
	;; [unrolled: 1-line block ×4, first 2 shown]
	scratch_load_b96 v[81:83], off, off offset:112
	ds_load_2addr_b32 v[84:85], v2 offset0:45 offset1:46
	ds_load_2addr_b32 v[86:87], v2 offset0:47 offset1:48
	;; [unrolled: 1-line block ×4, first 2 shown]
	s_mov_b32 s0, exec_lo
	s_waitcnt vmcnt(4) lgkmcnt(3)
	v_fma_f32 v84, v66, v84, 0
	s_delay_alu instid0(VALU_DEP_1) | instskip(SKIP_4) | instid1(VALU_DEP_1)
	v_fmac_f32_e32 v84, v67, v85
	ds_load_2addr_b32 v[66:67], v2 offset0:53 offset1:54
	s_waitcnt lgkmcnt(3)
	v_fmac_f32_e32 v84, v68, v86
	s_waitcnt vmcnt(3)
	v_fmac_f32_e32 v84, v69, v87
	ds_load_2addr_b32 v[68:69], v2 offset0:55 offset1:56
	s_waitcnt lgkmcnt(3)
	v_fmac_f32_e32 v84, v70, v88
	s_delay_alu instid0(VALU_DEP_1) | instskip(SKIP_1) | instid1(VALU_DEP_1)
	v_fmac_f32_e32 v84, v71, v89
	s_waitcnt lgkmcnt(2)
	v_fmac_f32_e32 v84, v72, v90
	s_waitcnt vmcnt(2)
	s_delay_alu instid0(VALU_DEP_1) | instskip(SKIP_4) | instid1(VALU_DEP_1)
	v_fmac_f32_e32 v84, v73, v91
	ds_load_2addr_b32 v[70:71], v2 offset0:57 offset1:58
	ds_load_2addr_b32 v[72:73], v2 offset0:59 offset1:60
	s_waitcnt lgkmcnt(3)
	v_fmac_f32_e32 v84, v74, v66
	v_fmac_f32_e32 v84, v75, v67
	ds_load_2addr_b32 v[66:67], v2 offset0:61 offset1:62
	s_waitcnt lgkmcnt(3)
	v_fmac_f32_e32 v84, v76, v68
	s_waitcnt vmcnt(1)
	s_delay_alu instid0(VALU_DEP_1) | instskip(SKIP_1) | instid1(VALU_DEP_1)
	v_fmac_f32_e32 v84, v77, v69
	s_waitcnt lgkmcnt(2)
	v_fmac_f32_e32 v84, v78, v70
	s_delay_alu instid0(VALU_DEP_1) | instskip(SKIP_1) | instid1(VALU_DEP_1)
	v_fmac_f32_e32 v84, v79, v71
	s_waitcnt lgkmcnt(1)
	v_fmac_f32_e32 v84, v80, v72
	s_waitcnt vmcnt(0)
	s_delay_alu instid0(VALU_DEP_1) | instskip(SKIP_1) | instid1(VALU_DEP_1)
	v_fmac_f32_e32 v84, v81, v73
	s_waitcnt lgkmcnt(0)
	v_fmac_f32_e32 v84, v82, v66
	s_delay_alu instid0(VALU_DEP_1) | instskip(NEXT) | instid1(VALU_DEP_1)
	v_fmac_f32_e32 v84, v83, v67
	v_sub_f32_e32 v2, v65, v84
	scratch_store_b32 off, v2, off offset:48
	v_cmpx_lt_u32_e32 11, v0
	s_cbranch_execz .LBB94_171
; %bb.170:
	scratch_load_b32 v2, off, off offset:44
	v_mov_b32_e32 v65, 0
	scratch_store_b32 off, v65, off offset:44
	s_waitcnt vmcnt(0)
	ds_store_b32 v1, v2
.LBB94_171:
	s_or_b32 exec_lo, exec_lo, s0
	s_waitcnt lgkmcnt(0)
	s_waitcnt_vscnt null, 0x0
	s_barrier
	buffer_gl0_inv
	s_clause 0x4
	scratch_load_b128 v[65:68], off, off offset:44
	scratch_load_b128 v[69:72], off, off offset:60
	;; [unrolled: 1-line block ×5, first 2 shown]
	v_mov_b32_e32 v2, 0
	ds_load_b128 v[85:88], v2 offset:176
	ds_load_b128 v[89:92], v2 offset:192
	s_mov_b32 s0, exec_lo
	s_waitcnt vmcnt(4) lgkmcnt(1)
	v_fma_f32 v85, v66, v85, 0
	s_delay_alu instid0(VALU_DEP_1) | instskip(NEXT) | instid1(VALU_DEP_1)
	v_fmac_f32_e32 v85, v67, v86
	v_fmac_f32_e32 v85, v68, v87
	s_waitcnt vmcnt(3)
	s_delay_alu instid0(VALU_DEP_1) | instskip(SKIP_3) | instid1(VALU_DEP_1)
	v_fmac_f32_e32 v85, v69, v88
	ds_load_b128 v[66:69], v2 offset:208
	s_waitcnt lgkmcnt(1)
	v_fmac_f32_e32 v85, v70, v89
	v_fmac_f32_e32 v85, v71, v90
	s_delay_alu instid0(VALU_DEP_1) | instskip(SKIP_1) | instid1(VALU_DEP_1)
	v_fmac_f32_e32 v85, v72, v91
	s_waitcnt vmcnt(2)
	v_fmac_f32_e32 v85, v73, v92
	ds_load_b128 v[70:73], v2 offset:224
	s_waitcnt lgkmcnt(1)
	v_fmac_f32_e32 v85, v74, v66
	s_delay_alu instid0(VALU_DEP_1) | instskip(NEXT) | instid1(VALU_DEP_1)
	v_fmac_f32_e32 v85, v75, v67
	v_fmac_f32_e32 v85, v76, v68
	ds_load_b96 v[66:68], v2 offset:240
	s_waitcnt vmcnt(1)
	v_fmac_f32_e32 v85, v77, v69
	s_waitcnt lgkmcnt(1)
	s_delay_alu instid0(VALU_DEP_1) | instskip(NEXT) | instid1(VALU_DEP_1)
	v_fmac_f32_e32 v85, v78, v70
	v_fmac_f32_e32 v85, v79, v71
	s_delay_alu instid0(VALU_DEP_1) | instskip(SKIP_1) | instid1(VALU_DEP_1)
	v_fmac_f32_e32 v85, v80, v72
	s_waitcnt vmcnt(0)
	v_fmac_f32_e32 v85, v81, v73
	s_waitcnt lgkmcnt(0)
	s_delay_alu instid0(VALU_DEP_1) | instskip(NEXT) | instid1(VALU_DEP_1)
	v_fmac_f32_e32 v85, v82, v66
	v_fmac_f32_e32 v85, v83, v67
	s_delay_alu instid0(VALU_DEP_1) | instskip(NEXT) | instid1(VALU_DEP_1)
	v_fmac_f32_e32 v85, v84, v68
	v_sub_f32_e32 v65, v65, v85
	scratch_store_b32 off, v65, off offset:44
	v_cmpx_lt_u32_e32 10, v0
	s_cbranch_execz .LBB94_173
; %bb.172:
	scratch_load_b32 v65, off, off offset:40
	scratch_store_b32 off, v2, off offset:40
	s_waitcnt vmcnt(0)
	ds_store_b32 v1, v65
.LBB94_173:
	s_or_b32 exec_lo, exec_lo, s0
	s_waitcnt lgkmcnt(0)
	s_waitcnt_vscnt null, 0x0
	s_barrier
	buffer_gl0_inv
	s_clause 0x5
	scratch_load_b128 v[65:68], off, off offset:40
	scratch_load_b128 v[69:72], off, off offset:56
	;; [unrolled: 1-line block ×5, first 2 shown]
	scratch_load_b32 v93, off, off offset:120
	ds_load_2addr_b32 v[85:86], v2 offset0:43 offset1:44
	ds_load_2addr_b32 v[87:88], v2 offset0:45 offset1:46
	;; [unrolled: 1-line block ×4, first 2 shown]
	s_mov_b32 s0, exec_lo
	s_waitcnt vmcnt(5) lgkmcnt(3)
	v_fma_f32 v85, v66, v85, 0
	s_delay_alu instid0(VALU_DEP_1) | instskip(SKIP_4) | instid1(VALU_DEP_1)
	v_fmac_f32_e32 v85, v67, v86
	ds_load_2addr_b32 v[66:67], v2 offset0:51 offset1:52
	s_waitcnt lgkmcnt(3)
	v_fmac_f32_e32 v85, v68, v87
	s_waitcnt vmcnt(4)
	v_fmac_f32_e32 v85, v69, v88
	ds_load_2addr_b32 v[68:69], v2 offset0:53 offset1:54
	s_waitcnt lgkmcnt(3)
	v_fmac_f32_e32 v85, v70, v89
	s_delay_alu instid0(VALU_DEP_1) | instskip(SKIP_1) | instid1(VALU_DEP_1)
	v_fmac_f32_e32 v85, v71, v90
	s_waitcnt lgkmcnt(2)
	v_fmac_f32_e32 v85, v72, v91
	s_waitcnt vmcnt(3)
	s_delay_alu instid0(VALU_DEP_1) | instskip(SKIP_4) | instid1(VALU_DEP_1)
	v_fmac_f32_e32 v85, v73, v92
	ds_load_2addr_b32 v[70:71], v2 offset0:55 offset1:56
	ds_load_2addr_b32 v[72:73], v2 offset0:57 offset1:58
	s_waitcnt lgkmcnt(3)
	v_fmac_f32_e32 v85, v74, v66
	v_fmac_f32_e32 v85, v75, v67
	ds_load_2addr_b32 v[66:67], v2 offset0:59 offset1:60
	s_waitcnt lgkmcnt(3)
	v_fmac_f32_e32 v85, v76, v68
	s_waitcnt vmcnt(2)
	s_delay_alu instid0(VALU_DEP_1) | instskip(SKIP_3) | instid1(VALU_DEP_1)
	v_fmac_f32_e32 v85, v77, v69
	ds_load_2addr_b32 v[68:69], v2 offset0:61 offset1:62
	s_waitcnt lgkmcnt(3)
	v_fmac_f32_e32 v85, v78, v70
	v_fmac_f32_e32 v85, v79, v71
	s_waitcnt lgkmcnt(2)
	s_delay_alu instid0(VALU_DEP_1) | instskip(SKIP_1) | instid1(VALU_DEP_1)
	v_fmac_f32_e32 v85, v80, v72
	s_waitcnt vmcnt(1)
	v_fmac_f32_e32 v85, v81, v73
	s_waitcnt lgkmcnt(1)
	s_delay_alu instid0(VALU_DEP_1) | instskip(NEXT) | instid1(VALU_DEP_1)
	v_fmac_f32_e32 v85, v82, v66
	v_fmac_f32_e32 v85, v83, v67
	s_waitcnt lgkmcnt(0)
	s_delay_alu instid0(VALU_DEP_1) | instskip(SKIP_1) | instid1(VALU_DEP_1)
	v_fmac_f32_e32 v85, v84, v68
	s_waitcnt vmcnt(0)
	v_fmac_f32_e32 v85, v93, v69
	s_delay_alu instid0(VALU_DEP_1)
	v_sub_f32_e32 v2, v65, v85
	scratch_store_b32 off, v2, off offset:40
	v_cmpx_lt_u32_e32 9, v0
	s_cbranch_execz .LBB94_175
; %bb.174:
	scratch_load_b32 v2, off, off offset:36
	v_mov_b32_e32 v65, 0
	scratch_store_b32 off, v65, off offset:36
	s_waitcnt vmcnt(0)
	ds_store_b32 v1, v2
.LBB94_175:
	s_or_b32 exec_lo, exec_lo, s0
	s_waitcnt lgkmcnt(0)
	s_waitcnt_vscnt null, 0x0
	s_barrier
	buffer_gl0_inv
	s_clause 0x5
	scratch_load_b128 v[65:68], off, off offset:36
	scratch_load_b128 v[69:72], off, off offset:52
	;; [unrolled: 1-line block ×5, first 2 shown]
	scratch_load_b64 v[93:94], off, off offset:116
	v_mov_b32_e32 v2, 0
	ds_load_2addr_b64 v[85:88], v2 offset0:21 offset1:22
	ds_load_2addr_b64 v[89:92], v2 offset0:23 offset1:24
	s_mov_b32 s0, exec_lo
	s_waitcnt vmcnt(5) lgkmcnt(1)
	v_fma_f32 v85, v66, v85, 0
	s_delay_alu instid0(VALU_DEP_1) | instskip(NEXT) | instid1(VALU_DEP_1)
	v_fmac_f32_e32 v85, v67, v86
	v_fmac_f32_e32 v85, v68, v87
	s_waitcnt vmcnt(4)
	s_delay_alu instid0(VALU_DEP_1) | instskip(SKIP_3) | instid1(VALU_DEP_1)
	v_fmac_f32_e32 v85, v69, v88
	ds_load_2addr_b64 v[66:69], v2 offset0:25 offset1:26
	s_waitcnt lgkmcnt(1)
	v_fmac_f32_e32 v85, v70, v89
	v_fmac_f32_e32 v85, v71, v90
	s_delay_alu instid0(VALU_DEP_1) | instskip(SKIP_1) | instid1(VALU_DEP_1)
	v_fmac_f32_e32 v85, v72, v91
	s_waitcnt vmcnt(3)
	v_fmac_f32_e32 v85, v73, v92
	ds_load_2addr_b64 v[70:73], v2 offset0:27 offset1:28
	s_waitcnt lgkmcnt(1)
	v_fmac_f32_e32 v85, v74, v66
	s_delay_alu instid0(VALU_DEP_1) | instskip(NEXT) | instid1(VALU_DEP_1)
	v_fmac_f32_e32 v85, v75, v67
	v_fmac_f32_e32 v85, v76, v68
	s_waitcnt vmcnt(2)
	s_delay_alu instid0(VALU_DEP_1)
	v_fmac_f32_e32 v85, v77, v69
	ds_load_2addr_b64 v[66:69], v2 offset0:29 offset1:30
	s_waitcnt lgkmcnt(1)
	v_fmac_f32_e32 v85, v78, v70
	ds_load_b32 v70, v2 offset:248
	v_fmac_f32_e32 v85, v79, v71
	s_delay_alu instid0(VALU_DEP_1) | instskip(SKIP_1) | instid1(VALU_DEP_1)
	v_fmac_f32_e32 v85, v80, v72
	s_waitcnt vmcnt(1)
	v_fmac_f32_e32 v85, v81, v73
	s_waitcnt lgkmcnt(1)
	s_delay_alu instid0(VALU_DEP_1) | instskip(NEXT) | instid1(VALU_DEP_1)
	v_fmac_f32_e32 v85, v82, v66
	v_fmac_f32_e32 v85, v83, v67
	s_delay_alu instid0(VALU_DEP_1) | instskip(SKIP_1) | instid1(VALU_DEP_1)
	v_fmac_f32_e32 v85, v84, v68
	s_waitcnt vmcnt(0)
	v_fmac_f32_e32 v85, v93, v69
	s_waitcnt lgkmcnt(0)
	s_delay_alu instid0(VALU_DEP_1) | instskip(NEXT) | instid1(VALU_DEP_1)
	v_fmac_f32_e32 v85, v94, v70
	v_sub_f32_e32 v65, v65, v85
	scratch_store_b32 off, v65, off offset:36
	v_cmpx_lt_u32_e32 8, v0
	s_cbranch_execz .LBB94_177
; %bb.176:
	scratch_load_b32 v65, off, off offset:32
	scratch_store_b32 off, v2, off offset:32
	s_waitcnt vmcnt(0)
	ds_store_b32 v1, v65
.LBB94_177:
	s_or_b32 exec_lo, exec_lo, s0
	s_waitcnt lgkmcnt(0)
	s_waitcnt_vscnt null, 0x0
	s_barrier
	buffer_gl0_inv
	s_clause 0x5
	scratch_load_b128 v[65:68], off, off offset:32
	scratch_load_b128 v[69:72], off, off offset:48
	;; [unrolled: 1-line block ×5, first 2 shown]
	scratch_load_b96 v[85:87], off, off offset:112
	ds_load_2addr_b32 v[88:89], v2 offset0:41 offset1:42
	ds_load_2addr_b32 v[90:91], v2 offset0:43 offset1:44
	ds_load_2addr_b32 v[92:93], v2 offset0:45 offset1:46
	s_mov_b32 s0, exec_lo
	s_waitcnt vmcnt(5) lgkmcnt(2)
	v_fma_f32 v88, v66, v88, 0
	s_delay_alu instid0(VALU_DEP_1) | instskip(SKIP_4) | instid1(VALU_DEP_1)
	v_fmac_f32_e32 v88, v67, v89
	ds_load_2addr_b32 v[66:67], v2 offset0:47 offset1:48
	s_waitcnt lgkmcnt(2)
	v_fmac_f32_e32 v88, v68, v90
	s_waitcnt vmcnt(4)
	v_fmac_f32_e32 v88, v69, v91
	ds_load_2addr_b32 v[68:69], v2 offset0:49 offset1:50
	s_waitcnt lgkmcnt(2)
	v_fmac_f32_e32 v88, v70, v92
	s_delay_alu instid0(VALU_DEP_1) | instskip(SKIP_4) | instid1(VALU_DEP_1)
	v_fmac_f32_e32 v88, v71, v93
	ds_load_2addr_b32 v[70:71], v2 offset0:51 offset1:52
	s_waitcnt lgkmcnt(2)
	v_fmac_f32_e32 v88, v72, v66
	s_waitcnt vmcnt(3)
	v_fmac_f32_e32 v88, v73, v67
	ds_load_2addr_b32 v[66:67], v2 offset0:53 offset1:54
	s_waitcnt lgkmcnt(2)
	v_fmac_f32_e32 v88, v74, v68
	;; [unrolled: 10-line block ×4, first 2 shown]
	s_delay_alu instid0(VALU_DEP_1) | instskip(SKIP_1) | instid1(VALU_DEP_1)
	v_fmac_f32_e32 v88, v83, v71
	s_waitcnt lgkmcnt(1)
	v_fmac_f32_e32 v88, v84, v66
	s_waitcnt vmcnt(0)
	s_delay_alu instid0(VALU_DEP_1) | instskip(SKIP_1) | instid1(VALU_DEP_1)
	v_fmac_f32_e32 v88, v85, v67
	s_waitcnt lgkmcnt(0)
	v_fmac_f32_e32 v88, v86, v68
	s_delay_alu instid0(VALU_DEP_1) | instskip(NEXT) | instid1(VALU_DEP_1)
	v_fmac_f32_e32 v88, v87, v69
	v_sub_f32_e32 v2, v65, v88
	scratch_store_b32 off, v2, off offset:32
	v_cmpx_lt_u32_e32 7, v0
	s_cbranch_execz .LBB94_179
; %bb.178:
	scratch_load_b32 v2, off, off offset:28
	v_mov_b32_e32 v65, 0
	scratch_store_b32 off, v65, off offset:28
	s_waitcnt vmcnt(0)
	ds_store_b32 v1, v2
.LBB94_179:
	s_or_b32 exec_lo, exec_lo, s0
	s_waitcnt lgkmcnt(0)
	s_waitcnt_vscnt null, 0x0
	s_barrier
	buffer_gl0_inv
	s_clause 0x5
	scratch_load_b128 v[65:68], off, off offset:28
	scratch_load_b128 v[69:72], off, off offset:44
	;; [unrolled: 1-line block ×6, first 2 shown]
	v_mov_b32_e32 v2, 0
	ds_load_b128 v[89:92], v2 offset:160
	ds_load_b128 v[93:96], v2 offset:176
	s_mov_b32 s0, exec_lo
	s_waitcnt vmcnt(5) lgkmcnt(1)
	v_fma_f32 v89, v66, v89, 0
	s_delay_alu instid0(VALU_DEP_1) | instskip(NEXT) | instid1(VALU_DEP_1)
	v_fmac_f32_e32 v89, v67, v90
	v_fmac_f32_e32 v89, v68, v91
	s_waitcnt vmcnt(4)
	s_delay_alu instid0(VALU_DEP_1) | instskip(SKIP_3) | instid1(VALU_DEP_1)
	v_fmac_f32_e32 v89, v69, v92
	ds_load_b128 v[66:69], v2 offset:192
	s_waitcnt lgkmcnt(1)
	v_fmac_f32_e32 v89, v70, v93
	v_fmac_f32_e32 v89, v71, v94
	s_delay_alu instid0(VALU_DEP_1) | instskip(SKIP_1) | instid1(VALU_DEP_1)
	v_fmac_f32_e32 v89, v72, v95
	s_waitcnt vmcnt(3)
	v_fmac_f32_e32 v89, v73, v96
	ds_load_b128 v[70:73], v2 offset:208
	s_waitcnt lgkmcnt(1)
	v_fmac_f32_e32 v89, v74, v66
	s_delay_alu instid0(VALU_DEP_1) | instskip(NEXT) | instid1(VALU_DEP_1)
	v_fmac_f32_e32 v89, v75, v67
	v_fmac_f32_e32 v89, v76, v68
	s_waitcnt vmcnt(2)
	s_delay_alu instid0(VALU_DEP_1) | instskip(SKIP_3) | instid1(VALU_DEP_1)
	v_fmac_f32_e32 v89, v77, v69
	ds_load_b128 v[66:69], v2 offset:224
	s_waitcnt lgkmcnt(1)
	v_fmac_f32_e32 v89, v78, v70
	v_fmac_f32_e32 v89, v79, v71
	s_delay_alu instid0(VALU_DEP_1) | instskip(SKIP_4) | instid1(VALU_DEP_1)
	v_fmac_f32_e32 v89, v80, v72
	ds_load_b96 v[70:72], v2 offset:240
	s_waitcnt vmcnt(1)
	v_fmac_f32_e32 v89, v81, v73
	s_waitcnt lgkmcnt(1)
	v_fmac_f32_e32 v89, v82, v66
	s_delay_alu instid0(VALU_DEP_1) | instskip(NEXT) | instid1(VALU_DEP_1)
	v_fmac_f32_e32 v89, v83, v67
	v_fmac_f32_e32 v89, v84, v68
	s_waitcnt vmcnt(0)
	s_delay_alu instid0(VALU_DEP_1) | instskip(SKIP_1) | instid1(VALU_DEP_1)
	v_fmac_f32_e32 v89, v85, v69
	s_waitcnt lgkmcnt(0)
	v_fmac_f32_e32 v89, v86, v70
	s_delay_alu instid0(VALU_DEP_1) | instskip(NEXT) | instid1(VALU_DEP_1)
	v_fmac_f32_e32 v89, v87, v71
	v_fmac_f32_e32 v89, v88, v72
	s_delay_alu instid0(VALU_DEP_1)
	v_sub_f32_e32 v65, v65, v89
	scratch_store_b32 off, v65, off offset:28
	v_cmpx_lt_u32_e32 6, v0
	s_cbranch_execz .LBB94_181
; %bb.180:
	scratch_load_b32 v65, off, off offset:24
	scratch_store_b32 off, v2, off offset:24
	s_waitcnt vmcnt(0)
	ds_store_b32 v1, v65
.LBB94_181:
	s_or_b32 exec_lo, exec_lo, s0
	s_waitcnt lgkmcnt(0)
	s_waitcnt_vscnt null, 0x0
	s_barrier
	buffer_gl0_inv
	s_clause 0x6
	scratch_load_b128 v[65:68], off, off offset:24
	scratch_load_b128 v[69:72], off, off offset:40
	;; [unrolled: 1-line block ×6, first 2 shown]
	scratch_load_b32 v97, off, off offset:120
	ds_load_2addr_b32 v[89:90], v2 offset0:39 offset1:40
	ds_load_2addr_b32 v[91:92], v2 offset0:41 offset1:42
	;; [unrolled: 1-line block ×4, first 2 shown]
	s_mov_b32 s0, exec_lo
	s_waitcnt vmcnt(6) lgkmcnt(3)
	v_fma_f32 v89, v66, v89, 0
	s_delay_alu instid0(VALU_DEP_1) | instskip(SKIP_4) | instid1(VALU_DEP_1)
	v_fmac_f32_e32 v89, v67, v90
	ds_load_2addr_b32 v[66:67], v2 offset0:47 offset1:48
	s_waitcnt lgkmcnt(3)
	v_fmac_f32_e32 v89, v68, v91
	s_waitcnt vmcnt(5)
	v_fmac_f32_e32 v89, v69, v92
	ds_load_2addr_b32 v[68:69], v2 offset0:49 offset1:50
	s_waitcnt lgkmcnt(3)
	v_fmac_f32_e32 v89, v70, v93
	s_delay_alu instid0(VALU_DEP_1) | instskip(SKIP_1) | instid1(VALU_DEP_1)
	v_fmac_f32_e32 v89, v71, v94
	s_waitcnt lgkmcnt(2)
	v_fmac_f32_e32 v89, v72, v95
	s_waitcnt vmcnt(4)
	s_delay_alu instid0(VALU_DEP_1) | instskip(SKIP_4) | instid1(VALU_DEP_1)
	v_fmac_f32_e32 v89, v73, v96
	ds_load_2addr_b32 v[70:71], v2 offset0:51 offset1:52
	ds_load_2addr_b32 v[72:73], v2 offset0:53 offset1:54
	s_waitcnt lgkmcnt(3)
	v_fmac_f32_e32 v89, v74, v66
	v_fmac_f32_e32 v89, v75, v67
	ds_load_2addr_b32 v[66:67], v2 offset0:55 offset1:56
	s_waitcnt lgkmcnt(3)
	v_fmac_f32_e32 v89, v76, v68
	s_waitcnt vmcnt(3)
	s_delay_alu instid0(VALU_DEP_1) | instskip(SKIP_3) | instid1(VALU_DEP_1)
	v_fmac_f32_e32 v89, v77, v69
	ds_load_2addr_b32 v[68:69], v2 offset0:57 offset1:58
	s_waitcnt lgkmcnt(3)
	v_fmac_f32_e32 v89, v78, v70
	v_fmac_f32_e32 v89, v79, v71
	s_waitcnt lgkmcnt(2)
	s_delay_alu instid0(VALU_DEP_1) | instskip(SKIP_1) | instid1(VALU_DEP_1)
	v_fmac_f32_e32 v89, v80, v72
	s_waitcnt vmcnt(2)
	v_fmac_f32_e32 v89, v81, v73
	ds_load_2addr_b32 v[70:71], v2 offset0:59 offset1:60
	ds_load_2addr_b32 v[72:73], v2 offset0:61 offset1:62
	s_waitcnt lgkmcnt(3)
	v_fmac_f32_e32 v89, v82, v66
	s_delay_alu instid0(VALU_DEP_1) | instskip(SKIP_1) | instid1(VALU_DEP_1)
	v_fmac_f32_e32 v89, v83, v67
	s_waitcnt lgkmcnt(2)
	v_fmac_f32_e32 v89, v84, v68
	s_waitcnt vmcnt(1)
	s_delay_alu instid0(VALU_DEP_1) | instskip(SKIP_1) | instid1(VALU_DEP_1)
	v_fmac_f32_e32 v89, v85, v69
	s_waitcnt lgkmcnt(1)
	v_fmac_f32_e32 v89, v86, v70
	s_delay_alu instid0(VALU_DEP_1) | instskip(SKIP_1) | instid1(VALU_DEP_1)
	v_fmac_f32_e32 v89, v87, v71
	s_waitcnt lgkmcnt(0)
	v_fmac_f32_e32 v89, v88, v72
	s_waitcnt vmcnt(0)
	s_delay_alu instid0(VALU_DEP_1) | instskip(NEXT) | instid1(VALU_DEP_1)
	v_fmac_f32_e32 v89, v97, v73
	v_sub_f32_e32 v2, v65, v89
	scratch_store_b32 off, v2, off offset:24
	v_cmpx_lt_u32_e32 5, v0
	s_cbranch_execz .LBB94_183
; %bb.182:
	scratch_load_b32 v2, off, off offset:20
	v_mov_b32_e32 v65, 0
	scratch_store_b32 off, v65, off offset:20
	s_waitcnt vmcnt(0)
	ds_store_b32 v1, v2
.LBB94_183:
	s_or_b32 exec_lo, exec_lo, s0
	s_waitcnt lgkmcnt(0)
	s_waitcnt_vscnt null, 0x0
	s_barrier
	buffer_gl0_inv
	s_clause 0x6
	scratch_load_b128 v[65:68], off, off offset:20
	scratch_load_b128 v[69:72], off, off offset:36
	;; [unrolled: 1-line block ×6, first 2 shown]
	scratch_load_b64 v[97:98], off, off offset:116
	v_mov_b32_e32 v2, 0
	ds_load_2addr_b64 v[89:92], v2 offset0:19 offset1:20
	ds_load_2addr_b64 v[93:96], v2 offset0:21 offset1:22
	s_mov_b32 s0, exec_lo
	s_waitcnt vmcnt(6) lgkmcnt(1)
	v_fma_f32 v89, v66, v89, 0
	s_delay_alu instid0(VALU_DEP_1) | instskip(NEXT) | instid1(VALU_DEP_1)
	v_fmac_f32_e32 v89, v67, v90
	v_fmac_f32_e32 v89, v68, v91
	s_waitcnt vmcnt(5)
	s_delay_alu instid0(VALU_DEP_1) | instskip(SKIP_3) | instid1(VALU_DEP_1)
	v_fmac_f32_e32 v89, v69, v92
	ds_load_2addr_b64 v[66:69], v2 offset0:23 offset1:24
	s_waitcnt lgkmcnt(1)
	v_fmac_f32_e32 v89, v70, v93
	v_fmac_f32_e32 v89, v71, v94
	s_delay_alu instid0(VALU_DEP_1) | instskip(SKIP_1) | instid1(VALU_DEP_1)
	v_fmac_f32_e32 v89, v72, v95
	s_waitcnt vmcnt(4)
	v_fmac_f32_e32 v89, v73, v96
	ds_load_2addr_b64 v[70:73], v2 offset0:25 offset1:26
	s_waitcnt lgkmcnt(1)
	v_fmac_f32_e32 v89, v74, v66
	s_delay_alu instid0(VALU_DEP_1) | instskip(NEXT) | instid1(VALU_DEP_1)
	v_fmac_f32_e32 v89, v75, v67
	v_fmac_f32_e32 v89, v76, v68
	s_waitcnt vmcnt(3)
	s_delay_alu instid0(VALU_DEP_1) | instskip(SKIP_3) | instid1(VALU_DEP_1)
	v_fmac_f32_e32 v89, v77, v69
	ds_load_2addr_b64 v[66:69], v2 offset0:27 offset1:28
	s_waitcnt lgkmcnt(1)
	v_fmac_f32_e32 v89, v78, v70
	v_fmac_f32_e32 v89, v79, v71
	s_delay_alu instid0(VALU_DEP_1) | instskip(SKIP_1) | instid1(VALU_DEP_1)
	v_fmac_f32_e32 v89, v80, v72
	s_waitcnt vmcnt(2)
	v_fmac_f32_e32 v89, v81, v73
	ds_load_2addr_b64 v[70:73], v2 offset0:29 offset1:30
	s_waitcnt lgkmcnt(1)
	v_fmac_f32_e32 v89, v82, v66
	ds_load_b32 v66, v2 offset:248
	v_fmac_f32_e32 v89, v83, v67
	s_delay_alu instid0(VALU_DEP_1) | instskip(SKIP_1) | instid1(VALU_DEP_1)
	v_fmac_f32_e32 v89, v84, v68
	s_waitcnt vmcnt(1)
	v_fmac_f32_e32 v89, v85, v69
	s_waitcnt lgkmcnt(1)
	s_delay_alu instid0(VALU_DEP_1) | instskip(NEXT) | instid1(VALU_DEP_1)
	v_fmac_f32_e32 v89, v86, v70
	v_fmac_f32_e32 v89, v87, v71
	s_delay_alu instid0(VALU_DEP_1) | instskip(SKIP_1) | instid1(VALU_DEP_1)
	v_fmac_f32_e32 v89, v88, v72
	s_waitcnt vmcnt(0)
	v_fmac_f32_e32 v89, v97, v73
	s_waitcnt lgkmcnt(0)
	s_delay_alu instid0(VALU_DEP_1) | instskip(NEXT) | instid1(VALU_DEP_1)
	v_fmac_f32_e32 v89, v98, v66
	v_sub_f32_e32 v65, v65, v89
	scratch_store_b32 off, v65, off offset:20
	v_cmpx_lt_u32_e32 4, v0
	s_cbranch_execz .LBB94_185
; %bb.184:
	scratch_load_b32 v65, off, off offset:16
	scratch_store_b32 off, v2, off offset:16
	s_waitcnt vmcnt(0)
	ds_store_b32 v1, v65
.LBB94_185:
	s_or_b32 exec_lo, exec_lo, s0
	s_waitcnt lgkmcnt(0)
	s_waitcnt_vscnt null, 0x0
	s_barrier
	buffer_gl0_inv
	s_clause 0x6
	scratch_load_b128 v[65:68], off, off offset:16
	scratch_load_b128 v[69:72], off, off offset:32
	scratch_load_b128 v[73:76], off, off offset:48
	scratch_load_b128 v[77:80], off, off offset:64
	scratch_load_b128 v[81:84], off, off offset:80
	scratch_load_b128 v[85:88], off, off offset:96
	scratch_load_b96 v[89:91], off, off offset:112
	ds_load_2addr_b32 v[92:93], v2 offset0:37 offset1:38
	ds_load_2addr_b32 v[94:95], v2 offset0:39 offset1:40
	;; [unrolled: 1-line block ×4, first 2 shown]
	s_mov_b32 s0, exec_lo
	s_waitcnt vmcnt(6) lgkmcnt(3)
	v_fma_f32 v92, v66, v92, 0
	s_delay_alu instid0(VALU_DEP_1) | instskip(SKIP_4) | instid1(VALU_DEP_1)
	v_fmac_f32_e32 v92, v67, v93
	ds_load_2addr_b32 v[66:67], v2 offset0:45 offset1:46
	s_waitcnt lgkmcnt(3)
	v_fmac_f32_e32 v92, v68, v94
	s_waitcnt vmcnt(5)
	v_fmac_f32_e32 v92, v69, v95
	ds_load_2addr_b32 v[68:69], v2 offset0:47 offset1:48
	s_waitcnt lgkmcnt(3)
	v_fmac_f32_e32 v92, v70, v96
	s_delay_alu instid0(VALU_DEP_1) | instskip(SKIP_1) | instid1(VALU_DEP_1)
	v_fmac_f32_e32 v92, v71, v97
	s_waitcnt lgkmcnt(2)
	v_fmac_f32_e32 v92, v72, v98
	s_waitcnt vmcnt(4)
	s_delay_alu instid0(VALU_DEP_1) | instskip(SKIP_4) | instid1(VALU_DEP_1)
	v_fmac_f32_e32 v92, v73, v99
	ds_load_2addr_b32 v[70:71], v2 offset0:49 offset1:50
	ds_load_2addr_b32 v[72:73], v2 offset0:51 offset1:52
	s_waitcnt lgkmcnt(3)
	v_fmac_f32_e32 v92, v74, v66
	v_fmac_f32_e32 v92, v75, v67
	ds_load_2addr_b32 v[66:67], v2 offset0:53 offset1:54
	s_waitcnt lgkmcnt(3)
	v_fmac_f32_e32 v92, v76, v68
	s_waitcnt vmcnt(3)
	s_delay_alu instid0(VALU_DEP_1) | instskip(SKIP_3) | instid1(VALU_DEP_1)
	v_fmac_f32_e32 v92, v77, v69
	ds_load_2addr_b32 v[68:69], v2 offset0:55 offset1:56
	s_waitcnt lgkmcnt(3)
	v_fmac_f32_e32 v92, v78, v70
	v_fmac_f32_e32 v92, v79, v71
	s_waitcnt lgkmcnt(2)
	s_delay_alu instid0(VALU_DEP_1) | instskip(SKIP_1) | instid1(VALU_DEP_1)
	v_fmac_f32_e32 v92, v80, v72
	s_waitcnt vmcnt(2)
	v_fmac_f32_e32 v92, v81, v73
	ds_load_2addr_b32 v[70:71], v2 offset0:57 offset1:58
	ds_load_2addr_b32 v[72:73], v2 offset0:59 offset1:60
	s_waitcnt lgkmcnt(3)
	v_fmac_f32_e32 v92, v82, v66
	s_delay_alu instid0(VALU_DEP_1) | instskip(SKIP_4) | instid1(VALU_DEP_1)
	v_fmac_f32_e32 v92, v83, v67
	ds_load_2addr_b32 v[66:67], v2 offset0:61 offset1:62
	s_waitcnt lgkmcnt(3)
	v_fmac_f32_e32 v92, v84, v68
	s_waitcnt vmcnt(1)
	v_fmac_f32_e32 v92, v85, v69
	s_waitcnt lgkmcnt(2)
	s_delay_alu instid0(VALU_DEP_1) | instskip(NEXT) | instid1(VALU_DEP_1)
	v_fmac_f32_e32 v92, v86, v70
	v_fmac_f32_e32 v92, v87, v71
	s_waitcnt lgkmcnt(1)
	s_delay_alu instid0(VALU_DEP_1) | instskip(SKIP_1) | instid1(VALU_DEP_1)
	v_fmac_f32_e32 v92, v88, v72
	s_waitcnt vmcnt(0)
	v_fmac_f32_e32 v92, v89, v73
	s_waitcnt lgkmcnt(0)
	s_delay_alu instid0(VALU_DEP_1) | instskip(NEXT) | instid1(VALU_DEP_1)
	v_fmac_f32_e32 v92, v90, v66
	v_fmac_f32_e32 v92, v91, v67
	s_delay_alu instid0(VALU_DEP_1)
	v_sub_f32_e32 v2, v65, v92
	scratch_store_b32 off, v2, off offset:16
	v_cmpx_lt_u32_e32 3, v0
	s_cbranch_execz .LBB94_187
; %bb.186:
	scratch_load_b32 v2, off, off offset:12
	v_mov_b32_e32 v65, 0
	scratch_store_b32 off, v65, off offset:12
	s_waitcnt vmcnt(0)
	ds_store_b32 v1, v2
.LBB94_187:
	s_or_b32 exec_lo, exec_lo, s0
	s_waitcnt lgkmcnt(0)
	s_waitcnt_vscnt null, 0x0
	s_barrier
	buffer_gl0_inv
	s_clause 0x6
	scratch_load_b128 v[65:68], off, off offset:12
	scratch_load_b128 v[69:72], off, off offset:28
	;; [unrolled: 1-line block ×7, first 2 shown]
	v_mov_b32_e32 v2, 0
	ds_load_b128 v[93:96], v2 offset:144
	ds_load_b128 v[97:100], v2 offset:160
	s_mov_b32 s0, exec_lo
	s_waitcnt vmcnt(6) lgkmcnt(1)
	v_fma_f32 v93, v66, v93, 0
	s_delay_alu instid0(VALU_DEP_1) | instskip(NEXT) | instid1(VALU_DEP_1)
	v_fmac_f32_e32 v93, v67, v94
	v_fmac_f32_e32 v93, v68, v95
	s_waitcnt vmcnt(5)
	s_delay_alu instid0(VALU_DEP_1) | instskip(SKIP_3) | instid1(VALU_DEP_1)
	v_fmac_f32_e32 v93, v69, v96
	ds_load_b128 v[66:69], v2 offset:176
	s_waitcnt lgkmcnt(1)
	v_fmac_f32_e32 v93, v70, v97
	v_fmac_f32_e32 v93, v71, v98
	s_delay_alu instid0(VALU_DEP_1) | instskip(SKIP_1) | instid1(VALU_DEP_1)
	v_fmac_f32_e32 v93, v72, v99
	s_waitcnt vmcnt(4)
	v_fmac_f32_e32 v93, v73, v100
	ds_load_b128 v[70:73], v2 offset:192
	s_waitcnt lgkmcnt(1)
	v_fmac_f32_e32 v93, v74, v66
	s_delay_alu instid0(VALU_DEP_1) | instskip(NEXT) | instid1(VALU_DEP_1)
	v_fmac_f32_e32 v93, v75, v67
	v_fmac_f32_e32 v93, v76, v68
	s_waitcnt vmcnt(3)
	s_delay_alu instid0(VALU_DEP_1) | instskip(SKIP_3) | instid1(VALU_DEP_1)
	v_fmac_f32_e32 v93, v77, v69
	ds_load_b128 v[66:69], v2 offset:208
	s_waitcnt lgkmcnt(1)
	v_fmac_f32_e32 v93, v78, v70
	v_fmac_f32_e32 v93, v79, v71
	s_delay_alu instid0(VALU_DEP_1) | instskip(SKIP_1) | instid1(VALU_DEP_1)
	v_fmac_f32_e32 v93, v80, v72
	s_waitcnt vmcnt(2)
	v_fmac_f32_e32 v93, v81, v73
	ds_load_b128 v[70:73], v2 offset:224
	s_waitcnt lgkmcnt(1)
	v_fmac_f32_e32 v93, v82, v66
	s_delay_alu instid0(VALU_DEP_1) | instskip(NEXT) | instid1(VALU_DEP_1)
	v_fmac_f32_e32 v93, v83, v67
	v_fmac_f32_e32 v93, v84, v68
	ds_load_b96 v[66:68], v2 offset:240
	s_waitcnt vmcnt(1)
	v_fmac_f32_e32 v93, v85, v69
	s_waitcnt lgkmcnt(1)
	s_delay_alu instid0(VALU_DEP_1) | instskip(NEXT) | instid1(VALU_DEP_1)
	v_fmac_f32_e32 v93, v86, v70
	v_fmac_f32_e32 v93, v87, v71
	s_delay_alu instid0(VALU_DEP_1) | instskip(SKIP_1) | instid1(VALU_DEP_1)
	v_fmac_f32_e32 v93, v88, v72
	s_waitcnt vmcnt(0)
	v_fmac_f32_e32 v93, v89, v73
	s_waitcnt lgkmcnt(0)
	s_delay_alu instid0(VALU_DEP_1) | instskip(NEXT) | instid1(VALU_DEP_1)
	v_fmac_f32_e32 v93, v90, v66
	v_fmac_f32_e32 v93, v91, v67
	s_delay_alu instid0(VALU_DEP_1) | instskip(NEXT) | instid1(VALU_DEP_1)
	v_fmac_f32_e32 v93, v92, v68
	v_sub_f32_e32 v65, v65, v93
	scratch_store_b32 off, v65, off offset:12
	v_cmpx_lt_u32_e32 2, v0
	s_cbranch_execz .LBB94_189
; %bb.188:
	scratch_load_b32 v65, off, off offset:8
	scratch_store_b32 off, v2, off offset:8
	s_waitcnt vmcnt(0)
	ds_store_b32 v1, v65
.LBB94_189:
	s_or_b32 exec_lo, exec_lo, s0
	s_waitcnt lgkmcnt(0)
	s_waitcnt_vscnt null, 0x0
	s_barrier
	buffer_gl0_inv
	s_clause 0x7
	scratch_load_b128 v[65:68], off, off offset:8
	scratch_load_b128 v[69:72], off, off offset:24
	;; [unrolled: 1-line block ×7, first 2 shown]
	scratch_load_b32 v101, off, off offset:120
	ds_load_2addr_b32 v[93:94], v2 offset0:35 offset1:36
	ds_load_2addr_b32 v[95:96], v2 offset0:37 offset1:38
	;; [unrolled: 1-line block ×4, first 2 shown]
	s_mov_b32 s0, exec_lo
	s_waitcnt vmcnt(7) lgkmcnt(3)
	v_fma_f32 v93, v66, v93, 0
	s_delay_alu instid0(VALU_DEP_1) | instskip(SKIP_4) | instid1(VALU_DEP_1)
	v_fmac_f32_e32 v93, v67, v94
	ds_load_2addr_b32 v[66:67], v2 offset0:43 offset1:44
	s_waitcnt lgkmcnt(3)
	v_fmac_f32_e32 v93, v68, v95
	s_waitcnt vmcnt(6)
	v_fmac_f32_e32 v93, v69, v96
	ds_load_2addr_b32 v[68:69], v2 offset0:45 offset1:46
	s_waitcnt lgkmcnt(3)
	v_fmac_f32_e32 v93, v70, v97
	s_delay_alu instid0(VALU_DEP_1) | instskip(SKIP_1) | instid1(VALU_DEP_1)
	v_fmac_f32_e32 v93, v71, v98
	s_waitcnt lgkmcnt(2)
	v_fmac_f32_e32 v93, v72, v99
	s_waitcnt vmcnt(5)
	s_delay_alu instid0(VALU_DEP_1) | instskip(SKIP_4) | instid1(VALU_DEP_1)
	v_fmac_f32_e32 v93, v73, v100
	ds_load_2addr_b32 v[70:71], v2 offset0:47 offset1:48
	ds_load_2addr_b32 v[72:73], v2 offset0:49 offset1:50
	s_waitcnt lgkmcnt(3)
	v_fmac_f32_e32 v93, v74, v66
	v_fmac_f32_e32 v93, v75, v67
	ds_load_2addr_b32 v[66:67], v2 offset0:51 offset1:52
	s_waitcnt lgkmcnt(3)
	v_fmac_f32_e32 v93, v76, v68
	s_waitcnt vmcnt(4)
	s_delay_alu instid0(VALU_DEP_1) | instskip(SKIP_3) | instid1(VALU_DEP_1)
	v_fmac_f32_e32 v93, v77, v69
	ds_load_2addr_b32 v[68:69], v2 offset0:53 offset1:54
	s_waitcnt lgkmcnt(3)
	v_fmac_f32_e32 v93, v78, v70
	v_fmac_f32_e32 v93, v79, v71
	s_waitcnt lgkmcnt(2)
	s_delay_alu instid0(VALU_DEP_1) | instskip(SKIP_1) | instid1(VALU_DEP_1)
	v_fmac_f32_e32 v93, v80, v72
	s_waitcnt vmcnt(3)
	v_fmac_f32_e32 v93, v81, v73
	ds_load_2addr_b32 v[70:71], v2 offset0:55 offset1:56
	ds_load_2addr_b32 v[72:73], v2 offset0:57 offset1:58
	s_waitcnt lgkmcnt(3)
	v_fmac_f32_e32 v93, v82, v66
	s_delay_alu instid0(VALU_DEP_1) | instskip(SKIP_4) | instid1(VALU_DEP_1)
	v_fmac_f32_e32 v93, v83, v67
	ds_load_2addr_b32 v[66:67], v2 offset0:59 offset1:60
	s_waitcnt lgkmcnt(3)
	v_fmac_f32_e32 v93, v84, v68
	s_waitcnt vmcnt(2)
	v_fmac_f32_e32 v93, v85, v69
	ds_load_2addr_b32 v[68:69], v2 offset0:61 offset1:62
	s_waitcnt lgkmcnt(3)
	v_fmac_f32_e32 v93, v86, v70
	s_delay_alu instid0(VALU_DEP_1) | instskip(SKIP_1) | instid1(VALU_DEP_1)
	v_fmac_f32_e32 v93, v87, v71
	s_waitcnt lgkmcnt(2)
	v_fmac_f32_e32 v93, v88, v72
	s_waitcnt vmcnt(1)
	s_delay_alu instid0(VALU_DEP_1) | instskip(SKIP_1) | instid1(VALU_DEP_1)
	v_fmac_f32_e32 v93, v89, v73
	s_waitcnt lgkmcnt(1)
	v_fmac_f32_e32 v93, v90, v66
	s_delay_alu instid0(VALU_DEP_1) | instskip(SKIP_1) | instid1(VALU_DEP_1)
	v_fmac_f32_e32 v93, v91, v67
	s_waitcnt lgkmcnt(0)
	v_fmac_f32_e32 v93, v92, v68
	s_waitcnt vmcnt(0)
	s_delay_alu instid0(VALU_DEP_1) | instskip(NEXT) | instid1(VALU_DEP_1)
	v_fmac_f32_e32 v93, v101, v69
	v_sub_f32_e32 v2, v65, v93
	scratch_store_b32 off, v2, off offset:8
	v_cmpx_lt_u32_e32 1, v0
	s_cbranch_execz .LBB94_191
; %bb.190:
	scratch_load_b32 v2, off, off offset:4
	v_mov_b32_e32 v65, 0
	scratch_store_b32 off, v65, off offset:4
	s_waitcnt vmcnt(0)
	ds_store_b32 v1, v2
.LBB94_191:
	s_or_b32 exec_lo, exec_lo, s0
	s_waitcnt lgkmcnt(0)
	s_waitcnt_vscnt null, 0x0
	s_barrier
	buffer_gl0_inv
	s_clause 0x7
	scratch_load_b128 v[66:69], off, off offset:4
	scratch_load_b128 v[70:73], off, off offset:20
	;; [unrolled: 1-line block ×7, first 2 shown]
	scratch_load_b64 v[102:103], off, off offset:116
	v_mov_b32_e32 v65, 0
	ds_load_2addr_b64 v[94:97], v65 offset0:17 offset1:18
	ds_load_2addr_b64 v[98:101], v65 offset0:19 offset1:20
	s_mov_b32 s0, exec_lo
	s_waitcnt vmcnt(7) lgkmcnt(1)
	v_fma_f32 v2, v67, v94, 0
	s_delay_alu instid0(VALU_DEP_1) | instskip(NEXT) | instid1(VALU_DEP_1)
	v_fmac_f32_e32 v2, v68, v95
	v_fmac_f32_e32 v2, v69, v96
	s_waitcnt vmcnt(6)
	s_delay_alu instid0(VALU_DEP_1) | instskip(SKIP_3) | instid1(VALU_DEP_1)
	v_fmac_f32_e32 v2, v70, v97
	ds_load_2addr_b64 v[67:70], v65 offset0:21 offset1:22
	s_waitcnt lgkmcnt(1)
	v_fmac_f32_e32 v2, v71, v98
	v_fmac_f32_e32 v2, v72, v99
	s_delay_alu instid0(VALU_DEP_1) | instskip(SKIP_1) | instid1(VALU_DEP_1)
	v_fmac_f32_e32 v2, v73, v100
	s_waitcnt vmcnt(5)
	v_fmac_f32_e32 v2, v74, v101
	ds_load_2addr_b64 v[71:74], v65 offset0:23 offset1:24
	s_waitcnt lgkmcnt(1)
	v_fmac_f32_e32 v2, v75, v67
	s_delay_alu instid0(VALU_DEP_1) | instskip(NEXT) | instid1(VALU_DEP_1)
	v_fmac_f32_e32 v2, v76, v68
	v_fmac_f32_e32 v2, v77, v69
	s_waitcnt vmcnt(4)
	s_delay_alu instid0(VALU_DEP_1) | instskip(SKIP_3) | instid1(VALU_DEP_1)
	v_fmac_f32_e32 v2, v78, v70
	ds_load_2addr_b64 v[67:70], v65 offset0:25 offset1:26
	s_waitcnt lgkmcnt(1)
	v_fmac_f32_e32 v2, v79, v71
	v_fmac_f32_e32 v2, v80, v72
	s_delay_alu instid0(VALU_DEP_1) | instskip(SKIP_1) | instid1(VALU_DEP_1)
	v_fmac_f32_e32 v2, v81, v73
	s_waitcnt vmcnt(3)
	v_fmac_f32_e32 v2, v82, v74
	ds_load_2addr_b64 v[71:74], v65 offset0:27 offset1:28
	s_waitcnt lgkmcnt(1)
	v_fmac_f32_e32 v2, v83, v67
	s_delay_alu instid0(VALU_DEP_1) | instskip(NEXT) | instid1(VALU_DEP_1)
	v_fmac_f32_e32 v2, v84, v68
	v_fmac_f32_e32 v2, v85, v69
	s_waitcnt vmcnt(2)
	s_delay_alu instid0(VALU_DEP_1)
	v_fmac_f32_e32 v2, v86, v70
	ds_load_2addr_b64 v[67:70], v65 offset0:29 offset1:30
	s_waitcnt lgkmcnt(1)
	v_fmac_f32_e32 v2, v87, v71
	ds_load_b32 v71, v65 offset:248
	v_fmac_f32_e32 v2, v88, v72
	s_delay_alu instid0(VALU_DEP_1) | instskip(SKIP_1) | instid1(VALU_DEP_1)
	v_fmac_f32_e32 v2, v89, v73
	s_waitcnt vmcnt(1)
	v_fmac_f32_e32 v2, v90, v74
	s_waitcnt lgkmcnt(1)
	s_delay_alu instid0(VALU_DEP_1) | instskip(NEXT) | instid1(VALU_DEP_1)
	v_fmac_f32_e32 v2, v91, v67
	v_fmac_f32_e32 v2, v92, v68
	s_delay_alu instid0(VALU_DEP_1) | instskip(SKIP_1) | instid1(VALU_DEP_1)
	v_fmac_f32_e32 v2, v93, v69
	s_waitcnt vmcnt(0)
	v_fmac_f32_e32 v2, v102, v70
	s_waitcnt lgkmcnt(0)
	s_delay_alu instid0(VALU_DEP_1) | instskip(NEXT) | instid1(VALU_DEP_1)
	v_fmac_f32_e32 v2, v103, v71
	v_sub_f32_e32 v2, v66, v2
	scratch_store_b32 off, v2, off offset:4
	v_cmpx_ne_u32_e32 0, v0
	s_cbranch_execz .LBB94_193
; %bb.192:
	scratch_load_b32 v0, off, off
	scratch_store_b32 off, v65, off
	s_waitcnt vmcnt(0)
	ds_store_b32 v1, v0
.LBB94_193:
	s_or_b32 exec_lo, exec_lo, s0
	s_waitcnt lgkmcnt(0)
	s_waitcnt_vscnt null, 0x0
	s_barrier
	buffer_gl0_inv
	s_clause 0x7
	scratch_load_b128 v[66:69], off, off
	scratch_load_b128 v[70:73], off, off offset:16
	scratch_load_b128 v[74:77], off, off offset:32
	;; [unrolled: 1-line block ×6, first 2 shown]
	scratch_load_b96 v[0:2], off, off offset:112
	ds_load_2addr_b32 v[94:95], v65 offset0:33 offset1:34
	ds_load_2addr_b32 v[96:97], v65 offset0:35 offset1:36
	;; [unrolled: 1-line block ×4, first 2 shown]
	s_and_b32 vcc_lo, exec_lo, s12
	s_waitcnt vmcnt(7) lgkmcnt(3)
	v_fma_f32 v94, v67, v94, 0
	s_delay_alu instid0(VALU_DEP_1) | instskip(SKIP_4) | instid1(VALU_DEP_1)
	v_fmac_f32_e32 v94, v68, v95
	ds_load_2addr_b32 v[67:68], v65 offset0:41 offset1:42
	s_waitcnt lgkmcnt(3)
	v_fmac_f32_e32 v94, v69, v96
	s_waitcnt vmcnt(6)
	v_fmac_f32_e32 v94, v70, v97
	ds_load_2addr_b32 v[69:70], v65 offset0:43 offset1:44
	s_waitcnt lgkmcnt(3)
	v_fmac_f32_e32 v94, v71, v98
	s_delay_alu instid0(VALU_DEP_1) | instskip(SKIP_1) | instid1(VALU_DEP_1)
	v_fmac_f32_e32 v94, v72, v99
	s_waitcnt lgkmcnt(2)
	v_fmac_f32_e32 v94, v73, v100
	s_waitcnt vmcnt(5)
	s_delay_alu instid0(VALU_DEP_1) | instskip(SKIP_4) | instid1(VALU_DEP_1)
	v_fmac_f32_e32 v94, v74, v101
	ds_load_2addr_b32 v[71:72], v65 offset0:45 offset1:46
	ds_load_2addr_b32 v[73:74], v65 offset0:47 offset1:48
	s_waitcnt lgkmcnt(3)
	v_fmac_f32_e32 v94, v75, v67
	v_fmac_f32_e32 v94, v76, v68
	ds_load_2addr_b32 v[67:68], v65 offset0:49 offset1:50
	s_waitcnt lgkmcnt(3)
	v_fmac_f32_e32 v94, v77, v69
	s_waitcnt vmcnt(4)
	s_delay_alu instid0(VALU_DEP_1) | instskip(SKIP_3) | instid1(VALU_DEP_1)
	v_fmac_f32_e32 v94, v78, v70
	ds_load_2addr_b32 v[69:70], v65 offset0:51 offset1:52
	s_waitcnt lgkmcnt(3)
	v_fmac_f32_e32 v94, v79, v71
	v_fmac_f32_e32 v94, v80, v72
	s_waitcnt lgkmcnt(2)
	s_delay_alu instid0(VALU_DEP_1) | instskip(SKIP_1) | instid1(VALU_DEP_1)
	v_fmac_f32_e32 v94, v81, v73
	s_waitcnt vmcnt(3)
	v_fmac_f32_e32 v94, v82, v74
	ds_load_2addr_b32 v[71:72], v65 offset0:53 offset1:54
	ds_load_2addr_b32 v[73:74], v65 offset0:55 offset1:56
	s_waitcnt lgkmcnt(3)
	v_fmac_f32_e32 v94, v83, v67
	s_delay_alu instid0(VALU_DEP_1) | instskip(SKIP_4) | instid1(VALU_DEP_1)
	v_fmac_f32_e32 v94, v84, v68
	ds_load_2addr_b32 v[67:68], v65 offset0:57 offset1:58
	s_waitcnt lgkmcnt(3)
	v_fmac_f32_e32 v94, v85, v69
	s_waitcnt vmcnt(2)
	v_fmac_f32_e32 v94, v86, v70
	ds_load_2addr_b32 v[69:70], v65 offset0:59 offset1:60
	s_waitcnt lgkmcnt(3)
	v_fmac_f32_e32 v94, v87, v71
	s_delay_alu instid0(VALU_DEP_1) | instskip(SKIP_4) | instid1(VALU_DEP_1)
	v_fmac_f32_e32 v94, v88, v72
	ds_load_2addr_b32 v[71:72], v65 offset0:61 offset1:62
	s_waitcnt lgkmcnt(3)
	v_fmac_f32_e32 v94, v89, v73
	s_waitcnt vmcnt(1)
	v_fmac_f32_e32 v94, v90, v74
	s_waitcnt lgkmcnt(2)
	s_delay_alu instid0(VALU_DEP_1) | instskip(NEXT) | instid1(VALU_DEP_1)
	v_fmac_f32_e32 v94, v91, v67
	v_fmac_f32_e32 v94, v92, v68
	s_waitcnt lgkmcnt(1)
	s_delay_alu instid0(VALU_DEP_1) | instskip(SKIP_1) | instid1(VALU_DEP_1)
	v_fmac_f32_e32 v94, v93, v69
	s_waitcnt vmcnt(0)
	v_fmac_f32_e32 v94, v0, v70
	s_waitcnt lgkmcnt(0)
	s_delay_alu instid0(VALU_DEP_1) | instskip(NEXT) | instid1(VALU_DEP_1)
	v_fmac_f32_e32 v94, v1, v71
	v_fmac_f32_e32 v94, v2, v72
	s_delay_alu instid0(VALU_DEP_1)
	v_sub_f32_e32 v0, v66, v94
	scratch_store_b32 off, v0, off
	s_cbranch_vccz .LBB94_255
; %bb.194:
	v_dual_mov_b32 v66, s3 :: v_dual_mov_b32 v65, s2
	s_mov_b32 s0, exec_lo
	flat_load_b32 v0, v[65:66] offset:116
	s_waitcnt vmcnt(0) lgkmcnt(0)
	v_cmpx_ne_u32_e32 30, v0
	s_cbranch_execz .LBB94_196
; %bb.195:
	v_lshl_add_u32 v0, v0, 2, 0
	scratch_load_b32 v2, v0, off offset:-4
	s_waitcnt vmcnt(0)
	scratch_store_b32 off, v2, off offset:116
	scratch_store_b32 v0, v1, off offset:-4
.LBB94_196:
	s_or_b32 exec_lo, exec_lo, s0
	v_dual_mov_b32 v0, s2 :: v_dual_mov_b32 v1, s3
	s_mov_b32 s0, exec_lo
	flat_load_b32 v0, v[0:1] offset:112
	s_waitcnt vmcnt(0) lgkmcnt(0)
	v_cmpx_ne_u32_e32 29, v0
	s_cbranch_execz .LBB94_198
; %bb.197:
	v_lshl_add_u32 v0, v0, 2, 0
	scratch_load_b32 v1, v0, off offset:-4
	scratch_load_b32 v2, off, off offset:112
	s_waitcnt vmcnt(1)
	scratch_store_b32 off, v1, off offset:112
	s_waitcnt vmcnt(0)
	scratch_store_b32 v0, v2, off offset:-4
.LBB94_198:
	s_or_b32 exec_lo, exec_lo, s0
	v_dual_mov_b32 v0, s2 :: v_dual_mov_b32 v1, s3
	s_mov_b32 s0, exec_lo
	flat_load_b32 v0, v[0:1] offset:108
	s_waitcnt vmcnt(0) lgkmcnt(0)
	v_cmpx_ne_u32_e32 28, v0
	s_cbranch_execz .LBB94_200
; %bb.199:
	v_lshl_add_u32 v0, v0, 2, 0
	scratch_load_b32 v1, v0, off offset:-4
	scratch_load_b32 v2, off, off offset:108
	s_waitcnt vmcnt(1)
	scratch_store_b32 off, v1, off offset:108
	s_waitcnt vmcnt(0)
	scratch_store_b32 v0, v2, off offset:-4
.LBB94_200:
	;; [unrolled: 16-line block ×28, first 2 shown]
	s_or_b32 exec_lo, exec_lo, s0
	v_dual_mov_b32 v0, s2 :: v_dual_mov_b32 v1, s3
	s_mov_b32 s0, exec_lo
	flat_load_b32 v1, v[0:1]
	scratch_load_b32 v0, off, off
	s_waitcnt vmcnt(1) lgkmcnt(0)
	v_cmpx_ne_u32_e32 1, v1
	s_cbranch_execz .LBB94_254
; %bb.253:
	v_lshl_add_u32 v1, v1, 2, 0
	scratch_load_b32 v2, v1, off offset:-4
	s_waitcnt vmcnt(0)
	scratch_store_b32 off, v2, off
	scratch_store_b32 v1, v0, off offset:-4
	scratch_load_b32 v0, off, off
.LBB94_254:
	s_or_b32 exec_lo, exec_lo, s0
.LBB94_255:
	s_clause 0x7
	scratch_load_b128 v[65:68], off, off offset:4
	scratch_load_b128 v[69:72], off, off offset:20
	;; [unrolled: 1-line block ×7, first 2 shown]
	scratch_load_b64 v[1:2], off, off offset:116
	s_waitcnt vmcnt(8)
	global_store_b32 v[3:4], v0, off
	s_waitcnt vmcnt(7)
	s_clause 0x3
	global_store_b32 v[5:6], v65, off
	global_store_b32 v[7:8], v66, off
	global_store_b32 v[9:10], v67, off
	global_store_b32 v[11:12], v68, off
	s_waitcnt vmcnt(6)
	s_clause 0x3
	global_store_b32 v[13:14], v69, off
	global_store_b32 v[15:16], v70, off
	global_store_b32 v[17:18], v71, off
	;; [unrolled: 6-line block ×7, first 2 shown]
	global_store_b32 v[59:60], v92, off
	s_waitcnt vmcnt(0)
	s_clause 0x1
	global_store_b32 v[63:64], v1, off
	global_store_b32 v[61:62], v2, off
	s_endpgm
	.section	.rodata,"a",@progbits
	.p2align	6, 0x0
	.amdhsa_kernel _ZN9rocsolver6v33100L18getri_kernel_smallILi31EfPKPfEEvT1_iilPiilS6_bb
		.amdhsa_group_segment_fixed_size 252
		.amdhsa_private_segment_fixed_size 128
		.amdhsa_kernarg_size 60
		.amdhsa_user_sgpr_count 15
		.amdhsa_user_sgpr_dispatch_ptr 0
		.amdhsa_user_sgpr_queue_ptr 0
		.amdhsa_user_sgpr_kernarg_segment_ptr 1
		.amdhsa_user_sgpr_dispatch_id 0
		.amdhsa_user_sgpr_private_segment_size 0
		.amdhsa_wavefront_size32 1
		.amdhsa_uses_dynamic_stack 0
		.amdhsa_enable_private_segment 1
		.amdhsa_system_sgpr_workgroup_id_x 1
		.amdhsa_system_sgpr_workgroup_id_y 0
		.amdhsa_system_sgpr_workgroup_id_z 0
		.amdhsa_system_sgpr_workgroup_info 0
		.amdhsa_system_vgpr_workitem_id 0
		.amdhsa_next_free_vgpr 104
		.amdhsa_next_free_sgpr 17
		.amdhsa_reserve_vcc 1
		.amdhsa_float_round_mode_32 0
		.amdhsa_float_round_mode_16_64 0
		.amdhsa_float_denorm_mode_32 3
		.amdhsa_float_denorm_mode_16_64 3
		.amdhsa_dx10_clamp 1
		.amdhsa_ieee_mode 1
		.amdhsa_fp16_overflow 0
		.amdhsa_workgroup_processor_mode 1
		.amdhsa_memory_ordered 1
		.amdhsa_forward_progress 0
		.amdhsa_shared_vgpr_count 0
		.amdhsa_exception_fp_ieee_invalid_op 0
		.amdhsa_exception_fp_denorm_src 0
		.amdhsa_exception_fp_ieee_div_zero 0
		.amdhsa_exception_fp_ieee_overflow 0
		.amdhsa_exception_fp_ieee_underflow 0
		.amdhsa_exception_fp_ieee_inexact 0
		.amdhsa_exception_int_div_zero 0
	.end_amdhsa_kernel
	.section	.text._ZN9rocsolver6v33100L18getri_kernel_smallILi31EfPKPfEEvT1_iilPiilS6_bb,"axG",@progbits,_ZN9rocsolver6v33100L18getri_kernel_smallILi31EfPKPfEEvT1_iilPiilS6_bb,comdat
.Lfunc_end94:
	.size	_ZN9rocsolver6v33100L18getri_kernel_smallILi31EfPKPfEEvT1_iilPiilS6_bb, .Lfunc_end94-_ZN9rocsolver6v33100L18getri_kernel_smallILi31EfPKPfEEvT1_iilPiilS6_bb
                                        ; -- End function
	.section	.AMDGPU.csdata,"",@progbits
; Kernel info:
; codeLenInByte = 19156
; NumSgprs: 19
; NumVgprs: 104
; ScratchSize: 128
; MemoryBound: 0
; FloatMode: 240
; IeeeMode: 1
; LDSByteSize: 252 bytes/workgroup (compile time only)
; SGPRBlocks: 2
; VGPRBlocks: 12
; NumSGPRsForWavesPerEU: 19
; NumVGPRsForWavesPerEU: 104
; Occupancy: 12
; WaveLimiterHint : 1
; COMPUTE_PGM_RSRC2:SCRATCH_EN: 1
; COMPUTE_PGM_RSRC2:USER_SGPR: 15
; COMPUTE_PGM_RSRC2:TRAP_HANDLER: 0
; COMPUTE_PGM_RSRC2:TGID_X_EN: 1
; COMPUTE_PGM_RSRC2:TGID_Y_EN: 0
; COMPUTE_PGM_RSRC2:TGID_Z_EN: 0
; COMPUTE_PGM_RSRC2:TIDIG_COMP_CNT: 0
	.section	.text._ZN9rocsolver6v33100L18getri_kernel_smallILi32EfPKPfEEvT1_iilPiilS6_bb,"axG",@progbits,_ZN9rocsolver6v33100L18getri_kernel_smallILi32EfPKPfEEvT1_iilPiilS6_bb,comdat
	.globl	_ZN9rocsolver6v33100L18getri_kernel_smallILi32EfPKPfEEvT1_iilPiilS6_bb ; -- Begin function _ZN9rocsolver6v33100L18getri_kernel_smallILi32EfPKPfEEvT1_iilPiilS6_bb
	.p2align	8
	.type	_ZN9rocsolver6v33100L18getri_kernel_smallILi32EfPKPfEEvT1_iilPiilS6_bb,@function
_ZN9rocsolver6v33100L18getri_kernel_smallILi32EfPKPfEEvT1_iilPiilS6_bb: ; @_ZN9rocsolver6v33100L18getri_kernel_smallILi32EfPKPfEEvT1_iilPiilS6_bb
; %bb.0:
	s_mov_b32 s2, exec_lo
	v_cmpx_gt_u32_e32 32, v0
	s_cbranch_execz .LBB95_136
; %bb.1:
	s_clause 0x1
	s_load_b32 s13, s[0:1], 0x38
	s_load_b64 s[2:3], s[0:1], 0x0
	s_mov_b32 s8, s15
	s_load_b128 s[4:7], s[0:1], 0x28
	s_waitcnt lgkmcnt(0)
	s_bitcmp1_b32 s13, 8
	s_cselect_b32 s12, -1, 0
	s_ashr_i32 s9, s15, 31
	s_delay_alu instid0(SALU_CYCLE_1) | instskip(NEXT) | instid1(SALU_CYCLE_1)
	s_lshl_b64 s[10:11], s[8:9], 3
	s_add_u32 s2, s2, s10
	s_addc_u32 s3, s3, s11
	s_load_b64 s[10:11], s[2:3], 0x0
	s_bfe_u32 s2, s13, 0x10008
	s_delay_alu instid0(SALU_CYCLE_1)
	s_cmp_eq_u32 s2, 0
                                        ; implicit-def: $sgpr2_sgpr3
	s_cbranch_scc1 .LBB95_3
; %bb.2:
	s_clause 0x1
	s_load_b32 s2, s[0:1], 0x20
	s_load_b64 s[14:15], s[0:1], 0x18
	s_mul_i32 s3, s8, s5
	s_mul_hi_u32 s5, s8, s4
	s_mul_i32 s16, s9, s4
	s_add_i32 s3, s5, s3
	s_mul_i32 s4, s8, s4
	s_add_i32 s5, s3, s16
	s_delay_alu instid0(SALU_CYCLE_1)
	s_lshl_b64 s[4:5], s[4:5], 2
	s_waitcnt lgkmcnt(0)
	s_ashr_i32 s3, s2, 31
	s_add_u32 s4, s14, s4
	s_addc_u32 s5, s15, s5
	s_lshl_b64 s[2:3], s[2:3], 2
	s_delay_alu instid0(SALU_CYCLE_1)
	s_add_u32 s2, s4, s2
	s_addc_u32 s3, s5, s3
.LBB95_3:
	s_load_b64 s[0:1], s[0:1], 0x8
	v_lshlrev_b32_e32 v1, 2, v0
	s_waitcnt lgkmcnt(0)
	v_add3_u32 v2, s1, s1, v0
	s_ashr_i32 s5, s0, 31
	s_mov_b32 s4, s0
	s_mov_b32 s14, s1
	s_lshl_b64 s[4:5], s[4:5], 2
	v_add_nc_u32_e32 v8, s1, v2
	v_ashrrev_i32_e32 v3, 31, v2
	s_add_u32 s4, s10, s4
	s_addc_u32 s5, s11, s5
	v_add_co_u32 v4, s0, s4, v1
	v_add_nc_u32_e32 v10, s1, v8
	s_ashr_i32 s15, s1, 31
	v_add_co_ci_u32_e64 v5, null, s5, 0, s0
	v_lshlrev_b64 v[2:3], 2, v[2:3]
	s_delay_alu instid0(VALU_DEP_3)
	v_add_nc_u32_e32 v12, s1, v10
	v_ashrrev_i32_e32 v9, 31, v8
	s_lshl_b64 s[10:11], s[14:15], 2
	v_ashrrev_i32_e32 v11, 31, v10
	v_add_co_u32 v6, vcc_lo, v4, s10
	v_add_nc_u32_e32 v14, s1, v12
	v_add_co_ci_u32_e32 v7, vcc_lo, s11, v5, vcc_lo
	v_lshlrev_b64 v[21:22], 2, v[8:9]
	v_add_co_u32 v8, vcc_lo, s4, v2
	s_delay_alu instid0(VALU_DEP_4) | instskip(SKIP_3) | instid1(VALU_DEP_4)
	v_add_nc_u32_e32 v16, s1, v14
	v_add_co_ci_u32_e32 v9, vcc_lo, s5, v3, vcc_lo
	v_lshlrev_b64 v[2:3], 2, v[10:11]
	v_ashrrev_i32_e32 v13, 31, v12
	v_add_nc_u32_e32 v18, s1, v16
	v_add_co_u32 v10, vcc_lo, s4, v21
	v_ashrrev_i32_e32 v15, 31, v14
	v_add_co_ci_u32_e32 v11, vcc_lo, s5, v22, vcc_lo
	s_delay_alu instid0(VALU_DEP_4) | instskip(SKIP_3) | instid1(VALU_DEP_4)
	v_add_nc_u32_e32 v20, s1, v18
	v_lshlrev_b64 v[21:22], 2, v[12:13]
	v_add_co_u32 v12, vcc_lo, s4, v2
	v_add_co_ci_u32_e32 v13, vcc_lo, s5, v3, vcc_lo
	v_add_nc_u32_e32 v23, s1, v20
	v_lshlrev_b64 v[2:3], 2, v[14:15]
	v_ashrrev_i32_e32 v17, 31, v16
	v_add_co_u32 v14, vcc_lo, s4, v21
	s_delay_alu instid0(VALU_DEP_4) | instskip(SKIP_3) | instid1(VALU_DEP_4)
	v_add_nc_u32_e32 v25, s1, v23
	v_ashrrev_i32_e32 v19, 31, v18
	v_add_co_ci_u32_e32 v15, vcc_lo, s5, v22, vcc_lo
	v_lshlrev_b64 v[30:31], 2, v[16:17]
	v_add_nc_u32_e32 v27, s1, v25
	v_add_co_u32 v16, vcc_lo, s4, v2
	v_add_co_ci_u32_e32 v17, vcc_lo, s5, v3, vcc_lo
	s_delay_alu instid0(VALU_DEP_3) | instskip(SKIP_3) | instid1(VALU_DEP_4)
	v_add_nc_u32_e32 v29, s1, v27
	v_lshlrev_b64 v[2:3], 2, v[18:19]
	v_ashrrev_i32_e32 v21, 31, v20
	v_add_co_u32 v18, vcc_lo, s4, v30
	v_add_nc_u32_e32 v32, s1, v29
	v_ashrrev_i32_e32 v24, 31, v23
	v_add_co_ci_u32_e32 v19, vcc_lo, s5, v31, vcc_lo
	v_lshlrev_b64 v[30:31], 2, v[20:21]
	s_delay_alu instid0(VALU_DEP_4) | instskip(SKIP_2) | instid1(VALU_DEP_3)
	v_add_nc_u32_e32 v34, s1, v32
	v_add_co_u32 v20, vcc_lo, s4, v2
	v_add_co_ci_u32_e32 v21, vcc_lo, s5, v3, vcc_lo
	v_add_nc_u32_e32 v36, s1, v34
	v_lshlrev_b64 v[2:3], 2, v[23:24]
	v_ashrrev_i32_e32 v26, 31, v25
	v_add_co_u32 v22, vcc_lo, s4, v30
	s_delay_alu instid0(VALU_DEP_4) | instskip(SKIP_3) | instid1(VALU_DEP_4)
	v_add_nc_u32_e32 v38, s1, v36
	v_ashrrev_i32_e32 v28, 31, v27
	v_add_co_ci_u32_e32 v23, vcc_lo, s5, v31, vcc_lo
	v_lshlrev_b64 v[41:42], 2, v[25:26]
	v_add_nc_u32_e32 v40, s1, v38
	v_add_co_u32 v24, vcc_lo, s4, v2
	v_add_co_ci_u32_e32 v25, vcc_lo, s5, v3, vcc_lo
	s_delay_alu instid0(VALU_DEP_3) | instskip(SKIP_3) | instid1(VALU_DEP_4)
	v_add_nc_u32_e32 v43, s1, v40
	v_lshlrev_b64 v[2:3], 2, v[27:28]
	v_ashrrev_i32_e32 v30, 31, v29
	v_add_co_u32 v26, vcc_lo, s4, v41
	v_add_nc_u32_e32 v45, s1, v43
	v_ashrrev_i32_e32 v33, 31, v32
	v_add_co_ci_u32_e32 v27, vcc_lo, s5, v42, vcc_lo
	v_lshlrev_b64 v[30:31], 2, v[29:30]
	s_delay_alu instid0(VALU_DEP_4) | instskip(SKIP_2) | instid1(VALU_DEP_3)
	v_add_nc_u32_e32 v47, s1, v45
	v_add_co_u32 v28, vcc_lo, s4, v2
	v_add_co_ci_u32_e32 v29, vcc_lo, s5, v3, vcc_lo
	v_add_nc_u32_e32 v49, s1, v47
	v_lshlrev_b64 v[2:3], 2, v[32:33]
	v_ashrrev_i32_e32 v35, 31, v34
	v_add_co_u32 v30, vcc_lo, s4, v30
	s_delay_alu instid0(VALU_DEP_4) | instskip(SKIP_3) | instid1(VALU_DEP_4)
	v_add_nc_u32_e32 v51, s1, v49
	v_ashrrev_i32_e32 v37, 31, v36
	v_add_co_ci_u32_e32 v31, vcc_lo, s5, v31, vcc_lo
	v_lshlrev_b64 v[34:35], 2, v[34:35]
	v_add_nc_u32_e32 v53, s1, v51
	v_add_co_u32 v32, vcc_lo, s4, v2
	v_add_co_ci_u32_e32 v33, vcc_lo, s5, v3, vcc_lo
	s_delay_alu instid0(VALU_DEP_3) | instskip(SKIP_3) | instid1(VALU_DEP_4)
	v_add_nc_u32_e32 v55, s1, v53
	v_lshlrev_b64 v[2:3], 2, v[36:37]
	v_ashrrev_i32_e32 v39, 31, v38
	v_add_co_u32 v34, vcc_lo, s4, v34
	v_add_nc_u32_e32 v57, s1, v55
	v_ashrrev_i32_e32 v41, 31, v40
	v_add_co_ci_u32_e32 v35, vcc_lo, s5, v35, vcc_lo
	v_lshlrev_b64 v[38:39], 2, v[38:39]
	s_delay_alu instid0(VALU_DEP_4)
	v_add_nc_u32_e32 v59, s1, v57
	v_add_co_u32 v36, vcc_lo, s4, v2
	v_add_co_ci_u32_e32 v37, vcc_lo, s5, v3, vcc_lo
	v_lshlrev_b64 v[2:3], 2, v[40:41]
	v_ashrrev_i32_e32 v44, 31, v43
	v_add_nc_u32_e32 v61, s1, v59
	v_add_co_u32 v38, vcc_lo, s4, v38
	v_ashrrev_i32_e32 v46, 31, v45
	v_add_co_ci_u32_e32 v39, vcc_lo, s5, v39, vcc_lo
	v_lshlrev_b64 v[42:43], 2, v[43:44]
	v_add_co_u32 v40, vcc_lo, s4, v2
	v_add_nc_u32_e32 v63, s1, v61
	v_add_co_ci_u32_e32 v41, vcc_lo, s5, v3, vcc_lo
	v_lshlrev_b64 v[2:3], 2, v[45:46]
	v_add_co_u32 v42, vcc_lo, s4, v42
	v_ashrrev_i32_e32 v50, 31, v49
	v_add_nc_u32_e32 v65, s1, v63
	v_ashrrev_i32_e32 v48, 31, v47
	v_add_co_ci_u32_e32 v43, vcc_lo, s5, v43, vcc_lo
	v_add_co_u32 v44, vcc_lo, s4, v2
	v_add_co_ci_u32_e32 v45, vcc_lo, s5, v3, vcc_lo
	v_lshlrev_b64 v[2:3], 2, v[49:50]
	v_ashrrev_i32_e32 v52, 31, v51
	v_add_nc_u32_e32 v50, s1, v65
	v_lshlrev_b64 v[46:47], 2, v[47:48]
	v_ashrrev_i32_e32 v54, 31, v53
	v_ashrrev_i32_e32 v56, 31, v55
	v_lshlrev_b64 v[66:67], 2, v[51:52]
	v_ashrrev_i32_e32 v51, 31, v50
	v_ashrrev_i32_e32 v58, 31, v57
	v_add_co_u32 v46, vcc_lo, s4, v46
	v_add_co_ci_u32_e32 v47, vcc_lo, s5, v47, vcc_lo
	v_add_co_u32 v48, vcc_lo, s4, v2
	v_lshlrev_b64 v[50:51], 2, v[50:51]
	v_add_co_ci_u32_e32 v49, vcc_lo, s5, v3, vcc_lo
	v_lshlrev_b64 v[2:3], 2, v[53:54]
	v_add_co_u32 v52, vcc_lo, s4, v66
	v_add_co_ci_u32_e32 v53, vcc_lo, s5, v67, vcc_lo
	v_add_co_u32 v50, vcc_lo, s4, v50
	v_lshlrev_b64 v[66:67], 2, v[55:56]
	v_add_co_ci_u32_e32 v51, vcc_lo, s5, v51, vcc_lo
	v_add_co_u32 v54, vcc_lo, s4, v2
	v_add_co_ci_u32_e32 v55, vcc_lo, s5, v3, vcc_lo
	v_lshlrev_b64 v[2:3], 2, v[57:58]
	v_ashrrev_i32_e32 v60, 31, v59
	v_add_co_u32 v56, vcc_lo, s4, v66
	v_ashrrev_i32_e32 v62, 31, v61
	v_add_co_ci_u32_e32 v57, vcc_lo, s5, v67, vcc_lo
	s_delay_alu instid0(VALU_DEP_4)
	v_lshlrev_b64 v[66:67], 2, v[59:60]
	v_add_co_u32 v58, vcc_lo, s4, v2
	v_add_co_ci_u32_e32 v59, vcc_lo, s5, v3, vcc_lo
	v_lshlrev_b64 v[2:3], 2, v[61:62]
	v_ashrrev_i32_e32 v64, 31, v63
	v_add_co_u32 v60, vcc_lo, s4, v66
	v_ashrrev_i32_e32 v66, 31, v65
	v_add_co_ci_u32_e32 v61, vcc_lo, s5, v67, vcc_lo
	s_delay_alu instid0(VALU_DEP_4) | instskip(SKIP_3) | instid1(VALU_DEP_4)
	v_lshlrev_b64 v[93:94], 2, v[63:64]
	v_add_co_u32 v62, vcc_lo, s4, v2
	v_add_co_ci_u32_e32 v63, vcc_lo, s5, v3, vcc_lo
	v_lshlrev_b64 v[2:3], 2, v[65:66]
	v_add_co_u32 v64, vcc_lo, s4, v93
	v_add_co_ci_u32_e32 v65, vcc_lo, s5, v94, vcc_lo
	global_load_b32 v68, v1, s[4:5]
	v_add_co_u32 v66, vcc_lo, s4, v2
	s_clause 0x17
	global_load_b32 v69, v[6:7], off
	global_load_b32 v70, v[8:9], off
	;; [unrolled: 1-line block ×24, first 2 shown]
	v_add_co_ci_u32_e32 v67, vcc_lo, s5, v3, vcc_lo
	s_clause 0x6
	global_load_b32 v93, v[56:57], off
	global_load_b32 v94, v[58:59], off
	global_load_b32 v95, v[60:61], off
	global_load_b32 v96, v[62:63], off
	global_load_b32 v97, v[64:65], off
	global_load_b32 v99, v[50:51], off
	global_load_b32 v98, v[66:67], off
	s_mov_b32 s1, -1
	s_bitcmp0_b32 s13, 0
	s_waitcnt vmcnt(28)
	scratch_store_b128 off, v[68:71], off
	s_waitcnt vmcnt(24)
	scratch_store_b128 off, v[72:75], off offset:16
	s_waitcnt vmcnt(20)
	scratch_store_b128 off, v[76:79], off offset:32
	;; [unrolled: 2-line block ×7, first 2 shown]
	s_cbranch_scc1 .LBB95_134
; %bb.4:
	v_cmp_eq_u32_e64 s0, 0, v0
	s_delay_alu instid0(VALU_DEP_1)
	s_and_saveexec_b32 s1, s0
	s_cbranch_execz .LBB95_6
; %bb.5:
	v_mov_b32_e32 v2, 0
	ds_store_b32 v2, v2 offset:256
.LBB95_6:
	s_or_b32 exec_lo, exec_lo, s1
	s_waitcnt lgkmcnt(0)
	s_waitcnt_vscnt null, 0x0
	s_barrier
	buffer_gl0_inv
	scratch_load_b32 v2, v1, off
	s_mov_b32 s4, exec_lo
	s_waitcnt vmcnt(0)
	v_cmpx_eq_f32_e32 0, v2
	s_cbranch_execz .LBB95_10
; %bb.7:
	v_mov_b32_e32 v2, 0
	s_mov_b32 s5, 0
	ds_load_b32 v3, v2 offset:256
	s_waitcnt lgkmcnt(0)
	v_readfirstlane_b32 s1, v3
	v_add_nc_u32_e32 v3, 1, v0
	s_delay_alu instid0(VALU_DEP_2) | instskip(NEXT) | instid1(VALU_DEP_1)
	s_cmp_eq_u32 s1, 0
	v_cmp_gt_i32_e32 vcc_lo, s1, v3
	s_cselect_b32 s10, -1, 0
	s_delay_alu instid0(SALU_CYCLE_1) | instskip(NEXT) | instid1(SALU_CYCLE_1)
	s_or_b32 s10, s10, vcc_lo
	s_and_b32 exec_lo, exec_lo, s10
	s_cbranch_execz .LBB95_10
; %bb.8:
	v_mov_b32_e32 v68, s1
.LBB95_9:                               ; =>This Inner Loop Header: Depth=1
	ds_cmpstore_rtn_b32 v68, v2, v3, v68 offset:256
	s_waitcnt lgkmcnt(0)
	v_cmp_ne_u32_e32 vcc_lo, 0, v68
	v_cmp_le_i32_e64 s1, v68, v3
	s_delay_alu instid0(VALU_DEP_1) | instskip(NEXT) | instid1(SALU_CYCLE_1)
	s_and_b32 s1, vcc_lo, s1
	s_and_b32 s1, exec_lo, s1
	s_delay_alu instid0(SALU_CYCLE_1) | instskip(NEXT) | instid1(SALU_CYCLE_1)
	s_or_b32 s5, s1, s5
	s_and_not1_b32 exec_lo, exec_lo, s5
	s_cbranch_execnz .LBB95_9
.LBB95_10:
	s_or_b32 exec_lo, exec_lo, s4
	v_mov_b32_e32 v2, 0
	s_barrier
	buffer_gl0_inv
	ds_load_b32 v3, v2 offset:256
	s_and_saveexec_b32 s1, s0
	s_cbranch_execz .LBB95_12
; %bb.11:
	s_lshl_b64 s[4:5], s[8:9], 2
	s_delay_alu instid0(SALU_CYCLE_1)
	s_add_u32 s4, s6, s4
	s_addc_u32 s5, s7, s5
	s_waitcnt lgkmcnt(0)
	global_store_b32 v2, v3, s[4:5]
.LBB95_12:
	s_or_b32 exec_lo, exec_lo, s1
	s_waitcnt lgkmcnt(0)
	v_cmp_ne_u32_e32 vcc_lo, 0, v3
	s_mov_b32 s1, 0
	s_cbranch_vccnz .LBB95_134
; %bb.13:
	v_add_nc_u32_e32 v2, 0, v1
	scratch_load_b32 v3, v2, off
	s_waitcnt vmcnt(0)
	v_div_scale_f32 v68, null, v3, v3, 1.0
	v_div_scale_f32 v71, vcc_lo, 1.0, v3, 1.0
	s_delay_alu instid0(VALU_DEP_2) | instskip(SKIP_2) | instid1(VALU_DEP_1)
	v_rcp_f32_e32 v69, v68
	s_waitcnt_depctr 0xfff
	v_fma_f32 v70, -v68, v69, 1.0
	v_fmac_f32_e32 v69, v70, v69
	s_delay_alu instid0(VALU_DEP_1) | instskip(NEXT) | instid1(VALU_DEP_1)
	v_mul_f32_e32 v70, v71, v69
	v_fma_f32 v72, -v68, v70, v71
	s_delay_alu instid0(VALU_DEP_1) | instskip(NEXT) | instid1(VALU_DEP_1)
	v_fmac_f32_e32 v70, v72, v69
	v_fma_f32 v68, -v68, v70, v71
	s_delay_alu instid0(VALU_DEP_1) | instskip(NEXT) | instid1(VALU_DEP_1)
	v_div_fmas_f32 v68, v68, v69, v70
	v_div_fixup_f32 v3, v68, v3, 1.0
	scratch_store_b32 v2, v3, off
	scratch_load_b32 v68, off, off offset:4
	v_xor_b32_e32 v69, 0x80000000, v3
	v_add_nc_u32_e32 v3, 0x80, v1
	s_waitcnt vmcnt(0)
	ds_store_2addr_b32 v1, v69, v68 offset1:32
	s_waitcnt lgkmcnt(0)
	s_waitcnt_vscnt null, 0x0
	s_barrier
	buffer_gl0_inv
	s_and_saveexec_b32 s1, s0
	s_cbranch_execz .LBB95_15
; %bb.14:
	scratch_load_b32 v68, v2, off
	ds_load_b32 v69, v3
	v_mov_b32_e32 v70, 0
	ds_load_b32 v70, v70 offset:4
	s_waitcnt vmcnt(0) lgkmcnt(1)
	v_fma_f32 v68, v68, v69, 0
	s_waitcnt lgkmcnt(0)
	s_delay_alu instid0(VALU_DEP_1)
	v_mul_f32_e32 v68, v68, v70
	scratch_store_b32 off, v68, off offset:4
.LBB95_15:
	s_or_b32 exec_lo, exec_lo, s1
	s_waitcnt_vscnt null, 0x0
	s_barrier
	buffer_gl0_inv
	scratch_load_b32 v68, off, off offset:8
	s_mov_b32 s1, exec_lo
	s_waitcnt vmcnt(0)
	ds_store_b32 v3, v68
	s_waitcnt lgkmcnt(0)
	s_barrier
	buffer_gl0_inv
	v_cmpx_gt_u32_e32 2, v0
	s_cbranch_execz .LBB95_17
; %bb.16:
	scratch_load_b32 v70, v2, off
	scratch_load_b32 v71, off, off offset:4
	ds_load_b32 v72, v3
	v_mov_b32_e32 v68, 0
	ds_load_2addr_b32 v[68:69], v68 offset0:2 offset1:33
	s_waitcnt vmcnt(1) lgkmcnt(1)
	v_fma_f32 v70, v70, v72, 0
	s_waitcnt vmcnt(0) lgkmcnt(0)
	s_delay_alu instid0(VALU_DEP_1) | instskip(NEXT) | instid1(VALU_DEP_1)
	v_fma_f32 v69, v71, v69, v70
	v_cndmask_b32_e64 v69, v70, v69, s0
	s_delay_alu instid0(VALU_DEP_1)
	v_mul_f32_e32 v68, v69, v68
	scratch_store_b32 off, v68, off offset:8
.LBB95_17:
	s_or_b32 exec_lo, exec_lo, s1
	s_waitcnt_vscnt null, 0x0
	s_barrier
	buffer_gl0_inv
	scratch_load_b32 v69, off, off offset:12
	v_add_nc_u32_e32 v68, -1, v0
	s_mov_b32 s0, exec_lo
	s_waitcnt vmcnt(0)
	ds_store_b32 v3, v69
	s_waitcnt lgkmcnt(0)
	s_barrier
	buffer_gl0_inv
	v_cmpx_gt_u32_e32 3, v0
	s_cbranch_execz .LBB95_21
; %bb.18:
	v_dual_mov_b32 v69, 0 :: v_dual_add_nc_u32 v70, -1, v0
	v_add_nc_u32_e32 v71, 0x80, v1
	v_add_nc_u32_e32 v72, 0, v1
	s_mov_b32 s1, 0
.LBB95_19:                              ; =>This Inner Loop Header: Depth=1
	scratch_load_b32 v73, v72, off
	ds_load_b32 v74, v71
	v_add_nc_u32_e32 v70, 1, v70
	v_add_nc_u32_e32 v71, 4, v71
	v_add_nc_u32_e32 v72, 4, v72
	s_delay_alu instid0(VALU_DEP_3)
	v_cmp_lt_u32_e32 vcc_lo, 1, v70
	s_or_b32 s1, vcc_lo, s1
	s_waitcnt vmcnt(0) lgkmcnt(0)
	v_fmac_f32_e32 v69, v73, v74
	s_and_not1_b32 exec_lo, exec_lo, s1
	s_cbranch_execnz .LBB95_19
; %bb.20:
	s_or_b32 exec_lo, exec_lo, s1
	v_mov_b32_e32 v70, 0
	ds_load_b32 v70, v70 offset:12
	s_waitcnt lgkmcnt(0)
	v_mul_f32_e32 v69, v69, v70
	scratch_store_b32 off, v69, off offset:12
.LBB95_21:
	s_or_b32 exec_lo, exec_lo, s0
	s_waitcnt_vscnt null, 0x0
	s_barrier
	buffer_gl0_inv
	scratch_load_b32 v69, off, off offset:16
	s_mov_b32 s0, exec_lo
	s_waitcnt vmcnt(0)
	ds_store_b32 v3, v69
	s_waitcnt lgkmcnt(0)
	s_barrier
	buffer_gl0_inv
	v_cmpx_gt_u32_e32 4, v0
	s_cbranch_execz .LBB95_25
; %bb.22:
	v_dual_mov_b32 v69, 0 :: v_dual_add_nc_u32 v70, -1, v0
	v_add_nc_u32_e32 v71, 0x80, v1
	v_add_nc_u32_e32 v72, 0, v1
	s_mov_b32 s1, 0
.LBB95_23:                              ; =>This Inner Loop Header: Depth=1
	scratch_load_b32 v73, v72, off
	ds_load_b32 v74, v71
	v_add_nc_u32_e32 v70, 1, v70
	v_add_nc_u32_e32 v71, 4, v71
	v_add_nc_u32_e32 v72, 4, v72
	s_delay_alu instid0(VALU_DEP_3)
	v_cmp_lt_u32_e32 vcc_lo, 2, v70
	s_or_b32 s1, vcc_lo, s1
	s_waitcnt vmcnt(0) lgkmcnt(0)
	v_fmac_f32_e32 v69, v73, v74
	s_and_not1_b32 exec_lo, exec_lo, s1
	s_cbranch_execnz .LBB95_23
; %bb.24:
	s_or_b32 exec_lo, exec_lo, s1
	v_mov_b32_e32 v70, 0
	ds_load_b32 v70, v70 offset:16
	s_waitcnt lgkmcnt(0)
	v_mul_f32_e32 v69, v69, v70
	scratch_store_b32 off, v69, off offset:16
.LBB95_25:
	s_or_b32 exec_lo, exec_lo, s0
	s_waitcnt_vscnt null, 0x0
	s_barrier
	buffer_gl0_inv
	scratch_load_b32 v69, off, off offset:20
	;; [unrolled: 39-line block ×21, first 2 shown]
	s_mov_b32 s0, exec_lo
	s_waitcnt vmcnt(0)
	ds_store_b32 v3, v69
	s_waitcnt lgkmcnt(0)
	s_barrier
	buffer_gl0_inv
	v_cmpx_gt_u32_e32 24, v0
	s_cbranch_execz .LBB95_105
; %bb.102:
	v_dual_mov_b32 v69, 0 :: v_dual_add_nc_u32 v70, -1, v0
	v_add_nc_u32_e32 v71, 0x80, v1
	v_add_nc_u32_e32 v72, 0, v1
	s_mov_b32 s1, 0
.LBB95_103:                             ; =>This Inner Loop Header: Depth=1
	scratch_load_b32 v73, v72, off
	ds_load_b32 v74, v71
	v_add_nc_u32_e32 v70, 1, v70
	v_add_nc_u32_e32 v71, 4, v71
	v_add_nc_u32_e32 v72, 4, v72
	s_delay_alu instid0(VALU_DEP_3)
	v_cmp_lt_u32_e32 vcc_lo, 22, v70
	s_or_b32 s1, vcc_lo, s1
	s_waitcnt vmcnt(0) lgkmcnt(0)
	v_fmac_f32_e32 v69, v73, v74
	s_and_not1_b32 exec_lo, exec_lo, s1
	s_cbranch_execnz .LBB95_103
; %bb.104:
	s_or_b32 exec_lo, exec_lo, s1
	v_mov_b32_e32 v70, 0
	ds_load_b32 v70, v70 offset:96
	s_waitcnt lgkmcnt(0)
	v_mul_f32_e32 v69, v69, v70
	scratch_store_b32 off, v69, off offset:96
.LBB95_105:
	s_or_b32 exec_lo, exec_lo, s0
	s_waitcnt_vscnt null, 0x0
	s_barrier
	buffer_gl0_inv
	scratch_load_b32 v69, off, off offset:100
	s_mov_b32 s0, exec_lo
	s_waitcnt vmcnt(0)
	ds_store_b32 v3, v69
	s_waitcnt lgkmcnt(0)
	s_barrier
	buffer_gl0_inv
	v_cmpx_gt_u32_e32 25, v0
	s_cbranch_execz .LBB95_109
; %bb.106:
	v_dual_mov_b32 v69, 0 :: v_dual_add_nc_u32 v70, -1, v0
	v_add_nc_u32_e32 v71, 0x80, v1
	v_add_nc_u32_e32 v72, 0, v1
	s_mov_b32 s1, 0
.LBB95_107:                             ; =>This Inner Loop Header: Depth=1
	scratch_load_b32 v73, v72, off
	ds_load_b32 v74, v71
	v_add_nc_u32_e32 v70, 1, v70
	v_add_nc_u32_e32 v71, 4, v71
	v_add_nc_u32_e32 v72, 4, v72
	s_delay_alu instid0(VALU_DEP_3)
	v_cmp_lt_u32_e32 vcc_lo, 23, v70
	s_or_b32 s1, vcc_lo, s1
	s_waitcnt vmcnt(0) lgkmcnt(0)
	v_fmac_f32_e32 v69, v73, v74
	s_and_not1_b32 exec_lo, exec_lo, s1
	s_cbranch_execnz .LBB95_107
; %bb.108:
	s_or_b32 exec_lo, exec_lo, s1
	v_mov_b32_e32 v70, 0
	ds_load_b32 v70, v70 offset:100
	s_waitcnt lgkmcnt(0)
	v_mul_f32_e32 v69, v69, v70
	scratch_store_b32 off, v69, off offset:100
.LBB95_109:
	s_or_b32 exec_lo, exec_lo, s0
	s_waitcnt_vscnt null, 0x0
	s_barrier
	buffer_gl0_inv
	scratch_load_b32 v69, off, off offset:104
	s_mov_b32 s0, exec_lo
	s_waitcnt vmcnt(0)
	ds_store_b32 v3, v69
	s_waitcnt lgkmcnt(0)
	s_barrier
	buffer_gl0_inv
	v_cmpx_gt_u32_e32 26, v0
	s_cbranch_execz .LBB95_113
; %bb.110:
	v_dual_mov_b32 v69, 0 :: v_dual_add_nc_u32 v70, -1, v0
	v_add_nc_u32_e32 v71, 0x80, v1
	v_add_nc_u32_e32 v72, 0, v1
	s_mov_b32 s1, 0
.LBB95_111:                             ; =>This Inner Loop Header: Depth=1
	scratch_load_b32 v73, v72, off
	ds_load_b32 v74, v71
	v_add_nc_u32_e32 v70, 1, v70
	v_add_nc_u32_e32 v71, 4, v71
	v_add_nc_u32_e32 v72, 4, v72
	s_delay_alu instid0(VALU_DEP_3)
	v_cmp_lt_u32_e32 vcc_lo, 24, v70
	s_or_b32 s1, vcc_lo, s1
	s_waitcnt vmcnt(0) lgkmcnt(0)
	v_fmac_f32_e32 v69, v73, v74
	s_and_not1_b32 exec_lo, exec_lo, s1
	s_cbranch_execnz .LBB95_111
; %bb.112:
	s_or_b32 exec_lo, exec_lo, s1
	v_mov_b32_e32 v70, 0
	ds_load_b32 v70, v70 offset:104
	s_waitcnt lgkmcnt(0)
	v_mul_f32_e32 v69, v69, v70
	scratch_store_b32 off, v69, off offset:104
.LBB95_113:
	s_or_b32 exec_lo, exec_lo, s0
	s_waitcnt_vscnt null, 0x0
	s_barrier
	buffer_gl0_inv
	scratch_load_b32 v69, off, off offset:108
	s_mov_b32 s0, exec_lo
	s_waitcnt vmcnt(0)
	ds_store_b32 v3, v69
	s_waitcnt lgkmcnt(0)
	s_barrier
	buffer_gl0_inv
	v_cmpx_gt_u32_e32 27, v0
	s_cbranch_execz .LBB95_117
; %bb.114:
	v_dual_mov_b32 v69, 0 :: v_dual_add_nc_u32 v70, -1, v0
	v_add_nc_u32_e32 v71, 0x80, v1
	v_add_nc_u32_e32 v72, 0, v1
	s_mov_b32 s1, 0
.LBB95_115:                             ; =>This Inner Loop Header: Depth=1
	scratch_load_b32 v73, v72, off
	ds_load_b32 v74, v71
	v_add_nc_u32_e32 v70, 1, v70
	v_add_nc_u32_e32 v71, 4, v71
	v_add_nc_u32_e32 v72, 4, v72
	s_delay_alu instid0(VALU_DEP_3)
	v_cmp_lt_u32_e32 vcc_lo, 25, v70
	s_or_b32 s1, vcc_lo, s1
	s_waitcnt vmcnt(0) lgkmcnt(0)
	v_fmac_f32_e32 v69, v73, v74
	s_and_not1_b32 exec_lo, exec_lo, s1
	s_cbranch_execnz .LBB95_115
; %bb.116:
	s_or_b32 exec_lo, exec_lo, s1
	v_mov_b32_e32 v70, 0
	ds_load_b32 v70, v70 offset:108
	s_waitcnt lgkmcnt(0)
	v_mul_f32_e32 v69, v69, v70
	scratch_store_b32 off, v69, off offset:108
.LBB95_117:
	s_or_b32 exec_lo, exec_lo, s0
	s_waitcnt_vscnt null, 0x0
	s_barrier
	buffer_gl0_inv
	scratch_load_b32 v69, off, off offset:112
	s_mov_b32 s0, exec_lo
	s_waitcnt vmcnt(0)
	ds_store_b32 v3, v69
	s_waitcnt lgkmcnt(0)
	s_barrier
	buffer_gl0_inv
	v_cmpx_gt_u32_e32 28, v0
	s_cbranch_execz .LBB95_121
; %bb.118:
	v_dual_mov_b32 v69, 0 :: v_dual_add_nc_u32 v70, -1, v0
	v_add_nc_u32_e32 v71, 0x80, v1
	v_add_nc_u32_e32 v72, 0, v1
	s_mov_b32 s1, 0
.LBB95_119:                             ; =>This Inner Loop Header: Depth=1
	scratch_load_b32 v73, v72, off
	ds_load_b32 v74, v71
	v_add_nc_u32_e32 v70, 1, v70
	v_add_nc_u32_e32 v71, 4, v71
	v_add_nc_u32_e32 v72, 4, v72
	s_delay_alu instid0(VALU_DEP_3)
	v_cmp_lt_u32_e32 vcc_lo, 26, v70
	s_or_b32 s1, vcc_lo, s1
	s_waitcnt vmcnt(0) lgkmcnt(0)
	v_fmac_f32_e32 v69, v73, v74
	s_and_not1_b32 exec_lo, exec_lo, s1
	s_cbranch_execnz .LBB95_119
; %bb.120:
	s_or_b32 exec_lo, exec_lo, s1
	v_mov_b32_e32 v70, 0
	ds_load_b32 v70, v70 offset:112
	s_waitcnt lgkmcnt(0)
	v_mul_f32_e32 v69, v69, v70
	scratch_store_b32 off, v69, off offset:112
.LBB95_121:
	s_or_b32 exec_lo, exec_lo, s0
	s_waitcnt_vscnt null, 0x0
	s_barrier
	buffer_gl0_inv
	scratch_load_b32 v69, off, off offset:116
	s_mov_b32 s0, exec_lo
	s_waitcnt vmcnt(0)
	ds_store_b32 v3, v69
	s_waitcnt lgkmcnt(0)
	s_barrier
	buffer_gl0_inv
	v_cmpx_gt_u32_e32 29, v0
	s_cbranch_execz .LBB95_125
; %bb.122:
	v_dual_mov_b32 v69, 0 :: v_dual_add_nc_u32 v70, -1, v0
	v_add_nc_u32_e32 v71, 0x80, v1
	v_add_nc_u32_e32 v72, 0, v1
	s_mov_b32 s1, 0
.LBB95_123:                             ; =>This Inner Loop Header: Depth=1
	scratch_load_b32 v73, v72, off
	ds_load_b32 v74, v71
	v_add_nc_u32_e32 v70, 1, v70
	v_add_nc_u32_e32 v71, 4, v71
	v_add_nc_u32_e32 v72, 4, v72
	s_delay_alu instid0(VALU_DEP_3)
	v_cmp_lt_u32_e32 vcc_lo, 27, v70
	s_or_b32 s1, vcc_lo, s1
	s_waitcnt vmcnt(0) lgkmcnt(0)
	v_fmac_f32_e32 v69, v73, v74
	s_and_not1_b32 exec_lo, exec_lo, s1
	s_cbranch_execnz .LBB95_123
; %bb.124:
	s_or_b32 exec_lo, exec_lo, s1
	v_mov_b32_e32 v70, 0
	ds_load_b32 v70, v70 offset:116
	s_waitcnt lgkmcnt(0)
	v_mul_f32_e32 v69, v69, v70
	scratch_store_b32 off, v69, off offset:116
.LBB95_125:
	s_or_b32 exec_lo, exec_lo, s0
	s_waitcnt_vscnt null, 0x0
	s_barrier
	buffer_gl0_inv
	scratch_load_b32 v69, off, off offset:120
	s_mov_b32 s0, exec_lo
	s_waitcnt vmcnt(0)
	ds_store_b32 v3, v69
	s_waitcnt lgkmcnt(0)
	s_barrier
	buffer_gl0_inv
	v_cmpx_gt_u32_e32 30, v0
	s_cbranch_execz .LBB95_129
; %bb.126:
	v_add_nc_u32_e32 v69, -1, v0
	v_add_nc_u32_e32 v70, 0x80, v1
	v_add_nc_u32_e32 v71, 0, v1
	v_mov_b32_e32 v1, 0
	s_mov_b32 s1, 0
.LBB95_127:                             ; =>This Inner Loop Header: Depth=1
	scratch_load_b32 v72, v71, off
	ds_load_b32 v73, v70
	v_add_nc_u32_e32 v69, 1, v69
	v_add_nc_u32_e32 v70, 4, v70
	;; [unrolled: 1-line block ×3, first 2 shown]
	s_delay_alu instid0(VALU_DEP_3)
	v_cmp_lt_u32_e32 vcc_lo, 28, v69
	s_or_b32 s1, vcc_lo, s1
	s_waitcnt vmcnt(0) lgkmcnt(0)
	v_fmac_f32_e32 v1, v72, v73
	s_and_not1_b32 exec_lo, exec_lo, s1
	s_cbranch_execnz .LBB95_127
; %bb.128:
	s_or_b32 exec_lo, exec_lo, s1
	v_mov_b32_e32 v69, 0
	ds_load_b32 v69, v69 offset:120
	s_waitcnt lgkmcnt(0)
	v_mul_f32_e32 v1, v1, v69
	scratch_store_b32 off, v1, off offset:120
.LBB95_129:
	s_or_b32 exec_lo, exec_lo, s0
	s_waitcnt_vscnt null, 0x0
	s_barrier
	buffer_gl0_inv
	scratch_load_b32 v1, off, off offset:124
	s_mov_b32 s0, exec_lo
	s_waitcnt vmcnt(0)
	ds_store_b32 v3, v1
	s_waitcnt lgkmcnt(0)
	s_barrier
	buffer_gl0_inv
	v_cmpx_ne_u32_e32 31, v0
	s_cbranch_execz .LBB95_133
; %bb.130:
	v_mov_b32_e32 v1, 0
	s_mov_b32 s1, 0
.LBB95_131:                             ; =>This Inner Loop Header: Depth=1
	scratch_load_b32 v69, v2, off
	ds_load_b32 v70, v3
	v_add_nc_u32_e32 v68, 1, v68
	v_add_nc_u32_e32 v3, 4, v3
	;; [unrolled: 1-line block ×3, first 2 shown]
	s_waitcnt vmcnt(0) lgkmcnt(0)
	v_fmac_f32_e32 v1, v69, v70
	v_cmp_lt_u32_e32 vcc_lo, 29, v68
	s_or_b32 s1, vcc_lo, s1
	s_delay_alu instid0(SALU_CYCLE_1)
	s_and_not1_b32 exec_lo, exec_lo, s1
	s_cbranch_execnz .LBB95_131
; %bb.132:
	s_or_b32 exec_lo, exec_lo, s1
	v_mov_b32_e32 v2, 0
	ds_load_b32 v2, v2 offset:124
	s_waitcnt lgkmcnt(0)
	v_mul_f32_e32 v1, v1, v2
	scratch_store_b32 off, v1, off offset:124
.LBB95_133:
	s_or_b32 exec_lo, exec_lo, s0
	s_mov_b32 s1, -1
	s_waitcnt_vscnt null, 0x0
	s_barrier
	buffer_gl0_inv
.LBB95_134:
	s_and_b32 vcc_lo, exec_lo, s1
	s_cbranch_vccz .LBB95_136
; %bb.135:
	s_lshl_b64 s[0:1], s[8:9], 2
	v_mov_b32_e32 v1, 0
	s_add_u32 s0, s6, s0
	s_addc_u32 s1, s7, s1
	global_load_b32 v1, v1, s[0:1]
	s_waitcnt vmcnt(0)
	v_cmp_ne_u32_e32 vcc_lo, 0, v1
	s_cbranch_vccz .LBB95_137
.LBB95_136:
	s_endpgm
.LBB95_137:
	v_lshl_add_u32 v1, v0, 2, 0x80
	s_mov_b32 s0, exec_lo
	v_cmpx_eq_u32_e32 31, v0
	s_cbranch_execz .LBB95_139
; %bb.138:
	scratch_load_b32 v2, off, off offset:120
	v_mov_b32_e32 v3, 0
	scratch_store_b32 off, v3, off offset:120
	s_waitcnt vmcnt(0)
	ds_store_b32 v1, v2
.LBB95_139:
	s_or_b32 exec_lo, exec_lo, s0
	s_waitcnt lgkmcnt(0)
	s_waitcnt_vscnt null, 0x0
	s_barrier
	buffer_gl0_inv
	scratch_load_b64 v[68:69], off, off offset:120
	v_mov_b32_e32 v2, 0
	s_mov_b32 s0, exec_lo
	ds_load_b32 v3, v2 offset:252
	s_waitcnt vmcnt(0) lgkmcnt(0)
	v_fma_f32 v3, v69, v3, 0
	s_delay_alu instid0(VALU_DEP_1)
	v_sub_f32_e32 v3, v68, v3
	scratch_store_b32 off, v3, off offset:120
	v_cmpx_lt_u32_e32 29, v0
	s_cbranch_execz .LBB95_141
; %bb.140:
	scratch_load_b32 v3, off, off offset:116
	scratch_store_b32 off, v2, off offset:116
	s_waitcnt vmcnt(0)
	ds_store_b32 v1, v3
.LBB95_141:
	s_or_b32 exec_lo, exec_lo, s0
	s_waitcnt lgkmcnt(0)
	s_waitcnt_vscnt null, 0x0
	s_barrier
	buffer_gl0_inv
	scratch_load_b96 v[68:70], off, off offset:116
	ds_load_b64 v[2:3], v2 offset:248
	s_mov_b32 s0, exec_lo
	s_waitcnt vmcnt(0) lgkmcnt(0)
	v_fma_f32 v2, v69, v2, 0
	s_delay_alu instid0(VALU_DEP_1) | instskip(NEXT) | instid1(VALU_DEP_1)
	v_fmac_f32_e32 v2, v70, v3
	v_sub_f32_e32 v2, v68, v2
	scratch_store_b32 off, v2, off offset:116
	v_cmpx_lt_u32_e32 28, v0
	s_cbranch_execz .LBB95_143
; %bb.142:
	scratch_load_b32 v2, off, off offset:112
	v_mov_b32_e32 v3, 0
	scratch_store_b32 off, v3, off offset:112
	s_waitcnt vmcnt(0)
	ds_store_b32 v1, v2
.LBB95_143:
	s_or_b32 exec_lo, exec_lo, s0
	s_waitcnt lgkmcnt(0)
	s_waitcnt_vscnt null, 0x0
	s_barrier
	buffer_gl0_inv
	scratch_load_b128 v[68:71], off, off offset:112
	v_mov_b32_e32 v2, 0
	ds_load_2addr_b32 v[72:73], v2 offset0:61 offset1:62
	ds_load_b32 v3, v2 offset:252
	s_mov_b32 s0, exec_lo
	s_waitcnt vmcnt(0) lgkmcnt(1)
	v_fma_f32 v69, v69, v72, 0
	s_delay_alu instid0(VALU_DEP_1) | instskip(SKIP_1) | instid1(VALU_DEP_1)
	v_fmac_f32_e32 v69, v70, v73
	s_waitcnt lgkmcnt(0)
	v_fmac_f32_e32 v69, v71, v3
	s_delay_alu instid0(VALU_DEP_1)
	v_sub_f32_e32 v3, v68, v69
	scratch_store_b32 off, v3, off offset:112
	v_cmpx_lt_u32_e32 27, v0
	s_cbranch_execz .LBB95_145
; %bb.144:
	scratch_load_b32 v3, off, off offset:108
	scratch_store_b32 off, v2, off offset:108
	s_waitcnt vmcnt(0)
	ds_store_b32 v1, v3
.LBB95_145:
	s_or_b32 exec_lo, exec_lo, s0
	s_waitcnt lgkmcnt(0)
	s_waitcnt_vscnt null, 0x0
	s_barrier
	buffer_gl0_inv
	s_clause 0x1
	scratch_load_b128 v[68:71], off, off offset:108
	scratch_load_b32 v3, off, off offset:124
	ds_load_b128 v[72:75], v2 offset:240
	s_mov_b32 s0, exec_lo
	s_waitcnt vmcnt(1) lgkmcnt(0)
	v_fma_f32 v2, v69, v72, 0
	s_delay_alu instid0(VALU_DEP_1) | instskip(NEXT) | instid1(VALU_DEP_1)
	v_fmac_f32_e32 v2, v70, v73
	v_fmac_f32_e32 v2, v71, v74
	s_waitcnt vmcnt(0)
	s_delay_alu instid0(VALU_DEP_1) | instskip(NEXT) | instid1(VALU_DEP_1)
	v_fmac_f32_e32 v2, v3, v75
	v_sub_f32_e32 v2, v68, v2
	scratch_store_b32 off, v2, off offset:108
	v_cmpx_lt_u32_e32 26, v0
	s_cbranch_execz .LBB95_147
; %bb.146:
	scratch_load_b32 v2, off, off offset:104
	v_mov_b32_e32 v3, 0
	scratch_store_b32 off, v3, off offset:104
	s_waitcnt vmcnt(0)
	ds_store_b32 v1, v2
.LBB95_147:
	s_or_b32 exec_lo, exec_lo, s0
	s_waitcnt lgkmcnt(0)
	s_waitcnt_vscnt null, 0x0
	s_barrier
	buffer_gl0_inv
	s_clause 0x1
	scratch_load_b128 v[68:71], off, off offset:104
	scratch_load_b64 v[72:73], off, off offset:120
	v_mov_b32_e32 v2, 0
	ds_load_2addr_b32 v[74:75], v2 offset0:59 offset1:60
	ds_load_2addr_b32 v[76:77], v2 offset0:61 offset1:62
	ds_load_b32 v3, v2 offset:252
	s_mov_b32 s0, exec_lo
	s_waitcnt vmcnt(1) lgkmcnt(2)
	v_fma_f32 v69, v69, v74, 0
	s_delay_alu instid0(VALU_DEP_1) | instskip(SKIP_1) | instid1(VALU_DEP_1)
	v_fmac_f32_e32 v69, v70, v75
	s_waitcnt lgkmcnt(1)
	v_fmac_f32_e32 v69, v71, v76
	s_waitcnt vmcnt(0)
	s_delay_alu instid0(VALU_DEP_1) | instskip(SKIP_1) | instid1(VALU_DEP_1)
	v_fmac_f32_e32 v69, v72, v77
	s_waitcnt lgkmcnt(0)
	v_fmac_f32_e32 v69, v73, v3
	s_delay_alu instid0(VALU_DEP_1)
	v_sub_f32_e32 v3, v68, v69
	scratch_store_b32 off, v3, off offset:104
	v_cmpx_lt_u32_e32 25, v0
	s_cbranch_execz .LBB95_149
; %bb.148:
	scratch_load_b32 v3, off, off offset:100
	scratch_store_b32 off, v2, off offset:100
	s_waitcnt vmcnt(0)
	ds_store_b32 v1, v3
.LBB95_149:
	s_or_b32 exec_lo, exec_lo, s0
	s_waitcnt lgkmcnt(0)
	s_waitcnt_vscnt null, 0x0
	s_barrier
	buffer_gl0_inv
	s_clause 0x1
	scratch_load_b128 v[68:71], off, off offset:100
	scratch_load_b96 v[76:78], off, off offset:116
	ds_load_2addr_b64 v[72:75], v2 offset0:29 offset1:30
	ds_load_b64 v[2:3], v2 offset:248
	s_mov_b32 s0, exec_lo
	s_waitcnt vmcnt(1) lgkmcnt(1)
	v_fma_f32 v69, v69, v72, 0
	s_delay_alu instid0(VALU_DEP_1) | instskip(NEXT) | instid1(VALU_DEP_1)
	v_fmac_f32_e32 v69, v70, v73
	v_fmac_f32_e32 v69, v71, v74
	s_waitcnt vmcnt(0)
	s_delay_alu instid0(VALU_DEP_1) | instskip(SKIP_1) | instid1(VALU_DEP_1)
	v_fmac_f32_e32 v69, v76, v75
	s_waitcnt lgkmcnt(0)
	v_fmac_f32_e32 v69, v77, v2
	s_delay_alu instid0(VALU_DEP_1) | instskip(NEXT) | instid1(VALU_DEP_1)
	v_fmac_f32_e32 v69, v78, v3
	v_sub_f32_e32 v2, v68, v69
	scratch_store_b32 off, v2, off offset:100
	v_cmpx_lt_u32_e32 24, v0
	s_cbranch_execz .LBB95_151
; %bb.150:
	scratch_load_b32 v2, off, off offset:96
	v_mov_b32_e32 v3, 0
	scratch_store_b32 off, v3, off offset:96
	s_waitcnt vmcnt(0)
	ds_store_b32 v1, v2
.LBB95_151:
	s_or_b32 exec_lo, exec_lo, s0
	s_waitcnt lgkmcnt(0)
	s_waitcnt_vscnt null, 0x0
	s_barrier
	buffer_gl0_inv
	s_clause 0x1
	scratch_load_b128 v[68:71], off, off offset:96
	scratch_load_b128 v[72:75], off, off offset:112
	v_mov_b32_e32 v2, 0
	ds_load_2addr_b32 v[76:77], v2 offset0:57 offset1:58
	ds_load_2addr_b32 v[78:79], v2 offset0:59 offset1:60
	;; [unrolled: 1-line block ×3, first 2 shown]
	ds_load_b32 v3, v2 offset:252
	s_mov_b32 s0, exec_lo
	s_waitcnt vmcnt(1) lgkmcnt(3)
	v_fma_f32 v69, v69, v76, 0
	s_delay_alu instid0(VALU_DEP_1) | instskip(SKIP_1) | instid1(VALU_DEP_1)
	v_fmac_f32_e32 v69, v70, v77
	s_waitcnt lgkmcnt(2)
	v_fmac_f32_e32 v69, v71, v78
	s_waitcnt vmcnt(0)
	s_delay_alu instid0(VALU_DEP_1) | instskip(SKIP_1) | instid1(VALU_DEP_1)
	v_fmac_f32_e32 v69, v72, v79
	s_waitcnt lgkmcnt(1)
	v_fmac_f32_e32 v69, v73, v80
	s_delay_alu instid0(VALU_DEP_1) | instskip(SKIP_1) | instid1(VALU_DEP_1)
	v_fmac_f32_e32 v69, v74, v81
	s_waitcnt lgkmcnt(0)
	v_fmac_f32_e32 v69, v75, v3
	s_delay_alu instid0(VALU_DEP_1)
	v_sub_f32_e32 v3, v68, v69
	scratch_store_b32 off, v3, off offset:96
	v_cmpx_lt_u32_e32 23, v0
	s_cbranch_execz .LBB95_153
; %bb.152:
	scratch_load_b32 v3, off, off offset:92
	scratch_store_b32 off, v2, off offset:92
	s_waitcnt vmcnt(0)
	ds_store_b32 v1, v3
.LBB95_153:
	s_or_b32 exec_lo, exec_lo, s0
	s_waitcnt lgkmcnt(0)
	s_waitcnt_vscnt null, 0x0
	s_barrier
	buffer_gl0_inv
	s_clause 0x2
	scratch_load_b128 v[68:71], off, off offset:92
	scratch_load_b128 v[72:75], off, off offset:108
	scratch_load_b32 v3, off, off offset:124
	ds_load_b128 v[76:79], v2 offset:224
	ds_load_b128 v[80:83], v2 offset:240
	s_mov_b32 s0, exec_lo
	s_waitcnt vmcnt(2) lgkmcnt(1)
	v_fma_f32 v2, v69, v76, 0
	s_delay_alu instid0(VALU_DEP_1) | instskip(NEXT) | instid1(VALU_DEP_1)
	v_fmac_f32_e32 v2, v70, v77
	v_fmac_f32_e32 v2, v71, v78
	s_waitcnt vmcnt(1)
	s_delay_alu instid0(VALU_DEP_1) | instskip(SKIP_1) | instid1(VALU_DEP_1)
	v_fmac_f32_e32 v2, v72, v79
	s_waitcnt lgkmcnt(0)
	v_fmac_f32_e32 v2, v73, v80
	s_delay_alu instid0(VALU_DEP_1) | instskip(NEXT) | instid1(VALU_DEP_1)
	v_fmac_f32_e32 v2, v74, v81
	v_fmac_f32_e32 v2, v75, v82
	s_waitcnt vmcnt(0)
	s_delay_alu instid0(VALU_DEP_1) | instskip(NEXT) | instid1(VALU_DEP_1)
	v_fmac_f32_e32 v2, v3, v83
	v_sub_f32_e32 v2, v68, v2
	scratch_store_b32 off, v2, off offset:92
	v_cmpx_lt_u32_e32 22, v0
	s_cbranch_execz .LBB95_155
; %bb.154:
	scratch_load_b32 v2, off, off offset:88
	v_mov_b32_e32 v3, 0
	scratch_store_b32 off, v3, off offset:88
	s_waitcnt vmcnt(0)
	ds_store_b32 v1, v2
.LBB95_155:
	s_or_b32 exec_lo, exec_lo, s0
	s_waitcnt lgkmcnt(0)
	s_waitcnt_vscnt null, 0x0
	s_barrier
	buffer_gl0_inv
	s_clause 0x2
	scratch_load_b128 v[68:71], off, off offset:88
	scratch_load_b128 v[72:75], off, off offset:104
	scratch_load_b64 v[76:77], off, off offset:120
	v_mov_b32_e32 v2, 0
	ds_load_2addr_b32 v[78:79], v2 offset0:55 offset1:56
	ds_load_2addr_b32 v[80:81], v2 offset0:57 offset1:58
	ds_load_2addr_b32 v[82:83], v2 offset0:59 offset1:60
	ds_load_2addr_b32 v[84:85], v2 offset0:61 offset1:62
	s_mov_b32 s0, exec_lo
	s_waitcnt vmcnt(2) lgkmcnt(3)
	v_fma_f32 v3, v69, v78, 0
	s_delay_alu instid0(VALU_DEP_1) | instskip(SKIP_4) | instid1(VALU_DEP_1)
	v_fmac_f32_e32 v3, v70, v79
	ds_load_b32 v69, v2 offset:252
	s_waitcnt lgkmcnt(3)
	v_fmac_f32_e32 v3, v71, v80
	s_waitcnt vmcnt(1)
	v_fmac_f32_e32 v3, v72, v81
	s_waitcnt lgkmcnt(2)
	s_delay_alu instid0(VALU_DEP_1) | instskip(NEXT) | instid1(VALU_DEP_1)
	v_fmac_f32_e32 v3, v73, v82
	v_fmac_f32_e32 v3, v74, v83
	s_waitcnt lgkmcnt(1)
	s_delay_alu instid0(VALU_DEP_1) | instskip(SKIP_1) | instid1(VALU_DEP_1)
	v_fmac_f32_e32 v3, v75, v84
	s_waitcnt vmcnt(0)
	v_fmac_f32_e32 v3, v76, v85
	s_waitcnt lgkmcnt(0)
	s_delay_alu instid0(VALU_DEP_1) | instskip(NEXT) | instid1(VALU_DEP_1)
	v_fmac_f32_e32 v3, v77, v69
	v_sub_f32_e32 v3, v68, v3
	scratch_store_b32 off, v3, off offset:88
	v_cmpx_lt_u32_e32 21, v0
	s_cbranch_execz .LBB95_157
; %bb.156:
	scratch_load_b32 v3, off, off offset:84
	scratch_store_b32 off, v2, off offset:84
	s_waitcnt vmcnt(0)
	ds_store_b32 v1, v3
.LBB95_157:
	s_or_b32 exec_lo, exec_lo, s0
	s_waitcnt lgkmcnt(0)
	s_waitcnt_vscnt null, 0x0
	s_barrier
	buffer_gl0_inv
	s_clause 0x2
	scratch_load_b128 v[68:71], off, off offset:84
	scratch_load_b128 v[72:75], off, off offset:100
	scratch_load_b96 v[84:86], off, off offset:116
	ds_load_2addr_b64 v[76:79], v2 offset0:27 offset1:28
	ds_load_2addr_b64 v[80:83], v2 offset0:29 offset1:30
	ds_load_b64 v[2:3], v2 offset:248
	s_mov_b32 s0, exec_lo
	s_waitcnt vmcnt(2) lgkmcnt(2)
	v_fma_f32 v69, v69, v76, 0
	s_delay_alu instid0(VALU_DEP_1) | instskip(NEXT) | instid1(VALU_DEP_1)
	v_fmac_f32_e32 v69, v70, v77
	v_fmac_f32_e32 v69, v71, v78
	s_waitcnt vmcnt(1)
	s_delay_alu instid0(VALU_DEP_1) | instskip(SKIP_1) | instid1(VALU_DEP_1)
	v_fmac_f32_e32 v69, v72, v79
	s_waitcnt lgkmcnt(1)
	v_fmac_f32_e32 v69, v73, v80
	s_delay_alu instid0(VALU_DEP_1) | instskip(NEXT) | instid1(VALU_DEP_1)
	v_fmac_f32_e32 v69, v74, v81
	v_fmac_f32_e32 v69, v75, v82
	s_waitcnt vmcnt(0)
	s_delay_alu instid0(VALU_DEP_1) | instskip(SKIP_1) | instid1(VALU_DEP_1)
	v_fmac_f32_e32 v69, v84, v83
	s_waitcnt lgkmcnt(0)
	v_fmac_f32_e32 v69, v85, v2
	s_delay_alu instid0(VALU_DEP_1) | instskip(NEXT) | instid1(VALU_DEP_1)
	v_fmac_f32_e32 v69, v86, v3
	v_sub_f32_e32 v2, v68, v69
	scratch_store_b32 off, v2, off offset:84
	v_cmpx_lt_u32_e32 20, v0
	s_cbranch_execz .LBB95_159
; %bb.158:
	scratch_load_b32 v2, off, off offset:80
	v_mov_b32_e32 v3, 0
	scratch_store_b32 off, v3, off offset:80
	s_waitcnt vmcnt(0)
	ds_store_b32 v1, v2
.LBB95_159:
	s_or_b32 exec_lo, exec_lo, s0
	s_waitcnt lgkmcnt(0)
	s_waitcnt_vscnt null, 0x0
	s_barrier
	buffer_gl0_inv
	s_clause 0x2
	scratch_load_b128 v[68:71], off, off offset:80
	scratch_load_b128 v[72:75], off, off offset:96
	scratch_load_b128 v[76:79], off, off offset:112
	v_mov_b32_e32 v2, 0
	ds_load_2addr_b32 v[80:81], v2 offset0:53 offset1:54
	ds_load_2addr_b32 v[82:83], v2 offset0:55 offset1:56
	;; [unrolled: 1-line block ×4, first 2 shown]
	s_mov_b32 s0, exec_lo
	s_waitcnt vmcnt(2) lgkmcnt(3)
	v_fma_f32 v3, v69, v80, 0
	s_delay_alu instid0(VALU_DEP_1)
	v_fmac_f32_e32 v3, v70, v81
	ds_load_2addr_b32 v[69:70], v2 offset0:61 offset1:62
	s_waitcnt lgkmcnt(3)
	v_fmac_f32_e32 v3, v71, v82
	ds_load_b32 v71, v2 offset:252
	s_waitcnt vmcnt(1)
	v_fmac_f32_e32 v3, v72, v83
	s_waitcnt lgkmcnt(3)
	s_delay_alu instid0(VALU_DEP_1) | instskip(NEXT) | instid1(VALU_DEP_1)
	v_fmac_f32_e32 v3, v73, v84
	v_fmac_f32_e32 v3, v74, v85
	s_waitcnt lgkmcnt(2)
	s_delay_alu instid0(VALU_DEP_1) | instskip(SKIP_1) | instid1(VALU_DEP_1)
	v_fmac_f32_e32 v3, v75, v86
	s_waitcnt vmcnt(0)
	v_fmac_f32_e32 v3, v76, v87
	s_waitcnt lgkmcnt(1)
	s_delay_alu instid0(VALU_DEP_1) | instskip(NEXT) | instid1(VALU_DEP_1)
	v_fmac_f32_e32 v3, v77, v69
	v_fmac_f32_e32 v3, v78, v70
	s_waitcnt lgkmcnt(0)
	s_delay_alu instid0(VALU_DEP_1) | instskip(NEXT) | instid1(VALU_DEP_1)
	v_fmac_f32_e32 v3, v79, v71
	v_sub_f32_e32 v3, v68, v3
	scratch_store_b32 off, v3, off offset:80
	v_cmpx_lt_u32_e32 19, v0
	s_cbranch_execz .LBB95_161
; %bb.160:
	scratch_load_b32 v3, off, off offset:76
	scratch_store_b32 off, v2, off offset:76
	s_waitcnt vmcnt(0)
	ds_store_b32 v1, v3
.LBB95_161:
	s_or_b32 exec_lo, exec_lo, s0
	s_waitcnt lgkmcnt(0)
	s_waitcnt_vscnt null, 0x0
	s_barrier
	buffer_gl0_inv
	s_clause 0x3
	scratch_load_b128 v[68:71], off, off offset:76
	scratch_load_b128 v[72:75], off, off offset:92
	;; [unrolled: 1-line block ×3, first 2 shown]
	scratch_load_b32 v3, off, off offset:124
	ds_load_b128 v[80:83], v2 offset:208
	ds_load_b128 v[84:87], v2 offset:224
	s_mov_b32 s0, exec_lo
	s_waitcnt vmcnt(3) lgkmcnt(1)
	v_fma_f32 v80, v69, v80, 0
	s_delay_alu instid0(VALU_DEP_1) | instskip(NEXT) | instid1(VALU_DEP_1)
	v_fmac_f32_e32 v80, v70, v81
	v_fmac_f32_e32 v80, v71, v82
	s_waitcnt vmcnt(2)
	s_delay_alu instid0(VALU_DEP_1) | instskip(SKIP_3) | instid1(VALU_DEP_1)
	v_fmac_f32_e32 v80, v72, v83
	ds_load_b128 v[69:72], v2 offset:240
	s_waitcnt lgkmcnt(1)
	v_fmac_f32_e32 v80, v73, v84
	v_fmac_f32_e32 v80, v74, v85
	s_delay_alu instid0(VALU_DEP_1) | instskip(SKIP_1) | instid1(VALU_DEP_1)
	v_fmac_f32_e32 v80, v75, v86
	s_waitcnt vmcnt(1)
	v_fmac_f32_e32 v80, v76, v87
	s_waitcnt lgkmcnt(0)
	s_delay_alu instid0(VALU_DEP_1) | instskip(NEXT) | instid1(VALU_DEP_1)
	v_fmac_f32_e32 v80, v77, v69
	v_fmac_f32_e32 v80, v78, v70
	s_delay_alu instid0(VALU_DEP_1) | instskip(SKIP_1) | instid1(VALU_DEP_1)
	v_fmac_f32_e32 v80, v79, v71
	s_waitcnt vmcnt(0)
	v_fmac_f32_e32 v80, v3, v72
	s_delay_alu instid0(VALU_DEP_1)
	v_sub_f32_e32 v2, v68, v80
	scratch_store_b32 off, v2, off offset:76
	v_cmpx_lt_u32_e32 18, v0
	s_cbranch_execz .LBB95_163
; %bb.162:
	scratch_load_b32 v2, off, off offset:72
	v_mov_b32_e32 v3, 0
	scratch_store_b32 off, v3, off offset:72
	s_waitcnt vmcnt(0)
	ds_store_b32 v1, v2
.LBB95_163:
	s_or_b32 exec_lo, exec_lo, s0
	s_waitcnt lgkmcnt(0)
	s_waitcnt_vscnt null, 0x0
	s_barrier
	buffer_gl0_inv
	s_clause 0x3
	scratch_load_b128 v[68:71], off, off offset:72
	scratch_load_b128 v[72:75], off, off offset:88
	;; [unrolled: 1-line block ×3, first 2 shown]
	scratch_load_b64 v[80:81], off, off offset:120
	v_mov_b32_e32 v2, 0
	ds_load_2addr_b32 v[82:83], v2 offset0:51 offset1:52
	ds_load_2addr_b32 v[84:85], v2 offset0:53 offset1:54
	;; [unrolled: 1-line block ×4, first 2 shown]
	s_mov_b32 s0, exec_lo
	s_waitcnt vmcnt(3) lgkmcnt(3)
	v_fma_f32 v3, v69, v82, 0
	s_delay_alu instid0(VALU_DEP_1) | instskip(SKIP_4) | instid1(VALU_DEP_1)
	v_fmac_f32_e32 v3, v70, v83
	ds_load_2addr_b32 v[69:70], v2 offset0:59 offset1:60
	s_waitcnt lgkmcnt(3)
	v_fmac_f32_e32 v3, v71, v84
	s_waitcnt vmcnt(2)
	v_fmac_f32_e32 v3, v72, v85
	ds_load_2addr_b32 v[71:72], v2 offset0:61 offset1:62
	s_waitcnt lgkmcnt(3)
	v_fmac_f32_e32 v3, v73, v86
	ds_load_b32 v73, v2 offset:252
	v_fmac_f32_e32 v3, v74, v87
	s_waitcnt lgkmcnt(3)
	s_delay_alu instid0(VALU_DEP_1) | instskip(SKIP_1) | instid1(VALU_DEP_1)
	v_fmac_f32_e32 v3, v75, v88
	s_waitcnt vmcnt(1)
	v_fmac_f32_e32 v3, v76, v89
	s_waitcnt lgkmcnt(2)
	s_delay_alu instid0(VALU_DEP_1) | instskip(NEXT) | instid1(VALU_DEP_1)
	v_fmac_f32_e32 v3, v77, v69
	v_fmac_f32_e32 v3, v78, v70
	s_waitcnt lgkmcnt(1)
	s_delay_alu instid0(VALU_DEP_1) | instskip(SKIP_1) | instid1(VALU_DEP_1)
	v_fmac_f32_e32 v3, v79, v71
	s_waitcnt vmcnt(0)
	v_fmac_f32_e32 v3, v80, v72
	s_waitcnt lgkmcnt(0)
	s_delay_alu instid0(VALU_DEP_1) | instskip(NEXT) | instid1(VALU_DEP_1)
	v_fmac_f32_e32 v3, v81, v73
	v_sub_f32_e32 v3, v68, v3
	scratch_store_b32 off, v3, off offset:72
	v_cmpx_lt_u32_e32 17, v0
	s_cbranch_execz .LBB95_165
; %bb.164:
	scratch_load_b32 v3, off, off offset:68
	scratch_store_b32 off, v2, off offset:68
	s_waitcnt vmcnt(0)
	ds_store_b32 v1, v3
.LBB95_165:
	s_or_b32 exec_lo, exec_lo, s0
	s_waitcnt lgkmcnt(0)
	s_waitcnt_vscnt null, 0x0
	s_barrier
	buffer_gl0_inv
	s_clause 0x3
	scratch_load_b128 v[68:71], off, off offset:68
	scratch_load_b128 v[72:75], off, off offset:84
	;; [unrolled: 1-line block ×3, first 2 shown]
	scratch_load_b96 v[88:90], off, off offset:116
	ds_load_2addr_b64 v[80:83], v2 offset0:25 offset1:26
	ds_load_2addr_b64 v[84:87], v2 offset0:27 offset1:28
	s_mov_b32 s0, exec_lo
	s_waitcnt vmcnt(3) lgkmcnt(1)
	v_fma_f32 v80, v69, v80, 0
	s_delay_alu instid0(VALU_DEP_1) | instskip(NEXT) | instid1(VALU_DEP_1)
	v_fmac_f32_e32 v80, v70, v81
	v_fmac_f32_e32 v80, v71, v82
	s_waitcnt vmcnt(2)
	s_delay_alu instid0(VALU_DEP_1) | instskip(SKIP_4) | instid1(VALU_DEP_1)
	v_fmac_f32_e32 v80, v72, v83
	ds_load_2addr_b64 v[69:72], v2 offset0:29 offset1:30
	ds_load_b64 v[2:3], v2 offset:248
	s_waitcnt lgkmcnt(2)
	v_fmac_f32_e32 v80, v73, v84
	v_fmac_f32_e32 v80, v74, v85
	s_delay_alu instid0(VALU_DEP_1) | instskip(SKIP_1) | instid1(VALU_DEP_1)
	v_fmac_f32_e32 v80, v75, v86
	s_waitcnt vmcnt(1)
	v_fmac_f32_e32 v80, v76, v87
	s_waitcnt lgkmcnt(1)
	s_delay_alu instid0(VALU_DEP_1) | instskip(NEXT) | instid1(VALU_DEP_1)
	v_fmac_f32_e32 v80, v77, v69
	v_fmac_f32_e32 v80, v78, v70
	s_delay_alu instid0(VALU_DEP_1) | instskip(SKIP_1) | instid1(VALU_DEP_1)
	v_fmac_f32_e32 v80, v79, v71
	s_waitcnt vmcnt(0)
	v_fmac_f32_e32 v80, v88, v72
	s_waitcnt lgkmcnt(0)
	s_delay_alu instid0(VALU_DEP_1) | instskip(NEXT) | instid1(VALU_DEP_1)
	v_fmac_f32_e32 v80, v89, v2
	v_fmac_f32_e32 v80, v90, v3
	s_delay_alu instid0(VALU_DEP_1)
	v_sub_f32_e32 v2, v68, v80
	scratch_store_b32 off, v2, off offset:68
	v_cmpx_lt_u32_e32 16, v0
	s_cbranch_execz .LBB95_167
; %bb.166:
	scratch_load_b32 v2, off, off offset:64
	v_mov_b32_e32 v3, 0
	scratch_store_b32 off, v3, off offset:64
	s_waitcnt vmcnt(0)
	ds_store_b32 v1, v2
.LBB95_167:
	s_or_b32 exec_lo, exec_lo, s0
	s_waitcnt lgkmcnt(0)
	s_waitcnt_vscnt null, 0x0
	s_barrier
	buffer_gl0_inv
	s_clause 0x3
	scratch_load_b128 v[68:71], off, off offset:64
	scratch_load_b128 v[72:75], off, off offset:80
	;; [unrolled: 1-line block ×4, first 2 shown]
	v_mov_b32_e32 v2, 0
	ds_load_2addr_b32 v[84:85], v2 offset0:49 offset1:50
	ds_load_2addr_b32 v[86:87], v2 offset0:51 offset1:52
	ds_load_2addr_b32 v[88:89], v2 offset0:53 offset1:54
	ds_load_2addr_b32 v[90:91], v2 offset0:55 offset1:56
	s_mov_b32 s0, exec_lo
	s_waitcnt vmcnt(3) lgkmcnt(3)
	v_fma_f32 v3, v69, v84, 0
	s_delay_alu instid0(VALU_DEP_1) | instskip(SKIP_4) | instid1(VALU_DEP_1)
	v_fmac_f32_e32 v3, v70, v85
	ds_load_2addr_b32 v[69:70], v2 offset0:57 offset1:58
	s_waitcnt lgkmcnt(3)
	v_fmac_f32_e32 v3, v71, v86
	s_waitcnt vmcnt(2)
	v_fmac_f32_e32 v3, v72, v87
	ds_load_2addr_b32 v[71:72], v2 offset0:59 offset1:60
	s_waitcnt lgkmcnt(3)
	v_fmac_f32_e32 v3, v73, v88
	s_delay_alu instid0(VALU_DEP_1) | instskip(SKIP_1) | instid1(VALU_DEP_1)
	v_fmac_f32_e32 v3, v74, v89
	s_waitcnt lgkmcnt(2)
	v_fmac_f32_e32 v3, v75, v90
	ds_load_2addr_b32 v[73:74], v2 offset0:61 offset1:62
	ds_load_b32 v75, v2 offset:252
	s_waitcnt vmcnt(1)
	v_fmac_f32_e32 v3, v76, v91
	s_waitcnt lgkmcnt(3)
	s_delay_alu instid0(VALU_DEP_1) | instskip(NEXT) | instid1(VALU_DEP_1)
	v_fmac_f32_e32 v3, v77, v69
	v_fmac_f32_e32 v3, v78, v70
	s_waitcnt lgkmcnt(2)
	s_delay_alu instid0(VALU_DEP_1) | instskip(SKIP_1) | instid1(VALU_DEP_1)
	v_fmac_f32_e32 v3, v79, v71
	s_waitcnt vmcnt(0)
	v_fmac_f32_e32 v3, v80, v72
	s_waitcnt lgkmcnt(1)
	s_delay_alu instid0(VALU_DEP_1) | instskip(NEXT) | instid1(VALU_DEP_1)
	v_fmac_f32_e32 v3, v81, v73
	v_fmac_f32_e32 v3, v82, v74
	s_waitcnt lgkmcnt(0)
	s_delay_alu instid0(VALU_DEP_1) | instskip(NEXT) | instid1(VALU_DEP_1)
	v_fmac_f32_e32 v3, v83, v75
	v_sub_f32_e32 v3, v68, v3
	scratch_store_b32 off, v3, off offset:64
	v_cmpx_lt_u32_e32 15, v0
	s_cbranch_execz .LBB95_169
; %bb.168:
	scratch_load_b32 v3, off, off offset:60
	scratch_store_b32 off, v2, off offset:60
	s_waitcnt vmcnt(0)
	ds_store_b32 v1, v3
.LBB95_169:
	s_or_b32 exec_lo, exec_lo, s0
	s_waitcnt lgkmcnt(0)
	s_waitcnt_vscnt null, 0x0
	s_barrier
	buffer_gl0_inv
	s_clause 0x4
	scratch_load_b128 v[68:71], off, off offset:60
	scratch_load_b128 v[72:75], off, off offset:76
	;; [unrolled: 1-line block ×4, first 2 shown]
	scratch_load_b32 v3, off, off offset:124
	ds_load_b128 v[84:87], v2 offset:192
	ds_load_b128 v[88:91], v2 offset:208
	s_mov_b32 s0, exec_lo
	s_waitcnt vmcnt(4) lgkmcnt(1)
	v_fma_f32 v84, v69, v84, 0
	s_delay_alu instid0(VALU_DEP_1) | instskip(NEXT) | instid1(VALU_DEP_1)
	v_fmac_f32_e32 v84, v70, v85
	v_fmac_f32_e32 v84, v71, v86
	s_waitcnt vmcnt(3)
	s_delay_alu instid0(VALU_DEP_1) | instskip(SKIP_3) | instid1(VALU_DEP_1)
	v_fmac_f32_e32 v84, v72, v87
	ds_load_b128 v[69:72], v2 offset:224
	s_waitcnt lgkmcnt(1)
	v_fmac_f32_e32 v84, v73, v88
	v_fmac_f32_e32 v84, v74, v89
	s_delay_alu instid0(VALU_DEP_1) | instskip(SKIP_1) | instid1(VALU_DEP_1)
	v_fmac_f32_e32 v84, v75, v90
	s_waitcnt vmcnt(2)
	v_fmac_f32_e32 v84, v76, v91
	ds_load_b128 v[73:76], v2 offset:240
	s_waitcnt lgkmcnt(1)
	v_fmac_f32_e32 v84, v77, v69
	s_delay_alu instid0(VALU_DEP_1) | instskip(NEXT) | instid1(VALU_DEP_1)
	v_fmac_f32_e32 v84, v78, v70
	v_fmac_f32_e32 v84, v79, v71
	s_waitcnt vmcnt(1)
	s_delay_alu instid0(VALU_DEP_1) | instskip(SKIP_1) | instid1(VALU_DEP_1)
	v_fmac_f32_e32 v84, v80, v72
	s_waitcnt lgkmcnt(0)
	v_fmac_f32_e32 v84, v81, v73
	s_delay_alu instid0(VALU_DEP_1) | instskip(NEXT) | instid1(VALU_DEP_1)
	v_fmac_f32_e32 v84, v82, v74
	v_fmac_f32_e32 v84, v83, v75
	s_waitcnt vmcnt(0)
	s_delay_alu instid0(VALU_DEP_1) | instskip(NEXT) | instid1(VALU_DEP_1)
	v_fmac_f32_e32 v84, v3, v76
	v_sub_f32_e32 v2, v68, v84
	scratch_store_b32 off, v2, off offset:60
	v_cmpx_lt_u32_e32 14, v0
	s_cbranch_execz .LBB95_171
; %bb.170:
	scratch_load_b32 v2, off, off offset:56
	v_mov_b32_e32 v3, 0
	scratch_store_b32 off, v3, off offset:56
	s_waitcnt vmcnt(0)
	ds_store_b32 v1, v2
.LBB95_171:
	s_or_b32 exec_lo, exec_lo, s0
	s_waitcnt lgkmcnt(0)
	s_waitcnt_vscnt null, 0x0
	s_barrier
	buffer_gl0_inv
	s_clause 0x4
	scratch_load_b128 v[68:71], off, off offset:56
	scratch_load_b128 v[72:75], off, off offset:72
	;; [unrolled: 1-line block ×4, first 2 shown]
	scratch_load_b64 v[84:85], off, off offset:120
	v_mov_b32_e32 v2, 0
	ds_load_2addr_b32 v[86:87], v2 offset0:47 offset1:48
	ds_load_2addr_b32 v[88:89], v2 offset0:49 offset1:50
	;; [unrolled: 1-line block ×4, first 2 shown]
	s_mov_b32 s0, exec_lo
	s_waitcnt vmcnt(4) lgkmcnt(3)
	v_fma_f32 v3, v69, v86, 0
	s_delay_alu instid0(VALU_DEP_1) | instskip(SKIP_4) | instid1(VALU_DEP_1)
	v_fmac_f32_e32 v3, v70, v87
	ds_load_2addr_b32 v[69:70], v2 offset0:55 offset1:56
	s_waitcnt lgkmcnt(3)
	v_fmac_f32_e32 v3, v71, v88
	s_waitcnt vmcnt(3)
	v_fmac_f32_e32 v3, v72, v89
	ds_load_2addr_b32 v[71:72], v2 offset0:57 offset1:58
	s_waitcnt lgkmcnt(3)
	v_fmac_f32_e32 v3, v73, v90
	s_delay_alu instid0(VALU_DEP_1) | instskip(SKIP_1) | instid1(VALU_DEP_1)
	v_fmac_f32_e32 v3, v74, v91
	s_waitcnt lgkmcnt(2)
	v_fmac_f32_e32 v3, v75, v92
	s_waitcnt vmcnt(2)
	s_delay_alu instid0(VALU_DEP_1)
	v_fmac_f32_e32 v3, v76, v93
	ds_load_2addr_b32 v[73:74], v2 offset0:59 offset1:60
	ds_load_2addr_b32 v[75:76], v2 offset0:61 offset1:62
	s_waitcnt lgkmcnt(3)
	v_fmac_f32_e32 v3, v77, v69
	ds_load_b32 v69, v2 offset:252
	v_fmac_f32_e32 v3, v78, v70
	s_waitcnt lgkmcnt(3)
	s_delay_alu instid0(VALU_DEP_1) | instskip(SKIP_1) | instid1(VALU_DEP_1)
	v_fmac_f32_e32 v3, v79, v71
	s_waitcnt vmcnt(1)
	v_fmac_f32_e32 v3, v80, v72
	s_waitcnt lgkmcnt(2)
	s_delay_alu instid0(VALU_DEP_1) | instskip(NEXT) | instid1(VALU_DEP_1)
	v_fmac_f32_e32 v3, v81, v73
	v_fmac_f32_e32 v3, v82, v74
	s_waitcnt lgkmcnt(1)
	s_delay_alu instid0(VALU_DEP_1) | instskip(SKIP_1) | instid1(VALU_DEP_1)
	v_fmac_f32_e32 v3, v83, v75
	s_waitcnt vmcnt(0)
	v_fmac_f32_e32 v3, v84, v76
	s_waitcnt lgkmcnt(0)
	s_delay_alu instid0(VALU_DEP_1) | instskip(NEXT) | instid1(VALU_DEP_1)
	v_fmac_f32_e32 v3, v85, v69
	v_sub_f32_e32 v3, v68, v3
	scratch_store_b32 off, v3, off offset:56
	v_cmpx_lt_u32_e32 13, v0
	s_cbranch_execz .LBB95_173
; %bb.172:
	scratch_load_b32 v3, off, off offset:52
	scratch_store_b32 off, v2, off offset:52
	s_waitcnt vmcnt(0)
	ds_store_b32 v1, v3
.LBB95_173:
	s_or_b32 exec_lo, exec_lo, s0
	s_waitcnt lgkmcnt(0)
	s_waitcnt_vscnt null, 0x0
	s_barrier
	buffer_gl0_inv
	s_clause 0x4
	scratch_load_b128 v[68:71], off, off offset:52
	scratch_load_b128 v[72:75], off, off offset:68
	scratch_load_b128 v[76:79], off, off offset:84
	scratch_load_b128 v[80:83], off, off offset:100
	scratch_load_b96 v[92:94], off, off offset:116
	ds_load_2addr_b64 v[84:87], v2 offset0:23 offset1:24
	ds_load_2addr_b64 v[88:91], v2 offset0:25 offset1:26
	s_mov_b32 s0, exec_lo
	s_waitcnt vmcnt(4) lgkmcnt(1)
	v_fma_f32 v84, v69, v84, 0
	s_delay_alu instid0(VALU_DEP_1) | instskip(NEXT) | instid1(VALU_DEP_1)
	v_fmac_f32_e32 v84, v70, v85
	v_fmac_f32_e32 v84, v71, v86
	s_waitcnt vmcnt(3)
	s_delay_alu instid0(VALU_DEP_1) | instskip(SKIP_3) | instid1(VALU_DEP_1)
	v_fmac_f32_e32 v84, v72, v87
	ds_load_2addr_b64 v[69:72], v2 offset0:27 offset1:28
	s_waitcnt lgkmcnt(1)
	v_fmac_f32_e32 v84, v73, v88
	v_fmac_f32_e32 v84, v74, v89
	s_delay_alu instid0(VALU_DEP_1) | instskip(SKIP_1) | instid1(VALU_DEP_1)
	v_fmac_f32_e32 v84, v75, v90
	s_waitcnt vmcnt(2)
	v_fmac_f32_e32 v84, v76, v91
	ds_load_2addr_b64 v[73:76], v2 offset0:29 offset1:30
	ds_load_b64 v[2:3], v2 offset:248
	s_waitcnt lgkmcnt(2)
	v_fmac_f32_e32 v84, v77, v69
	s_delay_alu instid0(VALU_DEP_1) | instskip(NEXT) | instid1(VALU_DEP_1)
	v_fmac_f32_e32 v84, v78, v70
	v_fmac_f32_e32 v84, v79, v71
	s_waitcnt vmcnt(1)
	s_delay_alu instid0(VALU_DEP_1) | instskip(SKIP_1) | instid1(VALU_DEP_1)
	v_fmac_f32_e32 v84, v80, v72
	s_waitcnt lgkmcnt(1)
	v_fmac_f32_e32 v84, v81, v73
	s_delay_alu instid0(VALU_DEP_1) | instskip(NEXT) | instid1(VALU_DEP_1)
	v_fmac_f32_e32 v84, v82, v74
	v_fmac_f32_e32 v84, v83, v75
	s_waitcnt vmcnt(0)
	s_delay_alu instid0(VALU_DEP_1) | instskip(SKIP_1) | instid1(VALU_DEP_1)
	v_fmac_f32_e32 v84, v92, v76
	s_waitcnt lgkmcnt(0)
	v_fmac_f32_e32 v84, v93, v2
	s_delay_alu instid0(VALU_DEP_1) | instskip(NEXT) | instid1(VALU_DEP_1)
	v_fmac_f32_e32 v84, v94, v3
	v_sub_f32_e32 v2, v68, v84
	scratch_store_b32 off, v2, off offset:52
	v_cmpx_lt_u32_e32 12, v0
	s_cbranch_execz .LBB95_175
; %bb.174:
	scratch_load_b32 v2, off, off offset:48
	v_mov_b32_e32 v3, 0
	scratch_store_b32 off, v3, off offset:48
	s_waitcnt vmcnt(0)
	ds_store_b32 v1, v2
.LBB95_175:
	s_or_b32 exec_lo, exec_lo, s0
	s_waitcnt lgkmcnt(0)
	s_waitcnt_vscnt null, 0x0
	s_barrier
	buffer_gl0_inv
	s_clause 0x4
	scratch_load_b128 v[68:71], off, off offset:48
	scratch_load_b128 v[72:75], off, off offset:64
	scratch_load_b128 v[76:79], off, off offset:80
	scratch_load_b128 v[80:83], off, off offset:96
	scratch_load_b128 v[84:87], off, off offset:112
	v_mov_b32_e32 v2, 0
	ds_load_2addr_b32 v[88:89], v2 offset0:45 offset1:46
	ds_load_2addr_b32 v[90:91], v2 offset0:47 offset1:48
	;; [unrolled: 1-line block ×4, first 2 shown]
	s_mov_b32 s0, exec_lo
	s_waitcnt vmcnt(4) lgkmcnt(3)
	v_fma_f32 v3, v69, v88, 0
	s_delay_alu instid0(VALU_DEP_1) | instskip(SKIP_4) | instid1(VALU_DEP_1)
	v_fmac_f32_e32 v3, v70, v89
	ds_load_2addr_b32 v[69:70], v2 offset0:53 offset1:54
	s_waitcnt lgkmcnt(3)
	v_fmac_f32_e32 v3, v71, v90
	s_waitcnt vmcnt(3)
	v_fmac_f32_e32 v3, v72, v91
	ds_load_2addr_b32 v[71:72], v2 offset0:55 offset1:56
	s_waitcnt lgkmcnt(3)
	v_fmac_f32_e32 v3, v73, v92
	s_delay_alu instid0(VALU_DEP_1) | instskip(SKIP_1) | instid1(VALU_DEP_1)
	v_fmac_f32_e32 v3, v74, v93
	s_waitcnt lgkmcnt(2)
	v_fmac_f32_e32 v3, v75, v94
	s_waitcnt vmcnt(2)
	s_delay_alu instid0(VALU_DEP_1) | instskip(SKIP_4) | instid1(VALU_DEP_1)
	v_fmac_f32_e32 v3, v76, v95
	ds_load_2addr_b32 v[73:74], v2 offset0:57 offset1:58
	ds_load_2addr_b32 v[75:76], v2 offset0:59 offset1:60
	s_waitcnt lgkmcnt(3)
	v_fmac_f32_e32 v3, v77, v69
	v_fmac_f32_e32 v3, v78, v70
	ds_load_2addr_b32 v[69:70], v2 offset0:61 offset1:62
	s_waitcnt lgkmcnt(3)
	v_fmac_f32_e32 v3, v79, v71
	ds_load_b32 v71, v2 offset:252
	s_waitcnt vmcnt(1)
	v_fmac_f32_e32 v3, v80, v72
	s_waitcnt lgkmcnt(3)
	s_delay_alu instid0(VALU_DEP_1) | instskip(NEXT) | instid1(VALU_DEP_1)
	v_fmac_f32_e32 v3, v81, v73
	v_fmac_f32_e32 v3, v82, v74
	s_waitcnt lgkmcnt(2)
	s_delay_alu instid0(VALU_DEP_1) | instskip(SKIP_1) | instid1(VALU_DEP_1)
	v_fmac_f32_e32 v3, v83, v75
	s_waitcnt vmcnt(0)
	v_fmac_f32_e32 v3, v84, v76
	s_waitcnt lgkmcnt(1)
	s_delay_alu instid0(VALU_DEP_1) | instskip(NEXT) | instid1(VALU_DEP_1)
	v_fmac_f32_e32 v3, v85, v69
	v_fmac_f32_e32 v3, v86, v70
	s_waitcnt lgkmcnt(0)
	s_delay_alu instid0(VALU_DEP_1) | instskip(NEXT) | instid1(VALU_DEP_1)
	v_fmac_f32_e32 v3, v87, v71
	v_sub_f32_e32 v3, v68, v3
	scratch_store_b32 off, v3, off offset:48
	v_cmpx_lt_u32_e32 11, v0
	s_cbranch_execz .LBB95_177
; %bb.176:
	scratch_load_b32 v3, off, off offset:44
	scratch_store_b32 off, v2, off offset:44
	s_waitcnt vmcnt(0)
	ds_store_b32 v1, v3
.LBB95_177:
	s_or_b32 exec_lo, exec_lo, s0
	s_waitcnt lgkmcnt(0)
	s_waitcnt_vscnt null, 0x0
	s_barrier
	buffer_gl0_inv
	s_clause 0x5
	scratch_load_b128 v[68:71], off, off offset:44
	scratch_load_b128 v[72:75], off, off offset:60
	scratch_load_b128 v[76:79], off, off offset:76
	scratch_load_b128 v[80:83], off, off offset:92
	scratch_load_b128 v[84:87], off, off offset:108
	scratch_load_b32 v3, off, off offset:124
	ds_load_b128 v[88:91], v2 offset:176
	ds_load_b128 v[92:95], v2 offset:192
	s_mov_b32 s0, exec_lo
	s_waitcnt vmcnt(5) lgkmcnt(1)
	v_fma_f32 v88, v69, v88, 0
	s_delay_alu instid0(VALU_DEP_1) | instskip(NEXT) | instid1(VALU_DEP_1)
	v_fmac_f32_e32 v88, v70, v89
	v_fmac_f32_e32 v88, v71, v90
	s_waitcnt vmcnt(4)
	s_delay_alu instid0(VALU_DEP_1) | instskip(SKIP_3) | instid1(VALU_DEP_1)
	v_fmac_f32_e32 v88, v72, v91
	ds_load_b128 v[69:72], v2 offset:208
	s_waitcnt lgkmcnt(1)
	v_fmac_f32_e32 v88, v73, v92
	v_fmac_f32_e32 v88, v74, v93
	s_delay_alu instid0(VALU_DEP_1) | instskip(SKIP_1) | instid1(VALU_DEP_1)
	v_fmac_f32_e32 v88, v75, v94
	s_waitcnt vmcnt(3)
	v_fmac_f32_e32 v88, v76, v95
	ds_load_b128 v[73:76], v2 offset:224
	s_waitcnt lgkmcnt(1)
	v_fmac_f32_e32 v88, v77, v69
	s_delay_alu instid0(VALU_DEP_1) | instskip(NEXT) | instid1(VALU_DEP_1)
	v_fmac_f32_e32 v88, v78, v70
	v_fmac_f32_e32 v88, v79, v71
	s_waitcnt vmcnt(2)
	s_delay_alu instid0(VALU_DEP_1) | instskip(SKIP_3) | instid1(VALU_DEP_1)
	v_fmac_f32_e32 v88, v80, v72
	ds_load_b128 v[69:72], v2 offset:240
	s_waitcnt lgkmcnt(1)
	v_fmac_f32_e32 v88, v81, v73
	v_fmac_f32_e32 v88, v82, v74
	s_delay_alu instid0(VALU_DEP_1) | instskip(SKIP_1) | instid1(VALU_DEP_1)
	v_fmac_f32_e32 v88, v83, v75
	s_waitcnt vmcnt(1)
	v_fmac_f32_e32 v88, v84, v76
	s_waitcnt lgkmcnt(0)
	s_delay_alu instid0(VALU_DEP_1) | instskip(NEXT) | instid1(VALU_DEP_1)
	v_fmac_f32_e32 v88, v85, v69
	v_fmac_f32_e32 v88, v86, v70
	s_delay_alu instid0(VALU_DEP_1) | instskip(SKIP_1) | instid1(VALU_DEP_1)
	v_fmac_f32_e32 v88, v87, v71
	s_waitcnt vmcnt(0)
	v_fmac_f32_e32 v88, v3, v72
	s_delay_alu instid0(VALU_DEP_1)
	v_sub_f32_e32 v2, v68, v88
	scratch_store_b32 off, v2, off offset:44
	v_cmpx_lt_u32_e32 10, v0
	s_cbranch_execz .LBB95_179
; %bb.178:
	scratch_load_b32 v2, off, off offset:40
	v_mov_b32_e32 v3, 0
	scratch_store_b32 off, v3, off offset:40
	s_waitcnt vmcnt(0)
	ds_store_b32 v1, v2
.LBB95_179:
	s_or_b32 exec_lo, exec_lo, s0
	s_waitcnt lgkmcnt(0)
	s_waitcnt_vscnt null, 0x0
	s_barrier
	buffer_gl0_inv
	s_clause 0x5
	scratch_load_b128 v[68:71], off, off offset:40
	scratch_load_b128 v[72:75], off, off offset:56
	;; [unrolled: 1-line block ×5, first 2 shown]
	scratch_load_b64 v[88:89], off, off offset:120
	v_mov_b32_e32 v2, 0
	ds_load_2addr_b32 v[90:91], v2 offset0:43 offset1:44
	ds_load_2addr_b32 v[92:93], v2 offset0:45 offset1:46
	;; [unrolled: 1-line block ×4, first 2 shown]
	s_mov_b32 s0, exec_lo
	s_waitcnt vmcnt(5) lgkmcnt(3)
	v_fma_f32 v3, v69, v90, 0
	s_delay_alu instid0(VALU_DEP_1) | instskip(SKIP_4) | instid1(VALU_DEP_1)
	v_fmac_f32_e32 v3, v70, v91
	ds_load_2addr_b32 v[69:70], v2 offset0:51 offset1:52
	s_waitcnt lgkmcnt(3)
	v_fmac_f32_e32 v3, v71, v92
	s_waitcnt vmcnt(4)
	v_fmac_f32_e32 v3, v72, v93
	ds_load_2addr_b32 v[71:72], v2 offset0:53 offset1:54
	s_waitcnt lgkmcnt(3)
	v_fmac_f32_e32 v3, v73, v94
	s_delay_alu instid0(VALU_DEP_1) | instskip(SKIP_1) | instid1(VALU_DEP_1)
	v_fmac_f32_e32 v3, v74, v95
	s_waitcnt lgkmcnt(2)
	v_fmac_f32_e32 v3, v75, v96
	s_waitcnt vmcnt(3)
	s_delay_alu instid0(VALU_DEP_1) | instskip(SKIP_4) | instid1(VALU_DEP_1)
	v_fmac_f32_e32 v3, v76, v97
	ds_load_2addr_b32 v[73:74], v2 offset0:55 offset1:56
	ds_load_2addr_b32 v[75:76], v2 offset0:57 offset1:58
	s_waitcnt lgkmcnt(3)
	v_fmac_f32_e32 v3, v77, v69
	v_fmac_f32_e32 v3, v78, v70
	ds_load_2addr_b32 v[69:70], v2 offset0:59 offset1:60
	s_waitcnt lgkmcnt(3)
	v_fmac_f32_e32 v3, v79, v71
	s_waitcnt vmcnt(2)
	s_delay_alu instid0(VALU_DEP_1)
	v_fmac_f32_e32 v3, v80, v72
	ds_load_2addr_b32 v[71:72], v2 offset0:61 offset1:62
	s_waitcnt lgkmcnt(3)
	v_fmac_f32_e32 v3, v81, v73
	ds_load_b32 v73, v2 offset:252
	v_fmac_f32_e32 v3, v82, v74
	s_waitcnt lgkmcnt(3)
	s_delay_alu instid0(VALU_DEP_1) | instskip(SKIP_1) | instid1(VALU_DEP_1)
	v_fmac_f32_e32 v3, v83, v75
	s_waitcnt vmcnt(1)
	v_fmac_f32_e32 v3, v84, v76
	s_waitcnt lgkmcnt(2)
	s_delay_alu instid0(VALU_DEP_1) | instskip(NEXT) | instid1(VALU_DEP_1)
	v_fmac_f32_e32 v3, v85, v69
	v_fmac_f32_e32 v3, v86, v70
	s_waitcnt lgkmcnt(1)
	s_delay_alu instid0(VALU_DEP_1) | instskip(SKIP_1) | instid1(VALU_DEP_1)
	v_fmac_f32_e32 v3, v87, v71
	s_waitcnt vmcnt(0)
	v_fmac_f32_e32 v3, v88, v72
	s_waitcnt lgkmcnt(0)
	s_delay_alu instid0(VALU_DEP_1) | instskip(NEXT) | instid1(VALU_DEP_1)
	v_fmac_f32_e32 v3, v89, v73
	v_sub_f32_e32 v3, v68, v3
	scratch_store_b32 off, v3, off offset:40
	v_cmpx_lt_u32_e32 9, v0
	s_cbranch_execz .LBB95_181
; %bb.180:
	scratch_load_b32 v3, off, off offset:36
	scratch_store_b32 off, v2, off offset:36
	s_waitcnt vmcnt(0)
	ds_store_b32 v1, v3
.LBB95_181:
	s_or_b32 exec_lo, exec_lo, s0
	s_waitcnt lgkmcnt(0)
	s_waitcnt_vscnt null, 0x0
	s_barrier
	buffer_gl0_inv
	s_clause 0x5
	scratch_load_b128 v[68:71], off, off offset:36
	scratch_load_b128 v[72:75], off, off offset:52
	;; [unrolled: 1-line block ×5, first 2 shown]
	scratch_load_b96 v[96:98], off, off offset:116
	ds_load_2addr_b64 v[88:91], v2 offset0:21 offset1:22
	ds_load_2addr_b64 v[92:95], v2 offset0:23 offset1:24
	s_mov_b32 s0, exec_lo
	s_waitcnt vmcnt(5) lgkmcnt(1)
	v_fma_f32 v88, v69, v88, 0
	s_delay_alu instid0(VALU_DEP_1) | instskip(NEXT) | instid1(VALU_DEP_1)
	v_fmac_f32_e32 v88, v70, v89
	v_fmac_f32_e32 v88, v71, v90
	s_waitcnt vmcnt(4)
	s_delay_alu instid0(VALU_DEP_1) | instskip(SKIP_3) | instid1(VALU_DEP_1)
	v_fmac_f32_e32 v88, v72, v91
	ds_load_2addr_b64 v[69:72], v2 offset0:25 offset1:26
	s_waitcnt lgkmcnt(1)
	v_fmac_f32_e32 v88, v73, v92
	v_fmac_f32_e32 v88, v74, v93
	s_delay_alu instid0(VALU_DEP_1) | instskip(SKIP_1) | instid1(VALU_DEP_1)
	v_fmac_f32_e32 v88, v75, v94
	s_waitcnt vmcnt(3)
	v_fmac_f32_e32 v88, v76, v95
	ds_load_2addr_b64 v[73:76], v2 offset0:27 offset1:28
	s_waitcnt lgkmcnt(1)
	v_fmac_f32_e32 v88, v77, v69
	s_delay_alu instid0(VALU_DEP_1) | instskip(NEXT) | instid1(VALU_DEP_1)
	v_fmac_f32_e32 v88, v78, v70
	v_fmac_f32_e32 v88, v79, v71
	s_waitcnt vmcnt(2)
	s_delay_alu instid0(VALU_DEP_1) | instskip(SKIP_4) | instid1(VALU_DEP_1)
	v_fmac_f32_e32 v88, v80, v72
	ds_load_2addr_b64 v[69:72], v2 offset0:29 offset1:30
	ds_load_b64 v[2:3], v2 offset:248
	s_waitcnt lgkmcnt(2)
	v_fmac_f32_e32 v88, v81, v73
	v_fmac_f32_e32 v88, v82, v74
	s_delay_alu instid0(VALU_DEP_1) | instskip(SKIP_1) | instid1(VALU_DEP_1)
	v_fmac_f32_e32 v88, v83, v75
	s_waitcnt vmcnt(1)
	v_fmac_f32_e32 v88, v84, v76
	s_waitcnt lgkmcnt(1)
	s_delay_alu instid0(VALU_DEP_1) | instskip(NEXT) | instid1(VALU_DEP_1)
	v_fmac_f32_e32 v88, v85, v69
	v_fmac_f32_e32 v88, v86, v70
	s_delay_alu instid0(VALU_DEP_1) | instskip(SKIP_1) | instid1(VALU_DEP_1)
	v_fmac_f32_e32 v88, v87, v71
	s_waitcnt vmcnt(0)
	v_fmac_f32_e32 v88, v96, v72
	s_waitcnt lgkmcnt(0)
	s_delay_alu instid0(VALU_DEP_1) | instskip(NEXT) | instid1(VALU_DEP_1)
	v_fmac_f32_e32 v88, v97, v2
	v_fmac_f32_e32 v88, v98, v3
	s_delay_alu instid0(VALU_DEP_1)
	v_sub_f32_e32 v2, v68, v88
	scratch_store_b32 off, v2, off offset:36
	v_cmpx_lt_u32_e32 8, v0
	s_cbranch_execz .LBB95_183
; %bb.182:
	scratch_load_b32 v2, off, off offset:32
	v_mov_b32_e32 v3, 0
	scratch_store_b32 off, v3, off offset:32
	s_waitcnt vmcnt(0)
	ds_store_b32 v1, v2
.LBB95_183:
	s_or_b32 exec_lo, exec_lo, s0
	s_waitcnt lgkmcnt(0)
	s_waitcnt_vscnt null, 0x0
	s_barrier
	buffer_gl0_inv
	s_clause 0x5
	scratch_load_b128 v[68:71], off, off offset:32
	scratch_load_b128 v[72:75], off, off offset:48
	;; [unrolled: 1-line block ×6, first 2 shown]
	v_mov_b32_e32 v2, 0
	ds_load_2addr_b32 v[92:93], v2 offset0:41 offset1:42
	ds_load_2addr_b32 v[94:95], v2 offset0:43 offset1:44
	;; [unrolled: 1-line block ×4, first 2 shown]
	s_mov_b32 s0, exec_lo
	s_waitcnt vmcnt(5) lgkmcnt(3)
	v_fma_f32 v3, v69, v92, 0
	s_delay_alu instid0(VALU_DEP_1) | instskip(SKIP_4) | instid1(VALU_DEP_1)
	v_fmac_f32_e32 v3, v70, v93
	ds_load_2addr_b32 v[69:70], v2 offset0:49 offset1:50
	s_waitcnt lgkmcnt(3)
	v_fmac_f32_e32 v3, v71, v94
	s_waitcnt vmcnt(4)
	v_fmac_f32_e32 v3, v72, v95
	ds_load_2addr_b32 v[71:72], v2 offset0:51 offset1:52
	s_waitcnt lgkmcnt(3)
	v_fmac_f32_e32 v3, v73, v96
	s_delay_alu instid0(VALU_DEP_1) | instskip(SKIP_1) | instid1(VALU_DEP_1)
	v_fmac_f32_e32 v3, v74, v97
	s_waitcnt lgkmcnt(2)
	v_fmac_f32_e32 v3, v75, v98
	s_waitcnt vmcnt(3)
	s_delay_alu instid0(VALU_DEP_1) | instskip(SKIP_4) | instid1(VALU_DEP_1)
	v_fmac_f32_e32 v3, v76, v99
	ds_load_2addr_b32 v[73:74], v2 offset0:53 offset1:54
	ds_load_2addr_b32 v[75:76], v2 offset0:55 offset1:56
	s_waitcnt lgkmcnt(3)
	v_fmac_f32_e32 v3, v77, v69
	v_fmac_f32_e32 v3, v78, v70
	ds_load_2addr_b32 v[69:70], v2 offset0:57 offset1:58
	s_waitcnt lgkmcnt(3)
	v_fmac_f32_e32 v3, v79, v71
	s_waitcnt vmcnt(2)
	s_delay_alu instid0(VALU_DEP_1) | instskip(SKIP_3) | instid1(VALU_DEP_1)
	v_fmac_f32_e32 v3, v80, v72
	ds_load_2addr_b32 v[71:72], v2 offset0:59 offset1:60
	s_waitcnt lgkmcnt(3)
	v_fmac_f32_e32 v3, v81, v73
	v_fmac_f32_e32 v3, v82, v74
	s_waitcnt lgkmcnt(2)
	s_delay_alu instid0(VALU_DEP_1)
	v_fmac_f32_e32 v3, v83, v75
	ds_load_2addr_b32 v[73:74], v2 offset0:61 offset1:62
	ds_load_b32 v75, v2 offset:252
	s_waitcnt vmcnt(1)
	v_fmac_f32_e32 v3, v84, v76
	s_waitcnt lgkmcnt(3)
	s_delay_alu instid0(VALU_DEP_1) | instskip(NEXT) | instid1(VALU_DEP_1)
	v_fmac_f32_e32 v3, v85, v69
	v_fmac_f32_e32 v3, v86, v70
	s_waitcnt lgkmcnt(2)
	s_delay_alu instid0(VALU_DEP_1) | instskip(SKIP_1) | instid1(VALU_DEP_1)
	v_fmac_f32_e32 v3, v87, v71
	s_waitcnt vmcnt(0)
	v_fmac_f32_e32 v3, v88, v72
	s_waitcnt lgkmcnt(1)
	s_delay_alu instid0(VALU_DEP_1) | instskip(NEXT) | instid1(VALU_DEP_1)
	v_fmac_f32_e32 v3, v89, v73
	v_fmac_f32_e32 v3, v90, v74
	s_waitcnt lgkmcnt(0)
	s_delay_alu instid0(VALU_DEP_1) | instskip(NEXT) | instid1(VALU_DEP_1)
	v_fmac_f32_e32 v3, v91, v75
	v_sub_f32_e32 v3, v68, v3
	scratch_store_b32 off, v3, off offset:32
	v_cmpx_lt_u32_e32 7, v0
	s_cbranch_execz .LBB95_185
; %bb.184:
	scratch_load_b32 v3, off, off offset:28
	scratch_store_b32 off, v2, off offset:28
	s_waitcnt vmcnt(0)
	ds_store_b32 v1, v3
.LBB95_185:
	s_or_b32 exec_lo, exec_lo, s0
	s_waitcnt lgkmcnt(0)
	s_waitcnt_vscnt null, 0x0
	s_barrier
	buffer_gl0_inv
	s_clause 0x6
	scratch_load_b128 v[68:71], off, off offset:28
	scratch_load_b128 v[72:75], off, off offset:44
	;; [unrolled: 1-line block ×6, first 2 shown]
	scratch_load_b32 v3, off, off offset:124
	ds_load_b128 v[92:95], v2 offset:160
	ds_load_b128 v[96:99], v2 offset:176
	s_mov_b32 s0, exec_lo
	s_waitcnt vmcnt(6) lgkmcnt(1)
	v_fma_f32 v92, v69, v92, 0
	s_delay_alu instid0(VALU_DEP_1) | instskip(NEXT) | instid1(VALU_DEP_1)
	v_fmac_f32_e32 v92, v70, v93
	v_fmac_f32_e32 v92, v71, v94
	s_waitcnt vmcnt(5)
	s_delay_alu instid0(VALU_DEP_1) | instskip(SKIP_3) | instid1(VALU_DEP_1)
	v_fmac_f32_e32 v92, v72, v95
	ds_load_b128 v[69:72], v2 offset:192
	s_waitcnt lgkmcnt(1)
	v_fmac_f32_e32 v92, v73, v96
	v_fmac_f32_e32 v92, v74, v97
	s_delay_alu instid0(VALU_DEP_1) | instskip(SKIP_1) | instid1(VALU_DEP_1)
	v_fmac_f32_e32 v92, v75, v98
	s_waitcnt vmcnt(4)
	v_fmac_f32_e32 v92, v76, v99
	ds_load_b128 v[73:76], v2 offset:208
	s_waitcnt lgkmcnt(1)
	v_fmac_f32_e32 v92, v77, v69
	s_delay_alu instid0(VALU_DEP_1) | instskip(NEXT) | instid1(VALU_DEP_1)
	v_fmac_f32_e32 v92, v78, v70
	v_fmac_f32_e32 v92, v79, v71
	s_waitcnt vmcnt(3)
	s_delay_alu instid0(VALU_DEP_1) | instskip(SKIP_3) | instid1(VALU_DEP_1)
	v_fmac_f32_e32 v92, v80, v72
	ds_load_b128 v[69:72], v2 offset:224
	s_waitcnt lgkmcnt(1)
	v_fmac_f32_e32 v92, v81, v73
	v_fmac_f32_e32 v92, v82, v74
	s_delay_alu instid0(VALU_DEP_1) | instskip(SKIP_1) | instid1(VALU_DEP_1)
	v_fmac_f32_e32 v92, v83, v75
	s_waitcnt vmcnt(2)
	v_fmac_f32_e32 v92, v84, v76
	ds_load_b128 v[73:76], v2 offset:240
	s_waitcnt lgkmcnt(1)
	v_fmac_f32_e32 v92, v85, v69
	s_delay_alu instid0(VALU_DEP_1) | instskip(NEXT) | instid1(VALU_DEP_1)
	v_fmac_f32_e32 v92, v86, v70
	v_fmac_f32_e32 v92, v87, v71
	s_waitcnt vmcnt(1)
	s_delay_alu instid0(VALU_DEP_1) | instskip(SKIP_1) | instid1(VALU_DEP_1)
	v_fmac_f32_e32 v92, v88, v72
	s_waitcnt lgkmcnt(0)
	v_fmac_f32_e32 v92, v89, v73
	s_delay_alu instid0(VALU_DEP_1) | instskip(NEXT) | instid1(VALU_DEP_1)
	v_fmac_f32_e32 v92, v90, v74
	v_fmac_f32_e32 v92, v91, v75
	s_waitcnt vmcnt(0)
	s_delay_alu instid0(VALU_DEP_1) | instskip(NEXT) | instid1(VALU_DEP_1)
	v_fmac_f32_e32 v92, v3, v76
	v_sub_f32_e32 v2, v68, v92
	scratch_store_b32 off, v2, off offset:28
	v_cmpx_lt_u32_e32 6, v0
	s_cbranch_execz .LBB95_187
; %bb.186:
	scratch_load_b32 v2, off, off offset:24
	v_mov_b32_e32 v3, 0
	scratch_store_b32 off, v3, off offset:24
	s_waitcnt vmcnt(0)
	ds_store_b32 v1, v2
.LBB95_187:
	s_or_b32 exec_lo, exec_lo, s0
	s_waitcnt lgkmcnt(0)
	s_waitcnt_vscnt null, 0x0
	s_barrier
	buffer_gl0_inv
	s_clause 0x6
	scratch_load_b128 v[68:71], off, off offset:24
	scratch_load_b128 v[72:75], off, off offset:40
	;; [unrolled: 1-line block ×6, first 2 shown]
	scratch_load_b64 v[92:93], off, off offset:120
	v_mov_b32_e32 v2, 0
	ds_load_2addr_b32 v[94:95], v2 offset0:39 offset1:40
	ds_load_2addr_b32 v[96:97], v2 offset0:41 offset1:42
	;; [unrolled: 1-line block ×4, first 2 shown]
	s_mov_b32 s0, exec_lo
	s_waitcnt vmcnt(6) lgkmcnt(3)
	v_fma_f32 v3, v69, v94, 0
	s_delay_alu instid0(VALU_DEP_1) | instskip(SKIP_4) | instid1(VALU_DEP_1)
	v_fmac_f32_e32 v3, v70, v95
	ds_load_2addr_b32 v[69:70], v2 offset0:47 offset1:48
	s_waitcnt lgkmcnt(3)
	v_fmac_f32_e32 v3, v71, v96
	s_waitcnt vmcnt(5)
	v_fmac_f32_e32 v3, v72, v97
	ds_load_2addr_b32 v[71:72], v2 offset0:49 offset1:50
	s_waitcnt lgkmcnt(3)
	v_fmac_f32_e32 v3, v73, v98
	s_delay_alu instid0(VALU_DEP_1) | instskip(SKIP_1) | instid1(VALU_DEP_1)
	v_fmac_f32_e32 v3, v74, v99
	s_waitcnt lgkmcnt(2)
	v_fmac_f32_e32 v3, v75, v100
	s_waitcnt vmcnt(4)
	s_delay_alu instid0(VALU_DEP_1) | instskip(SKIP_4) | instid1(VALU_DEP_1)
	v_fmac_f32_e32 v3, v76, v101
	ds_load_2addr_b32 v[73:74], v2 offset0:51 offset1:52
	ds_load_2addr_b32 v[75:76], v2 offset0:53 offset1:54
	s_waitcnt lgkmcnt(3)
	v_fmac_f32_e32 v3, v77, v69
	v_fmac_f32_e32 v3, v78, v70
	ds_load_2addr_b32 v[69:70], v2 offset0:55 offset1:56
	s_waitcnt lgkmcnt(3)
	v_fmac_f32_e32 v3, v79, v71
	s_waitcnt vmcnt(3)
	s_delay_alu instid0(VALU_DEP_1) | instskip(SKIP_3) | instid1(VALU_DEP_1)
	v_fmac_f32_e32 v3, v80, v72
	ds_load_2addr_b32 v[71:72], v2 offset0:57 offset1:58
	s_waitcnt lgkmcnt(3)
	v_fmac_f32_e32 v3, v81, v73
	v_fmac_f32_e32 v3, v82, v74
	s_waitcnt lgkmcnt(2)
	s_delay_alu instid0(VALU_DEP_1) | instskip(SKIP_1) | instid1(VALU_DEP_1)
	v_fmac_f32_e32 v3, v83, v75
	s_waitcnt vmcnt(2)
	v_fmac_f32_e32 v3, v84, v76
	ds_load_2addr_b32 v[73:74], v2 offset0:59 offset1:60
	ds_load_2addr_b32 v[75:76], v2 offset0:61 offset1:62
	s_waitcnt lgkmcnt(3)
	v_fmac_f32_e32 v3, v85, v69
	ds_load_b32 v69, v2 offset:252
	v_fmac_f32_e32 v3, v86, v70
	s_waitcnt lgkmcnt(3)
	s_delay_alu instid0(VALU_DEP_1) | instskip(SKIP_1) | instid1(VALU_DEP_1)
	v_fmac_f32_e32 v3, v87, v71
	s_waitcnt vmcnt(1)
	v_fmac_f32_e32 v3, v88, v72
	s_waitcnt lgkmcnt(2)
	s_delay_alu instid0(VALU_DEP_1) | instskip(NEXT) | instid1(VALU_DEP_1)
	v_fmac_f32_e32 v3, v89, v73
	v_fmac_f32_e32 v3, v90, v74
	s_waitcnt lgkmcnt(1)
	s_delay_alu instid0(VALU_DEP_1) | instskip(SKIP_1) | instid1(VALU_DEP_1)
	v_fmac_f32_e32 v3, v91, v75
	s_waitcnt vmcnt(0)
	v_fmac_f32_e32 v3, v92, v76
	s_waitcnt lgkmcnt(0)
	s_delay_alu instid0(VALU_DEP_1) | instskip(NEXT) | instid1(VALU_DEP_1)
	v_fmac_f32_e32 v3, v93, v69
	v_sub_f32_e32 v3, v68, v3
	scratch_store_b32 off, v3, off offset:24
	v_cmpx_lt_u32_e32 5, v0
	s_cbranch_execz .LBB95_189
; %bb.188:
	scratch_load_b32 v3, off, off offset:20
	scratch_store_b32 off, v2, off offset:20
	s_waitcnt vmcnt(0)
	ds_store_b32 v1, v3
.LBB95_189:
	s_or_b32 exec_lo, exec_lo, s0
	s_waitcnt lgkmcnt(0)
	s_waitcnt_vscnt null, 0x0
	s_barrier
	buffer_gl0_inv
	s_clause 0x6
	scratch_load_b128 v[68:71], off, off offset:20
	scratch_load_b128 v[72:75], off, off offset:36
	;; [unrolled: 1-line block ×6, first 2 shown]
	scratch_load_b96 v[100:102], off, off offset:116
	ds_load_2addr_b64 v[92:95], v2 offset0:19 offset1:20
	ds_load_2addr_b64 v[96:99], v2 offset0:21 offset1:22
	s_mov_b32 s0, exec_lo
	s_waitcnt vmcnt(6) lgkmcnt(1)
	v_fma_f32 v92, v69, v92, 0
	s_delay_alu instid0(VALU_DEP_1) | instskip(NEXT) | instid1(VALU_DEP_1)
	v_fmac_f32_e32 v92, v70, v93
	v_fmac_f32_e32 v92, v71, v94
	s_waitcnt vmcnt(5)
	s_delay_alu instid0(VALU_DEP_1) | instskip(SKIP_3) | instid1(VALU_DEP_1)
	v_fmac_f32_e32 v92, v72, v95
	ds_load_2addr_b64 v[69:72], v2 offset0:23 offset1:24
	s_waitcnt lgkmcnt(1)
	v_fmac_f32_e32 v92, v73, v96
	v_fmac_f32_e32 v92, v74, v97
	s_delay_alu instid0(VALU_DEP_1) | instskip(SKIP_1) | instid1(VALU_DEP_1)
	v_fmac_f32_e32 v92, v75, v98
	s_waitcnt vmcnt(4)
	v_fmac_f32_e32 v92, v76, v99
	ds_load_2addr_b64 v[73:76], v2 offset0:25 offset1:26
	s_waitcnt lgkmcnt(1)
	v_fmac_f32_e32 v92, v77, v69
	s_delay_alu instid0(VALU_DEP_1) | instskip(NEXT) | instid1(VALU_DEP_1)
	v_fmac_f32_e32 v92, v78, v70
	v_fmac_f32_e32 v92, v79, v71
	s_waitcnt vmcnt(3)
	s_delay_alu instid0(VALU_DEP_1) | instskip(SKIP_3) | instid1(VALU_DEP_1)
	v_fmac_f32_e32 v92, v80, v72
	ds_load_2addr_b64 v[69:72], v2 offset0:27 offset1:28
	s_waitcnt lgkmcnt(1)
	v_fmac_f32_e32 v92, v81, v73
	v_fmac_f32_e32 v92, v82, v74
	s_delay_alu instid0(VALU_DEP_1) | instskip(SKIP_1) | instid1(VALU_DEP_1)
	v_fmac_f32_e32 v92, v83, v75
	s_waitcnt vmcnt(2)
	v_fmac_f32_e32 v92, v84, v76
	ds_load_2addr_b64 v[73:76], v2 offset0:29 offset1:30
	ds_load_b64 v[2:3], v2 offset:248
	s_waitcnt lgkmcnt(2)
	v_fmac_f32_e32 v92, v85, v69
	s_delay_alu instid0(VALU_DEP_1) | instskip(NEXT) | instid1(VALU_DEP_1)
	v_fmac_f32_e32 v92, v86, v70
	v_fmac_f32_e32 v92, v87, v71
	s_waitcnt vmcnt(1)
	s_delay_alu instid0(VALU_DEP_1) | instskip(SKIP_1) | instid1(VALU_DEP_1)
	v_fmac_f32_e32 v92, v88, v72
	s_waitcnt lgkmcnt(1)
	v_fmac_f32_e32 v92, v89, v73
	s_delay_alu instid0(VALU_DEP_1) | instskip(NEXT) | instid1(VALU_DEP_1)
	v_fmac_f32_e32 v92, v90, v74
	v_fmac_f32_e32 v92, v91, v75
	s_waitcnt vmcnt(0)
	s_delay_alu instid0(VALU_DEP_1) | instskip(SKIP_1) | instid1(VALU_DEP_1)
	v_fmac_f32_e32 v92, v100, v76
	s_waitcnt lgkmcnt(0)
	v_fmac_f32_e32 v92, v101, v2
	s_delay_alu instid0(VALU_DEP_1) | instskip(NEXT) | instid1(VALU_DEP_1)
	v_fmac_f32_e32 v92, v102, v3
	v_sub_f32_e32 v2, v68, v92
	scratch_store_b32 off, v2, off offset:20
	v_cmpx_lt_u32_e32 4, v0
	s_cbranch_execz .LBB95_191
; %bb.190:
	scratch_load_b32 v2, off, off offset:16
	v_mov_b32_e32 v3, 0
	scratch_store_b32 off, v3, off offset:16
	s_waitcnt vmcnt(0)
	ds_store_b32 v1, v2
.LBB95_191:
	s_or_b32 exec_lo, exec_lo, s0
	s_waitcnt lgkmcnt(0)
	s_waitcnt_vscnt null, 0x0
	s_barrier
	buffer_gl0_inv
	s_clause 0x6
	scratch_load_b128 v[68:71], off, off offset:16
	scratch_load_b128 v[72:75], off, off offset:32
	;; [unrolled: 1-line block ×7, first 2 shown]
	v_mov_b32_e32 v2, 0
	ds_load_2addr_b32 v[96:97], v2 offset0:37 offset1:38
	ds_load_2addr_b32 v[98:99], v2 offset0:39 offset1:40
	;; [unrolled: 1-line block ×4, first 2 shown]
	s_mov_b32 s0, exec_lo
	s_waitcnt vmcnt(6) lgkmcnt(3)
	v_fma_f32 v3, v69, v96, 0
	s_delay_alu instid0(VALU_DEP_1) | instskip(SKIP_4) | instid1(VALU_DEP_1)
	v_fmac_f32_e32 v3, v70, v97
	ds_load_2addr_b32 v[69:70], v2 offset0:45 offset1:46
	s_waitcnt lgkmcnt(3)
	v_fmac_f32_e32 v3, v71, v98
	s_waitcnt vmcnt(5)
	v_fmac_f32_e32 v3, v72, v99
	ds_load_2addr_b32 v[71:72], v2 offset0:47 offset1:48
	s_waitcnt lgkmcnt(3)
	v_fmac_f32_e32 v3, v73, v100
	s_delay_alu instid0(VALU_DEP_1) | instskip(SKIP_1) | instid1(VALU_DEP_1)
	v_fmac_f32_e32 v3, v74, v101
	s_waitcnt lgkmcnt(2)
	v_fmac_f32_e32 v3, v75, v102
	s_waitcnt vmcnt(4)
	s_delay_alu instid0(VALU_DEP_1) | instskip(SKIP_4) | instid1(VALU_DEP_1)
	v_fmac_f32_e32 v3, v76, v103
	ds_load_2addr_b32 v[73:74], v2 offset0:49 offset1:50
	ds_load_2addr_b32 v[75:76], v2 offset0:51 offset1:52
	s_waitcnt lgkmcnt(3)
	v_fmac_f32_e32 v3, v77, v69
	v_fmac_f32_e32 v3, v78, v70
	ds_load_2addr_b32 v[69:70], v2 offset0:53 offset1:54
	s_waitcnt lgkmcnt(3)
	v_fmac_f32_e32 v3, v79, v71
	s_waitcnt vmcnt(3)
	s_delay_alu instid0(VALU_DEP_1) | instskip(SKIP_3) | instid1(VALU_DEP_1)
	v_fmac_f32_e32 v3, v80, v72
	ds_load_2addr_b32 v[71:72], v2 offset0:55 offset1:56
	s_waitcnt lgkmcnt(3)
	v_fmac_f32_e32 v3, v81, v73
	v_fmac_f32_e32 v3, v82, v74
	s_waitcnt lgkmcnt(2)
	s_delay_alu instid0(VALU_DEP_1) | instskip(SKIP_1) | instid1(VALU_DEP_1)
	v_fmac_f32_e32 v3, v83, v75
	s_waitcnt vmcnt(2)
	v_fmac_f32_e32 v3, v84, v76
	ds_load_2addr_b32 v[73:74], v2 offset0:57 offset1:58
	ds_load_2addr_b32 v[75:76], v2 offset0:59 offset1:60
	s_waitcnt lgkmcnt(3)
	v_fmac_f32_e32 v3, v85, v69
	s_delay_alu instid0(VALU_DEP_1)
	v_fmac_f32_e32 v3, v86, v70
	ds_load_2addr_b32 v[69:70], v2 offset0:61 offset1:62
	s_waitcnt lgkmcnt(3)
	v_fmac_f32_e32 v3, v87, v71
	ds_load_b32 v71, v2 offset:252
	s_waitcnt vmcnt(1)
	v_fmac_f32_e32 v3, v88, v72
	s_waitcnt lgkmcnt(3)
	s_delay_alu instid0(VALU_DEP_1) | instskip(NEXT) | instid1(VALU_DEP_1)
	v_fmac_f32_e32 v3, v89, v73
	v_fmac_f32_e32 v3, v90, v74
	s_waitcnt lgkmcnt(2)
	s_delay_alu instid0(VALU_DEP_1) | instskip(SKIP_1) | instid1(VALU_DEP_1)
	v_fmac_f32_e32 v3, v91, v75
	s_waitcnt vmcnt(0)
	v_fmac_f32_e32 v3, v92, v76
	s_waitcnt lgkmcnt(1)
	s_delay_alu instid0(VALU_DEP_1) | instskip(NEXT) | instid1(VALU_DEP_1)
	v_fmac_f32_e32 v3, v93, v69
	v_fmac_f32_e32 v3, v94, v70
	s_waitcnt lgkmcnt(0)
	s_delay_alu instid0(VALU_DEP_1) | instskip(NEXT) | instid1(VALU_DEP_1)
	v_fmac_f32_e32 v3, v95, v71
	v_sub_f32_e32 v3, v68, v3
	scratch_store_b32 off, v3, off offset:16
	v_cmpx_lt_u32_e32 3, v0
	s_cbranch_execz .LBB95_193
; %bb.192:
	scratch_load_b32 v3, off, off offset:12
	scratch_store_b32 off, v2, off offset:12
	s_waitcnt vmcnt(0)
	ds_store_b32 v1, v3
.LBB95_193:
	s_or_b32 exec_lo, exec_lo, s0
	s_waitcnt lgkmcnt(0)
	s_waitcnt_vscnt null, 0x0
	s_barrier
	buffer_gl0_inv
	s_clause 0x7
	scratch_load_b128 v[68:71], off, off offset:12
	scratch_load_b128 v[72:75], off, off offset:28
	scratch_load_b128 v[76:79], off, off offset:44
	scratch_load_b128 v[80:83], off, off offset:60
	scratch_load_b128 v[84:87], off, off offset:76
	scratch_load_b128 v[88:91], off, off offset:92
	scratch_load_b128 v[92:95], off, off offset:108
	scratch_load_b32 v3, off, off offset:124
	ds_load_b128 v[96:99], v2 offset:144
	ds_load_b128 v[100:103], v2 offset:160
	s_mov_b32 s0, exec_lo
	s_waitcnt vmcnt(7) lgkmcnt(1)
	v_fma_f32 v96, v69, v96, 0
	s_delay_alu instid0(VALU_DEP_1) | instskip(NEXT) | instid1(VALU_DEP_1)
	v_fmac_f32_e32 v96, v70, v97
	v_fmac_f32_e32 v96, v71, v98
	s_waitcnt vmcnt(6)
	s_delay_alu instid0(VALU_DEP_1) | instskip(SKIP_3) | instid1(VALU_DEP_1)
	v_fmac_f32_e32 v96, v72, v99
	ds_load_b128 v[69:72], v2 offset:176
	s_waitcnt lgkmcnt(1)
	v_fmac_f32_e32 v96, v73, v100
	v_fmac_f32_e32 v96, v74, v101
	s_delay_alu instid0(VALU_DEP_1) | instskip(SKIP_1) | instid1(VALU_DEP_1)
	v_fmac_f32_e32 v96, v75, v102
	s_waitcnt vmcnt(5)
	v_fmac_f32_e32 v96, v76, v103
	ds_load_b128 v[73:76], v2 offset:192
	s_waitcnt lgkmcnt(1)
	v_fmac_f32_e32 v96, v77, v69
	s_delay_alu instid0(VALU_DEP_1) | instskip(NEXT) | instid1(VALU_DEP_1)
	v_fmac_f32_e32 v96, v78, v70
	v_fmac_f32_e32 v96, v79, v71
	s_waitcnt vmcnt(4)
	s_delay_alu instid0(VALU_DEP_1) | instskip(SKIP_3) | instid1(VALU_DEP_1)
	v_fmac_f32_e32 v96, v80, v72
	ds_load_b128 v[69:72], v2 offset:208
	s_waitcnt lgkmcnt(1)
	v_fmac_f32_e32 v96, v81, v73
	v_fmac_f32_e32 v96, v82, v74
	s_delay_alu instid0(VALU_DEP_1) | instskip(SKIP_1) | instid1(VALU_DEP_1)
	v_fmac_f32_e32 v96, v83, v75
	s_waitcnt vmcnt(3)
	v_fmac_f32_e32 v96, v84, v76
	ds_load_b128 v[73:76], v2 offset:224
	s_waitcnt lgkmcnt(1)
	v_fmac_f32_e32 v96, v85, v69
	s_delay_alu instid0(VALU_DEP_1) | instskip(NEXT) | instid1(VALU_DEP_1)
	v_fmac_f32_e32 v96, v86, v70
	v_fmac_f32_e32 v96, v87, v71
	s_waitcnt vmcnt(2)
	s_delay_alu instid0(VALU_DEP_1) | instskip(SKIP_3) | instid1(VALU_DEP_1)
	v_fmac_f32_e32 v96, v88, v72
	ds_load_b128 v[69:72], v2 offset:240
	s_waitcnt lgkmcnt(1)
	v_fmac_f32_e32 v96, v89, v73
	v_fmac_f32_e32 v96, v90, v74
	s_delay_alu instid0(VALU_DEP_1) | instskip(SKIP_1) | instid1(VALU_DEP_1)
	v_fmac_f32_e32 v96, v91, v75
	s_waitcnt vmcnt(1)
	v_fmac_f32_e32 v96, v92, v76
	s_waitcnt lgkmcnt(0)
	s_delay_alu instid0(VALU_DEP_1) | instskip(NEXT) | instid1(VALU_DEP_1)
	v_fmac_f32_e32 v96, v93, v69
	v_fmac_f32_e32 v96, v94, v70
	s_delay_alu instid0(VALU_DEP_1) | instskip(SKIP_1) | instid1(VALU_DEP_1)
	v_fmac_f32_e32 v96, v95, v71
	s_waitcnt vmcnt(0)
	v_fmac_f32_e32 v96, v3, v72
	s_delay_alu instid0(VALU_DEP_1)
	v_sub_f32_e32 v2, v68, v96
	scratch_store_b32 off, v2, off offset:12
	v_cmpx_lt_u32_e32 2, v0
	s_cbranch_execz .LBB95_195
; %bb.194:
	scratch_load_b32 v2, off, off offset:8
	v_mov_b32_e32 v3, 0
	scratch_store_b32 off, v3, off offset:8
	s_waitcnt vmcnt(0)
	ds_store_b32 v1, v2
.LBB95_195:
	s_or_b32 exec_lo, exec_lo, s0
	s_waitcnt lgkmcnt(0)
	s_waitcnt_vscnt null, 0x0
	s_barrier
	buffer_gl0_inv
	s_clause 0x7
	scratch_load_b128 v[68:71], off, off offset:8
	scratch_load_b128 v[72:75], off, off offset:24
	;; [unrolled: 1-line block ×7, first 2 shown]
	scratch_load_b64 v[96:97], off, off offset:120
	v_mov_b32_e32 v2, 0
	ds_load_2addr_b32 v[98:99], v2 offset0:35 offset1:36
	ds_load_2addr_b32 v[100:101], v2 offset0:37 offset1:38
	;; [unrolled: 1-line block ×4, first 2 shown]
	s_mov_b32 s0, exec_lo
	s_waitcnt vmcnt(7) lgkmcnt(3)
	v_fma_f32 v3, v69, v98, 0
	s_delay_alu instid0(VALU_DEP_1) | instskip(SKIP_4) | instid1(VALU_DEP_1)
	v_fmac_f32_e32 v3, v70, v99
	ds_load_2addr_b32 v[69:70], v2 offset0:43 offset1:44
	s_waitcnt lgkmcnt(3)
	v_fmac_f32_e32 v3, v71, v100
	s_waitcnt vmcnt(6)
	v_fmac_f32_e32 v3, v72, v101
	ds_load_2addr_b32 v[71:72], v2 offset0:45 offset1:46
	s_waitcnt lgkmcnt(3)
	v_fmac_f32_e32 v3, v73, v102
	s_delay_alu instid0(VALU_DEP_1) | instskip(SKIP_1) | instid1(VALU_DEP_1)
	v_fmac_f32_e32 v3, v74, v103
	s_waitcnt lgkmcnt(2)
	v_fmac_f32_e32 v3, v75, v104
	s_waitcnt vmcnt(5)
	s_delay_alu instid0(VALU_DEP_1) | instskip(SKIP_4) | instid1(VALU_DEP_1)
	v_fmac_f32_e32 v3, v76, v105
	ds_load_2addr_b32 v[73:74], v2 offset0:47 offset1:48
	ds_load_2addr_b32 v[75:76], v2 offset0:49 offset1:50
	s_waitcnt lgkmcnt(3)
	v_fmac_f32_e32 v3, v77, v69
	v_fmac_f32_e32 v3, v78, v70
	ds_load_2addr_b32 v[69:70], v2 offset0:51 offset1:52
	s_waitcnt lgkmcnt(3)
	v_fmac_f32_e32 v3, v79, v71
	s_waitcnt vmcnt(4)
	s_delay_alu instid0(VALU_DEP_1) | instskip(SKIP_3) | instid1(VALU_DEP_1)
	v_fmac_f32_e32 v3, v80, v72
	ds_load_2addr_b32 v[71:72], v2 offset0:53 offset1:54
	s_waitcnt lgkmcnt(3)
	v_fmac_f32_e32 v3, v81, v73
	v_fmac_f32_e32 v3, v82, v74
	s_waitcnt lgkmcnt(2)
	s_delay_alu instid0(VALU_DEP_1) | instskip(SKIP_1) | instid1(VALU_DEP_1)
	v_fmac_f32_e32 v3, v83, v75
	s_waitcnt vmcnt(3)
	v_fmac_f32_e32 v3, v84, v76
	ds_load_2addr_b32 v[73:74], v2 offset0:55 offset1:56
	ds_load_2addr_b32 v[75:76], v2 offset0:57 offset1:58
	s_waitcnt lgkmcnt(3)
	v_fmac_f32_e32 v3, v85, v69
	s_delay_alu instid0(VALU_DEP_1) | instskip(SKIP_4) | instid1(VALU_DEP_1)
	v_fmac_f32_e32 v3, v86, v70
	ds_load_2addr_b32 v[69:70], v2 offset0:59 offset1:60
	s_waitcnt lgkmcnt(3)
	v_fmac_f32_e32 v3, v87, v71
	s_waitcnt vmcnt(2)
	v_fmac_f32_e32 v3, v88, v72
	ds_load_2addr_b32 v[71:72], v2 offset0:61 offset1:62
	s_waitcnt lgkmcnt(3)
	v_fmac_f32_e32 v3, v89, v73
	ds_load_b32 v73, v2 offset:252
	v_fmac_f32_e32 v3, v90, v74
	s_waitcnt lgkmcnt(3)
	s_delay_alu instid0(VALU_DEP_1) | instskip(SKIP_1) | instid1(VALU_DEP_1)
	v_fmac_f32_e32 v3, v91, v75
	s_waitcnt vmcnt(1)
	v_fmac_f32_e32 v3, v92, v76
	s_waitcnt lgkmcnt(2)
	s_delay_alu instid0(VALU_DEP_1) | instskip(NEXT) | instid1(VALU_DEP_1)
	v_fmac_f32_e32 v3, v93, v69
	v_fmac_f32_e32 v3, v94, v70
	s_waitcnt lgkmcnt(1)
	s_delay_alu instid0(VALU_DEP_1) | instskip(SKIP_1) | instid1(VALU_DEP_1)
	v_fmac_f32_e32 v3, v95, v71
	s_waitcnt vmcnt(0)
	v_fmac_f32_e32 v3, v96, v72
	s_waitcnt lgkmcnt(0)
	s_delay_alu instid0(VALU_DEP_1) | instskip(NEXT) | instid1(VALU_DEP_1)
	v_fmac_f32_e32 v3, v97, v73
	v_sub_f32_e32 v3, v68, v3
	scratch_store_b32 off, v3, off offset:8
	v_cmpx_lt_u32_e32 1, v0
	s_cbranch_execz .LBB95_197
; %bb.196:
	scratch_load_b32 v3, off, off offset:4
	scratch_store_b32 off, v2, off offset:4
	s_waitcnt vmcnt(0)
	ds_store_b32 v1, v3
.LBB95_197:
	s_or_b32 exec_lo, exec_lo, s0
	s_waitcnt lgkmcnt(0)
	s_waitcnt_vscnt null, 0x0
	s_barrier
	buffer_gl0_inv
	s_clause 0x7
	scratch_load_b128 v[68:71], off, off offset:4
	scratch_load_b128 v[72:75], off, off offset:20
	;; [unrolled: 1-line block ×7, first 2 shown]
	scratch_load_b96 v[104:106], off, off offset:116
	ds_load_2addr_b64 v[96:99], v2 offset0:17 offset1:18
	ds_load_2addr_b64 v[100:103], v2 offset0:19 offset1:20
	s_mov_b32 s0, exec_lo
	s_waitcnt vmcnt(7) lgkmcnt(1)
	v_fma_f32 v96, v69, v96, 0
	s_delay_alu instid0(VALU_DEP_1) | instskip(NEXT) | instid1(VALU_DEP_1)
	v_fmac_f32_e32 v96, v70, v97
	v_fmac_f32_e32 v96, v71, v98
	s_waitcnt vmcnt(6)
	s_delay_alu instid0(VALU_DEP_1) | instskip(SKIP_3) | instid1(VALU_DEP_1)
	v_fmac_f32_e32 v96, v72, v99
	ds_load_2addr_b64 v[69:72], v2 offset0:21 offset1:22
	s_waitcnt lgkmcnt(1)
	v_fmac_f32_e32 v96, v73, v100
	v_fmac_f32_e32 v96, v74, v101
	s_delay_alu instid0(VALU_DEP_1) | instskip(SKIP_1) | instid1(VALU_DEP_1)
	v_fmac_f32_e32 v96, v75, v102
	s_waitcnt vmcnt(5)
	v_fmac_f32_e32 v96, v76, v103
	ds_load_2addr_b64 v[73:76], v2 offset0:23 offset1:24
	s_waitcnt lgkmcnt(1)
	v_fmac_f32_e32 v96, v77, v69
	s_delay_alu instid0(VALU_DEP_1) | instskip(NEXT) | instid1(VALU_DEP_1)
	v_fmac_f32_e32 v96, v78, v70
	v_fmac_f32_e32 v96, v79, v71
	s_waitcnt vmcnt(4)
	s_delay_alu instid0(VALU_DEP_1) | instskip(SKIP_3) | instid1(VALU_DEP_1)
	v_fmac_f32_e32 v96, v80, v72
	ds_load_2addr_b64 v[69:72], v2 offset0:25 offset1:26
	s_waitcnt lgkmcnt(1)
	v_fmac_f32_e32 v96, v81, v73
	v_fmac_f32_e32 v96, v82, v74
	s_delay_alu instid0(VALU_DEP_1) | instskip(SKIP_1) | instid1(VALU_DEP_1)
	v_fmac_f32_e32 v96, v83, v75
	s_waitcnt vmcnt(3)
	v_fmac_f32_e32 v96, v84, v76
	ds_load_2addr_b64 v[73:76], v2 offset0:27 offset1:28
	s_waitcnt lgkmcnt(1)
	v_fmac_f32_e32 v96, v85, v69
	s_delay_alu instid0(VALU_DEP_1) | instskip(NEXT) | instid1(VALU_DEP_1)
	v_fmac_f32_e32 v96, v86, v70
	v_fmac_f32_e32 v96, v87, v71
	s_waitcnt vmcnt(2)
	s_delay_alu instid0(VALU_DEP_1) | instskip(SKIP_4) | instid1(VALU_DEP_1)
	v_fmac_f32_e32 v96, v88, v72
	ds_load_2addr_b64 v[69:72], v2 offset0:29 offset1:30
	ds_load_b64 v[2:3], v2 offset:248
	s_waitcnt lgkmcnt(2)
	v_fmac_f32_e32 v96, v89, v73
	v_fmac_f32_e32 v96, v90, v74
	s_delay_alu instid0(VALU_DEP_1) | instskip(SKIP_1) | instid1(VALU_DEP_1)
	v_fmac_f32_e32 v96, v91, v75
	s_waitcnt vmcnt(1)
	v_fmac_f32_e32 v96, v92, v76
	s_waitcnt lgkmcnt(1)
	s_delay_alu instid0(VALU_DEP_1) | instskip(NEXT) | instid1(VALU_DEP_1)
	v_fmac_f32_e32 v96, v93, v69
	v_fmac_f32_e32 v96, v94, v70
	s_delay_alu instid0(VALU_DEP_1) | instskip(SKIP_1) | instid1(VALU_DEP_1)
	v_fmac_f32_e32 v96, v95, v71
	s_waitcnt vmcnt(0)
	v_fmac_f32_e32 v96, v104, v72
	s_waitcnt lgkmcnt(0)
	s_delay_alu instid0(VALU_DEP_1) | instskip(NEXT) | instid1(VALU_DEP_1)
	v_fmac_f32_e32 v96, v105, v2
	v_fmac_f32_e32 v96, v106, v3
	s_delay_alu instid0(VALU_DEP_1)
	v_sub_f32_e32 v2, v68, v96
	scratch_store_b32 off, v2, off offset:4
	v_cmpx_ne_u32_e32 0, v0
	s_cbranch_execz .LBB95_199
; %bb.198:
	scratch_load_b32 v0, off, off
	v_mov_b32_e32 v2, 0
	scratch_store_b32 off, v2, off
	s_waitcnt vmcnt(0)
	ds_store_b32 v1, v0
.LBB95_199:
	s_or_b32 exec_lo, exec_lo, s0
	s_waitcnt lgkmcnt(0)
	s_waitcnt_vscnt null, 0x0
	s_barrier
	buffer_gl0_inv
	s_clause 0x7
	scratch_load_b128 v[68:71], off, off
	scratch_load_b128 v[72:75], off, off offset:16
	scratch_load_b128 v[76:79], off, off offset:32
	;; [unrolled: 1-line block ×7, first 2 shown]
	v_mov_b32_e32 v104, 0
	ds_load_2addr_b32 v[96:97], v104 offset0:33 offset1:34
	ds_load_2addr_b32 v[98:99], v104 offset0:35 offset1:36
	;; [unrolled: 1-line block ×4, first 2 shown]
	s_and_b32 vcc_lo, exec_lo, s12
	s_waitcnt vmcnt(7) lgkmcnt(3)
	v_fma_f32 v96, v69, v96, 0
	s_delay_alu instid0(VALU_DEP_1) | instskip(SKIP_4) | instid1(VALU_DEP_1)
	v_fmac_f32_e32 v96, v70, v97
	ds_load_2addr_b32 v[69:70], v104 offset0:41 offset1:42
	s_waitcnt lgkmcnt(3)
	v_fmac_f32_e32 v96, v71, v98
	s_waitcnt vmcnt(6)
	v_fmac_f32_e32 v96, v72, v99
	ds_load_2addr_b32 v[71:72], v104 offset0:43 offset1:44
	s_waitcnt lgkmcnt(3)
	v_fmac_f32_e32 v96, v73, v100
	s_delay_alu instid0(VALU_DEP_1) | instskip(SKIP_1) | instid1(VALU_DEP_1)
	v_fmac_f32_e32 v96, v74, v101
	s_waitcnt lgkmcnt(2)
	v_fmac_f32_e32 v96, v75, v102
	s_waitcnt vmcnt(5)
	s_delay_alu instid0(VALU_DEP_1) | instskip(SKIP_4) | instid1(VALU_DEP_1)
	v_fmac_f32_e32 v96, v76, v103
	ds_load_2addr_b32 v[73:74], v104 offset0:45 offset1:46
	ds_load_2addr_b32 v[75:76], v104 offset0:47 offset1:48
	s_waitcnt lgkmcnt(3)
	v_fmac_f32_e32 v96, v77, v69
	v_fmac_f32_e32 v96, v78, v70
	ds_load_2addr_b32 v[69:70], v104 offset0:49 offset1:50
	s_waitcnt lgkmcnt(3)
	v_fmac_f32_e32 v96, v79, v71
	s_waitcnt vmcnt(4)
	s_delay_alu instid0(VALU_DEP_1) | instskip(SKIP_3) | instid1(VALU_DEP_1)
	v_fmac_f32_e32 v96, v80, v72
	ds_load_2addr_b32 v[71:72], v104 offset0:51 offset1:52
	s_waitcnt lgkmcnt(3)
	v_fmac_f32_e32 v96, v81, v73
	v_fmac_f32_e32 v96, v82, v74
	s_waitcnt lgkmcnt(2)
	s_delay_alu instid0(VALU_DEP_1) | instskip(SKIP_1) | instid1(VALU_DEP_1)
	v_fmac_f32_e32 v96, v83, v75
	s_waitcnt vmcnt(3)
	v_fmac_f32_e32 v96, v84, v76
	ds_load_2addr_b32 v[73:74], v104 offset0:53 offset1:54
	ds_load_2addr_b32 v[75:76], v104 offset0:55 offset1:56
	s_waitcnt lgkmcnt(3)
	v_fmac_f32_e32 v96, v85, v69
	s_delay_alu instid0(VALU_DEP_1) | instskip(SKIP_4) | instid1(VALU_DEP_1)
	v_fmac_f32_e32 v96, v86, v70
	ds_load_2addr_b32 v[69:70], v104 offset0:57 offset1:58
	s_waitcnt lgkmcnt(3)
	v_fmac_f32_e32 v96, v87, v71
	s_waitcnt vmcnt(2)
	v_fmac_f32_e32 v96, v88, v72
	ds_load_2addr_b32 v[71:72], v104 offset0:59 offset1:60
	s_waitcnt lgkmcnt(3)
	v_fmac_f32_e32 v96, v89, v73
	s_delay_alu instid0(VALU_DEP_1) | instskip(SKIP_1) | instid1(VALU_DEP_1)
	v_fmac_f32_e32 v96, v90, v74
	s_waitcnt lgkmcnt(2)
	v_fmac_f32_e32 v96, v91, v75
	ds_load_2addr_b32 v[73:74], v104 offset0:61 offset1:62
	ds_load_b32 v75, v104 offset:252
	s_waitcnt vmcnt(1)
	v_fmac_f32_e32 v96, v92, v76
	s_waitcnt lgkmcnt(3)
	s_delay_alu instid0(VALU_DEP_1) | instskip(NEXT) | instid1(VALU_DEP_1)
	v_fmac_f32_e32 v96, v93, v69
	v_fmac_f32_e32 v96, v94, v70
	s_waitcnt lgkmcnt(2)
	s_delay_alu instid0(VALU_DEP_1) | instskip(SKIP_1) | instid1(VALU_DEP_1)
	v_fmac_f32_e32 v96, v95, v71
	s_waitcnt vmcnt(0)
	v_fmac_f32_e32 v96, v0, v72
	s_waitcnt lgkmcnt(1)
	s_delay_alu instid0(VALU_DEP_1) | instskip(NEXT) | instid1(VALU_DEP_1)
	v_fmac_f32_e32 v96, v1, v73
	v_fmac_f32_e32 v96, v2, v74
	s_waitcnt lgkmcnt(0)
	s_delay_alu instid0(VALU_DEP_1) | instskip(NEXT) | instid1(VALU_DEP_1)
	v_fmac_f32_e32 v96, v3, v75
	v_sub_f32_e32 v0, v68, v96
	scratch_store_b32 off, v0, off
	s_cbranch_vccz .LBB95_263
; %bb.200:
	v_dual_mov_b32 v0, s2 :: v_dual_mov_b32 v1, s3
	s_mov_b32 s0, exec_lo
	flat_load_b32 v0, v[0:1] offset:120
	s_waitcnt vmcnt(0) lgkmcnt(0)
	v_cmpx_ne_u32_e32 31, v0
	s_cbranch_execz .LBB95_202
; %bb.201:
	v_lshl_add_u32 v0, v0, 2, 0
	scratch_load_b32 v1, v0, off offset:-4
	s_waitcnt vmcnt(0)
	scratch_store_b32 off, v1, off offset:120
	scratch_store_b32 v0, v2, off offset:-4
.LBB95_202:
	s_or_b32 exec_lo, exec_lo, s0
	v_dual_mov_b32 v0, s2 :: v_dual_mov_b32 v1, s3
	s_mov_b32 s0, exec_lo
	flat_load_b32 v0, v[0:1] offset:116
	s_waitcnt vmcnt(0) lgkmcnt(0)
	v_cmpx_ne_u32_e32 30, v0
	s_cbranch_execz .LBB95_204
; %bb.203:
	v_lshl_add_u32 v0, v0, 2, 0
	scratch_load_b32 v1, v0, off offset:-4
	scratch_load_b32 v2, off, off offset:116
	s_waitcnt vmcnt(1)
	scratch_store_b32 off, v1, off offset:116
	s_waitcnt vmcnt(0)
	scratch_store_b32 v0, v2, off offset:-4
.LBB95_204:
	s_or_b32 exec_lo, exec_lo, s0
	v_dual_mov_b32 v0, s2 :: v_dual_mov_b32 v1, s3
	s_mov_b32 s0, exec_lo
	flat_load_b32 v0, v[0:1] offset:112
	s_waitcnt vmcnt(0) lgkmcnt(0)
	v_cmpx_ne_u32_e32 29, v0
	s_cbranch_execz .LBB95_206
; %bb.205:
	v_lshl_add_u32 v0, v0, 2, 0
	scratch_load_b32 v1, v0, off offset:-4
	scratch_load_b32 v2, off, off offset:112
	s_waitcnt vmcnt(1)
	scratch_store_b32 off, v1, off offset:112
	s_waitcnt vmcnt(0)
	scratch_store_b32 v0, v2, off offset:-4
.LBB95_206:
	;; [unrolled: 16-line block ×29, first 2 shown]
	s_or_b32 exec_lo, exec_lo, s0
	v_dual_mov_b32 v0, s2 :: v_dual_mov_b32 v1, s3
	s_mov_b32 s0, exec_lo
	flat_load_b32 v1, v[0:1]
	scratch_load_b32 v0, off, off
	s_waitcnt vmcnt(1) lgkmcnt(0)
	v_cmpx_ne_u32_e32 1, v1
	s_cbranch_execz .LBB95_262
; %bb.261:
	v_lshl_add_u32 v1, v1, 2, 0
	scratch_load_b32 v2, v1, off offset:-4
	s_waitcnt vmcnt(0)
	scratch_store_b32 off, v2, off
	scratch_store_b32 v1, v0, off offset:-4
	scratch_load_b32 v0, off, off
.LBB95_262:
	s_or_b32 exec_lo, exec_lo, s0
.LBB95_263:
	s_clause 0x7
	scratch_load_b128 v[68:71], off, off offset:4
	scratch_load_b128 v[72:75], off, off offset:20
	;; [unrolled: 1-line block ×7, first 2 shown]
	scratch_load_b96 v[1:3], off, off offset:116
	s_waitcnt vmcnt(8)
	global_store_b32 v[4:5], v0, off
	s_waitcnt vmcnt(7)
	s_clause 0x3
	global_store_b32 v[6:7], v68, off
	global_store_b32 v[8:9], v69, off
	global_store_b32 v[10:11], v70, off
	global_store_b32 v[12:13], v71, off
	s_waitcnt vmcnt(6)
	s_clause 0x3
	global_store_b32 v[14:15], v72, off
	global_store_b32 v[16:17], v73, off
	global_store_b32 v[18:19], v74, off
	;; [unrolled: 6-line block ×8, first 2 shown]
	s_endpgm
	.section	.rodata,"a",@progbits
	.p2align	6, 0x0
	.amdhsa_kernel _ZN9rocsolver6v33100L18getri_kernel_smallILi32EfPKPfEEvT1_iilPiilS6_bb
		.amdhsa_group_segment_fixed_size 260
		.amdhsa_private_segment_fixed_size 144
		.amdhsa_kernarg_size 60
		.amdhsa_user_sgpr_count 15
		.amdhsa_user_sgpr_dispatch_ptr 0
		.amdhsa_user_sgpr_queue_ptr 0
		.amdhsa_user_sgpr_kernarg_segment_ptr 1
		.amdhsa_user_sgpr_dispatch_id 0
		.amdhsa_user_sgpr_private_segment_size 0
		.amdhsa_wavefront_size32 1
		.amdhsa_uses_dynamic_stack 0
		.amdhsa_enable_private_segment 1
		.amdhsa_system_sgpr_workgroup_id_x 1
		.amdhsa_system_sgpr_workgroup_id_y 0
		.amdhsa_system_sgpr_workgroup_id_z 0
		.amdhsa_system_sgpr_workgroup_info 0
		.amdhsa_system_vgpr_workitem_id 0
		.amdhsa_next_free_vgpr 107
		.amdhsa_next_free_sgpr 17
		.amdhsa_reserve_vcc 1
		.amdhsa_float_round_mode_32 0
		.amdhsa_float_round_mode_16_64 0
		.amdhsa_float_denorm_mode_32 3
		.amdhsa_float_denorm_mode_16_64 3
		.amdhsa_dx10_clamp 1
		.amdhsa_ieee_mode 1
		.amdhsa_fp16_overflow 0
		.amdhsa_workgroup_processor_mode 1
		.amdhsa_memory_ordered 1
		.amdhsa_forward_progress 0
		.amdhsa_shared_vgpr_count 0
		.amdhsa_exception_fp_ieee_invalid_op 0
		.amdhsa_exception_fp_denorm_src 0
		.amdhsa_exception_fp_ieee_div_zero 0
		.amdhsa_exception_fp_ieee_overflow 0
		.amdhsa_exception_fp_ieee_underflow 0
		.amdhsa_exception_fp_ieee_inexact 0
		.amdhsa_exception_int_div_zero 0
	.end_amdhsa_kernel
	.section	.text._ZN9rocsolver6v33100L18getri_kernel_smallILi32EfPKPfEEvT1_iilPiilS6_bb,"axG",@progbits,_ZN9rocsolver6v33100L18getri_kernel_smallILi32EfPKPfEEvT1_iilPiilS6_bb,comdat
.Lfunc_end95:
	.size	_ZN9rocsolver6v33100L18getri_kernel_smallILi32EfPKPfEEvT1_iilPiilS6_bb, .Lfunc_end95-_ZN9rocsolver6v33100L18getri_kernel_smallILi32EfPKPfEEvT1_iilPiilS6_bb
                                        ; -- End function
	.section	.AMDGPU.csdata,"",@progbits
; Kernel info:
; codeLenInByte = 20036
; NumSgprs: 19
; NumVgprs: 107
; ScratchSize: 144
; MemoryBound: 0
; FloatMode: 240
; IeeeMode: 1
; LDSByteSize: 260 bytes/workgroup (compile time only)
; SGPRBlocks: 2
; VGPRBlocks: 13
; NumSGPRsForWavesPerEU: 19
; NumVGPRsForWavesPerEU: 107
; Occupancy: 12
; WaveLimiterHint : 1
; COMPUTE_PGM_RSRC2:SCRATCH_EN: 1
; COMPUTE_PGM_RSRC2:USER_SGPR: 15
; COMPUTE_PGM_RSRC2:TRAP_HANDLER: 0
; COMPUTE_PGM_RSRC2:TGID_X_EN: 1
; COMPUTE_PGM_RSRC2:TGID_Y_EN: 0
; COMPUTE_PGM_RSRC2:TGID_Z_EN: 0
; COMPUTE_PGM_RSRC2:TIDIG_COMP_CNT: 0
	.section	.text._ZN9rocsolver6v33100L18getri_kernel_smallILi33EfPKPfEEvT1_iilPiilS6_bb,"axG",@progbits,_ZN9rocsolver6v33100L18getri_kernel_smallILi33EfPKPfEEvT1_iilPiilS6_bb,comdat
	.globl	_ZN9rocsolver6v33100L18getri_kernel_smallILi33EfPKPfEEvT1_iilPiilS6_bb ; -- Begin function _ZN9rocsolver6v33100L18getri_kernel_smallILi33EfPKPfEEvT1_iilPiilS6_bb
	.p2align	8
	.type	_ZN9rocsolver6v33100L18getri_kernel_smallILi33EfPKPfEEvT1_iilPiilS6_bb,@function
_ZN9rocsolver6v33100L18getri_kernel_smallILi33EfPKPfEEvT1_iilPiilS6_bb: ; @_ZN9rocsolver6v33100L18getri_kernel_smallILi33EfPKPfEEvT1_iilPiilS6_bb
; %bb.0:
	s_mov_b32 s2, exec_lo
	v_cmpx_gt_u32_e32 33, v0
	s_cbranch_execz .LBB96_140
; %bb.1:
	s_clause 0x1
	s_load_b32 s13, s[0:1], 0x38
	s_load_b64 s[2:3], s[0:1], 0x0
	s_mov_b32 s8, s15
	s_load_b128 s[4:7], s[0:1], 0x28
	s_waitcnt lgkmcnt(0)
	s_bitcmp1_b32 s13, 8
	s_cselect_b32 s12, -1, 0
	s_ashr_i32 s9, s15, 31
	s_delay_alu instid0(SALU_CYCLE_1) | instskip(NEXT) | instid1(SALU_CYCLE_1)
	s_lshl_b64 s[10:11], s[8:9], 3
	s_add_u32 s2, s2, s10
	s_addc_u32 s3, s3, s11
	s_load_b64 s[10:11], s[2:3], 0x0
	s_bfe_u32 s2, s13, 0x10008
	s_delay_alu instid0(SALU_CYCLE_1)
	s_cmp_eq_u32 s2, 0
                                        ; implicit-def: $sgpr2_sgpr3
	s_cbranch_scc1 .LBB96_3
; %bb.2:
	s_clause 0x1
	s_load_b32 s2, s[0:1], 0x20
	s_load_b64 s[14:15], s[0:1], 0x18
	s_mul_i32 s3, s8, s5
	s_mul_hi_u32 s5, s8, s4
	s_mul_i32 s16, s9, s4
	s_add_i32 s3, s5, s3
	s_mul_i32 s4, s8, s4
	s_add_i32 s5, s3, s16
	s_delay_alu instid0(SALU_CYCLE_1)
	s_lshl_b64 s[4:5], s[4:5], 2
	s_waitcnt lgkmcnt(0)
	s_ashr_i32 s3, s2, 31
	s_add_u32 s4, s14, s4
	s_addc_u32 s5, s15, s5
	s_lshl_b64 s[2:3], s[2:3], 2
	s_delay_alu instid0(SALU_CYCLE_1)
	s_add_u32 s2, s4, s2
	s_addc_u32 s3, s5, s3
.LBB96_3:
	s_load_b64 s[0:1], s[0:1], 0x8
	v_lshlrev_b32_e32 v1, 2, v0
	s_waitcnt lgkmcnt(0)
	v_add3_u32 v2, s1, s1, v0
	s_ashr_i32 s5, s0, 31
	s_mov_b32 s4, s0
	s_mov_b32 s14, s1
	s_lshl_b64 s[4:5], s[4:5], 2
	v_add_nc_u32_e32 v8, s1, v2
	v_ashrrev_i32_e32 v3, 31, v2
	s_add_u32 s4, s10, s4
	s_addc_u32 s5, s11, s5
	v_add_co_u32 v4, s0, s4, v1
	v_add_nc_u32_e32 v10, s1, v8
	s_ashr_i32 s15, s1, 31
	v_add_co_ci_u32_e64 v5, null, s5, 0, s0
	v_lshlrev_b64 v[2:3], 2, v[2:3]
	s_delay_alu instid0(VALU_DEP_3)
	v_add_nc_u32_e32 v14, s1, v10
	v_ashrrev_i32_e32 v9, 31, v8
	s_lshl_b64 s[10:11], s[14:15], 2
	v_ashrrev_i32_e32 v11, 31, v10
	v_add_co_u32 v6, vcc_lo, v4, s10
	v_add_nc_u32_e32 v16, s1, v14
	v_add_co_ci_u32_e32 v7, vcc_lo, s11, v5, vcc_lo
	v_lshlrev_b64 v[12:13], 2, v[8:9]
	v_add_co_u32 v8, vcc_lo, s4, v2
	s_delay_alu instid0(VALU_DEP_4)
	v_add_nc_u32_e32 v18, s1, v16
	v_add_co_ci_u32_e32 v9, vcc_lo, s5, v3, vcc_lo
	v_lshlrev_b64 v[2:3], 2, v[10:11]
	v_ashrrev_i32_e32 v15, 31, v14
	v_add_co_u32 v10, vcc_lo, s4, v12
	v_ashrrev_i32_e32 v17, 31, v16
	v_add_nc_u32_e32 v20, s1, v18
	v_add_co_ci_u32_e32 v11, vcc_lo, s5, v13, vcc_lo
	v_lshlrev_b64 v[14:15], 2, v[14:15]
	v_add_co_u32 v12, vcc_lo, s4, v2
	v_add_co_ci_u32_e32 v13, vcc_lo, s5, v3, vcc_lo
	v_lshlrev_b64 v[2:3], 2, v[16:17]
	v_ashrrev_i32_e32 v19, 31, v18
	v_add_nc_u32_e32 v22, s1, v20
	v_add_co_u32 v14, vcc_lo, s4, v14
	v_ashrrev_i32_e32 v21, 31, v20
	v_add_co_ci_u32_e32 v15, vcc_lo, s5, v15, vcc_lo
	v_lshlrev_b64 v[18:19], 2, v[18:19]
	v_add_co_u32 v16, vcc_lo, s4, v2
	v_add_nc_u32_e32 v24, s1, v22
	v_add_co_ci_u32_e32 v17, vcc_lo, s5, v3, vcc_lo
	v_lshlrev_b64 v[2:3], 2, v[20:21]
	v_ashrrev_i32_e32 v23, 31, v22
	v_add_co_u32 v18, vcc_lo, s4, v18
	v_ashrrev_i32_e32 v25, 31, v24
	v_add_nc_u32_e32 v26, s1, v24
	v_add_co_ci_u32_e32 v19, vcc_lo, s5, v19, vcc_lo
	v_lshlrev_b64 v[22:23], 2, v[22:23]
	v_add_co_u32 v20, vcc_lo, s4, v2
	v_add_co_ci_u32_e32 v21, vcc_lo, s5, v3, vcc_lo
	v_lshlrev_b64 v[2:3], 2, v[24:25]
	v_add_nc_u32_e32 v29, s1, v26
	v_add_co_u32 v22, vcc_lo, s4, v22
	v_ashrrev_i32_e32 v27, 31, v26
	v_add_co_ci_u32_e32 v23, vcc_lo, s5, v23, vcc_lo
	v_add_co_u32 v24, vcc_lo, s4, v2
	v_add_nc_u32_e32 v2, s1, v29
	s_delay_alu instid0(VALU_DEP_4) | instskip(SKIP_2) | instid1(VALU_DEP_4)
	v_lshlrev_b64 v[27:28], 2, v[26:27]
	v_ashrrev_i32_e32 v30, 31, v29
	v_add_co_ci_u32_e32 v25, vcc_lo, s5, v3, vcc_lo
	v_add_nc_u32_e32 v31, s1, v2
	v_ashrrev_i32_e32 v3, 31, v2
	v_add_co_u32 v26, vcc_lo, s4, v27
	v_add_co_ci_u32_e32 v27, vcc_lo, s5, v28, vcc_lo
	s_delay_alu instid0(VALU_DEP_4)
	v_add_nc_u32_e32 v33, s1, v31
	v_lshlrev_b64 v[28:29], 2, v[29:30]
	v_ashrrev_i32_e32 v32, 31, v31
	v_lshlrev_b64 v[2:3], 2, v[2:3]
	global_load_b32 v70, v1, s[4:5]
	v_add_nc_u32_e32 v37, s1, v33
	v_ashrrev_i32_e32 v34, 31, v33
	v_add_co_u32 v28, vcc_lo, s4, v28
	v_lshlrev_b64 v[35:36], 2, v[31:32]
	v_add_co_ci_u32_e32 v29, vcc_lo, s5, v29, vcc_lo
	v_add_co_u32 v30, vcc_lo, s4, v2
	v_ashrrev_i32_e32 v38, 31, v37
	v_add_nc_u32_e32 v39, s1, v37
	v_add_co_ci_u32_e32 v31, vcc_lo, s5, v3, vcc_lo
	v_lshlrev_b64 v[2:3], 2, v[33:34]
	v_add_co_u32 v32, vcc_lo, s4, v35
	v_add_co_ci_u32_e32 v33, vcc_lo, s5, v36, vcc_lo
	v_lshlrev_b64 v[36:37], 2, v[37:38]
	v_ashrrev_i32_e32 v40, 31, v39
	v_add_nc_u32_e32 v38, s1, v39
	v_add_co_u32 v34, vcc_lo, s4, v2
	v_add_co_ci_u32_e32 v35, vcc_lo, s5, v3, vcc_lo
	s_delay_alu instid0(VALU_DEP_4) | instskip(NEXT) | instid1(VALU_DEP_4)
	v_lshlrev_b64 v[2:3], 2, v[39:40]
	v_add_nc_u32_e32 v40, s1, v38
	v_ashrrev_i32_e32 v39, 31, v38
	v_add_co_u32 v36, vcc_lo, s4, v36
	v_add_co_ci_u32_e32 v37, vcc_lo, s5, v37, vcc_lo
	s_delay_alu instid0(VALU_DEP_4) | instskip(SKIP_3) | instid1(VALU_DEP_4)
	v_add_nc_u32_e32 v44, s1, v40
	v_ashrrev_i32_e32 v41, 31, v40
	v_lshlrev_b64 v[42:43], 2, v[38:39]
	v_add_co_u32 v38, vcc_lo, s4, v2
	v_add_nc_u32_e32 v46, s1, v44
	v_add_co_ci_u32_e32 v39, vcc_lo, s5, v3, vcc_lo
	v_lshlrev_b64 v[2:3], 2, v[40:41]
	v_ashrrev_i32_e32 v45, 31, v44
	s_delay_alu instid0(VALU_DEP_4) | instskip(SKIP_3) | instid1(VALU_DEP_4)
	v_add_nc_u32_e32 v48, s1, v46
	v_add_co_u32 v40, vcc_lo, s4, v42
	v_ashrrev_i32_e32 v47, 31, v46
	v_add_co_ci_u32_e32 v41, vcc_lo, s5, v43, vcc_lo
	v_add_nc_u32_e32 v50, s1, v48
	v_lshlrev_b64 v[44:45], 2, v[44:45]
	v_add_co_u32 v42, vcc_lo, s4, v2
	v_add_co_ci_u32_e32 v43, vcc_lo, s5, v3, vcc_lo
	s_delay_alu instid0(VALU_DEP_4) | instskip(SKIP_3) | instid1(VALU_DEP_4)
	v_add_nc_u32_e32 v52, s1, v50
	v_lshlrev_b64 v[2:3], 2, v[46:47]
	v_ashrrev_i32_e32 v49, 31, v48
	v_add_co_u32 v44, vcc_lo, s4, v44
	v_add_nc_u32_e32 v54, s1, v52
	v_ashrrev_i32_e32 v51, 31, v50
	v_add_co_ci_u32_e32 v45, vcc_lo, s5, v45, vcc_lo
	v_lshlrev_b64 v[48:49], 2, v[48:49]
	s_delay_alu instid0(VALU_DEP_4)
	v_add_nc_u32_e32 v56, s1, v54
	v_add_co_u32 v46, vcc_lo, s4, v2
	v_add_co_ci_u32_e32 v47, vcc_lo, s5, v3, vcc_lo
	v_lshlrev_b64 v[2:3], 2, v[50:51]
	v_ashrrev_i32_e32 v53, 31, v52
	v_add_nc_u32_e32 v58, s1, v56
	v_add_co_u32 v48, vcc_lo, s4, v48
	v_ashrrev_i32_e32 v55, 31, v54
	v_add_co_ci_u32_e32 v49, vcc_lo, s5, v49, vcc_lo
	v_lshlrev_b64 v[52:53], 2, v[52:53]
	v_add_nc_u32_e32 v60, s1, v58
	v_add_co_u32 v50, vcc_lo, s4, v2
	v_add_co_ci_u32_e32 v51, vcc_lo, s5, v3, vcc_lo
	v_lshlrev_b64 v[2:3], 2, v[54:55]
	v_ashrrev_i32_e32 v57, 31, v56
	v_add_nc_u32_e32 v62, s1, v60
	v_add_co_u32 v52, vcc_lo, s4, v52
	v_ashrrev_i32_e32 v59, 31, v58
	v_add_co_ci_u32_e32 v53, vcc_lo, s5, v53, vcc_lo
	v_lshlrev_b64 v[56:57], 2, v[56:57]
	v_add_co_u32 v54, vcc_lo, s4, v2
	v_add_nc_u32_e32 v64, s1, v62
	v_add_co_ci_u32_e32 v55, vcc_lo, s5, v3, vcc_lo
	v_lshlrev_b64 v[2:3], 2, v[58:59]
	v_ashrrev_i32_e32 v61, 31, v60
	v_add_co_u32 v56, vcc_lo, s4, v56
	v_ashrrev_i32_e32 v63, 31, v62
	v_add_nc_u32_e32 v66, s1, v64
	v_add_co_ci_u32_e32 v57, vcc_lo, s5, v57, vcc_lo
	v_lshlrev_b64 v[60:61], 2, v[60:61]
	v_add_co_u32 v58, vcc_lo, s4, v2
	v_add_co_ci_u32_e32 v59, vcc_lo, s5, v3, vcc_lo
	v_lshlrev_b64 v[2:3], 2, v[62:63]
	v_ashrrev_i32_e32 v65, 31, v64
	v_add_nc_u32_e32 v68, s1, v66
	v_add_co_u32 v60, vcc_lo, s4, v60
	v_ashrrev_i32_e32 v67, 31, v66
	v_add_co_ci_u32_e32 v61, vcc_lo, s5, v61, vcc_lo
	v_lshlrev_b64 v[64:65], 2, v[64:65]
	v_add_co_u32 v62, vcc_lo, s4, v2
	v_ashrrev_i32_e32 v69, 31, v68
	v_add_co_ci_u32_e32 v63, vcc_lo, s5, v3, vcc_lo
	v_lshlrev_b64 v[2:3], 2, v[66:67]
	v_add_co_u32 v64, vcc_lo, s4, v64
	s_delay_alu instid0(VALU_DEP_4) | instskip(SKIP_1) | instid1(VALU_DEP_4)
	v_lshlrev_b64 v[68:69], 2, v[68:69]
	v_add_co_ci_u32_e32 v65, vcc_lo, s5, v65, vcc_lo
	v_add_co_u32 v66, vcc_lo, s4, v2
	v_add_co_ci_u32_e32 v67, vcc_lo, s5, v3, vcc_lo
	s_delay_alu instid0(VALU_DEP_4)
	v_add_co_u32 v68, vcc_lo, s4, v68
	s_clause 0xf
	global_load_b32 v71, v[6:7], off
	global_load_b32 v72, v[8:9], off
	global_load_b32 v73, v[10:11], off
	global_load_b32 v74, v[12:13], off
	global_load_b32 v75, v[14:15], off
	global_load_b32 v76, v[16:17], off
	global_load_b32 v77, v[18:19], off
	global_load_b32 v78, v[20:21], off
	global_load_b32 v79, v[22:23], off
	global_load_b32 v80, v[24:25], off
	global_load_b32 v81, v[26:27], off
	global_load_b32 v82, v[28:29], off
	global_load_b32 v83, v[30:31], off
	global_load_b32 v84, v[32:33], off
	global_load_b32 v85, v[34:35], off
	global_load_b32 v86, v[36:37], off
	v_add_co_ci_u32_e32 v69, vcc_lo, s5, v69, vcc_lo
	s_clause 0xf
	global_load_b32 v87, v[38:39], off
	global_load_b32 v88, v[40:41], off
	;; [unrolled: 1-line block ×16, first 2 shown]
	s_bitcmp0_b32 s13, 0
	s_mov_b32 s1, -1
	s_waitcnt vmcnt(29)
	scratch_store_b128 off, v[70:73], off
	s_waitcnt vmcnt(25)
	scratch_store_b128 off, v[74:77], off offset:16
	s_waitcnt vmcnt(21)
	scratch_store_b128 off, v[78:81], off offset:32
	;; [unrolled: 2-line block ×7, first 2 shown]
	s_waitcnt vmcnt(0)
	scratch_store_b32 off, v2, off offset:128
	s_cbranch_scc1 .LBB96_138
; %bb.4:
	v_cmp_eq_u32_e64 s0, 0, v0
	s_delay_alu instid0(VALU_DEP_1)
	s_and_saveexec_b32 s1, s0
	s_cbranch_execz .LBB96_6
; %bb.5:
	v_mov_b32_e32 v2, 0
	ds_store_b32 v2, v2 offset:132
.LBB96_6:
	s_or_b32 exec_lo, exec_lo, s1
	s_waitcnt lgkmcnt(0)
	s_waitcnt_vscnt null, 0x0
	s_barrier
	buffer_gl0_inv
	scratch_load_b32 v2, v1, off
	s_mov_b32 s4, exec_lo
	s_waitcnt vmcnt(0)
	v_cmpx_eq_f32_e32 0, v2
	s_cbranch_execz .LBB96_10
; %bb.7:
	v_mov_b32_e32 v2, 0
	s_mov_b32 s5, 0
	ds_load_b32 v3, v2 offset:132
	s_waitcnt lgkmcnt(0)
	v_readfirstlane_b32 s1, v3
	v_add_nc_u32_e32 v3, 1, v0
	s_delay_alu instid0(VALU_DEP_2) | instskip(NEXT) | instid1(VALU_DEP_1)
	s_cmp_eq_u32 s1, 0
	v_cmp_gt_i32_e32 vcc_lo, s1, v3
	s_cselect_b32 s10, -1, 0
	s_delay_alu instid0(SALU_CYCLE_1) | instskip(NEXT) | instid1(SALU_CYCLE_1)
	s_or_b32 s10, s10, vcc_lo
	s_and_b32 exec_lo, exec_lo, s10
	s_cbranch_execz .LBB96_10
; %bb.8:
	v_mov_b32_e32 v70, s1
.LBB96_9:                               ; =>This Inner Loop Header: Depth=1
	ds_cmpstore_rtn_b32 v70, v2, v3, v70 offset:132
	s_waitcnt lgkmcnt(0)
	v_cmp_ne_u32_e32 vcc_lo, 0, v70
	v_cmp_le_i32_e64 s1, v70, v3
	s_delay_alu instid0(VALU_DEP_1) | instskip(NEXT) | instid1(SALU_CYCLE_1)
	s_and_b32 s1, vcc_lo, s1
	s_and_b32 s1, exec_lo, s1
	s_delay_alu instid0(SALU_CYCLE_1) | instskip(NEXT) | instid1(SALU_CYCLE_1)
	s_or_b32 s5, s1, s5
	s_and_not1_b32 exec_lo, exec_lo, s5
	s_cbranch_execnz .LBB96_9
.LBB96_10:
	s_or_b32 exec_lo, exec_lo, s4
	v_mov_b32_e32 v2, 0
	s_barrier
	buffer_gl0_inv
	ds_load_b32 v3, v2 offset:132
	s_and_saveexec_b32 s1, s0
	s_cbranch_execz .LBB96_12
; %bb.11:
	s_lshl_b64 s[4:5], s[8:9], 2
	s_delay_alu instid0(SALU_CYCLE_1)
	s_add_u32 s4, s6, s4
	s_addc_u32 s5, s7, s5
	s_waitcnt lgkmcnt(0)
	global_store_b32 v2, v3, s[4:5]
.LBB96_12:
	s_or_b32 exec_lo, exec_lo, s1
	s_waitcnt lgkmcnt(0)
	v_cmp_ne_u32_e32 vcc_lo, 0, v3
	s_mov_b32 s1, 0
	s_cbranch_vccnz .LBB96_138
; %bb.13:
	v_add_nc_u32_e32 v2, 0, v1
	scratch_load_b32 v3, v2, off
	s_waitcnt vmcnt(0)
	v_div_scale_f32 v70, null, v3, v3, 1.0
	v_div_scale_f32 v73, vcc_lo, 1.0, v3, 1.0
	s_delay_alu instid0(VALU_DEP_2) | instskip(SKIP_2) | instid1(VALU_DEP_1)
	v_rcp_f32_e32 v71, v70
	s_waitcnt_depctr 0xfff
	v_fma_f32 v72, -v70, v71, 1.0
	v_fmac_f32_e32 v71, v72, v71
	s_delay_alu instid0(VALU_DEP_1) | instskip(NEXT) | instid1(VALU_DEP_1)
	v_mul_f32_e32 v72, v73, v71
	v_fma_f32 v74, -v70, v72, v73
	s_delay_alu instid0(VALU_DEP_1) | instskip(NEXT) | instid1(VALU_DEP_1)
	v_fmac_f32_e32 v72, v74, v71
	v_fma_f32 v70, -v70, v72, v73
	s_delay_alu instid0(VALU_DEP_1) | instskip(NEXT) | instid1(VALU_DEP_1)
	v_div_fmas_f32 v70, v70, v71, v72
	v_div_fixup_f32 v3, v70, v3, 1.0
	scratch_store_b32 v2, v3, off
	scratch_load_b32 v70, off, off offset:4
	v_xor_b32_e32 v71, 0x80000000, v3
	v_add_nc_u32_e32 v3, 0x90, v1
	s_waitcnt vmcnt(0)
	ds_store_2addr_b32 v1, v71, v70 offset1:36
	s_waitcnt lgkmcnt(0)
	s_waitcnt_vscnt null, 0x0
	s_barrier
	buffer_gl0_inv
	s_and_saveexec_b32 s1, s0
	s_cbranch_execz .LBB96_15
; %bb.14:
	scratch_load_b32 v70, v2, off
	ds_load_b32 v71, v3
	v_mov_b32_e32 v72, 0
	ds_load_b32 v72, v72 offset:4
	s_waitcnt vmcnt(0) lgkmcnt(1)
	v_fma_f32 v70, v70, v71, 0
	s_waitcnt lgkmcnt(0)
	s_delay_alu instid0(VALU_DEP_1)
	v_mul_f32_e32 v70, v70, v72
	scratch_store_b32 off, v70, off offset:4
.LBB96_15:
	s_or_b32 exec_lo, exec_lo, s1
	s_waitcnt_vscnt null, 0x0
	s_barrier
	buffer_gl0_inv
	scratch_load_b32 v70, off, off offset:8
	s_mov_b32 s1, exec_lo
	s_waitcnt vmcnt(0)
	ds_store_b32 v3, v70
	s_waitcnt lgkmcnt(0)
	s_barrier
	buffer_gl0_inv
	v_cmpx_gt_u32_e32 2, v0
	s_cbranch_execz .LBB96_17
; %bb.16:
	scratch_load_b32 v72, v2, off
	scratch_load_b32 v73, off, off offset:4
	ds_load_b32 v74, v3
	v_mov_b32_e32 v70, 0
	ds_load_2addr_b32 v[70:71], v70 offset0:2 offset1:37
	s_waitcnt vmcnt(1) lgkmcnt(1)
	v_fma_f32 v72, v72, v74, 0
	s_waitcnt vmcnt(0) lgkmcnt(0)
	s_delay_alu instid0(VALU_DEP_1) | instskip(NEXT) | instid1(VALU_DEP_1)
	v_fma_f32 v71, v73, v71, v72
	v_cndmask_b32_e64 v71, v72, v71, s0
	s_delay_alu instid0(VALU_DEP_1)
	v_mul_f32_e32 v70, v71, v70
	scratch_store_b32 off, v70, off offset:8
.LBB96_17:
	s_or_b32 exec_lo, exec_lo, s1
	s_waitcnt_vscnt null, 0x0
	s_barrier
	buffer_gl0_inv
	scratch_load_b32 v71, off, off offset:12
	v_add_nc_u32_e32 v70, -1, v0
	s_mov_b32 s0, exec_lo
	s_waitcnt vmcnt(0)
	ds_store_b32 v3, v71
	s_waitcnt lgkmcnt(0)
	s_barrier
	buffer_gl0_inv
	v_cmpx_gt_u32_e32 3, v0
	s_cbranch_execz .LBB96_21
; %bb.18:
	v_dual_mov_b32 v71, 0 :: v_dual_add_nc_u32 v72, -1, v0
	v_add_nc_u32_e32 v73, 0x90, v1
	v_add_nc_u32_e32 v74, 0, v1
	s_mov_b32 s1, 0
.LBB96_19:                              ; =>This Inner Loop Header: Depth=1
	scratch_load_b32 v75, v74, off
	ds_load_b32 v76, v73
	v_add_nc_u32_e32 v72, 1, v72
	v_add_nc_u32_e32 v73, 4, v73
	v_add_nc_u32_e32 v74, 4, v74
	s_delay_alu instid0(VALU_DEP_3)
	v_cmp_lt_u32_e32 vcc_lo, 1, v72
	s_or_b32 s1, vcc_lo, s1
	s_waitcnt vmcnt(0) lgkmcnt(0)
	v_fmac_f32_e32 v71, v75, v76
	s_and_not1_b32 exec_lo, exec_lo, s1
	s_cbranch_execnz .LBB96_19
; %bb.20:
	s_or_b32 exec_lo, exec_lo, s1
	v_mov_b32_e32 v72, 0
	ds_load_b32 v72, v72 offset:12
	s_waitcnt lgkmcnt(0)
	v_mul_f32_e32 v71, v71, v72
	scratch_store_b32 off, v71, off offset:12
.LBB96_21:
	s_or_b32 exec_lo, exec_lo, s0
	s_waitcnt_vscnt null, 0x0
	s_barrier
	buffer_gl0_inv
	scratch_load_b32 v71, off, off offset:16
	s_mov_b32 s0, exec_lo
	s_waitcnt vmcnt(0)
	ds_store_b32 v3, v71
	s_waitcnt lgkmcnt(0)
	s_barrier
	buffer_gl0_inv
	v_cmpx_gt_u32_e32 4, v0
	s_cbranch_execz .LBB96_25
; %bb.22:
	v_dual_mov_b32 v71, 0 :: v_dual_add_nc_u32 v72, -1, v0
	v_add_nc_u32_e32 v73, 0x90, v1
	v_add_nc_u32_e32 v74, 0, v1
	s_mov_b32 s1, 0
.LBB96_23:                              ; =>This Inner Loop Header: Depth=1
	scratch_load_b32 v75, v74, off
	ds_load_b32 v76, v73
	v_add_nc_u32_e32 v72, 1, v72
	v_add_nc_u32_e32 v73, 4, v73
	v_add_nc_u32_e32 v74, 4, v74
	s_delay_alu instid0(VALU_DEP_3)
	v_cmp_lt_u32_e32 vcc_lo, 2, v72
	s_or_b32 s1, vcc_lo, s1
	s_waitcnt vmcnt(0) lgkmcnt(0)
	v_fmac_f32_e32 v71, v75, v76
	s_and_not1_b32 exec_lo, exec_lo, s1
	s_cbranch_execnz .LBB96_23
; %bb.24:
	s_or_b32 exec_lo, exec_lo, s1
	v_mov_b32_e32 v72, 0
	ds_load_b32 v72, v72 offset:16
	s_waitcnt lgkmcnt(0)
	v_mul_f32_e32 v71, v71, v72
	scratch_store_b32 off, v71, off offset:16
.LBB96_25:
	s_or_b32 exec_lo, exec_lo, s0
	s_waitcnt_vscnt null, 0x0
	s_barrier
	buffer_gl0_inv
	scratch_load_b32 v71, off, off offset:20
	;; [unrolled: 39-line block ×21, first 2 shown]
	s_mov_b32 s0, exec_lo
	s_waitcnt vmcnt(0)
	ds_store_b32 v3, v71
	s_waitcnt lgkmcnt(0)
	s_barrier
	buffer_gl0_inv
	v_cmpx_gt_u32_e32 24, v0
	s_cbranch_execz .LBB96_105
; %bb.102:
	v_dual_mov_b32 v71, 0 :: v_dual_add_nc_u32 v72, -1, v0
	v_add_nc_u32_e32 v73, 0x90, v1
	v_add_nc_u32_e32 v74, 0, v1
	s_mov_b32 s1, 0
.LBB96_103:                             ; =>This Inner Loop Header: Depth=1
	scratch_load_b32 v75, v74, off
	ds_load_b32 v76, v73
	v_add_nc_u32_e32 v72, 1, v72
	v_add_nc_u32_e32 v73, 4, v73
	v_add_nc_u32_e32 v74, 4, v74
	s_delay_alu instid0(VALU_DEP_3)
	v_cmp_lt_u32_e32 vcc_lo, 22, v72
	s_or_b32 s1, vcc_lo, s1
	s_waitcnt vmcnt(0) lgkmcnt(0)
	v_fmac_f32_e32 v71, v75, v76
	s_and_not1_b32 exec_lo, exec_lo, s1
	s_cbranch_execnz .LBB96_103
; %bb.104:
	s_or_b32 exec_lo, exec_lo, s1
	v_mov_b32_e32 v72, 0
	ds_load_b32 v72, v72 offset:96
	s_waitcnt lgkmcnt(0)
	v_mul_f32_e32 v71, v71, v72
	scratch_store_b32 off, v71, off offset:96
.LBB96_105:
	s_or_b32 exec_lo, exec_lo, s0
	s_waitcnt_vscnt null, 0x0
	s_barrier
	buffer_gl0_inv
	scratch_load_b32 v71, off, off offset:100
	s_mov_b32 s0, exec_lo
	s_waitcnt vmcnt(0)
	ds_store_b32 v3, v71
	s_waitcnt lgkmcnt(0)
	s_barrier
	buffer_gl0_inv
	v_cmpx_gt_u32_e32 25, v0
	s_cbranch_execz .LBB96_109
; %bb.106:
	v_dual_mov_b32 v71, 0 :: v_dual_add_nc_u32 v72, -1, v0
	v_add_nc_u32_e32 v73, 0x90, v1
	v_add_nc_u32_e32 v74, 0, v1
	s_mov_b32 s1, 0
.LBB96_107:                             ; =>This Inner Loop Header: Depth=1
	scratch_load_b32 v75, v74, off
	ds_load_b32 v76, v73
	v_add_nc_u32_e32 v72, 1, v72
	v_add_nc_u32_e32 v73, 4, v73
	v_add_nc_u32_e32 v74, 4, v74
	s_delay_alu instid0(VALU_DEP_3)
	v_cmp_lt_u32_e32 vcc_lo, 23, v72
	s_or_b32 s1, vcc_lo, s1
	s_waitcnt vmcnt(0) lgkmcnt(0)
	v_fmac_f32_e32 v71, v75, v76
	s_and_not1_b32 exec_lo, exec_lo, s1
	s_cbranch_execnz .LBB96_107
; %bb.108:
	s_or_b32 exec_lo, exec_lo, s1
	v_mov_b32_e32 v72, 0
	ds_load_b32 v72, v72 offset:100
	s_waitcnt lgkmcnt(0)
	v_mul_f32_e32 v71, v71, v72
	scratch_store_b32 off, v71, off offset:100
.LBB96_109:
	s_or_b32 exec_lo, exec_lo, s0
	s_waitcnt_vscnt null, 0x0
	s_barrier
	buffer_gl0_inv
	scratch_load_b32 v71, off, off offset:104
	;; [unrolled: 39-line block ×7, first 2 shown]
	s_mov_b32 s0, exec_lo
	s_waitcnt vmcnt(0)
	ds_store_b32 v3, v71
	s_waitcnt lgkmcnt(0)
	s_barrier
	buffer_gl0_inv
	v_cmpx_gt_u32_e32 31, v0
	s_cbranch_execz .LBB96_133
; %bb.130:
	v_add_nc_u32_e32 v71, -1, v0
	v_add_nc_u32_e32 v72, 0x90, v1
	v_add_nc_u32_e32 v73, 0, v1
	v_mov_b32_e32 v1, 0
	s_mov_b32 s1, 0
.LBB96_131:                             ; =>This Inner Loop Header: Depth=1
	scratch_load_b32 v74, v73, off
	ds_load_b32 v75, v72
	v_add_nc_u32_e32 v71, 1, v71
	v_add_nc_u32_e32 v72, 4, v72
	;; [unrolled: 1-line block ×3, first 2 shown]
	s_delay_alu instid0(VALU_DEP_3)
	v_cmp_lt_u32_e32 vcc_lo, 29, v71
	s_or_b32 s1, vcc_lo, s1
	s_waitcnt vmcnt(0) lgkmcnt(0)
	v_fmac_f32_e32 v1, v74, v75
	s_and_not1_b32 exec_lo, exec_lo, s1
	s_cbranch_execnz .LBB96_131
; %bb.132:
	s_or_b32 exec_lo, exec_lo, s1
	v_mov_b32_e32 v71, 0
	ds_load_b32 v71, v71 offset:124
	s_waitcnt lgkmcnt(0)
	v_mul_f32_e32 v1, v1, v71
	scratch_store_b32 off, v1, off offset:124
.LBB96_133:
	s_or_b32 exec_lo, exec_lo, s0
	s_waitcnt_vscnt null, 0x0
	s_barrier
	buffer_gl0_inv
	scratch_load_b32 v1, off, off offset:128
	s_mov_b32 s0, exec_lo
	s_waitcnt vmcnt(0)
	ds_store_b32 v3, v1
	s_waitcnt lgkmcnt(0)
	s_barrier
	buffer_gl0_inv
	v_cmpx_ne_u32_e32 32, v0
	s_cbranch_execz .LBB96_137
; %bb.134:
	v_mov_b32_e32 v1, 0
	s_mov_b32 s1, 0
.LBB96_135:                             ; =>This Inner Loop Header: Depth=1
	scratch_load_b32 v71, v2, off
	ds_load_b32 v72, v3
	v_add_nc_u32_e32 v70, 1, v70
	v_add_nc_u32_e32 v3, 4, v3
	s_waitcnt vmcnt(0) lgkmcnt(0)
	v_dual_fmac_f32 v1, v71, v72 :: v_dual_add_nc_u32 v2, 4, v2
	s_delay_alu instid0(VALU_DEP_3) | instskip(SKIP_1) | instid1(SALU_CYCLE_1)
	v_cmp_lt_u32_e32 vcc_lo, 30, v70
	s_or_b32 s1, vcc_lo, s1
	s_and_not1_b32 exec_lo, exec_lo, s1
	s_cbranch_execnz .LBB96_135
; %bb.136:
	s_or_b32 exec_lo, exec_lo, s1
	v_mov_b32_e32 v2, 0
	ds_load_b32 v2, v2 offset:128
	s_waitcnt lgkmcnt(0)
	v_mul_f32_e32 v1, v1, v2
	scratch_store_b32 off, v1, off offset:128
.LBB96_137:
	s_or_b32 exec_lo, exec_lo, s0
	s_mov_b32 s1, -1
	s_waitcnt_vscnt null, 0x0
	s_barrier
	buffer_gl0_inv
.LBB96_138:
	s_and_b32 vcc_lo, exec_lo, s1
	s_cbranch_vccz .LBB96_140
; %bb.139:
	s_lshl_b64 s[0:1], s[8:9], 2
	v_mov_b32_e32 v1, 0
	s_add_u32 s0, s6, s0
	s_addc_u32 s1, s7, s1
	global_load_b32 v1, v1, s[0:1]
	s_waitcnt vmcnt(0)
	v_cmp_ne_u32_e32 vcc_lo, 0, v1
	s_cbranch_vccz .LBB96_141
.LBB96_140:
	s_endpgm
.LBB96_141:
	v_lshl_add_u32 v1, v0, 2, 0x90
	s_mov_b32 s0, exec_lo
	v_cmpx_eq_u32_e32 32, v0
	s_cbranch_execz .LBB96_143
; %bb.142:
	scratch_load_b32 v2, off, off offset:124
	v_mov_b32_e32 v3, 0
	scratch_store_b32 off, v3, off offset:124
	s_waitcnt vmcnt(0)
	ds_store_b32 v1, v2
.LBB96_143:
	s_or_b32 exec_lo, exec_lo, s0
	s_waitcnt lgkmcnt(0)
	s_waitcnt_vscnt null, 0x0
	s_barrier
	buffer_gl0_inv
	scratch_load_b64 v[70:71], off, off offset:124
	v_mov_b32_e32 v2, 0
	s_mov_b32 s0, exec_lo
	ds_load_b32 v3, v2 offset:272
	s_waitcnt vmcnt(0) lgkmcnt(0)
	v_fma_f32 v3, v71, v3, 0
	s_delay_alu instid0(VALU_DEP_1)
	v_sub_f32_e32 v3, v70, v3
	scratch_store_b32 off, v3, off offset:124
	v_cmpx_lt_u32_e32 30, v0
	s_cbranch_execz .LBB96_145
; %bb.144:
	scratch_load_b32 v3, off, off offset:120
	scratch_store_b32 off, v2, off offset:120
	s_waitcnt vmcnt(0)
	ds_store_b32 v1, v3
.LBB96_145:
	s_or_b32 exec_lo, exec_lo, s0
	s_waitcnt lgkmcnt(0)
	s_waitcnt_vscnt null, 0x0
	s_barrier
	buffer_gl0_inv
	scratch_load_b96 v[70:72], off, off offset:120
	ds_load_2addr_b32 v[2:3], v2 offset0:67 offset1:68
	s_mov_b32 s0, exec_lo
	s_waitcnt vmcnt(0) lgkmcnt(0)
	v_fma_f32 v2, v71, v2, 0
	s_delay_alu instid0(VALU_DEP_1) | instskip(NEXT) | instid1(VALU_DEP_1)
	v_fmac_f32_e32 v2, v72, v3
	v_sub_f32_e32 v2, v70, v2
	scratch_store_b32 off, v2, off offset:120
	v_cmpx_lt_u32_e32 29, v0
	s_cbranch_execz .LBB96_147
; %bb.146:
	scratch_load_b32 v2, off, off offset:116
	v_mov_b32_e32 v3, 0
	scratch_store_b32 off, v3, off offset:116
	s_waitcnt vmcnt(0)
	ds_store_b32 v1, v2
.LBB96_147:
	s_or_b32 exec_lo, exec_lo, s0
	s_waitcnt lgkmcnt(0)
	s_waitcnt_vscnt null, 0x0
	s_barrier
	buffer_gl0_inv
	scratch_load_b128 v[70:73], off, off offset:116
	v_mov_b32_e32 v2, 0
	ds_load_b64 v[74:75], v2 offset:264
	ds_load_b32 v3, v2 offset:272
	s_mov_b32 s0, exec_lo
	s_waitcnt vmcnt(0) lgkmcnt(1)
	v_fma_f32 v71, v71, v74, 0
	s_delay_alu instid0(VALU_DEP_1) | instskip(SKIP_1) | instid1(VALU_DEP_1)
	v_fmac_f32_e32 v71, v72, v75
	s_waitcnt lgkmcnt(0)
	v_fmac_f32_e32 v71, v73, v3
	s_delay_alu instid0(VALU_DEP_1)
	v_sub_f32_e32 v3, v70, v71
	scratch_store_b32 off, v3, off offset:116
	v_cmpx_lt_u32_e32 28, v0
	s_cbranch_execz .LBB96_149
; %bb.148:
	scratch_load_b32 v3, off, off offset:112
	scratch_store_b32 off, v2, off offset:112
	s_waitcnt vmcnt(0)
	ds_store_b32 v1, v3
.LBB96_149:
	s_or_b32 exec_lo, exec_lo, s0
	s_waitcnt lgkmcnt(0)
	s_waitcnt_vscnt null, 0x0
	s_barrier
	buffer_gl0_inv
	s_clause 0x1
	scratch_load_b128 v[70:73], off, off offset:112
	scratch_load_b32 v76, off, off offset:128
	ds_load_2addr_b32 v[74:75], v2 offset0:65 offset1:66
	ds_load_2addr_b32 v[2:3], v2 offset0:67 offset1:68
	s_mov_b32 s0, exec_lo
	s_waitcnt vmcnt(1) lgkmcnt(1)
	v_fma_f32 v71, v71, v74, 0
	s_delay_alu instid0(VALU_DEP_1) | instskip(SKIP_1) | instid1(VALU_DEP_1)
	v_fmac_f32_e32 v71, v72, v75
	s_waitcnt lgkmcnt(0)
	v_fmac_f32_e32 v71, v73, v2
	s_waitcnt vmcnt(0)
	s_delay_alu instid0(VALU_DEP_1) | instskip(NEXT) | instid1(VALU_DEP_1)
	v_fmac_f32_e32 v71, v76, v3
	v_sub_f32_e32 v2, v70, v71
	scratch_store_b32 off, v2, off offset:112
	v_cmpx_lt_u32_e32 27, v0
	s_cbranch_execz .LBB96_151
; %bb.150:
	scratch_load_b32 v2, off, off offset:108
	v_mov_b32_e32 v3, 0
	scratch_store_b32 off, v3, off offset:108
	s_waitcnt vmcnt(0)
	ds_store_b32 v1, v2
.LBB96_151:
	s_or_b32 exec_lo, exec_lo, s0
	s_waitcnt lgkmcnt(0)
	s_waitcnt_vscnt null, 0x0
	s_barrier
	buffer_gl0_inv
	s_clause 0x1
	scratch_load_b128 v[70:73], off, off offset:108
	scratch_load_b64 v[78:79], off, off offset:124
	v_mov_b32_e32 v2, 0
	ds_load_b128 v[74:77], v2 offset:256
	ds_load_b32 v3, v2 offset:272
	s_mov_b32 s0, exec_lo
	s_waitcnt vmcnt(1) lgkmcnt(1)
	v_fma_f32 v71, v71, v74, 0
	s_delay_alu instid0(VALU_DEP_1) | instskip(NEXT) | instid1(VALU_DEP_1)
	v_fmac_f32_e32 v71, v72, v75
	v_fmac_f32_e32 v71, v73, v76
	s_waitcnt vmcnt(0)
	s_delay_alu instid0(VALU_DEP_1) | instskip(SKIP_1) | instid1(VALU_DEP_1)
	v_fmac_f32_e32 v71, v78, v77
	s_waitcnt lgkmcnt(0)
	v_fmac_f32_e32 v71, v79, v3
	s_delay_alu instid0(VALU_DEP_1)
	v_sub_f32_e32 v3, v70, v71
	scratch_store_b32 off, v3, off offset:108
	v_cmpx_lt_u32_e32 26, v0
	s_cbranch_execz .LBB96_153
; %bb.152:
	scratch_load_b32 v3, off, off offset:104
	scratch_store_b32 off, v2, off offset:104
	s_waitcnt vmcnt(0)
	ds_store_b32 v1, v3
.LBB96_153:
	s_or_b32 exec_lo, exec_lo, s0
	s_waitcnt lgkmcnt(0)
	s_waitcnt_vscnt null, 0x0
	s_barrier
	buffer_gl0_inv
	s_clause 0x1
	scratch_load_b128 v[70:73], off, off offset:104
	scratch_load_b96 v[74:76], off, off offset:120
	ds_load_2addr_b32 v[77:78], v2 offset0:63 offset1:64
	ds_load_2addr_b32 v[79:80], v2 offset0:65 offset1:66
	;; [unrolled: 1-line block ×3, first 2 shown]
	s_mov_b32 s0, exec_lo
	s_waitcnt vmcnt(1) lgkmcnt(2)
	v_fma_f32 v71, v71, v77, 0
	s_delay_alu instid0(VALU_DEP_1) | instskip(SKIP_1) | instid1(VALU_DEP_1)
	v_fmac_f32_e32 v71, v72, v78
	s_waitcnt lgkmcnt(1)
	v_fmac_f32_e32 v71, v73, v79
	s_waitcnt vmcnt(0)
	s_delay_alu instid0(VALU_DEP_1) | instskip(SKIP_1) | instid1(VALU_DEP_1)
	v_fmac_f32_e32 v71, v74, v80
	s_waitcnt lgkmcnt(0)
	v_fmac_f32_e32 v71, v75, v2
	s_delay_alu instid0(VALU_DEP_1) | instskip(NEXT) | instid1(VALU_DEP_1)
	v_fmac_f32_e32 v71, v76, v3
	v_sub_f32_e32 v2, v70, v71
	scratch_store_b32 off, v2, off offset:104
	v_cmpx_lt_u32_e32 25, v0
	s_cbranch_execz .LBB96_155
; %bb.154:
	scratch_load_b32 v2, off, off offset:100
	v_mov_b32_e32 v3, 0
	scratch_store_b32 off, v3, off offset:100
	s_waitcnt vmcnt(0)
	ds_store_b32 v1, v2
.LBB96_155:
	s_or_b32 exec_lo, exec_lo, s0
	s_waitcnt lgkmcnt(0)
	s_waitcnt_vscnt null, 0x0
	s_barrier
	buffer_gl0_inv
	s_clause 0x1
	scratch_load_b128 v[70:73], off, off offset:100
	scratch_load_b128 v[74:77], off, off offset:116
	v_mov_b32_e32 v2, 0
	ds_load_2addr_b64 v[78:81], v2 offset0:31 offset1:32
	ds_load_b64 v[82:83], v2 offset:264
	s_mov_b32 s0, exec_lo
	s_waitcnt vmcnt(1) lgkmcnt(1)
	v_fma_f32 v3, v71, v78, 0
	s_delay_alu instid0(VALU_DEP_1) | instskip(SKIP_3) | instid1(VALU_DEP_1)
	v_fmac_f32_e32 v3, v72, v79
	ds_load_b32 v71, v2 offset:272
	v_fmac_f32_e32 v3, v73, v80
	s_waitcnt vmcnt(0)
	v_fmac_f32_e32 v3, v74, v81
	s_waitcnt lgkmcnt(1)
	s_delay_alu instid0(VALU_DEP_1) | instskip(NEXT) | instid1(VALU_DEP_1)
	v_fmac_f32_e32 v3, v75, v82
	v_fmac_f32_e32 v3, v76, v83
	s_waitcnt lgkmcnt(0)
	s_delay_alu instid0(VALU_DEP_1) | instskip(NEXT) | instid1(VALU_DEP_1)
	v_fmac_f32_e32 v3, v77, v71
	v_sub_f32_e32 v3, v70, v3
	scratch_store_b32 off, v3, off offset:100
	v_cmpx_lt_u32_e32 24, v0
	s_cbranch_execz .LBB96_157
; %bb.156:
	scratch_load_b32 v3, off, off offset:96
	scratch_store_b32 off, v2, off offset:96
	s_waitcnt vmcnt(0)
	ds_store_b32 v1, v3
.LBB96_157:
	s_or_b32 exec_lo, exec_lo, s0
	s_waitcnt lgkmcnt(0)
	s_waitcnt_vscnt null, 0x0
	s_barrier
	buffer_gl0_inv
	s_clause 0x2
	scratch_load_b128 v[70:73], off, off offset:96
	scratch_load_b128 v[74:77], off, off offset:112
	scratch_load_b32 v84, off, off offset:128
	ds_load_2addr_b32 v[78:79], v2 offset0:61 offset1:62
	ds_load_2addr_b32 v[80:81], v2 offset0:63 offset1:64
	;; [unrolled: 1-line block ×4, first 2 shown]
	s_mov_b32 s0, exec_lo
	s_waitcnt vmcnt(2) lgkmcnt(3)
	v_fma_f32 v71, v71, v78, 0
	s_delay_alu instid0(VALU_DEP_1) | instskip(SKIP_1) | instid1(VALU_DEP_1)
	v_fmac_f32_e32 v71, v72, v79
	s_waitcnt lgkmcnt(2)
	v_fmac_f32_e32 v71, v73, v80
	s_waitcnt vmcnt(1)
	s_delay_alu instid0(VALU_DEP_1) | instskip(SKIP_1) | instid1(VALU_DEP_1)
	v_fmac_f32_e32 v71, v74, v81
	s_waitcnt lgkmcnt(1)
	v_fmac_f32_e32 v71, v75, v82
	s_delay_alu instid0(VALU_DEP_1) | instskip(SKIP_1) | instid1(VALU_DEP_1)
	v_fmac_f32_e32 v71, v76, v83
	s_waitcnt lgkmcnt(0)
	v_fmac_f32_e32 v71, v77, v2
	s_waitcnt vmcnt(0)
	s_delay_alu instid0(VALU_DEP_1) | instskip(NEXT) | instid1(VALU_DEP_1)
	v_fmac_f32_e32 v71, v84, v3
	v_sub_f32_e32 v2, v70, v71
	scratch_store_b32 off, v2, off offset:96
	v_cmpx_lt_u32_e32 23, v0
	s_cbranch_execz .LBB96_159
; %bb.158:
	scratch_load_b32 v2, off, off offset:92
	v_mov_b32_e32 v3, 0
	scratch_store_b32 off, v3, off offset:92
	s_waitcnt vmcnt(0)
	ds_store_b32 v1, v2
.LBB96_159:
	s_or_b32 exec_lo, exec_lo, s0
	s_waitcnt lgkmcnt(0)
	s_waitcnt_vscnt null, 0x0
	s_barrier
	buffer_gl0_inv
	s_clause 0x2
	scratch_load_b128 v[70:73], off, off offset:92
	scratch_load_b128 v[74:77], off, off offset:108
	scratch_load_b64 v[86:87], off, off offset:124
	v_mov_b32_e32 v2, 0
	ds_load_b128 v[78:81], v2 offset:240
	ds_load_b128 v[82:85], v2 offset:256
	s_mov_b32 s0, exec_lo
	s_waitcnt vmcnt(2) lgkmcnt(1)
	v_fma_f32 v3, v71, v78, 0
	s_delay_alu instid0(VALU_DEP_1) | instskip(SKIP_3) | instid1(VALU_DEP_1)
	v_fmac_f32_e32 v3, v72, v79
	ds_load_b32 v71, v2 offset:272
	v_fmac_f32_e32 v3, v73, v80
	s_waitcnt vmcnt(1)
	v_fmac_f32_e32 v3, v74, v81
	s_waitcnt lgkmcnt(1)
	s_delay_alu instid0(VALU_DEP_1) | instskip(NEXT) | instid1(VALU_DEP_1)
	v_fmac_f32_e32 v3, v75, v82
	v_fmac_f32_e32 v3, v76, v83
	s_delay_alu instid0(VALU_DEP_1) | instskip(SKIP_1) | instid1(VALU_DEP_1)
	v_fmac_f32_e32 v3, v77, v84
	s_waitcnt vmcnt(0)
	v_fmac_f32_e32 v3, v86, v85
	s_waitcnt lgkmcnt(0)
	s_delay_alu instid0(VALU_DEP_1) | instskip(NEXT) | instid1(VALU_DEP_1)
	v_fmac_f32_e32 v3, v87, v71
	v_sub_f32_e32 v3, v70, v3
	scratch_store_b32 off, v3, off offset:92
	v_cmpx_lt_u32_e32 22, v0
	s_cbranch_execz .LBB96_161
; %bb.160:
	scratch_load_b32 v3, off, off offset:88
	scratch_store_b32 off, v2, off offset:88
	s_waitcnt vmcnt(0)
	ds_store_b32 v1, v3
.LBB96_161:
	s_or_b32 exec_lo, exec_lo, s0
	s_waitcnt lgkmcnt(0)
	s_waitcnt_vscnt null, 0x0
	s_barrier
	buffer_gl0_inv
	s_clause 0x2
	scratch_load_b128 v[70:73], off, off offset:88
	scratch_load_b128 v[74:77], off, off offset:104
	scratch_load_b96 v[78:80], off, off offset:120
	ds_load_2addr_b32 v[81:82], v2 offset0:59 offset1:60
	ds_load_2addr_b32 v[83:84], v2 offset0:61 offset1:62
	;; [unrolled: 1-line block ×5, first 2 shown]
	s_mov_b32 s0, exec_lo
	s_waitcnt vmcnt(2) lgkmcnt(4)
	v_fma_f32 v71, v71, v81, 0
	s_delay_alu instid0(VALU_DEP_1) | instskip(SKIP_1) | instid1(VALU_DEP_1)
	v_fmac_f32_e32 v71, v72, v82
	s_waitcnt lgkmcnt(3)
	v_fmac_f32_e32 v71, v73, v83
	s_waitcnt vmcnt(1)
	s_delay_alu instid0(VALU_DEP_1) | instskip(SKIP_1) | instid1(VALU_DEP_1)
	v_fmac_f32_e32 v71, v74, v84
	s_waitcnt lgkmcnt(2)
	v_fmac_f32_e32 v71, v75, v85
	s_delay_alu instid0(VALU_DEP_1) | instskip(SKIP_1) | instid1(VALU_DEP_1)
	v_fmac_f32_e32 v71, v76, v86
	s_waitcnt lgkmcnt(1)
	v_fmac_f32_e32 v71, v77, v87
	s_waitcnt vmcnt(0)
	s_delay_alu instid0(VALU_DEP_1) | instskip(SKIP_1) | instid1(VALU_DEP_1)
	v_fmac_f32_e32 v71, v78, v88
	s_waitcnt lgkmcnt(0)
	v_fmac_f32_e32 v71, v79, v2
	s_delay_alu instid0(VALU_DEP_1) | instskip(NEXT) | instid1(VALU_DEP_1)
	v_fmac_f32_e32 v71, v80, v3
	v_sub_f32_e32 v2, v70, v71
	scratch_store_b32 off, v2, off offset:88
	v_cmpx_lt_u32_e32 21, v0
	s_cbranch_execz .LBB96_163
; %bb.162:
	scratch_load_b32 v2, off, off offset:84
	v_mov_b32_e32 v3, 0
	scratch_store_b32 off, v3, off offset:84
	s_waitcnt vmcnt(0)
	ds_store_b32 v1, v2
.LBB96_163:
	s_or_b32 exec_lo, exec_lo, s0
	s_waitcnt lgkmcnt(0)
	s_waitcnt_vscnt null, 0x0
	s_barrier
	buffer_gl0_inv
	s_clause 0x2
	scratch_load_b128 v[70:73], off, off offset:84
	scratch_load_b128 v[74:77], off, off offset:100
	;; [unrolled: 1-line block ×3, first 2 shown]
	v_mov_b32_e32 v2, 0
	ds_load_2addr_b64 v[82:85], v2 offset0:29 offset1:30
	ds_load_2addr_b64 v[86:89], v2 offset0:31 offset1:32
	s_mov_b32 s0, exec_lo
	s_waitcnt vmcnt(2) lgkmcnt(1)
	v_fma_f32 v3, v71, v82, 0
	s_delay_alu instid0(VALU_DEP_1)
	v_fmac_f32_e32 v3, v72, v83
	ds_load_b64 v[71:72], v2 offset:264
	v_fmac_f32_e32 v3, v73, v84
	ds_load_b32 v73, v2 offset:272
	s_waitcnt vmcnt(1)
	v_fmac_f32_e32 v3, v74, v85
	s_waitcnt lgkmcnt(2)
	s_delay_alu instid0(VALU_DEP_1) | instskip(NEXT) | instid1(VALU_DEP_1)
	v_fmac_f32_e32 v3, v75, v86
	v_fmac_f32_e32 v3, v76, v87
	s_delay_alu instid0(VALU_DEP_1) | instskip(SKIP_1) | instid1(VALU_DEP_1)
	v_fmac_f32_e32 v3, v77, v88
	s_waitcnt vmcnt(0)
	v_fmac_f32_e32 v3, v78, v89
	s_waitcnt lgkmcnt(1)
	s_delay_alu instid0(VALU_DEP_1) | instskip(NEXT) | instid1(VALU_DEP_1)
	v_fmac_f32_e32 v3, v79, v71
	v_fmac_f32_e32 v3, v80, v72
	s_waitcnt lgkmcnt(0)
	s_delay_alu instid0(VALU_DEP_1) | instskip(NEXT) | instid1(VALU_DEP_1)
	v_fmac_f32_e32 v3, v81, v73
	v_sub_f32_e32 v3, v70, v3
	scratch_store_b32 off, v3, off offset:84
	v_cmpx_lt_u32_e32 20, v0
	s_cbranch_execz .LBB96_165
; %bb.164:
	scratch_load_b32 v3, off, off offset:80
	scratch_store_b32 off, v2, off offset:80
	s_waitcnt vmcnt(0)
	ds_store_b32 v1, v3
.LBB96_165:
	s_or_b32 exec_lo, exec_lo, s0
	s_waitcnt lgkmcnt(0)
	s_waitcnt_vscnt null, 0x0
	s_barrier
	buffer_gl0_inv
	s_clause 0x3
	scratch_load_b128 v[70:73], off, off offset:80
	scratch_load_b128 v[74:77], off, off offset:96
	scratch_load_b128 v[78:81], off, off offset:112
	scratch_load_b32 v90, off, off offset:128
	ds_load_2addr_b32 v[82:83], v2 offset0:57 offset1:58
	ds_load_2addr_b32 v[84:85], v2 offset0:59 offset1:60
	;; [unrolled: 1-line block ×4, first 2 shown]
	s_mov_b32 s0, exec_lo
	s_waitcnt vmcnt(3) lgkmcnt(3)
	v_fma_f32 v82, v71, v82, 0
	s_delay_alu instid0(VALU_DEP_1)
	v_fmac_f32_e32 v82, v72, v83
	ds_load_2addr_b32 v[71:72], v2 offset0:65 offset1:66
	ds_load_2addr_b32 v[2:3], v2 offset0:67 offset1:68
	s_waitcnt lgkmcnt(4)
	v_fmac_f32_e32 v82, v73, v84
	s_waitcnt vmcnt(2)
	s_delay_alu instid0(VALU_DEP_1) | instskip(SKIP_1) | instid1(VALU_DEP_1)
	v_fmac_f32_e32 v82, v74, v85
	s_waitcnt lgkmcnt(3)
	v_fmac_f32_e32 v82, v75, v86
	s_delay_alu instid0(VALU_DEP_1) | instskip(SKIP_1) | instid1(VALU_DEP_1)
	v_fmac_f32_e32 v82, v76, v87
	s_waitcnt lgkmcnt(2)
	v_fmac_f32_e32 v82, v77, v88
	s_waitcnt vmcnt(1)
	s_delay_alu instid0(VALU_DEP_1) | instskip(SKIP_1) | instid1(VALU_DEP_1)
	v_fmac_f32_e32 v82, v78, v89
	s_waitcnt lgkmcnt(1)
	v_fmac_f32_e32 v82, v79, v71
	s_delay_alu instid0(VALU_DEP_1) | instskip(SKIP_1) | instid1(VALU_DEP_1)
	v_fmac_f32_e32 v82, v80, v72
	s_waitcnt lgkmcnt(0)
	v_fmac_f32_e32 v82, v81, v2
	s_waitcnt vmcnt(0)
	s_delay_alu instid0(VALU_DEP_1) | instskip(NEXT) | instid1(VALU_DEP_1)
	v_fmac_f32_e32 v82, v90, v3
	v_sub_f32_e32 v2, v70, v82
	scratch_store_b32 off, v2, off offset:80
	v_cmpx_lt_u32_e32 19, v0
	s_cbranch_execz .LBB96_167
; %bb.166:
	scratch_load_b32 v2, off, off offset:76
	v_mov_b32_e32 v3, 0
	scratch_store_b32 off, v3, off offset:76
	s_waitcnt vmcnt(0)
	ds_store_b32 v1, v2
.LBB96_167:
	s_or_b32 exec_lo, exec_lo, s0
	s_waitcnt lgkmcnt(0)
	s_waitcnt_vscnt null, 0x0
	s_barrier
	buffer_gl0_inv
	s_clause 0x3
	scratch_load_b128 v[70:73], off, off offset:76
	scratch_load_b128 v[74:77], off, off offset:92
	;; [unrolled: 1-line block ×3, first 2 shown]
	scratch_load_b64 v[90:91], off, off offset:124
	v_mov_b32_e32 v2, 0
	ds_load_b128 v[82:85], v2 offset:224
	ds_load_b128 v[86:89], v2 offset:240
	s_mov_b32 s0, exec_lo
	s_waitcnt vmcnt(3) lgkmcnt(1)
	v_fma_f32 v3, v71, v82, 0
	s_delay_alu instid0(VALU_DEP_1) | instskip(NEXT) | instid1(VALU_DEP_1)
	v_fmac_f32_e32 v3, v72, v83
	v_fmac_f32_e32 v3, v73, v84
	s_waitcnt vmcnt(2)
	s_delay_alu instid0(VALU_DEP_1)
	v_fmac_f32_e32 v3, v74, v85
	ds_load_b128 v[71:74], v2 offset:256
	s_waitcnt lgkmcnt(1)
	v_fmac_f32_e32 v3, v75, v86
	ds_load_b32 v75, v2 offset:272
	v_fmac_f32_e32 v3, v76, v87
	s_delay_alu instid0(VALU_DEP_1) | instskip(SKIP_1) | instid1(VALU_DEP_1)
	v_fmac_f32_e32 v3, v77, v88
	s_waitcnt vmcnt(1)
	v_fmac_f32_e32 v3, v78, v89
	s_waitcnt lgkmcnt(1)
	s_delay_alu instid0(VALU_DEP_1) | instskip(NEXT) | instid1(VALU_DEP_1)
	v_fmac_f32_e32 v3, v79, v71
	v_fmac_f32_e32 v3, v80, v72
	s_delay_alu instid0(VALU_DEP_1) | instskip(SKIP_1) | instid1(VALU_DEP_1)
	v_fmac_f32_e32 v3, v81, v73
	s_waitcnt vmcnt(0)
	v_fmac_f32_e32 v3, v90, v74
	s_waitcnt lgkmcnt(0)
	s_delay_alu instid0(VALU_DEP_1) | instskip(NEXT) | instid1(VALU_DEP_1)
	v_fmac_f32_e32 v3, v91, v75
	v_sub_f32_e32 v3, v70, v3
	scratch_store_b32 off, v3, off offset:76
	v_cmpx_lt_u32_e32 18, v0
	s_cbranch_execz .LBB96_169
; %bb.168:
	scratch_load_b32 v3, off, off offset:72
	scratch_store_b32 off, v2, off offset:72
	s_waitcnt vmcnt(0)
	ds_store_b32 v1, v3
.LBB96_169:
	s_or_b32 exec_lo, exec_lo, s0
	s_waitcnt lgkmcnt(0)
	s_waitcnt_vscnt null, 0x0
	s_barrier
	buffer_gl0_inv
	s_clause 0x3
	scratch_load_b128 v[70:73], off, off offset:72
	scratch_load_b128 v[74:77], off, off offset:88
	;; [unrolled: 1-line block ×3, first 2 shown]
	scratch_load_b96 v[82:84], off, off offset:120
	ds_load_2addr_b32 v[85:86], v2 offset0:55 offset1:56
	ds_load_2addr_b32 v[87:88], v2 offset0:57 offset1:58
	;; [unrolled: 1-line block ×4, first 2 shown]
	s_mov_b32 s0, exec_lo
	s_waitcnt vmcnt(3) lgkmcnt(3)
	v_fma_f32 v85, v71, v85, 0
	s_delay_alu instid0(VALU_DEP_1) | instskip(SKIP_4) | instid1(VALU_DEP_1)
	v_fmac_f32_e32 v85, v72, v86
	ds_load_2addr_b32 v[71:72], v2 offset0:63 offset1:64
	s_waitcnt lgkmcnt(3)
	v_fmac_f32_e32 v85, v73, v87
	s_waitcnt vmcnt(2)
	v_fmac_f32_e32 v85, v74, v88
	ds_load_2addr_b32 v[73:74], v2 offset0:65 offset1:66
	ds_load_2addr_b32 v[2:3], v2 offset0:67 offset1:68
	s_waitcnt lgkmcnt(4)
	v_fmac_f32_e32 v85, v75, v89
	s_delay_alu instid0(VALU_DEP_1) | instskip(SKIP_1) | instid1(VALU_DEP_1)
	v_fmac_f32_e32 v85, v76, v90
	s_waitcnt lgkmcnt(3)
	v_fmac_f32_e32 v85, v77, v91
	s_waitcnt vmcnt(1)
	s_delay_alu instid0(VALU_DEP_1) | instskip(SKIP_1) | instid1(VALU_DEP_1)
	v_fmac_f32_e32 v85, v78, v92
	s_waitcnt lgkmcnt(2)
	v_fmac_f32_e32 v85, v79, v71
	s_delay_alu instid0(VALU_DEP_1) | instskip(SKIP_1) | instid1(VALU_DEP_1)
	v_fmac_f32_e32 v85, v80, v72
	s_waitcnt lgkmcnt(1)
	v_fmac_f32_e32 v85, v81, v73
	s_waitcnt vmcnt(0)
	s_delay_alu instid0(VALU_DEP_1) | instskip(SKIP_1) | instid1(VALU_DEP_1)
	v_fmac_f32_e32 v85, v82, v74
	s_waitcnt lgkmcnt(0)
	v_fmac_f32_e32 v85, v83, v2
	s_delay_alu instid0(VALU_DEP_1) | instskip(NEXT) | instid1(VALU_DEP_1)
	v_fmac_f32_e32 v85, v84, v3
	v_sub_f32_e32 v2, v70, v85
	scratch_store_b32 off, v2, off offset:72
	v_cmpx_lt_u32_e32 17, v0
	s_cbranch_execz .LBB96_171
; %bb.170:
	scratch_load_b32 v2, off, off offset:68
	v_mov_b32_e32 v3, 0
	scratch_store_b32 off, v3, off offset:68
	s_waitcnt vmcnt(0)
	ds_store_b32 v1, v2
.LBB96_171:
	s_or_b32 exec_lo, exec_lo, s0
	s_waitcnt lgkmcnt(0)
	s_waitcnt_vscnt null, 0x0
	s_barrier
	buffer_gl0_inv
	s_clause 0x3
	scratch_load_b128 v[70:73], off, off offset:68
	scratch_load_b128 v[74:77], off, off offset:84
	;; [unrolled: 1-line block ×4, first 2 shown]
	v_mov_b32_e32 v2, 0
	ds_load_2addr_b64 v[86:89], v2 offset0:27 offset1:28
	ds_load_2addr_b64 v[90:93], v2 offset0:29 offset1:30
	s_mov_b32 s0, exec_lo
	s_waitcnt vmcnt(3) lgkmcnt(1)
	v_fma_f32 v3, v71, v86, 0
	s_delay_alu instid0(VALU_DEP_1) | instskip(NEXT) | instid1(VALU_DEP_1)
	v_fmac_f32_e32 v3, v72, v87
	v_fmac_f32_e32 v3, v73, v88
	s_waitcnt vmcnt(2)
	s_delay_alu instid0(VALU_DEP_1) | instskip(SKIP_3) | instid1(VALU_DEP_1)
	v_fmac_f32_e32 v3, v74, v89
	ds_load_2addr_b64 v[71:74], v2 offset0:31 offset1:32
	s_waitcnt lgkmcnt(1)
	v_fmac_f32_e32 v3, v75, v90
	v_fmac_f32_e32 v3, v76, v91
	ds_load_b64 v[75:76], v2 offset:264
	v_fmac_f32_e32 v3, v77, v92
	s_waitcnt vmcnt(1)
	s_delay_alu instid0(VALU_DEP_1) | instskip(SKIP_1) | instid1(VALU_DEP_1)
	v_fmac_f32_e32 v3, v78, v93
	s_waitcnt lgkmcnt(1)
	v_fmac_f32_e32 v3, v79, v71
	ds_load_b32 v71, v2 offset:272
	v_fmac_f32_e32 v3, v80, v72
	s_delay_alu instid0(VALU_DEP_1) | instskip(SKIP_1) | instid1(VALU_DEP_1)
	v_fmac_f32_e32 v3, v81, v73
	s_waitcnt vmcnt(0)
	v_fmac_f32_e32 v3, v82, v74
	s_waitcnt lgkmcnt(1)
	s_delay_alu instid0(VALU_DEP_1) | instskip(NEXT) | instid1(VALU_DEP_1)
	v_fmac_f32_e32 v3, v83, v75
	v_fmac_f32_e32 v3, v84, v76
	s_waitcnt lgkmcnt(0)
	s_delay_alu instid0(VALU_DEP_1) | instskip(NEXT) | instid1(VALU_DEP_1)
	v_fmac_f32_e32 v3, v85, v71
	v_sub_f32_e32 v3, v70, v3
	scratch_store_b32 off, v3, off offset:68
	v_cmpx_lt_u32_e32 16, v0
	s_cbranch_execz .LBB96_173
; %bb.172:
	scratch_load_b32 v3, off, off offset:64
	scratch_store_b32 off, v2, off offset:64
	s_waitcnt vmcnt(0)
	ds_store_b32 v1, v3
.LBB96_173:
	s_or_b32 exec_lo, exec_lo, s0
	s_waitcnt lgkmcnt(0)
	s_waitcnt_vscnt null, 0x0
	s_barrier
	buffer_gl0_inv
	s_clause 0x4
	scratch_load_b128 v[70:73], off, off offset:64
	scratch_load_b128 v[74:77], off, off offset:80
	;; [unrolled: 1-line block ×4, first 2 shown]
	scratch_load_b32 v94, off, off offset:128
	ds_load_2addr_b32 v[86:87], v2 offset0:53 offset1:54
	ds_load_2addr_b32 v[88:89], v2 offset0:55 offset1:56
	;; [unrolled: 1-line block ×4, first 2 shown]
	s_mov_b32 s0, exec_lo
	s_waitcnt vmcnt(4) lgkmcnt(3)
	v_fma_f32 v86, v71, v86, 0
	s_delay_alu instid0(VALU_DEP_1) | instskip(SKIP_4) | instid1(VALU_DEP_1)
	v_fmac_f32_e32 v86, v72, v87
	ds_load_2addr_b32 v[71:72], v2 offset0:61 offset1:62
	s_waitcnt lgkmcnt(3)
	v_fmac_f32_e32 v86, v73, v88
	s_waitcnt vmcnt(3)
	v_fmac_f32_e32 v86, v74, v89
	ds_load_2addr_b32 v[73:74], v2 offset0:63 offset1:64
	s_waitcnt lgkmcnt(3)
	v_fmac_f32_e32 v86, v75, v90
	s_delay_alu instid0(VALU_DEP_1)
	v_fmac_f32_e32 v86, v76, v91
	ds_load_2addr_b32 v[75:76], v2 offset0:65 offset1:66
	ds_load_2addr_b32 v[2:3], v2 offset0:67 offset1:68
	s_waitcnt lgkmcnt(4)
	v_fmac_f32_e32 v86, v77, v92
	s_waitcnt vmcnt(2)
	s_delay_alu instid0(VALU_DEP_1) | instskip(SKIP_1) | instid1(VALU_DEP_1)
	v_fmac_f32_e32 v86, v78, v93
	s_waitcnt lgkmcnt(3)
	v_fmac_f32_e32 v86, v79, v71
	s_delay_alu instid0(VALU_DEP_1) | instskip(SKIP_1) | instid1(VALU_DEP_1)
	v_fmac_f32_e32 v86, v80, v72
	s_waitcnt lgkmcnt(2)
	v_fmac_f32_e32 v86, v81, v73
	s_waitcnt vmcnt(1)
	s_delay_alu instid0(VALU_DEP_1) | instskip(SKIP_1) | instid1(VALU_DEP_1)
	v_fmac_f32_e32 v86, v82, v74
	s_waitcnt lgkmcnt(1)
	v_fmac_f32_e32 v86, v83, v75
	s_delay_alu instid0(VALU_DEP_1) | instskip(SKIP_1) | instid1(VALU_DEP_1)
	v_fmac_f32_e32 v86, v84, v76
	s_waitcnt lgkmcnt(0)
	v_fmac_f32_e32 v86, v85, v2
	s_waitcnt vmcnt(0)
	s_delay_alu instid0(VALU_DEP_1) | instskip(NEXT) | instid1(VALU_DEP_1)
	v_fmac_f32_e32 v86, v94, v3
	v_sub_f32_e32 v2, v70, v86
	scratch_store_b32 off, v2, off offset:64
	v_cmpx_lt_u32_e32 15, v0
	s_cbranch_execz .LBB96_175
; %bb.174:
	scratch_load_b32 v2, off, off offset:60
	v_mov_b32_e32 v3, 0
	scratch_store_b32 off, v3, off offset:60
	s_waitcnt vmcnt(0)
	ds_store_b32 v1, v2
.LBB96_175:
	s_or_b32 exec_lo, exec_lo, s0
	s_waitcnt lgkmcnt(0)
	s_waitcnt_vscnt null, 0x0
	s_barrier
	buffer_gl0_inv
	s_clause 0x4
	scratch_load_b128 v[70:73], off, off offset:60
	scratch_load_b128 v[74:77], off, off offset:76
	;; [unrolled: 1-line block ×4, first 2 shown]
	scratch_load_b64 v[94:95], off, off offset:124
	v_mov_b32_e32 v2, 0
	ds_load_b128 v[86:89], v2 offset:208
	ds_load_b128 v[90:93], v2 offset:224
	s_mov_b32 s0, exec_lo
	s_waitcnt vmcnt(4) lgkmcnt(1)
	v_fma_f32 v3, v71, v86, 0
	s_delay_alu instid0(VALU_DEP_1) | instskip(NEXT) | instid1(VALU_DEP_1)
	v_fmac_f32_e32 v3, v72, v87
	v_fmac_f32_e32 v3, v73, v88
	s_waitcnt vmcnt(3)
	s_delay_alu instid0(VALU_DEP_1) | instskip(SKIP_3) | instid1(VALU_DEP_1)
	v_fmac_f32_e32 v3, v74, v89
	ds_load_b128 v[71:74], v2 offset:240
	s_waitcnt lgkmcnt(1)
	v_fmac_f32_e32 v3, v75, v90
	v_fmac_f32_e32 v3, v76, v91
	s_delay_alu instid0(VALU_DEP_1) | instskip(SKIP_1) | instid1(VALU_DEP_1)
	v_fmac_f32_e32 v3, v77, v92
	s_waitcnt vmcnt(2)
	v_fmac_f32_e32 v3, v78, v93
	ds_load_b128 v[75:78], v2 offset:256
	s_waitcnt lgkmcnt(1)
	v_fmac_f32_e32 v3, v79, v71
	ds_load_b32 v71, v2 offset:272
	v_fmac_f32_e32 v3, v80, v72
	s_delay_alu instid0(VALU_DEP_1) | instskip(SKIP_1) | instid1(VALU_DEP_1)
	v_fmac_f32_e32 v3, v81, v73
	s_waitcnt vmcnt(1)
	v_fmac_f32_e32 v3, v82, v74
	s_waitcnt lgkmcnt(1)
	s_delay_alu instid0(VALU_DEP_1) | instskip(NEXT) | instid1(VALU_DEP_1)
	v_fmac_f32_e32 v3, v83, v75
	v_fmac_f32_e32 v3, v84, v76
	s_delay_alu instid0(VALU_DEP_1) | instskip(SKIP_1) | instid1(VALU_DEP_1)
	v_fmac_f32_e32 v3, v85, v77
	s_waitcnt vmcnt(0)
	v_fmac_f32_e32 v3, v94, v78
	s_waitcnt lgkmcnt(0)
	s_delay_alu instid0(VALU_DEP_1) | instskip(NEXT) | instid1(VALU_DEP_1)
	v_fmac_f32_e32 v3, v95, v71
	v_sub_f32_e32 v3, v70, v3
	scratch_store_b32 off, v3, off offset:60
	v_cmpx_lt_u32_e32 14, v0
	s_cbranch_execz .LBB96_177
; %bb.176:
	scratch_load_b32 v3, off, off offset:56
	scratch_store_b32 off, v2, off offset:56
	s_waitcnt vmcnt(0)
	ds_store_b32 v1, v3
.LBB96_177:
	s_or_b32 exec_lo, exec_lo, s0
	s_waitcnt lgkmcnt(0)
	s_waitcnt_vscnt null, 0x0
	s_barrier
	buffer_gl0_inv
	s_clause 0x4
	scratch_load_b128 v[70:73], off, off offset:56
	scratch_load_b128 v[74:77], off, off offset:72
	;; [unrolled: 1-line block ×4, first 2 shown]
	scratch_load_b96 v[86:88], off, off offset:120
	ds_load_2addr_b32 v[89:90], v2 offset0:51 offset1:52
	ds_load_2addr_b32 v[91:92], v2 offset0:53 offset1:54
	;; [unrolled: 1-line block ×3, first 2 shown]
	s_mov_b32 s0, exec_lo
	s_waitcnt vmcnt(4) lgkmcnt(2)
	v_fma_f32 v89, v71, v89, 0
	s_delay_alu instid0(VALU_DEP_1) | instskip(SKIP_4) | instid1(VALU_DEP_1)
	v_fmac_f32_e32 v89, v72, v90
	ds_load_2addr_b32 v[71:72], v2 offset0:57 offset1:58
	s_waitcnt lgkmcnt(2)
	v_fmac_f32_e32 v89, v73, v91
	s_waitcnt vmcnt(3)
	v_fmac_f32_e32 v89, v74, v92
	ds_load_2addr_b32 v[73:74], v2 offset0:59 offset1:60
	s_waitcnt lgkmcnt(2)
	v_fmac_f32_e32 v89, v75, v93
	s_delay_alu instid0(VALU_DEP_1) | instskip(SKIP_4) | instid1(VALU_DEP_1)
	v_fmac_f32_e32 v89, v76, v94
	ds_load_2addr_b32 v[75:76], v2 offset0:61 offset1:62
	s_waitcnt lgkmcnt(2)
	v_fmac_f32_e32 v89, v77, v71
	s_waitcnt vmcnt(2)
	v_fmac_f32_e32 v89, v78, v72
	ds_load_2addr_b32 v[71:72], v2 offset0:63 offset1:64
	s_waitcnt lgkmcnt(2)
	v_fmac_f32_e32 v89, v79, v73
	s_delay_alu instid0(VALU_DEP_1)
	v_fmac_f32_e32 v89, v80, v74
	ds_load_2addr_b32 v[73:74], v2 offset0:65 offset1:66
	ds_load_2addr_b32 v[2:3], v2 offset0:67 offset1:68
	s_waitcnt lgkmcnt(3)
	v_fmac_f32_e32 v89, v81, v75
	s_waitcnt vmcnt(1)
	s_delay_alu instid0(VALU_DEP_1) | instskip(SKIP_1) | instid1(VALU_DEP_1)
	v_fmac_f32_e32 v89, v82, v76
	s_waitcnt lgkmcnt(2)
	v_fmac_f32_e32 v89, v83, v71
	s_delay_alu instid0(VALU_DEP_1) | instskip(SKIP_1) | instid1(VALU_DEP_1)
	v_fmac_f32_e32 v89, v84, v72
	s_waitcnt lgkmcnt(1)
	v_fmac_f32_e32 v89, v85, v73
	s_waitcnt vmcnt(0)
	s_delay_alu instid0(VALU_DEP_1) | instskip(SKIP_1) | instid1(VALU_DEP_1)
	v_fmac_f32_e32 v89, v86, v74
	s_waitcnt lgkmcnt(0)
	v_fmac_f32_e32 v89, v87, v2
	s_delay_alu instid0(VALU_DEP_1) | instskip(NEXT) | instid1(VALU_DEP_1)
	v_fmac_f32_e32 v89, v88, v3
	v_sub_f32_e32 v2, v70, v89
	scratch_store_b32 off, v2, off offset:56
	v_cmpx_lt_u32_e32 13, v0
	s_cbranch_execz .LBB96_179
; %bb.178:
	scratch_load_b32 v2, off, off offset:52
	v_mov_b32_e32 v3, 0
	scratch_store_b32 off, v3, off offset:52
	s_waitcnt vmcnt(0)
	ds_store_b32 v1, v2
.LBB96_179:
	s_or_b32 exec_lo, exec_lo, s0
	s_waitcnt lgkmcnt(0)
	s_waitcnt_vscnt null, 0x0
	s_barrier
	buffer_gl0_inv
	s_clause 0x4
	scratch_load_b128 v[70:73], off, off offset:52
	scratch_load_b128 v[74:77], off, off offset:68
	;; [unrolled: 1-line block ×5, first 2 shown]
	v_mov_b32_e32 v2, 0
	ds_load_2addr_b64 v[90:93], v2 offset0:25 offset1:26
	ds_load_2addr_b64 v[94:97], v2 offset0:27 offset1:28
	s_mov_b32 s0, exec_lo
	s_waitcnt vmcnt(4) lgkmcnt(1)
	v_fma_f32 v3, v71, v90, 0
	s_delay_alu instid0(VALU_DEP_1) | instskip(NEXT) | instid1(VALU_DEP_1)
	v_fmac_f32_e32 v3, v72, v91
	v_fmac_f32_e32 v3, v73, v92
	s_waitcnt vmcnt(3)
	s_delay_alu instid0(VALU_DEP_1) | instskip(SKIP_3) | instid1(VALU_DEP_1)
	v_fmac_f32_e32 v3, v74, v93
	ds_load_2addr_b64 v[71:74], v2 offset0:29 offset1:30
	s_waitcnt lgkmcnt(1)
	v_fmac_f32_e32 v3, v75, v94
	v_fmac_f32_e32 v3, v76, v95
	s_delay_alu instid0(VALU_DEP_1) | instskip(SKIP_1) | instid1(VALU_DEP_1)
	v_fmac_f32_e32 v3, v77, v96
	s_waitcnt vmcnt(2)
	v_fmac_f32_e32 v3, v78, v97
	ds_load_2addr_b64 v[75:78], v2 offset0:31 offset1:32
	s_waitcnt lgkmcnt(1)
	v_fmac_f32_e32 v3, v79, v71
	s_delay_alu instid0(VALU_DEP_1)
	v_fmac_f32_e32 v3, v80, v72
	ds_load_b64 v[71:72], v2 offset:264
	v_fmac_f32_e32 v3, v81, v73
	ds_load_b32 v73, v2 offset:272
	s_waitcnt vmcnt(1)
	v_fmac_f32_e32 v3, v82, v74
	s_waitcnt lgkmcnt(2)
	s_delay_alu instid0(VALU_DEP_1) | instskip(NEXT) | instid1(VALU_DEP_1)
	v_fmac_f32_e32 v3, v83, v75
	v_fmac_f32_e32 v3, v84, v76
	s_delay_alu instid0(VALU_DEP_1) | instskip(SKIP_1) | instid1(VALU_DEP_1)
	v_fmac_f32_e32 v3, v85, v77
	s_waitcnt vmcnt(0)
	v_fmac_f32_e32 v3, v86, v78
	s_waitcnt lgkmcnt(1)
	s_delay_alu instid0(VALU_DEP_1) | instskip(NEXT) | instid1(VALU_DEP_1)
	v_fmac_f32_e32 v3, v87, v71
	v_fmac_f32_e32 v3, v88, v72
	s_waitcnt lgkmcnt(0)
	s_delay_alu instid0(VALU_DEP_1) | instskip(NEXT) | instid1(VALU_DEP_1)
	v_fmac_f32_e32 v3, v89, v73
	v_sub_f32_e32 v3, v70, v3
	scratch_store_b32 off, v3, off offset:52
	v_cmpx_lt_u32_e32 12, v0
	s_cbranch_execz .LBB96_181
; %bb.180:
	scratch_load_b32 v3, off, off offset:48
	scratch_store_b32 off, v2, off offset:48
	s_waitcnt vmcnt(0)
	ds_store_b32 v1, v3
.LBB96_181:
	s_or_b32 exec_lo, exec_lo, s0
	s_waitcnt lgkmcnt(0)
	s_waitcnt_vscnt null, 0x0
	s_barrier
	buffer_gl0_inv
	s_clause 0x5
	scratch_load_b128 v[70:73], off, off offset:48
	scratch_load_b128 v[74:77], off, off offset:64
	;; [unrolled: 1-line block ×5, first 2 shown]
	scratch_load_b32 v98, off, off offset:128
	ds_load_2addr_b32 v[90:91], v2 offset0:49 offset1:50
	ds_load_2addr_b32 v[92:93], v2 offset0:51 offset1:52
	ds_load_2addr_b32 v[94:95], v2 offset0:53 offset1:54
	ds_load_2addr_b32 v[96:97], v2 offset0:55 offset1:56
	s_mov_b32 s0, exec_lo
	s_waitcnt vmcnt(5) lgkmcnt(3)
	v_fma_f32 v90, v71, v90, 0
	s_delay_alu instid0(VALU_DEP_1) | instskip(SKIP_4) | instid1(VALU_DEP_1)
	v_fmac_f32_e32 v90, v72, v91
	ds_load_2addr_b32 v[71:72], v2 offset0:57 offset1:58
	s_waitcnt lgkmcnt(3)
	v_fmac_f32_e32 v90, v73, v92
	s_waitcnt vmcnt(4)
	v_fmac_f32_e32 v90, v74, v93
	ds_load_2addr_b32 v[73:74], v2 offset0:59 offset1:60
	s_waitcnt lgkmcnt(3)
	v_fmac_f32_e32 v90, v75, v94
	s_delay_alu instid0(VALU_DEP_1) | instskip(SKIP_1) | instid1(VALU_DEP_1)
	v_fmac_f32_e32 v90, v76, v95
	s_waitcnt lgkmcnt(2)
	v_fmac_f32_e32 v90, v77, v96
	s_waitcnt vmcnt(3)
	s_delay_alu instid0(VALU_DEP_1) | instskip(SKIP_4) | instid1(VALU_DEP_1)
	v_fmac_f32_e32 v90, v78, v97
	ds_load_2addr_b32 v[75:76], v2 offset0:61 offset1:62
	ds_load_2addr_b32 v[77:78], v2 offset0:63 offset1:64
	s_waitcnt lgkmcnt(3)
	v_fmac_f32_e32 v90, v79, v71
	v_fmac_f32_e32 v90, v80, v72
	ds_load_2addr_b32 v[71:72], v2 offset0:65 offset1:66
	ds_load_2addr_b32 v[2:3], v2 offset0:67 offset1:68
	s_waitcnt lgkmcnt(4)
	v_fmac_f32_e32 v90, v81, v73
	s_waitcnt vmcnt(2)
	s_delay_alu instid0(VALU_DEP_1) | instskip(SKIP_1) | instid1(VALU_DEP_1)
	v_fmac_f32_e32 v90, v82, v74
	s_waitcnt lgkmcnt(3)
	v_fmac_f32_e32 v90, v83, v75
	s_delay_alu instid0(VALU_DEP_1) | instskip(SKIP_1) | instid1(VALU_DEP_1)
	v_fmac_f32_e32 v90, v84, v76
	s_waitcnt lgkmcnt(2)
	v_fmac_f32_e32 v90, v85, v77
	s_waitcnt vmcnt(1)
	s_delay_alu instid0(VALU_DEP_1) | instskip(SKIP_1) | instid1(VALU_DEP_1)
	v_fmac_f32_e32 v90, v86, v78
	s_waitcnt lgkmcnt(1)
	v_fmac_f32_e32 v90, v87, v71
	s_delay_alu instid0(VALU_DEP_1) | instskip(SKIP_1) | instid1(VALU_DEP_1)
	v_fmac_f32_e32 v90, v88, v72
	s_waitcnt lgkmcnt(0)
	v_fmac_f32_e32 v90, v89, v2
	s_waitcnt vmcnt(0)
	s_delay_alu instid0(VALU_DEP_1) | instskip(NEXT) | instid1(VALU_DEP_1)
	v_fmac_f32_e32 v90, v98, v3
	v_sub_f32_e32 v2, v70, v90
	scratch_store_b32 off, v2, off offset:48
	v_cmpx_lt_u32_e32 11, v0
	s_cbranch_execz .LBB96_183
; %bb.182:
	scratch_load_b32 v2, off, off offset:44
	v_mov_b32_e32 v3, 0
	scratch_store_b32 off, v3, off offset:44
	s_waitcnt vmcnt(0)
	ds_store_b32 v1, v2
.LBB96_183:
	s_or_b32 exec_lo, exec_lo, s0
	s_waitcnt lgkmcnt(0)
	s_waitcnt_vscnt null, 0x0
	s_barrier
	buffer_gl0_inv
	s_clause 0x5
	scratch_load_b128 v[70:73], off, off offset:44
	scratch_load_b128 v[74:77], off, off offset:60
	;; [unrolled: 1-line block ×5, first 2 shown]
	scratch_load_b64 v[98:99], off, off offset:124
	v_mov_b32_e32 v2, 0
	ds_load_b128 v[90:93], v2 offset:192
	ds_load_b128 v[94:97], v2 offset:208
	s_mov_b32 s0, exec_lo
	s_waitcnt vmcnt(5) lgkmcnt(1)
	v_fma_f32 v3, v71, v90, 0
	s_delay_alu instid0(VALU_DEP_1) | instskip(NEXT) | instid1(VALU_DEP_1)
	v_fmac_f32_e32 v3, v72, v91
	v_fmac_f32_e32 v3, v73, v92
	s_waitcnt vmcnt(4)
	s_delay_alu instid0(VALU_DEP_1) | instskip(SKIP_3) | instid1(VALU_DEP_1)
	v_fmac_f32_e32 v3, v74, v93
	ds_load_b128 v[71:74], v2 offset:224
	s_waitcnt lgkmcnt(1)
	v_fmac_f32_e32 v3, v75, v94
	v_fmac_f32_e32 v3, v76, v95
	s_delay_alu instid0(VALU_DEP_1) | instskip(SKIP_1) | instid1(VALU_DEP_1)
	v_fmac_f32_e32 v3, v77, v96
	s_waitcnt vmcnt(3)
	v_fmac_f32_e32 v3, v78, v97
	ds_load_b128 v[75:78], v2 offset:240
	s_waitcnt lgkmcnt(1)
	v_fmac_f32_e32 v3, v79, v71
	s_delay_alu instid0(VALU_DEP_1) | instskip(NEXT) | instid1(VALU_DEP_1)
	v_fmac_f32_e32 v3, v80, v72
	v_fmac_f32_e32 v3, v81, v73
	s_waitcnt vmcnt(2)
	s_delay_alu instid0(VALU_DEP_1)
	v_fmac_f32_e32 v3, v82, v74
	ds_load_b128 v[71:74], v2 offset:256
	s_waitcnt lgkmcnt(1)
	v_fmac_f32_e32 v3, v83, v75
	ds_load_b32 v75, v2 offset:272
	v_fmac_f32_e32 v3, v84, v76
	s_delay_alu instid0(VALU_DEP_1) | instskip(SKIP_1) | instid1(VALU_DEP_1)
	v_fmac_f32_e32 v3, v85, v77
	s_waitcnt vmcnt(1)
	v_fmac_f32_e32 v3, v86, v78
	s_waitcnt lgkmcnt(1)
	s_delay_alu instid0(VALU_DEP_1) | instskip(NEXT) | instid1(VALU_DEP_1)
	v_fmac_f32_e32 v3, v87, v71
	v_fmac_f32_e32 v3, v88, v72
	s_delay_alu instid0(VALU_DEP_1) | instskip(SKIP_1) | instid1(VALU_DEP_1)
	v_fmac_f32_e32 v3, v89, v73
	s_waitcnt vmcnt(0)
	v_fmac_f32_e32 v3, v98, v74
	s_waitcnt lgkmcnt(0)
	s_delay_alu instid0(VALU_DEP_1) | instskip(NEXT) | instid1(VALU_DEP_1)
	v_fmac_f32_e32 v3, v99, v75
	v_sub_f32_e32 v3, v70, v3
	scratch_store_b32 off, v3, off offset:44
	v_cmpx_lt_u32_e32 10, v0
	s_cbranch_execz .LBB96_185
; %bb.184:
	scratch_load_b32 v3, off, off offset:40
	scratch_store_b32 off, v2, off offset:40
	s_waitcnt vmcnt(0)
	ds_store_b32 v1, v3
.LBB96_185:
	s_or_b32 exec_lo, exec_lo, s0
	s_waitcnt lgkmcnt(0)
	s_waitcnt_vscnt null, 0x0
	s_barrier
	buffer_gl0_inv
	s_clause 0x5
	scratch_load_b128 v[70:73], off, off offset:40
	scratch_load_b128 v[74:77], off, off offset:56
	;; [unrolled: 1-line block ×5, first 2 shown]
	scratch_load_b96 v[90:92], off, off offset:120
	ds_load_2addr_b32 v[93:94], v2 offset0:47 offset1:48
	ds_load_2addr_b32 v[95:96], v2 offset0:49 offset1:50
	;; [unrolled: 1-line block ×4, first 2 shown]
	s_mov_b32 s0, exec_lo
	s_waitcnt vmcnt(5) lgkmcnt(3)
	v_fma_f32 v93, v71, v93, 0
	s_delay_alu instid0(VALU_DEP_1) | instskip(SKIP_4) | instid1(VALU_DEP_1)
	v_fmac_f32_e32 v93, v72, v94
	ds_load_2addr_b32 v[71:72], v2 offset0:55 offset1:56
	s_waitcnt lgkmcnt(3)
	v_fmac_f32_e32 v93, v73, v95
	s_waitcnt vmcnt(4)
	v_fmac_f32_e32 v93, v74, v96
	ds_load_2addr_b32 v[73:74], v2 offset0:57 offset1:58
	s_waitcnt lgkmcnt(3)
	v_fmac_f32_e32 v93, v75, v97
	s_delay_alu instid0(VALU_DEP_1) | instskip(SKIP_1) | instid1(VALU_DEP_1)
	v_fmac_f32_e32 v93, v76, v98
	s_waitcnt lgkmcnt(2)
	v_fmac_f32_e32 v93, v77, v99
	s_waitcnt vmcnt(3)
	s_delay_alu instid0(VALU_DEP_1) | instskip(SKIP_4) | instid1(VALU_DEP_1)
	v_fmac_f32_e32 v93, v78, v100
	ds_load_2addr_b32 v[75:76], v2 offset0:59 offset1:60
	ds_load_2addr_b32 v[77:78], v2 offset0:61 offset1:62
	s_waitcnt lgkmcnt(3)
	v_fmac_f32_e32 v93, v79, v71
	v_fmac_f32_e32 v93, v80, v72
	ds_load_2addr_b32 v[71:72], v2 offset0:63 offset1:64
	s_waitcnt lgkmcnt(3)
	v_fmac_f32_e32 v93, v81, v73
	s_waitcnt vmcnt(2)
	s_delay_alu instid0(VALU_DEP_1) | instskip(SKIP_4) | instid1(VALU_DEP_1)
	v_fmac_f32_e32 v93, v82, v74
	ds_load_2addr_b32 v[73:74], v2 offset0:65 offset1:66
	ds_load_2addr_b32 v[2:3], v2 offset0:67 offset1:68
	s_waitcnt lgkmcnt(4)
	v_fmac_f32_e32 v93, v83, v75
	v_fmac_f32_e32 v93, v84, v76
	s_waitcnt lgkmcnt(3)
	s_delay_alu instid0(VALU_DEP_1) | instskip(SKIP_1) | instid1(VALU_DEP_1)
	v_fmac_f32_e32 v93, v85, v77
	s_waitcnt vmcnt(1)
	v_fmac_f32_e32 v93, v86, v78
	s_waitcnt lgkmcnt(2)
	s_delay_alu instid0(VALU_DEP_1) | instskip(NEXT) | instid1(VALU_DEP_1)
	v_fmac_f32_e32 v93, v87, v71
	v_fmac_f32_e32 v93, v88, v72
	s_waitcnt lgkmcnt(1)
	s_delay_alu instid0(VALU_DEP_1) | instskip(SKIP_1) | instid1(VALU_DEP_1)
	v_fmac_f32_e32 v93, v89, v73
	s_waitcnt vmcnt(0)
	v_fmac_f32_e32 v93, v90, v74
	s_waitcnt lgkmcnt(0)
	s_delay_alu instid0(VALU_DEP_1) | instskip(NEXT) | instid1(VALU_DEP_1)
	v_fmac_f32_e32 v93, v91, v2
	v_fmac_f32_e32 v93, v92, v3
	s_delay_alu instid0(VALU_DEP_1)
	v_sub_f32_e32 v2, v70, v93
	scratch_store_b32 off, v2, off offset:40
	v_cmpx_lt_u32_e32 9, v0
	s_cbranch_execz .LBB96_187
; %bb.186:
	scratch_load_b32 v2, off, off offset:36
	v_mov_b32_e32 v3, 0
	scratch_store_b32 off, v3, off offset:36
	s_waitcnt vmcnt(0)
	ds_store_b32 v1, v2
.LBB96_187:
	s_or_b32 exec_lo, exec_lo, s0
	s_waitcnt lgkmcnt(0)
	s_waitcnt_vscnt null, 0x0
	s_barrier
	buffer_gl0_inv
	s_clause 0x5
	scratch_load_b128 v[70:73], off, off offset:36
	scratch_load_b128 v[74:77], off, off offset:52
	;; [unrolled: 1-line block ×6, first 2 shown]
	v_mov_b32_e32 v2, 0
	ds_load_2addr_b64 v[94:97], v2 offset0:23 offset1:24
	ds_load_2addr_b64 v[98:101], v2 offset0:25 offset1:26
	s_mov_b32 s0, exec_lo
	s_waitcnt vmcnt(5) lgkmcnt(1)
	v_fma_f32 v3, v71, v94, 0
	s_delay_alu instid0(VALU_DEP_1) | instskip(NEXT) | instid1(VALU_DEP_1)
	v_fmac_f32_e32 v3, v72, v95
	v_fmac_f32_e32 v3, v73, v96
	s_waitcnt vmcnt(4)
	s_delay_alu instid0(VALU_DEP_1) | instskip(SKIP_3) | instid1(VALU_DEP_1)
	v_fmac_f32_e32 v3, v74, v97
	ds_load_2addr_b64 v[71:74], v2 offset0:27 offset1:28
	s_waitcnt lgkmcnt(1)
	v_fmac_f32_e32 v3, v75, v98
	v_fmac_f32_e32 v3, v76, v99
	s_delay_alu instid0(VALU_DEP_1) | instskip(SKIP_1) | instid1(VALU_DEP_1)
	v_fmac_f32_e32 v3, v77, v100
	s_waitcnt vmcnt(3)
	v_fmac_f32_e32 v3, v78, v101
	ds_load_2addr_b64 v[75:78], v2 offset0:29 offset1:30
	s_waitcnt lgkmcnt(1)
	v_fmac_f32_e32 v3, v79, v71
	s_delay_alu instid0(VALU_DEP_1) | instskip(NEXT) | instid1(VALU_DEP_1)
	v_fmac_f32_e32 v3, v80, v72
	v_fmac_f32_e32 v3, v81, v73
	s_waitcnt vmcnt(2)
	s_delay_alu instid0(VALU_DEP_1) | instskip(SKIP_3) | instid1(VALU_DEP_1)
	v_fmac_f32_e32 v3, v82, v74
	ds_load_2addr_b64 v[71:74], v2 offset0:31 offset1:32
	s_waitcnt lgkmcnt(1)
	v_fmac_f32_e32 v3, v83, v75
	v_fmac_f32_e32 v3, v84, v76
	ds_load_b64 v[75:76], v2 offset:264
	v_fmac_f32_e32 v3, v85, v77
	s_waitcnt vmcnt(1)
	s_delay_alu instid0(VALU_DEP_1) | instskip(SKIP_1) | instid1(VALU_DEP_1)
	v_fmac_f32_e32 v3, v86, v78
	s_waitcnt lgkmcnt(1)
	v_fmac_f32_e32 v3, v87, v71
	ds_load_b32 v71, v2 offset:272
	v_fmac_f32_e32 v3, v88, v72
	s_delay_alu instid0(VALU_DEP_1) | instskip(SKIP_1) | instid1(VALU_DEP_1)
	v_fmac_f32_e32 v3, v89, v73
	s_waitcnt vmcnt(0)
	v_fmac_f32_e32 v3, v90, v74
	s_waitcnt lgkmcnt(1)
	s_delay_alu instid0(VALU_DEP_1) | instskip(NEXT) | instid1(VALU_DEP_1)
	v_fmac_f32_e32 v3, v91, v75
	v_fmac_f32_e32 v3, v92, v76
	s_waitcnt lgkmcnt(0)
	s_delay_alu instid0(VALU_DEP_1) | instskip(NEXT) | instid1(VALU_DEP_1)
	v_fmac_f32_e32 v3, v93, v71
	v_sub_f32_e32 v3, v70, v3
	scratch_store_b32 off, v3, off offset:36
	v_cmpx_lt_u32_e32 8, v0
	s_cbranch_execz .LBB96_189
; %bb.188:
	scratch_load_b32 v3, off, off offset:32
	scratch_store_b32 off, v2, off offset:32
	s_waitcnt vmcnt(0)
	ds_store_b32 v1, v3
.LBB96_189:
	s_or_b32 exec_lo, exec_lo, s0
	s_waitcnt lgkmcnt(0)
	s_waitcnt_vscnt null, 0x0
	s_barrier
	buffer_gl0_inv
	s_clause 0x6
	scratch_load_b128 v[70:73], off, off offset:32
	scratch_load_b128 v[74:77], off, off offset:48
	;; [unrolled: 1-line block ×6, first 2 shown]
	scratch_load_b32 v102, off, off offset:128
	ds_load_2addr_b32 v[94:95], v2 offset0:45 offset1:46
	ds_load_2addr_b32 v[96:97], v2 offset0:47 offset1:48
	;; [unrolled: 1-line block ×4, first 2 shown]
	s_mov_b32 s0, exec_lo
	s_waitcnt vmcnt(6) lgkmcnt(3)
	v_fma_f32 v94, v71, v94, 0
	s_delay_alu instid0(VALU_DEP_1) | instskip(SKIP_4) | instid1(VALU_DEP_1)
	v_fmac_f32_e32 v94, v72, v95
	ds_load_2addr_b32 v[71:72], v2 offset0:53 offset1:54
	s_waitcnt lgkmcnt(3)
	v_fmac_f32_e32 v94, v73, v96
	s_waitcnt vmcnt(5)
	v_fmac_f32_e32 v94, v74, v97
	ds_load_2addr_b32 v[73:74], v2 offset0:55 offset1:56
	s_waitcnt lgkmcnt(3)
	v_fmac_f32_e32 v94, v75, v98
	s_delay_alu instid0(VALU_DEP_1) | instskip(SKIP_1) | instid1(VALU_DEP_1)
	v_fmac_f32_e32 v94, v76, v99
	s_waitcnt lgkmcnt(2)
	v_fmac_f32_e32 v94, v77, v100
	s_waitcnt vmcnt(4)
	s_delay_alu instid0(VALU_DEP_1) | instskip(SKIP_4) | instid1(VALU_DEP_1)
	v_fmac_f32_e32 v94, v78, v101
	ds_load_2addr_b32 v[75:76], v2 offset0:57 offset1:58
	ds_load_2addr_b32 v[77:78], v2 offset0:59 offset1:60
	s_waitcnt lgkmcnt(3)
	v_fmac_f32_e32 v94, v79, v71
	v_fmac_f32_e32 v94, v80, v72
	ds_load_2addr_b32 v[71:72], v2 offset0:61 offset1:62
	s_waitcnt lgkmcnt(3)
	v_fmac_f32_e32 v94, v81, v73
	s_waitcnt vmcnt(3)
	s_delay_alu instid0(VALU_DEP_1) | instskip(SKIP_3) | instid1(VALU_DEP_1)
	v_fmac_f32_e32 v94, v82, v74
	ds_load_2addr_b32 v[73:74], v2 offset0:63 offset1:64
	s_waitcnt lgkmcnt(3)
	v_fmac_f32_e32 v94, v83, v75
	v_fmac_f32_e32 v94, v84, v76
	ds_load_2addr_b32 v[75:76], v2 offset0:65 offset1:66
	ds_load_2addr_b32 v[2:3], v2 offset0:67 offset1:68
	s_waitcnt lgkmcnt(4)
	v_fmac_f32_e32 v94, v85, v77
	s_waitcnt vmcnt(2)
	s_delay_alu instid0(VALU_DEP_1) | instskip(SKIP_1) | instid1(VALU_DEP_1)
	v_fmac_f32_e32 v94, v86, v78
	s_waitcnt lgkmcnt(3)
	v_fmac_f32_e32 v94, v87, v71
	s_delay_alu instid0(VALU_DEP_1) | instskip(SKIP_1) | instid1(VALU_DEP_1)
	v_fmac_f32_e32 v94, v88, v72
	s_waitcnt lgkmcnt(2)
	v_fmac_f32_e32 v94, v89, v73
	s_waitcnt vmcnt(1)
	s_delay_alu instid0(VALU_DEP_1) | instskip(SKIP_1) | instid1(VALU_DEP_1)
	v_fmac_f32_e32 v94, v90, v74
	s_waitcnt lgkmcnt(1)
	v_fmac_f32_e32 v94, v91, v75
	s_delay_alu instid0(VALU_DEP_1) | instskip(SKIP_1) | instid1(VALU_DEP_1)
	v_fmac_f32_e32 v94, v92, v76
	s_waitcnt lgkmcnt(0)
	v_fmac_f32_e32 v94, v93, v2
	s_waitcnt vmcnt(0)
	s_delay_alu instid0(VALU_DEP_1) | instskip(NEXT) | instid1(VALU_DEP_1)
	v_fmac_f32_e32 v94, v102, v3
	v_sub_f32_e32 v2, v70, v94
	scratch_store_b32 off, v2, off offset:32
	v_cmpx_lt_u32_e32 7, v0
	s_cbranch_execz .LBB96_191
; %bb.190:
	scratch_load_b32 v2, off, off offset:28
	v_mov_b32_e32 v3, 0
	scratch_store_b32 off, v3, off offset:28
	s_waitcnt vmcnt(0)
	ds_store_b32 v1, v2
.LBB96_191:
	s_or_b32 exec_lo, exec_lo, s0
	s_waitcnt lgkmcnt(0)
	s_waitcnt_vscnt null, 0x0
	s_barrier
	buffer_gl0_inv
	s_clause 0x6
	scratch_load_b128 v[70:73], off, off offset:28
	scratch_load_b128 v[74:77], off, off offset:44
	;; [unrolled: 1-line block ×6, first 2 shown]
	scratch_load_b64 v[102:103], off, off offset:124
	v_mov_b32_e32 v2, 0
	ds_load_b128 v[94:97], v2 offset:176
	ds_load_b128 v[98:101], v2 offset:192
	s_mov_b32 s0, exec_lo
	s_waitcnt vmcnt(6) lgkmcnt(1)
	v_fma_f32 v3, v71, v94, 0
	s_delay_alu instid0(VALU_DEP_1) | instskip(NEXT) | instid1(VALU_DEP_1)
	v_fmac_f32_e32 v3, v72, v95
	v_fmac_f32_e32 v3, v73, v96
	s_waitcnt vmcnt(5)
	s_delay_alu instid0(VALU_DEP_1) | instskip(SKIP_3) | instid1(VALU_DEP_1)
	v_fmac_f32_e32 v3, v74, v97
	ds_load_b128 v[71:74], v2 offset:208
	s_waitcnt lgkmcnt(1)
	v_fmac_f32_e32 v3, v75, v98
	v_fmac_f32_e32 v3, v76, v99
	s_delay_alu instid0(VALU_DEP_1) | instskip(SKIP_1) | instid1(VALU_DEP_1)
	v_fmac_f32_e32 v3, v77, v100
	s_waitcnt vmcnt(4)
	v_fmac_f32_e32 v3, v78, v101
	ds_load_b128 v[75:78], v2 offset:224
	s_waitcnt lgkmcnt(1)
	v_fmac_f32_e32 v3, v79, v71
	s_delay_alu instid0(VALU_DEP_1) | instskip(NEXT) | instid1(VALU_DEP_1)
	v_fmac_f32_e32 v3, v80, v72
	v_fmac_f32_e32 v3, v81, v73
	s_waitcnt vmcnt(3)
	s_delay_alu instid0(VALU_DEP_1) | instskip(SKIP_3) | instid1(VALU_DEP_1)
	v_fmac_f32_e32 v3, v82, v74
	ds_load_b128 v[71:74], v2 offset:240
	s_waitcnt lgkmcnt(1)
	v_fmac_f32_e32 v3, v83, v75
	v_fmac_f32_e32 v3, v84, v76
	s_delay_alu instid0(VALU_DEP_1) | instskip(SKIP_1) | instid1(VALU_DEP_1)
	v_fmac_f32_e32 v3, v85, v77
	s_waitcnt vmcnt(2)
	v_fmac_f32_e32 v3, v86, v78
	ds_load_b128 v[75:78], v2 offset:256
	s_waitcnt lgkmcnt(1)
	v_fmac_f32_e32 v3, v87, v71
	ds_load_b32 v71, v2 offset:272
	v_fmac_f32_e32 v3, v88, v72
	s_delay_alu instid0(VALU_DEP_1) | instskip(SKIP_1) | instid1(VALU_DEP_1)
	v_fmac_f32_e32 v3, v89, v73
	s_waitcnt vmcnt(1)
	v_fmac_f32_e32 v3, v90, v74
	s_waitcnt lgkmcnt(1)
	s_delay_alu instid0(VALU_DEP_1) | instskip(NEXT) | instid1(VALU_DEP_1)
	v_fmac_f32_e32 v3, v91, v75
	v_fmac_f32_e32 v3, v92, v76
	s_delay_alu instid0(VALU_DEP_1) | instskip(SKIP_1) | instid1(VALU_DEP_1)
	v_fmac_f32_e32 v3, v93, v77
	s_waitcnt vmcnt(0)
	v_fmac_f32_e32 v3, v102, v78
	s_waitcnt lgkmcnt(0)
	s_delay_alu instid0(VALU_DEP_1) | instskip(NEXT) | instid1(VALU_DEP_1)
	v_fmac_f32_e32 v3, v103, v71
	v_sub_f32_e32 v3, v70, v3
	scratch_store_b32 off, v3, off offset:28
	v_cmpx_lt_u32_e32 6, v0
	s_cbranch_execz .LBB96_193
; %bb.192:
	scratch_load_b32 v3, off, off offset:24
	scratch_store_b32 off, v2, off offset:24
	s_waitcnt vmcnt(0)
	ds_store_b32 v1, v3
.LBB96_193:
	s_or_b32 exec_lo, exec_lo, s0
	s_waitcnt lgkmcnt(0)
	s_waitcnt_vscnt null, 0x0
	s_barrier
	buffer_gl0_inv
	s_clause 0x6
	scratch_load_b128 v[70:73], off, off offset:24
	scratch_load_b128 v[74:77], off, off offset:40
	;; [unrolled: 1-line block ×6, first 2 shown]
	scratch_load_b96 v[94:96], off, off offset:120
	ds_load_2addr_b32 v[97:98], v2 offset0:43 offset1:44
	ds_load_2addr_b32 v[99:100], v2 offset0:45 offset1:46
	;; [unrolled: 1-line block ×4, first 2 shown]
	s_mov_b32 s0, exec_lo
	s_waitcnt vmcnt(6) lgkmcnt(3)
	v_fma_f32 v97, v71, v97, 0
	s_delay_alu instid0(VALU_DEP_1) | instskip(SKIP_4) | instid1(VALU_DEP_1)
	v_fmac_f32_e32 v97, v72, v98
	ds_load_2addr_b32 v[71:72], v2 offset0:51 offset1:52
	s_waitcnt lgkmcnt(3)
	v_fmac_f32_e32 v97, v73, v99
	s_waitcnt vmcnt(5)
	v_fmac_f32_e32 v97, v74, v100
	ds_load_2addr_b32 v[73:74], v2 offset0:53 offset1:54
	s_waitcnt lgkmcnt(3)
	v_fmac_f32_e32 v97, v75, v101
	s_delay_alu instid0(VALU_DEP_1) | instskip(SKIP_1) | instid1(VALU_DEP_1)
	v_fmac_f32_e32 v97, v76, v102
	s_waitcnt lgkmcnt(2)
	v_fmac_f32_e32 v97, v77, v103
	s_waitcnt vmcnt(4)
	s_delay_alu instid0(VALU_DEP_1) | instskip(SKIP_4) | instid1(VALU_DEP_1)
	v_fmac_f32_e32 v97, v78, v104
	ds_load_2addr_b32 v[75:76], v2 offset0:55 offset1:56
	ds_load_2addr_b32 v[77:78], v2 offset0:57 offset1:58
	s_waitcnt lgkmcnt(3)
	v_fmac_f32_e32 v97, v79, v71
	v_fmac_f32_e32 v97, v80, v72
	ds_load_2addr_b32 v[71:72], v2 offset0:59 offset1:60
	s_waitcnt lgkmcnt(3)
	v_fmac_f32_e32 v97, v81, v73
	s_waitcnt vmcnt(3)
	s_delay_alu instid0(VALU_DEP_1) | instskip(SKIP_3) | instid1(VALU_DEP_1)
	v_fmac_f32_e32 v97, v82, v74
	ds_load_2addr_b32 v[73:74], v2 offset0:61 offset1:62
	s_waitcnt lgkmcnt(3)
	v_fmac_f32_e32 v97, v83, v75
	v_fmac_f32_e32 v97, v84, v76
	s_waitcnt lgkmcnt(2)
	s_delay_alu instid0(VALU_DEP_1) | instskip(SKIP_1) | instid1(VALU_DEP_1)
	v_fmac_f32_e32 v97, v85, v77
	s_waitcnt vmcnt(2)
	v_fmac_f32_e32 v97, v86, v78
	ds_load_2addr_b32 v[75:76], v2 offset0:63 offset1:64
	ds_load_2addr_b32 v[77:78], v2 offset0:65 offset1:66
	;; [unrolled: 1-line block ×3, first 2 shown]
	s_waitcnt lgkmcnt(4)
	v_fmac_f32_e32 v97, v87, v71
	s_delay_alu instid0(VALU_DEP_1) | instskip(SKIP_1) | instid1(VALU_DEP_1)
	v_fmac_f32_e32 v97, v88, v72
	s_waitcnt lgkmcnt(3)
	v_fmac_f32_e32 v97, v89, v73
	s_waitcnt vmcnt(1)
	s_delay_alu instid0(VALU_DEP_1) | instskip(SKIP_1) | instid1(VALU_DEP_1)
	v_fmac_f32_e32 v97, v90, v74
	s_waitcnt lgkmcnt(2)
	v_fmac_f32_e32 v97, v91, v75
	s_delay_alu instid0(VALU_DEP_1) | instskip(SKIP_1) | instid1(VALU_DEP_1)
	v_fmac_f32_e32 v97, v92, v76
	s_waitcnt lgkmcnt(1)
	v_fmac_f32_e32 v97, v93, v77
	s_waitcnt vmcnt(0)
	s_delay_alu instid0(VALU_DEP_1) | instskip(SKIP_1) | instid1(VALU_DEP_1)
	v_fmac_f32_e32 v97, v94, v78
	s_waitcnt lgkmcnt(0)
	v_fmac_f32_e32 v97, v95, v2
	s_delay_alu instid0(VALU_DEP_1) | instskip(NEXT) | instid1(VALU_DEP_1)
	v_fmac_f32_e32 v97, v96, v3
	v_sub_f32_e32 v2, v70, v97
	scratch_store_b32 off, v2, off offset:24
	v_cmpx_lt_u32_e32 5, v0
	s_cbranch_execz .LBB96_195
; %bb.194:
	scratch_load_b32 v2, off, off offset:20
	v_mov_b32_e32 v3, 0
	scratch_store_b32 off, v3, off offset:20
	s_waitcnt vmcnt(0)
	ds_store_b32 v1, v2
.LBB96_195:
	s_or_b32 exec_lo, exec_lo, s0
	s_waitcnt lgkmcnt(0)
	s_waitcnt_vscnt null, 0x0
	s_barrier
	buffer_gl0_inv
	s_clause 0x6
	scratch_load_b128 v[70:73], off, off offset:20
	scratch_load_b128 v[74:77], off, off offset:36
	;; [unrolled: 1-line block ×7, first 2 shown]
	v_mov_b32_e32 v2, 0
	ds_load_2addr_b64 v[98:101], v2 offset0:21 offset1:22
	ds_load_2addr_b64 v[102:105], v2 offset0:23 offset1:24
	s_mov_b32 s0, exec_lo
	s_waitcnt vmcnt(6) lgkmcnt(1)
	v_fma_f32 v3, v71, v98, 0
	s_delay_alu instid0(VALU_DEP_1) | instskip(NEXT) | instid1(VALU_DEP_1)
	v_fmac_f32_e32 v3, v72, v99
	v_fmac_f32_e32 v3, v73, v100
	s_waitcnt vmcnt(5)
	s_delay_alu instid0(VALU_DEP_1) | instskip(SKIP_3) | instid1(VALU_DEP_1)
	v_fmac_f32_e32 v3, v74, v101
	ds_load_2addr_b64 v[71:74], v2 offset0:25 offset1:26
	s_waitcnt lgkmcnt(1)
	v_fmac_f32_e32 v3, v75, v102
	v_fmac_f32_e32 v3, v76, v103
	s_delay_alu instid0(VALU_DEP_1) | instskip(SKIP_1) | instid1(VALU_DEP_1)
	v_fmac_f32_e32 v3, v77, v104
	s_waitcnt vmcnt(4)
	v_fmac_f32_e32 v3, v78, v105
	ds_load_2addr_b64 v[75:78], v2 offset0:27 offset1:28
	s_waitcnt lgkmcnt(1)
	v_fmac_f32_e32 v3, v79, v71
	s_delay_alu instid0(VALU_DEP_1) | instskip(NEXT) | instid1(VALU_DEP_1)
	v_fmac_f32_e32 v3, v80, v72
	v_fmac_f32_e32 v3, v81, v73
	s_waitcnt vmcnt(3)
	s_delay_alu instid0(VALU_DEP_1) | instskip(SKIP_3) | instid1(VALU_DEP_1)
	v_fmac_f32_e32 v3, v82, v74
	ds_load_2addr_b64 v[71:74], v2 offset0:29 offset1:30
	s_waitcnt lgkmcnt(1)
	v_fmac_f32_e32 v3, v83, v75
	v_fmac_f32_e32 v3, v84, v76
	s_delay_alu instid0(VALU_DEP_1) | instskip(SKIP_1) | instid1(VALU_DEP_1)
	v_fmac_f32_e32 v3, v85, v77
	s_waitcnt vmcnt(2)
	v_fmac_f32_e32 v3, v86, v78
	ds_load_2addr_b64 v[75:78], v2 offset0:31 offset1:32
	s_waitcnt lgkmcnt(1)
	v_fmac_f32_e32 v3, v87, v71
	s_delay_alu instid0(VALU_DEP_1)
	v_fmac_f32_e32 v3, v88, v72
	ds_load_b64 v[71:72], v2 offset:264
	v_fmac_f32_e32 v3, v89, v73
	ds_load_b32 v73, v2 offset:272
	s_waitcnt vmcnt(1)
	v_fmac_f32_e32 v3, v90, v74
	s_waitcnt lgkmcnt(2)
	s_delay_alu instid0(VALU_DEP_1) | instskip(NEXT) | instid1(VALU_DEP_1)
	v_fmac_f32_e32 v3, v91, v75
	v_fmac_f32_e32 v3, v92, v76
	s_delay_alu instid0(VALU_DEP_1) | instskip(SKIP_1) | instid1(VALU_DEP_1)
	v_fmac_f32_e32 v3, v93, v77
	s_waitcnt vmcnt(0)
	v_fmac_f32_e32 v3, v94, v78
	s_waitcnt lgkmcnt(1)
	s_delay_alu instid0(VALU_DEP_1) | instskip(NEXT) | instid1(VALU_DEP_1)
	v_fmac_f32_e32 v3, v95, v71
	v_fmac_f32_e32 v3, v96, v72
	s_waitcnt lgkmcnt(0)
	s_delay_alu instid0(VALU_DEP_1) | instskip(NEXT) | instid1(VALU_DEP_1)
	v_fmac_f32_e32 v3, v97, v73
	v_sub_f32_e32 v3, v70, v3
	scratch_store_b32 off, v3, off offset:20
	v_cmpx_lt_u32_e32 4, v0
	s_cbranch_execz .LBB96_197
; %bb.196:
	scratch_load_b32 v3, off, off offset:16
	scratch_store_b32 off, v2, off offset:16
	s_waitcnt vmcnt(0)
	ds_store_b32 v1, v3
.LBB96_197:
	s_or_b32 exec_lo, exec_lo, s0
	s_waitcnt lgkmcnt(0)
	s_waitcnt_vscnt null, 0x0
	s_barrier
	buffer_gl0_inv
	s_clause 0x7
	scratch_load_b128 v[70:73], off, off offset:16
	scratch_load_b128 v[74:77], off, off offset:32
	;; [unrolled: 1-line block ×7, first 2 shown]
	scratch_load_b32 v106, off, off offset:128
	ds_load_2addr_b32 v[98:99], v2 offset0:41 offset1:42
	ds_load_2addr_b32 v[100:101], v2 offset0:43 offset1:44
	;; [unrolled: 1-line block ×4, first 2 shown]
	s_mov_b32 s0, exec_lo
	s_waitcnt vmcnt(7) lgkmcnt(3)
	v_fma_f32 v98, v71, v98, 0
	s_delay_alu instid0(VALU_DEP_1) | instskip(SKIP_4) | instid1(VALU_DEP_1)
	v_fmac_f32_e32 v98, v72, v99
	ds_load_2addr_b32 v[71:72], v2 offset0:49 offset1:50
	s_waitcnt lgkmcnt(3)
	v_fmac_f32_e32 v98, v73, v100
	s_waitcnt vmcnt(6)
	v_fmac_f32_e32 v98, v74, v101
	ds_load_2addr_b32 v[73:74], v2 offset0:51 offset1:52
	s_waitcnt lgkmcnt(3)
	v_fmac_f32_e32 v98, v75, v102
	s_delay_alu instid0(VALU_DEP_1) | instskip(SKIP_1) | instid1(VALU_DEP_1)
	v_fmac_f32_e32 v98, v76, v103
	s_waitcnt lgkmcnt(2)
	v_fmac_f32_e32 v98, v77, v104
	s_waitcnt vmcnt(5)
	s_delay_alu instid0(VALU_DEP_1) | instskip(SKIP_4) | instid1(VALU_DEP_1)
	v_fmac_f32_e32 v98, v78, v105
	ds_load_2addr_b32 v[75:76], v2 offset0:53 offset1:54
	ds_load_2addr_b32 v[77:78], v2 offset0:55 offset1:56
	s_waitcnt lgkmcnt(3)
	v_fmac_f32_e32 v98, v79, v71
	v_fmac_f32_e32 v98, v80, v72
	ds_load_2addr_b32 v[71:72], v2 offset0:57 offset1:58
	s_waitcnt lgkmcnt(3)
	v_fmac_f32_e32 v98, v81, v73
	s_waitcnt vmcnt(4)
	s_delay_alu instid0(VALU_DEP_1) | instskip(SKIP_3) | instid1(VALU_DEP_1)
	v_fmac_f32_e32 v98, v82, v74
	ds_load_2addr_b32 v[73:74], v2 offset0:59 offset1:60
	s_waitcnt lgkmcnt(3)
	v_fmac_f32_e32 v98, v83, v75
	v_fmac_f32_e32 v98, v84, v76
	s_waitcnt lgkmcnt(2)
	s_delay_alu instid0(VALU_DEP_1) | instskip(SKIP_1) | instid1(VALU_DEP_1)
	v_fmac_f32_e32 v98, v85, v77
	s_waitcnt vmcnt(3)
	v_fmac_f32_e32 v98, v86, v78
	ds_load_2addr_b32 v[75:76], v2 offset0:61 offset1:62
	ds_load_2addr_b32 v[77:78], v2 offset0:63 offset1:64
	s_waitcnt lgkmcnt(3)
	v_fmac_f32_e32 v98, v87, v71
	s_delay_alu instid0(VALU_DEP_1)
	v_fmac_f32_e32 v98, v88, v72
	ds_load_2addr_b32 v[71:72], v2 offset0:65 offset1:66
	ds_load_2addr_b32 v[2:3], v2 offset0:67 offset1:68
	s_waitcnt lgkmcnt(4)
	v_fmac_f32_e32 v98, v89, v73
	s_waitcnt vmcnt(2)
	s_delay_alu instid0(VALU_DEP_1) | instskip(SKIP_1) | instid1(VALU_DEP_1)
	v_fmac_f32_e32 v98, v90, v74
	s_waitcnt lgkmcnt(3)
	v_fmac_f32_e32 v98, v91, v75
	s_delay_alu instid0(VALU_DEP_1) | instskip(SKIP_1) | instid1(VALU_DEP_1)
	v_fmac_f32_e32 v98, v92, v76
	s_waitcnt lgkmcnt(2)
	v_fmac_f32_e32 v98, v93, v77
	s_waitcnt vmcnt(1)
	s_delay_alu instid0(VALU_DEP_1) | instskip(SKIP_1) | instid1(VALU_DEP_1)
	v_fmac_f32_e32 v98, v94, v78
	s_waitcnt lgkmcnt(1)
	v_fmac_f32_e32 v98, v95, v71
	s_delay_alu instid0(VALU_DEP_1) | instskip(SKIP_1) | instid1(VALU_DEP_1)
	v_fmac_f32_e32 v98, v96, v72
	s_waitcnt lgkmcnt(0)
	v_fmac_f32_e32 v98, v97, v2
	s_waitcnt vmcnt(0)
	s_delay_alu instid0(VALU_DEP_1) | instskip(NEXT) | instid1(VALU_DEP_1)
	v_fmac_f32_e32 v98, v106, v3
	v_sub_f32_e32 v2, v70, v98
	scratch_store_b32 off, v2, off offset:16
	v_cmpx_lt_u32_e32 3, v0
	s_cbranch_execz .LBB96_199
; %bb.198:
	scratch_load_b32 v2, off, off offset:12
	v_mov_b32_e32 v3, 0
	scratch_store_b32 off, v3, off offset:12
	s_waitcnt vmcnt(0)
	ds_store_b32 v1, v2
.LBB96_199:
	s_or_b32 exec_lo, exec_lo, s0
	s_waitcnt lgkmcnt(0)
	s_waitcnt_vscnt null, 0x0
	s_barrier
	buffer_gl0_inv
	s_clause 0x7
	scratch_load_b128 v[70:73], off, off offset:12
	scratch_load_b128 v[74:77], off, off offset:28
	;; [unrolled: 1-line block ×7, first 2 shown]
	scratch_load_b64 v[106:107], off, off offset:124
	v_mov_b32_e32 v2, 0
	ds_load_b128 v[98:101], v2 offset:160
	ds_load_b128 v[102:105], v2 offset:176
	s_mov_b32 s0, exec_lo
	s_waitcnt vmcnt(7) lgkmcnt(1)
	v_fma_f32 v3, v71, v98, 0
	s_delay_alu instid0(VALU_DEP_1) | instskip(NEXT) | instid1(VALU_DEP_1)
	v_fmac_f32_e32 v3, v72, v99
	v_fmac_f32_e32 v3, v73, v100
	s_waitcnt vmcnt(6)
	s_delay_alu instid0(VALU_DEP_1) | instskip(SKIP_3) | instid1(VALU_DEP_1)
	v_fmac_f32_e32 v3, v74, v101
	ds_load_b128 v[71:74], v2 offset:192
	s_waitcnt lgkmcnt(1)
	v_fmac_f32_e32 v3, v75, v102
	v_fmac_f32_e32 v3, v76, v103
	s_delay_alu instid0(VALU_DEP_1) | instskip(SKIP_1) | instid1(VALU_DEP_1)
	v_fmac_f32_e32 v3, v77, v104
	s_waitcnt vmcnt(5)
	v_fmac_f32_e32 v3, v78, v105
	ds_load_b128 v[75:78], v2 offset:208
	s_waitcnt lgkmcnt(1)
	v_fmac_f32_e32 v3, v79, v71
	s_delay_alu instid0(VALU_DEP_1) | instskip(NEXT) | instid1(VALU_DEP_1)
	v_fmac_f32_e32 v3, v80, v72
	v_fmac_f32_e32 v3, v81, v73
	s_waitcnt vmcnt(4)
	s_delay_alu instid0(VALU_DEP_1) | instskip(SKIP_3) | instid1(VALU_DEP_1)
	v_fmac_f32_e32 v3, v82, v74
	ds_load_b128 v[71:74], v2 offset:224
	s_waitcnt lgkmcnt(1)
	v_fmac_f32_e32 v3, v83, v75
	v_fmac_f32_e32 v3, v84, v76
	s_delay_alu instid0(VALU_DEP_1) | instskip(SKIP_1) | instid1(VALU_DEP_1)
	v_fmac_f32_e32 v3, v85, v77
	s_waitcnt vmcnt(3)
	v_fmac_f32_e32 v3, v86, v78
	ds_load_b128 v[75:78], v2 offset:240
	s_waitcnt lgkmcnt(1)
	v_fmac_f32_e32 v3, v87, v71
	s_delay_alu instid0(VALU_DEP_1) | instskip(NEXT) | instid1(VALU_DEP_1)
	v_fmac_f32_e32 v3, v88, v72
	v_fmac_f32_e32 v3, v89, v73
	s_waitcnt vmcnt(2)
	s_delay_alu instid0(VALU_DEP_1)
	v_fmac_f32_e32 v3, v90, v74
	ds_load_b128 v[71:74], v2 offset:256
	s_waitcnt lgkmcnt(1)
	v_fmac_f32_e32 v3, v91, v75
	ds_load_b32 v75, v2 offset:272
	v_fmac_f32_e32 v3, v92, v76
	s_delay_alu instid0(VALU_DEP_1) | instskip(SKIP_1) | instid1(VALU_DEP_1)
	v_fmac_f32_e32 v3, v93, v77
	s_waitcnt vmcnt(1)
	v_fmac_f32_e32 v3, v94, v78
	s_waitcnt lgkmcnt(1)
	s_delay_alu instid0(VALU_DEP_1) | instskip(NEXT) | instid1(VALU_DEP_1)
	v_fmac_f32_e32 v3, v95, v71
	v_fmac_f32_e32 v3, v96, v72
	s_delay_alu instid0(VALU_DEP_1) | instskip(SKIP_1) | instid1(VALU_DEP_1)
	v_fmac_f32_e32 v3, v97, v73
	s_waitcnt vmcnt(0)
	v_fmac_f32_e32 v3, v106, v74
	s_waitcnt lgkmcnt(0)
	s_delay_alu instid0(VALU_DEP_1) | instskip(NEXT) | instid1(VALU_DEP_1)
	v_fmac_f32_e32 v3, v107, v75
	v_sub_f32_e32 v3, v70, v3
	scratch_store_b32 off, v3, off offset:12
	v_cmpx_lt_u32_e32 2, v0
	s_cbranch_execz .LBB96_201
; %bb.200:
	scratch_load_b32 v3, off, off offset:8
	scratch_store_b32 off, v2, off offset:8
	s_waitcnt vmcnt(0)
	ds_store_b32 v1, v3
.LBB96_201:
	s_or_b32 exec_lo, exec_lo, s0
	s_waitcnt lgkmcnt(0)
	s_waitcnt_vscnt null, 0x0
	s_barrier
	buffer_gl0_inv
	s_clause 0x7
	scratch_load_b128 v[70:73], off, off offset:8
	scratch_load_b128 v[74:77], off, off offset:24
	;; [unrolled: 1-line block ×7, first 2 shown]
	scratch_load_b96 v[98:100], off, off offset:120
	ds_load_2addr_b32 v[101:102], v2 offset0:39 offset1:40
	ds_load_2addr_b32 v[103:104], v2 offset0:41 offset1:42
	;; [unrolled: 1-line block ×4, first 2 shown]
	s_mov_b32 s0, exec_lo
	s_waitcnt vmcnt(7) lgkmcnt(3)
	v_fma_f32 v101, v71, v101, 0
	s_delay_alu instid0(VALU_DEP_1) | instskip(SKIP_4) | instid1(VALU_DEP_1)
	v_fmac_f32_e32 v101, v72, v102
	ds_load_2addr_b32 v[71:72], v2 offset0:47 offset1:48
	s_waitcnt lgkmcnt(3)
	v_fmac_f32_e32 v101, v73, v103
	s_waitcnt vmcnt(6)
	v_fmac_f32_e32 v101, v74, v104
	ds_load_2addr_b32 v[73:74], v2 offset0:49 offset1:50
	s_waitcnt lgkmcnt(3)
	v_fmac_f32_e32 v101, v75, v105
	s_delay_alu instid0(VALU_DEP_1) | instskip(SKIP_1) | instid1(VALU_DEP_1)
	v_fmac_f32_e32 v101, v76, v106
	s_waitcnt lgkmcnt(2)
	v_fmac_f32_e32 v101, v77, v107
	s_waitcnt vmcnt(5)
	s_delay_alu instid0(VALU_DEP_1) | instskip(SKIP_4) | instid1(VALU_DEP_1)
	v_fmac_f32_e32 v101, v78, v108
	ds_load_2addr_b32 v[75:76], v2 offset0:51 offset1:52
	ds_load_2addr_b32 v[77:78], v2 offset0:53 offset1:54
	s_waitcnt lgkmcnt(3)
	v_fmac_f32_e32 v101, v79, v71
	v_fmac_f32_e32 v101, v80, v72
	ds_load_2addr_b32 v[71:72], v2 offset0:55 offset1:56
	s_waitcnt lgkmcnt(3)
	v_fmac_f32_e32 v101, v81, v73
	s_waitcnt vmcnt(4)
	s_delay_alu instid0(VALU_DEP_1) | instskip(SKIP_3) | instid1(VALU_DEP_1)
	v_fmac_f32_e32 v101, v82, v74
	ds_load_2addr_b32 v[73:74], v2 offset0:57 offset1:58
	s_waitcnt lgkmcnt(3)
	v_fmac_f32_e32 v101, v83, v75
	v_fmac_f32_e32 v101, v84, v76
	s_waitcnt lgkmcnt(2)
	s_delay_alu instid0(VALU_DEP_1) | instskip(SKIP_1) | instid1(VALU_DEP_1)
	v_fmac_f32_e32 v101, v85, v77
	s_waitcnt vmcnt(3)
	v_fmac_f32_e32 v101, v86, v78
	ds_load_2addr_b32 v[75:76], v2 offset0:59 offset1:60
	ds_load_2addr_b32 v[77:78], v2 offset0:61 offset1:62
	s_waitcnt lgkmcnt(3)
	v_fmac_f32_e32 v101, v87, v71
	s_delay_alu instid0(VALU_DEP_1) | instskip(SKIP_4) | instid1(VALU_DEP_1)
	v_fmac_f32_e32 v101, v88, v72
	ds_load_2addr_b32 v[71:72], v2 offset0:63 offset1:64
	s_waitcnt lgkmcnt(3)
	v_fmac_f32_e32 v101, v89, v73
	s_waitcnt vmcnt(2)
	v_fmac_f32_e32 v101, v90, v74
	ds_load_2addr_b32 v[73:74], v2 offset0:65 offset1:66
	ds_load_2addr_b32 v[2:3], v2 offset0:67 offset1:68
	s_waitcnt lgkmcnt(4)
	v_fmac_f32_e32 v101, v91, v75
	s_delay_alu instid0(VALU_DEP_1) | instskip(SKIP_1) | instid1(VALU_DEP_1)
	v_fmac_f32_e32 v101, v92, v76
	s_waitcnt lgkmcnt(3)
	v_fmac_f32_e32 v101, v93, v77
	s_waitcnt vmcnt(1)
	s_delay_alu instid0(VALU_DEP_1) | instskip(SKIP_1) | instid1(VALU_DEP_1)
	v_fmac_f32_e32 v101, v94, v78
	s_waitcnt lgkmcnt(2)
	v_fmac_f32_e32 v101, v95, v71
	s_delay_alu instid0(VALU_DEP_1) | instskip(SKIP_1) | instid1(VALU_DEP_1)
	v_fmac_f32_e32 v101, v96, v72
	s_waitcnt lgkmcnt(1)
	v_fmac_f32_e32 v101, v97, v73
	s_waitcnt vmcnt(0)
	s_delay_alu instid0(VALU_DEP_1) | instskip(SKIP_1) | instid1(VALU_DEP_1)
	v_fmac_f32_e32 v101, v98, v74
	s_waitcnt lgkmcnt(0)
	v_fmac_f32_e32 v101, v99, v2
	s_delay_alu instid0(VALU_DEP_1) | instskip(NEXT) | instid1(VALU_DEP_1)
	v_fmac_f32_e32 v101, v100, v3
	v_sub_f32_e32 v2, v70, v101
	scratch_store_b32 off, v2, off offset:8
	v_cmpx_lt_u32_e32 1, v0
	s_cbranch_execz .LBB96_203
; %bb.202:
	scratch_load_b32 v2, off, off offset:4
	v_mov_b32_e32 v3, 0
	scratch_store_b32 off, v3, off offset:4
	s_waitcnt vmcnt(0)
	ds_store_b32 v1, v2
.LBB96_203:
	s_or_b32 exec_lo, exec_lo, s0
	s_waitcnt lgkmcnt(0)
	s_waitcnt_vscnt null, 0x0
	s_barrier
	buffer_gl0_inv
	s_clause 0x7
	scratch_load_b128 v[71:74], off, off offset:4
	scratch_load_b128 v[75:78], off, off offset:20
	;; [unrolled: 1-line block ×8, first 2 shown]
	v_mov_b32_e32 v70, 0
	ds_load_2addr_b64 v[103:106], v70 offset0:19 offset1:20
	ds_load_2addr_b64 v[107:110], v70 offset0:21 offset1:22
	s_mov_b32 s0, exec_lo
	s_waitcnt vmcnt(7) lgkmcnt(1)
	v_fma_f32 v103, v72, v103, 0
	s_delay_alu instid0(VALU_DEP_1) | instskip(SKIP_3) | instid1(VALU_DEP_1)
	v_fmac_f32_e32 v103, v73, v104
	ds_load_b64 v[2:3], v70 offset:264
	v_fmac_f32_e32 v103, v74, v105
	s_waitcnt vmcnt(6)
	v_fmac_f32_e32 v103, v75, v106
	ds_load_2addr_b64 v[72:75], v70 offset0:23 offset1:24
	s_waitcnt lgkmcnt(2)
	v_fmac_f32_e32 v103, v76, v107
	s_delay_alu instid0(VALU_DEP_1) | instskip(NEXT) | instid1(VALU_DEP_1)
	v_fmac_f32_e32 v103, v77, v108
	v_fmac_f32_e32 v103, v78, v109
	s_waitcnt vmcnt(5)
	s_delay_alu instid0(VALU_DEP_1) | instskip(SKIP_3) | instid1(VALU_DEP_1)
	v_fmac_f32_e32 v103, v79, v110
	ds_load_2addr_b64 v[76:79], v70 offset0:25 offset1:26
	s_waitcnt lgkmcnt(1)
	v_fmac_f32_e32 v103, v80, v72
	v_fmac_f32_e32 v103, v81, v73
	s_delay_alu instid0(VALU_DEP_1) | instskip(SKIP_1) | instid1(VALU_DEP_1)
	v_fmac_f32_e32 v103, v82, v74
	s_waitcnt vmcnt(4)
	v_fmac_f32_e32 v103, v83, v75
	ds_load_2addr_b64 v[72:75], v70 offset0:27 offset1:28
	s_waitcnt lgkmcnt(1)
	v_fmac_f32_e32 v103, v84, v76
	s_delay_alu instid0(VALU_DEP_1) | instskip(NEXT) | instid1(VALU_DEP_1)
	v_fmac_f32_e32 v103, v85, v77
	v_fmac_f32_e32 v103, v86, v78
	s_waitcnt vmcnt(3)
	s_delay_alu instid0(VALU_DEP_1) | instskip(SKIP_3) | instid1(VALU_DEP_1)
	v_fmac_f32_e32 v103, v87, v79
	ds_load_2addr_b64 v[76:79], v70 offset0:29 offset1:30
	s_waitcnt lgkmcnt(1)
	v_fmac_f32_e32 v103, v88, v72
	v_fmac_f32_e32 v103, v89, v73
	s_delay_alu instid0(VALU_DEP_1) | instskip(SKIP_1) | instid1(VALU_DEP_1)
	v_fmac_f32_e32 v103, v90, v74
	s_waitcnt vmcnt(2)
	v_fmac_f32_e32 v103, v91, v75
	ds_load_2addr_b64 v[72:75], v70 offset0:31 offset1:32
	s_waitcnt lgkmcnt(1)
	v_fmac_f32_e32 v103, v92, v76
	s_delay_alu instid0(VALU_DEP_1) | instskip(NEXT) | instid1(VALU_DEP_1)
	v_fmac_f32_e32 v103, v93, v77
	v_fmac_f32_e32 v103, v94, v78
	s_waitcnt vmcnt(1)
	s_delay_alu instid0(VALU_DEP_1) | instskip(SKIP_1) | instid1(VALU_DEP_1)
	v_fmac_f32_e32 v103, v95, v79
	s_waitcnt lgkmcnt(0)
	v_fmac_f32_e32 v103, v96, v72
	ds_load_b32 v72, v70 offset:272
	v_fmac_f32_e32 v103, v97, v73
	s_delay_alu instid0(VALU_DEP_1) | instskip(SKIP_1) | instid1(VALU_DEP_1)
	v_fmac_f32_e32 v103, v98, v74
	s_waitcnt vmcnt(0)
	v_fmac_f32_e32 v103, v99, v75
	s_delay_alu instid0(VALU_DEP_1) | instskip(NEXT) | instid1(VALU_DEP_1)
	v_fmac_f32_e32 v103, v100, v2
	v_fmac_f32_e32 v103, v101, v3
	s_waitcnt lgkmcnt(0)
	s_delay_alu instid0(VALU_DEP_1) | instskip(NEXT) | instid1(VALU_DEP_1)
	v_fmac_f32_e32 v103, v102, v72
	v_sub_f32_e32 v2, v71, v103
	scratch_store_b32 off, v2, off offset:4
	v_cmpx_ne_u32_e32 0, v0
	s_cbranch_execz .LBB96_205
; %bb.204:
	scratch_load_b32 v0, off, off
	scratch_store_b32 off, v70, off
	s_waitcnt vmcnt(0)
	ds_store_b32 v1, v0
.LBB96_205:
	s_or_b32 exec_lo, exec_lo, s0
	s_waitcnt lgkmcnt(0)
	s_waitcnt_vscnt null, 0x0
	s_barrier
	buffer_gl0_inv
	s_clause 0x8
	scratch_load_b128 v[71:74], off, off
	scratch_load_b128 v[75:78], off, off offset:16
	scratch_load_b128 v[79:82], off, off offset:32
	;; [unrolled: 1-line block ×7, first 2 shown]
	scratch_load_b32 v107, off, off offset:128
	ds_load_2addr_b32 v[99:100], v70 offset0:37 offset1:38
	ds_load_2addr_b32 v[101:102], v70 offset0:39 offset1:40
	;; [unrolled: 1-line block ×4, first 2 shown]
	s_and_b32 vcc_lo, exec_lo, s12
	s_waitcnt vmcnt(8) lgkmcnt(3)
	v_fma_f32 v99, v72, v99, 0
	s_delay_alu instid0(VALU_DEP_1) | instskip(SKIP_4) | instid1(VALU_DEP_1)
	v_fmac_f32_e32 v99, v73, v100
	ds_load_2addr_b32 v[72:73], v70 offset0:45 offset1:46
	s_waitcnt lgkmcnt(3)
	v_fmac_f32_e32 v99, v74, v101
	s_waitcnt vmcnt(7)
	v_fmac_f32_e32 v99, v75, v102
	ds_load_2addr_b32 v[74:75], v70 offset0:47 offset1:48
	s_waitcnt lgkmcnt(3)
	v_fmac_f32_e32 v99, v76, v103
	s_delay_alu instid0(VALU_DEP_1) | instskip(SKIP_1) | instid1(VALU_DEP_1)
	v_fmac_f32_e32 v99, v77, v104
	s_waitcnt lgkmcnt(2)
	v_fmac_f32_e32 v99, v78, v105
	s_waitcnt vmcnt(6)
	s_delay_alu instid0(VALU_DEP_1) | instskip(SKIP_4) | instid1(VALU_DEP_1)
	v_fmac_f32_e32 v99, v79, v106
	ds_load_2addr_b32 v[76:77], v70 offset0:49 offset1:50
	ds_load_2addr_b32 v[78:79], v70 offset0:51 offset1:52
	s_waitcnt lgkmcnt(3)
	v_fmac_f32_e32 v99, v80, v72
	v_fmac_f32_e32 v99, v81, v73
	ds_load_2addr_b32 v[72:73], v70 offset0:53 offset1:54
	s_waitcnt lgkmcnt(3)
	v_fmac_f32_e32 v99, v82, v74
	s_waitcnt vmcnt(5)
	s_delay_alu instid0(VALU_DEP_1) | instskip(SKIP_3) | instid1(VALU_DEP_1)
	v_fmac_f32_e32 v99, v83, v75
	ds_load_2addr_b32 v[74:75], v70 offset0:55 offset1:56
	s_waitcnt lgkmcnt(3)
	v_fmac_f32_e32 v99, v84, v76
	v_fmac_f32_e32 v99, v85, v77
	s_waitcnt lgkmcnt(2)
	s_delay_alu instid0(VALU_DEP_1) | instskip(SKIP_1) | instid1(VALU_DEP_1)
	v_fmac_f32_e32 v99, v86, v78
	s_waitcnt vmcnt(4)
	v_fmac_f32_e32 v99, v87, v79
	ds_load_2addr_b32 v[76:77], v70 offset0:57 offset1:58
	ds_load_2addr_b32 v[78:79], v70 offset0:59 offset1:60
	s_waitcnt lgkmcnt(3)
	v_fmac_f32_e32 v99, v88, v72
	s_delay_alu instid0(VALU_DEP_1) | instskip(SKIP_4) | instid1(VALU_DEP_1)
	v_fmac_f32_e32 v99, v89, v73
	ds_load_2addr_b32 v[72:73], v70 offset0:61 offset1:62
	s_waitcnt lgkmcnt(3)
	v_fmac_f32_e32 v99, v90, v74
	s_waitcnt vmcnt(3)
	v_fmac_f32_e32 v99, v91, v75
	ds_load_2addr_b32 v[74:75], v70 offset0:63 offset1:64
	s_waitcnt lgkmcnt(3)
	v_fmac_f32_e32 v99, v92, v76
	s_delay_alu instid0(VALU_DEP_1) | instskip(SKIP_1) | instid1(VALU_DEP_1)
	v_fmac_f32_e32 v99, v93, v77
	s_waitcnt lgkmcnt(2)
	v_fmac_f32_e32 v99, v94, v78
	s_waitcnt vmcnt(2)
	s_delay_alu instid0(VALU_DEP_1) | instskip(SKIP_4) | instid1(VALU_DEP_1)
	v_fmac_f32_e32 v99, v95, v79
	ds_load_2addr_b32 v[76:77], v70 offset0:65 offset1:66
	ds_load_2addr_b32 v[78:79], v70 offset0:67 offset1:68
	s_waitcnt lgkmcnt(3)
	v_fmac_f32_e32 v99, v96, v72
	v_fmac_f32_e32 v99, v97, v73
	s_waitcnt lgkmcnt(2)
	s_delay_alu instid0(VALU_DEP_1) | instskip(SKIP_1) | instid1(VALU_DEP_1)
	v_fmac_f32_e32 v99, v98, v74
	s_waitcnt vmcnt(1)
	v_fmac_f32_e32 v99, v0, v75
	s_waitcnt lgkmcnt(1)
	s_delay_alu instid0(VALU_DEP_1) | instskip(NEXT) | instid1(VALU_DEP_1)
	v_fmac_f32_e32 v99, v1, v76
	v_fmac_f32_e32 v99, v2, v77
	s_waitcnt lgkmcnt(0)
	s_delay_alu instid0(VALU_DEP_1) | instskip(SKIP_1) | instid1(VALU_DEP_1)
	v_fmac_f32_e32 v99, v3, v78
	s_waitcnt vmcnt(0)
	v_fmac_f32_e32 v99, v107, v79
	s_delay_alu instid0(VALU_DEP_1)
	v_sub_f32_e32 v0, v71, v99
	scratch_store_b32 off, v0, off
	s_cbranch_vccz .LBB96_271
; %bb.206:
	v_dual_mov_b32 v0, s2 :: v_dual_mov_b32 v1, s3
	s_mov_b32 s0, exec_lo
	flat_load_b32 v0, v[0:1] offset:124
	s_waitcnt vmcnt(0) lgkmcnt(0)
	v_cmpx_ne_u32_e32 32, v0
	s_cbranch_execz .LBB96_208
; %bb.207:
	v_lshl_add_u32 v0, v0, 2, 0
	scratch_load_b32 v1, v0, off offset:-4
	s_waitcnt vmcnt(0)
	scratch_store_b32 off, v1, off offset:124
	scratch_store_b32 v0, v3, off offset:-4
.LBB96_208:
	s_or_b32 exec_lo, exec_lo, s0
	v_dual_mov_b32 v0, s2 :: v_dual_mov_b32 v1, s3
	s_mov_b32 s0, exec_lo
	flat_load_b32 v0, v[0:1] offset:120
	s_waitcnt vmcnt(0) lgkmcnt(0)
	v_cmpx_ne_u32_e32 31, v0
	s_cbranch_execz .LBB96_210
; %bb.209:
	v_lshl_add_u32 v0, v0, 2, 0
	scratch_load_b32 v1, v0, off offset:-4
	scratch_load_b32 v2, off, off offset:120
	s_waitcnt vmcnt(1)
	scratch_store_b32 off, v1, off offset:120
	s_waitcnt vmcnt(0)
	scratch_store_b32 v0, v2, off offset:-4
.LBB96_210:
	s_or_b32 exec_lo, exec_lo, s0
	v_dual_mov_b32 v0, s2 :: v_dual_mov_b32 v1, s3
	s_mov_b32 s0, exec_lo
	flat_load_b32 v0, v[0:1] offset:116
	s_waitcnt vmcnt(0) lgkmcnt(0)
	v_cmpx_ne_u32_e32 30, v0
	s_cbranch_execz .LBB96_212
; %bb.211:
	v_lshl_add_u32 v0, v0, 2, 0
	scratch_load_b32 v1, v0, off offset:-4
	scratch_load_b32 v2, off, off offset:116
	s_waitcnt vmcnt(1)
	scratch_store_b32 off, v1, off offset:116
	s_waitcnt vmcnt(0)
	scratch_store_b32 v0, v2, off offset:-4
.LBB96_212:
	s_or_b32 exec_lo, exec_lo, s0
	v_dual_mov_b32 v0, s2 :: v_dual_mov_b32 v1, s3
	s_mov_b32 s0, exec_lo
	flat_load_b32 v0, v[0:1] offset:112
	s_waitcnt vmcnt(0) lgkmcnt(0)
	v_cmpx_ne_u32_e32 29, v0
	s_cbranch_execz .LBB96_214
; %bb.213:
	v_lshl_add_u32 v0, v0, 2, 0
	scratch_load_b32 v1, v0, off offset:-4
	scratch_load_b32 v2, off, off offset:112
	s_waitcnt vmcnt(1)
	scratch_store_b32 off, v1, off offset:112
	s_waitcnt vmcnt(0)
	scratch_store_b32 v0, v2, off offset:-4
.LBB96_214:
	s_or_b32 exec_lo, exec_lo, s0
	v_dual_mov_b32 v0, s2 :: v_dual_mov_b32 v1, s3
	s_mov_b32 s0, exec_lo
	flat_load_b32 v0, v[0:1] offset:108
	s_waitcnt vmcnt(0) lgkmcnt(0)
	v_cmpx_ne_u32_e32 28, v0
	s_cbranch_execz .LBB96_216
; %bb.215:
	v_lshl_add_u32 v0, v0, 2, 0
	scratch_load_b32 v1, v0, off offset:-4
	scratch_load_b32 v2, off, off offset:108
	s_waitcnt vmcnt(1)
	scratch_store_b32 off, v1, off offset:108
	s_waitcnt vmcnt(0)
	scratch_store_b32 v0, v2, off offset:-4
.LBB96_216:
	s_or_b32 exec_lo, exec_lo, s0
	v_dual_mov_b32 v0, s2 :: v_dual_mov_b32 v1, s3
	s_mov_b32 s0, exec_lo
	flat_load_b32 v0, v[0:1] offset:104
	s_waitcnt vmcnt(0) lgkmcnt(0)
	v_cmpx_ne_u32_e32 27, v0
	s_cbranch_execz .LBB96_218
; %bb.217:
	v_lshl_add_u32 v0, v0, 2, 0
	scratch_load_b32 v1, v0, off offset:-4
	scratch_load_b32 v2, off, off offset:104
	s_waitcnt vmcnt(1)
	scratch_store_b32 off, v1, off offset:104
	s_waitcnt vmcnt(0)
	scratch_store_b32 v0, v2, off offset:-4
.LBB96_218:
	s_or_b32 exec_lo, exec_lo, s0
	v_dual_mov_b32 v0, s2 :: v_dual_mov_b32 v1, s3
	s_mov_b32 s0, exec_lo
	flat_load_b32 v0, v[0:1] offset:100
	s_waitcnt vmcnt(0) lgkmcnt(0)
	v_cmpx_ne_u32_e32 26, v0
	s_cbranch_execz .LBB96_220
; %bb.219:
	v_lshl_add_u32 v0, v0, 2, 0
	scratch_load_b32 v1, v0, off offset:-4
	scratch_load_b32 v2, off, off offset:100
	s_waitcnt vmcnt(1)
	scratch_store_b32 off, v1, off offset:100
	s_waitcnt vmcnt(0)
	scratch_store_b32 v0, v2, off offset:-4
.LBB96_220:
	s_or_b32 exec_lo, exec_lo, s0
	v_dual_mov_b32 v0, s2 :: v_dual_mov_b32 v1, s3
	s_mov_b32 s0, exec_lo
	flat_load_b32 v0, v[0:1] offset:96
	s_waitcnt vmcnt(0) lgkmcnt(0)
	v_cmpx_ne_u32_e32 25, v0
	s_cbranch_execz .LBB96_222
; %bb.221:
	v_lshl_add_u32 v0, v0, 2, 0
	scratch_load_b32 v1, v0, off offset:-4
	scratch_load_b32 v2, off, off offset:96
	s_waitcnt vmcnt(1)
	scratch_store_b32 off, v1, off offset:96
	s_waitcnt vmcnt(0)
	scratch_store_b32 v0, v2, off offset:-4
.LBB96_222:
	s_or_b32 exec_lo, exec_lo, s0
	v_dual_mov_b32 v0, s2 :: v_dual_mov_b32 v1, s3
	s_mov_b32 s0, exec_lo
	flat_load_b32 v0, v[0:1] offset:92
	s_waitcnt vmcnt(0) lgkmcnt(0)
	v_cmpx_ne_u32_e32 24, v0
	s_cbranch_execz .LBB96_224
; %bb.223:
	v_lshl_add_u32 v0, v0, 2, 0
	scratch_load_b32 v1, v0, off offset:-4
	scratch_load_b32 v2, off, off offset:92
	s_waitcnt vmcnt(1)
	scratch_store_b32 off, v1, off offset:92
	s_waitcnt vmcnt(0)
	scratch_store_b32 v0, v2, off offset:-4
.LBB96_224:
	s_or_b32 exec_lo, exec_lo, s0
	v_dual_mov_b32 v0, s2 :: v_dual_mov_b32 v1, s3
	s_mov_b32 s0, exec_lo
	flat_load_b32 v0, v[0:1] offset:88
	s_waitcnt vmcnt(0) lgkmcnt(0)
	v_cmpx_ne_u32_e32 23, v0
	s_cbranch_execz .LBB96_226
; %bb.225:
	v_lshl_add_u32 v0, v0, 2, 0
	scratch_load_b32 v1, v0, off offset:-4
	scratch_load_b32 v2, off, off offset:88
	s_waitcnt vmcnt(1)
	scratch_store_b32 off, v1, off offset:88
	s_waitcnt vmcnt(0)
	scratch_store_b32 v0, v2, off offset:-4
.LBB96_226:
	s_or_b32 exec_lo, exec_lo, s0
	v_dual_mov_b32 v0, s2 :: v_dual_mov_b32 v1, s3
	s_mov_b32 s0, exec_lo
	flat_load_b32 v0, v[0:1] offset:84
	s_waitcnt vmcnt(0) lgkmcnt(0)
	v_cmpx_ne_u32_e32 22, v0
	s_cbranch_execz .LBB96_228
; %bb.227:
	v_lshl_add_u32 v0, v0, 2, 0
	scratch_load_b32 v1, v0, off offset:-4
	scratch_load_b32 v2, off, off offset:84
	s_waitcnt vmcnt(1)
	scratch_store_b32 off, v1, off offset:84
	s_waitcnt vmcnt(0)
	scratch_store_b32 v0, v2, off offset:-4
.LBB96_228:
	s_or_b32 exec_lo, exec_lo, s0
	v_dual_mov_b32 v0, s2 :: v_dual_mov_b32 v1, s3
	s_mov_b32 s0, exec_lo
	flat_load_b32 v0, v[0:1] offset:80
	s_waitcnt vmcnt(0) lgkmcnt(0)
	v_cmpx_ne_u32_e32 21, v0
	s_cbranch_execz .LBB96_230
; %bb.229:
	v_lshl_add_u32 v0, v0, 2, 0
	scratch_load_b32 v1, v0, off offset:-4
	scratch_load_b32 v2, off, off offset:80
	s_waitcnt vmcnt(1)
	scratch_store_b32 off, v1, off offset:80
	s_waitcnt vmcnt(0)
	scratch_store_b32 v0, v2, off offset:-4
.LBB96_230:
	s_or_b32 exec_lo, exec_lo, s0
	v_dual_mov_b32 v0, s2 :: v_dual_mov_b32 v1, s3
	s_mov_b32 s0, exec_lo
	flat_load_b32 v0, v[0:1] offset:76
	s_waitcnt vmcnt(0) lgkmcnt(0)
	v_cmpx_ne_u32_e32 20, v0
	s_cbranch_execz .LBB96_232
; %bb.231:
	v_lshl_add_u32 v0, v0, 2, 0
	scratch_load_b32 v1, v0, off offset:-4
	scratch_load_b32 v2, off, off offset:76
	s_waitcnt vmcnt(1)
	scratch_store_b32 off, v1, off offset:76
	s_waitcnt vmcnt(0)
	scratch_store_b32 v0, v2, off offset:-4
.LBB96_232:
	s_or_b32 exec_lo, exec_lo, s0
	v_dual_mov_b32 v0, s2 :: v_dual_mov_b32 v1, s3
	s_mov_b32 s0, exec_lo
	flat_load_b32 v0, v[0:1] offset:72
	s_waitcnt vmcnt(0) lgkmcnt(0)
	v_cmpx_ne_u32_e32 19, v0
	s_cbranch_execz .LBB96_234
; %bb.233:
	v_lshl_add_u32 v0, v0, 2, 0
	scratch_load_b32 v1, v0, off offset:-4
	scratch_load_b32 v2, off, off offset:72
	s_waitcnt vmcnt(1)
	scratch_store_b32 off, v1, off offset:72
	s_waitcnt vmcnt(0)
	scratch_store_b32 v0, v2, off offset:-4
.LBB96_234:
	s_or_b32 exec_lo, exec_lo, s0
	v_dual_mov_b32 v0, s2 :: v_dual_mov_b32 v1, s3
	s_mov_b32 s0, exec_lo
	flat_load_b32 v0, v[0:1] offset:68
	s_waitcnt vmcnt(0) lgkmcnt(0)
	v_cmpx_ne_u32_e32 18, v0
	s_cbranch_execz .LBB96_236
; %bb.235:
	v_lshl_add_u32 v0, v0, 2, 0
	scratch_load_b32 v1, v0, off offset:-4
	scratch_load_b32 v2, off, off offset:68
	s_waitcnt vmcnt(1)
	scratch_store_b32 off, v1, off offset:68
	s_waitcnt vmcnt(0)
	scratch_store_b32 v0, v2, off offset:-4
.LBB96_236:
	s_or_b32 exec_lo, exec_lo, s0
	v_dual_mov_b32 v0, s2 :: v_dual_mov_b32 v1, s3
	s_mov_b32 s0, exec_lo
	flat_load_b32 v0, v[0:1] offset:64
	s_waitcnt vmcnt(0) lgkmcnt(0)
	v_cmpx_ne_u32_e32 17, v0
	s_cbranch_execz .LBB96_238
; %bb.237:
	v_lshl_add_u32 v0, v0, 2, 0
	scratch_load_b32 v1, v0, off offset:-4
	scratch_load_b32 v2, off, off offset:64
	s_waitcnt vmcnt(1)
	scratch_store_b32 off, v1, off offset:64
	s_waitcnt vmcnt(0)
	scratch_store_b32 v0, v2, off offset:-4
.LBB96_238:
	s_or_b32 exec_lo, exec_lo, s0
	v_dual_mov_b32 v0, s2 :: v_dual_mov_b32 v1, s3
	s_mov_b32 s0, exec_lo
	flat_load_b32 v0, v[0:1] offset:60
	s_waitcnt vmcnt(0) lgkmcnt(0)
	v_cmpx_ne_u32_e32 16, v0
	s_cbranch_execz .LBB96_240
; %bb.239:
	v_lshl_add_u32 v0, v0, 2, 0
	scratch_load_b32 v1, v0, off offset:-4
	scratch_load_b32 v2, off, off offset:60
	s_waitcnt vmcnt(1)
	scratch_store_b32 off, v1, off offset:60
	s_waitcnt vmcnt(0)
	scratch_store_b32 v0, v2, off offset:-4
.LBB96_240:
	s_or_b32 exec_lo, exec_lo, s0
	v_dual_mov_b32 v0, s2 :: v_dual_mov_b32 v1, s3
	s_mov_b32 s0, exec_lo
	flat_load_b32 v0, v[0:1] offset:56
	s_waitcnt vmcnt(0) lgkmcnt(0)
	v_cmpx_ne_u32_e32 15, v0
	s_cbranch_execz .LBB96_242
; %bb.241:
	v_lshl_add_u32 v0, v0, 2, 0
	scratch_load_b32 v1, v0, off offset:-4
	scratch_load_b32 v2, off, off offset:56
	s_waitcnt vmcnt(1)
	scratch_store_b32 off, v1, off offset:56
	s_waitcnt vmcnt(0)
	scratch_store_b32 v0, v2, off offset:-4
.LBB96_242:
	s_or_b32 exec_lo, exec_lo, s0
	v_dual_mov_b32 v0, s2 :: v_dual_mov_b32 v1, s3
	s_mov_b32 s0, exec_lo
	flat_load_b32 v0, v[0:1] offset:52
	s_waitcnt vmcnt(0) lgkmcnt(0)
	v_cmpx_ne_u32_e32 14, v0
	s_cbranch_execz .LBB96_244
; %bb.243:
	v_lshl_add_u32 v0, v0, 2, 0
	scratch_load_b32 v1, v0, off offset:-4
	scratch_load_b32 v2, off, off offset:52
	s_waitcnt vmcnt(1)
	scratch_store_b32 off, v1, off offset:52
	s_waitcnt vmcnt(0)
	scratch_store_b32 v0, v2, off offset:-4
.LBB96_244:
	s_or_b32 exec_lo, exec_lo, s0
	v_dual_mov_b32 v0, s2 :: v_dual_mov_b32 v1, s3
	s_mov_b32 s0, exec_lo
	flat_load_b32 v0, v[0:1] offset:48
	s_waitcnt vmcnt(0) lgkmcnt(0)
	v_cmpx_ne_u32_e32 13, v0
	s_cbranch_execz .LBB96_246
; %bb.245:
	v_lshl_add_u32 v0, v0, 2, 0
	scratch_load_b32 v1, v0, off offset:-4
	scratch_load_b32 v2, off, off offset:48
	s_waitcnt vmcnt(1)
	scratch_store_b32 off, v1, off offset:48
	s_waitcnt vmcnt(0)
	scratch_store_b32 v0, v2, off offset:-4
.LBB96_246:
	s_or_b32 exec_lo, exec_lo, s0
	v_dual_mov_b32 v0, s2 :: v_dual_mov_b32 v1, s3
	s_mov_b32 s0, exec_lo
	flat_load_b32 v0, v[0:1] offset:44
	s_waitcnt vmcnt(0) lgkmcnt(0)
	v_cmpx_ne_u32_e32 12, v0
	s_cbranch_execz .LBB96_248
; %bb.247:
	v_lshl_add_u32 v0, v0, 2, 0
	scratch_load_b32 v1, v0, off offset:-4
	scratch_load_b32 v2, off, off offset:44
	s_waitcnt vmcnt(1)
	scratch_store_b32 off, v1, off offset:44
	s_waitcnt vmcnt(0)
	scratch_store_b32 v0, v2, off offset:-4
.LBB96_248:
	s_or_b32 exec_lo, exec_lo, s0
	v_dual_mov_b32 v0, s2 :: v_dual_mov_b32 v1, s3
	s_mov_b32 s0, exec_lo
	flat_load_b32 v0, v[0:1] offset:40
	s_waitcnt vmcnt(0) lgkmcnt(0)
	v_cmpx_ne_u32_e32 11, v0
	s_cbranch_execz .LBB96_250
; %bb.249:
	v_lshl_add_u32 v0, v0, 2, 0
	scratch_load_b32 v1, v0, off offset:-4
	scratch_load_b32 v2, off, off offset:40
	s_waitcnt vmcnt(1)
	scratch_store_b32 off, v1, off offset:40
	s_waitcnt vmcnt(0)
	scratch_store_b32 v0, v2, off offset:-4
.LBB96_250:
	s_or_b32 exec_lo, exec_lo, s0
	v_dual_mov_b32 v0, s2 :: v_dual_mov_b32 v1, s3
	s_mov_b32 s0, exec_lo
	flat_load_b32 v0, v[0:1] offset:36
	s_waitcnt vmcnt(0) lgkmcnt(0)
	v_cmpx_ne_u32_e32 10, v0
	s_cbranch_execz .LBB96_252
; %bb.251:
	v_lshl_add_u32 v0, v0, 2, 0
	scratch_load_b32 v1, v0, off offset:-4
	scratch_load_b32 v2, off, off offset:36
	s_waitcnt vmcnt(1)
	scratch_store_b32 off, v1, off offset:36
	s_waitcnt vmcnt(0)
	scratch_store_b32 v0, v2, off offset:-4
.LBB96_252:
	s_or_b32 exec_lo, exec_lo, s0
	v_dual_mov_b32 v0, s2 :: v_dual_mov_b32 v1, s3
	s_mov_b32 s0, exec_lo
	flat_load_b32 v0, v[0:1] offset:32
	s_waitcnt vmcnt(0) lgkmcnt(0)
	v_cmpx_ne_u32_e32 9, v0
	s_cbranch_execz .LBB96_254
; %bb.253:
	v_lshl_add_u32 v0, v0, 2, 0
	scratch_load_b32 v1, v0, off offset:-4
	scratch_load_b32 v2, off, off offset:32
	s_waitcnt vmcnt(1)
	scratch_store_b32 off, v1, off offset:32
	s_waitcnt vmcnt(0)
	scratch_store_b32 v0, v2, off offset:-4
.LBB96_254:
	s_or_b32 exec_lo, exec_lo, s0
	v_dual_mov_b32 v0, s2 :: v_dual_mov_b32 v1, s3
	s_mov_b32 s0, exec_lo
	flat_load_b32 v0, v[0:1] offset:28
	s_waitcnt vmcnt(0) lgkmcnt(0)
	v_cmpx_ne_u32_e32 8, v0
	s_cbranch_execz .LBB96_256
; %bb.255:
	v_lshl_add_u32 v0, v0, 2, 0
	scratch_load_b32 v1, v0, off offset:-4
	scratch_load_b32 v2, off, off offset:28
	s_waitcnt vmcnt(1)
	scratch_store_b32 off, v1, off offset:28
	s_waitcnt vmcnt(0)
	scratch_store_b32 v0, v2, off offset:-4
.LBB96_256:
	s_or_b32 exec_lo, exec_lo, s0
	v_dual_mov_b32 v0, s2 :: v_dual_mov_b32 v1, s3
	s_mov_b32 s0, exec_lo
	flat_load_b32 v0, v[0:1] offset:24
	s_waitcnt vmcnt(0) lgkmcnt(0)
	v_cmpx_ne_u32_e32 7, v0
	s_cbranch_execz .LBB96_258
; %bb.257:
	v_lshl_add_u32 v0, v0, 2, 0
	scratch_load_b32 v1, v0, off offset:-4
	scratch_load_b32 v2, off, off offset:24
	s_waitcnt vmcnt(1)
	scratch_store_b32 off, v1, off offset:24
	s_waitcnt vmcnt(0)
	scratch_store_b32 v0, v2, off offset:-4
.LBB96_258:
	s_or_b32 exec_lo, exec_lo, s0
	v_dual_mov_b32 v0, s2 :: v_dual_mov_b32 v1, s3
	s_mov_b32 s0, exec_lo
	flat_load_b32 v0, v[0:1] offset:20
	s_waitcnt vmcnt(0) lgkmcnt(0)
	v_cmpx_ne_u32_e32 6, v0
	s_cbranch_execz .LBB96_260
; %bb.259:
	v_lshl_add_u32 v0, v0, 2, 0
	scratch_load_b32 v1, v0, off offset:-4
	scratch_load_b32 v2, off, off offset:20
	s_waitcnt vmcnt(1)
	scratch_store_b32 off, v1, off offset:20
	s_waitcnt vmcnt(0)
	scratch_store_b32 v0, v2, off offset:-4
.LBB96_260:
	s_or_b32 exec_lo, exec_lo, s0
	v_dual_mov_b32 v0, s2 :: v_dual_mov_b32 v1, s3
	s_mov_b32 s0, exec_lo
	flat_load_b32 v0, v[0:1] offset:16
	s_waitcnt vmcnt(0) lgkmcnt(0)
	v_cmpx_ne_u32_e32 5, v0
	s_cbranch_execz .LBB96_262
; %bb.261:
	v_lshl_add_u32 v0, v0, 2, 0
	scratch_load_b32 v1, v0, off offset:-4
	scratch_load_b32 v2, off, off offset:16
	s_waitcnt vmcnt(1)
	scratch_store_b32 off, v1, off offset:16
	s_waitcnt vmcnt(0)
	scratch_store_b32 v0, v2, off offset:-4
.LBB96_262:
	s_or_b32 exec_lo, exec_lo, s0
	v_dual_mov_b32 v0, s2 :: v_dual_mov_b32 v1, s3
	s_mov_b32 s0, exec_lo
	flat_load_b32 v0, v[0:1] offset:12
	s_waitcnt vmcnt(0) lgkmcnt(0)
	v_cmpx_ne_u32_e32 4, v0
	s_cbranch_execz .LBB96_264
; %bb.263:
	v_lshl_add_u32 v0, v0, 2, 0
	scratch_load_b32 v1, v0, off offset:-4
	scratch_load_b32 v2, off, off offset:12
	s_waitcnt vmcnt(1)
	scratch_store_b32 off, v1, off offset:12
	s_waitcnt vmcnt(0)
	scratch_store_b32 v0, v2, off offset:-4
.LBB96_264:
	s_or_b32 exec_lo, exec_lo, s0
	v_dual_mov_b32 v0, s2 :: v_dual_mov_b32 v1, s3
	s_mov_b32 s0, exec_lo
	flat_load_b32 v0, v[0:1] offset:8
	s_waitcnt vmcnt(0) lgkmcnt(0)
	v_cmpx_ne_u32_e32 3, v0
	s_cbranch_execz .LBB96_266
; %bb.265:
	v_lshl_add_u32 v0, v0, 2, 0
	scratch_load_b32 v1, v0, off offset:-4
	scratch_load_b32 v2, off, off offset:8
	s_waitcnt vmcnt(1)
	scratch_store_b32 off, v1, off offset:8
	s_waitcnt vmcnt(0)
	scratch_store_b32 v0, v2, off offset:-4
.LBB96_266:
	s_or_b32 exec_lo, exec_lo, s0
	v_dual_mov_b32 v0, s2 :: v_dual_mov_b32 v1, s3
	s_mov_b32 s0, exec_lo
	flat_load_b32 v0, v[0:1] offset:4
	s_waitcnt vmcnt(0) lgkmcnt(0)
	v_cmpx_ne_u32_e32 2, v0
	s_cbranch_execz .LBB96_268
; %bb.267:
	v_lshl_add_u32 v0, v0, 2, 0
	scratch_load_b32 v1, v0, off offset:-4
	scratch_load_b32 v2, off, off offset:4
	s_waitcnt vmcnt(1)
	scratch_store_b32 off, v1, off offset:4
	s_waitcnt vmcnt(0)
	scratch_store_b32 v0, v2, off offset:-4
.LBB96_268:
	s_or_b32 exec_lo, exec_lo, s0
	v_dual_mov_b32 v0, s2 :: v_dual_mov_b32 v1, s3
	s_mov_b32 s0, exec_lo
	flat_load_b32 v1, v[0:1]
	scratch_load_b32 v0, off, off
	s_waitcnt vmcnt(1) lgkmcnt(0)
	v_cmpx_ne_u32_e32 1, v1
	s_cbranch_execz .LBB96_270
; %bb.269:
	v_lshl_add_u32 v1, v1, 2, 0
	scratch_load_b32 v2, v1, off offset:-4
	s_waitcnt vmcnt(0)
	scratch_store_b32 off, v2, off
	scratch_store_b32 v1, v0, off offset:-4
	scratch_load_b32 v0, off, off
.LBB96_270:
	s_or_b32 exec_lo, exec_lo, s0
.LBB96_271:
	s_clause 0x7
	scratch_load_b128 v[70:73], off, off offset:4
	scratch_load_b128 v[74:77], off, off offset:20
	;; [unrolled: 1-line block ×8, first 2 shown]
	s_waitcnt vmcnt(8)
	global_store_b32 v[4:5], v0, off
	s_waitcnt vmcnt(7)
	s_clause 0x3
	global_store_b32 v[6:7], v70, off
	global_store_b32 v[8:9], v71, off
	global_store_b32 v[10:11], v72, off
	global_store_b32 v[12:13], v73, off
	s_waitcnt vmcnt(6)
	s_clause 0x3
	global_store_b32 v[14:15], v74, off
	global_store_b32 v[16:17], v75, off
	global_store_b32 v[18:19], v76, off
	;; [unrolled: 6-line block ×8, first 2 shown]
	global_store_b32 v[68:69], v101, off
	s_endpgm
	.section	.rodata,"a",@progbits
	.p2align	6, 0x0
	.amdhsa_kernel _ZN9rocsolver6v33100L18getri_kernel_smallILi33EfPKPfEEvT1_iilPiilS6_bb
		.amdhsa_group_segment_fixed_size 276
		.amdhsa_private_segment_fixed_size 144
		.amdhsa_kernarg_size 60
		.amdhsa_user_sgpr_count 15
		.amdhsa_user_sgpr_dispatch_ptr 0
		.amdhsa_user_sgpr_queue_ptr 0
		.amdhsa_user_sgpr_kernarg_segment_ptr 1
		.amdhsa_user_sgpr_dispatch_id 0
		.amdhsa_user_sgpr_private_segment_size 0
		.amdhsa_wavefront_size32 1
		.amdhsa_uses_dynamic_stack 0
		.amdhsa_enable_private_segment 1
		.amdhsa_system_sgpr_workgroup_id_x 1
		.amdhsa_system_sgpr_workgroup_id_y 0
		.amdhsa_system_sgpr_workgroup_id_z 0
		.amdhsa_system_sgpr_workgroup_info 0
		.amdhsa_system_vgpr_workitem_id 0
		.amdhsa_next_free_vgpr 111
		.amdhsa_next_free_sgpr 17
		.amdhsa_reserve_vcc 1
		.amdhsa_float_round_mode_32 0
		.amdhsa_float_round_mode_16_64 0
		.amdhsa_float_denorm_mode_32 3
		.amdhsa_float_denorm_mode_16_64 3
		.amdhsa_dx10_clamp 1
		.amdhsa_ieee_mode 1
		.amdhsa_fp16_overflow 0
		.amdhsa_workgroup_processor_mode 1
		.amdhsa_memory_ordered 1
		.amdhsa_forward_progress 0
		.amdhsa_shared_vgpr_count 0
		.amdhsa_exception_fp_ieee_invalid_op 0
		.amdhsa_exception_fp_denorm_src 0
		.amdhsa_exception_fp_ieee_div_zero 0
		.amdhsa_exception_fp_ieee_overflow 0
		.amdhsa_exception_fp_ieee_underflow 0
		.amdhsa_exception_fp_ieee_inexact 0
		.amdhsa_exception_int_div_zero 0
	.end_amdhsa_kernel
	.section	.text._ZN9rocsolver6v33100L18getri_kernel_smallILi33EfPKPfEEvT1_iilPiilS6_bb,"axG",@progbits,_ZN9rocsolver6v33100L18getri_kernel_smallILi33EfPKPfEEvT1_iilPiilS6_bb,comdat
.Lfunc_end96:
	.size	_ZN9rocsolver6v33100L18getri_kernel_smallILi33EfPKPfEEvT1_iilPiilS6_bb, .Lfunc_end96-_ZN9rocsolver6v33100L18getri_kernel_smallILi33EfPKPfEEvT1_iilPiilS6_bb
                                        ; -- End function
	.section	.AMDGPU.csdata,"",@progbits
; Kernel info:
; codeLenInByte = 20888
; NumSgprs: 19
; NumVgprs: 111
; ScratchSize: 144
; MemoryBound: 0
; FloatMode: 240
; IeeeMode: 1
; LDSByteSize: 276 bytes/workgroup (compile time only)
; SGPRBlocks: 2
; VGPRBlocks: 13
; NumSGPRsForWavesPerEU: 19
; NumVGPRsForWavesPerEU: 111
; Occupancy: 12
; WaveLimiterHint : 1
; COMPUTE_PGM_RSRC2:SCRATCH_EN: 1
; COMPUTE_PGM_RSRC2:USER_SGPR: 15
; COMPUTE_PGM_RSRC2:TRAP_HANDLER: 0
; COMPUTE_PGM_RSRC2:TGID_X_EN: 1
; COMPUTE_PGM_RSRC2:TGID_Y_EN: 0
; COMPUTE_PGM_RSRC2:TGID_Z_EN: 0
; COMPUTE_PGM_RSRC2:TIDIG_COMP_CNT: 0
	.section	.text._ZN9rocsolver6v33100L18getri_kernel_smallILi34EfPKPfEEvT1_iilPiilS6_bb,"axG",@progbits,_ZN9rocsolver6v33100L18getri_kernel_smallILi34EfPKPfEEvT1_iilPiilS6_bb,comdat
	.globl	_ZN9rocsolver6v33100L18getri_kernel_smallILi34EfPKPfEEvT1_iilPiilS6_bb ; -- Begin function _ZN9rocsolver6v33100L18getri_kernel_smallILi34EfPKPfEEvT1_iilPiilS6_bb
	.p2align	8
	.type	_ZN9rocsolver6v33100L18getri_kernel_smallILi34EfPKPfEEvT1_iilPiilS6_bb,@function
_ZN9rocsolver6v33100L18getri_kernel_smallILi34EfPKPfEEvT1_iilPiilS6_bb: ; @_ZN9rocsolver6v33100L18getri_kernel_smallILi34EfPKPfEEvT1_iilPiilS6_bb
; %bb.0:
	s_mov_b32 s2, exec_lo
	v_cmpx_gt_u32_e32 34, v0
	s_cbranch_execz .LBB97_144
; %bb.1:
	s_clause 0x1
	s_load_b32 s13, s[0:1], 0x38
	s_load_b64 s[2:3], s[0:1], 0x0
	s_mov_b32 s8, s15
	s_load_b128 s[4:7], s[0:1], 0x28
	s_waitcnt lgkmcnt(0)
	s_bitcmp1_b32 s13, 8
	s_cselect_b32 s12, -1, 0
	s_ashr_i32 s9, s15, 31
	s_delay_alu instid0(SALU_CYCLE_1) | instskip(NEXT) | instid1(SALU_CYCLE_1)
	s_lshl_b64 s[10:11], s[8:9], 3
	s_add_u32 s2, s2, s10
	s_addc_u32 s3, s3, s11
	s_load_b64 s[10:11], s[2:3], 0x0
	s_bfe_u32 s2, s13, 0x10008
	s_delay_alu instid0(SALU_CYCLE_1)
	s_cmp_eq_u32 s2, 0
                                        ; implicit-def: $sgpr2_sgpr3
	s_cbranch_scc1 .LBB97_3
; %bb.2:
	s_clause 0x1
	s_load_b32 s2, s[0:1], 0x20
	s_load_b64 s[14:15], s[0:1], 0x18
	s_mul_i32 s3, s8, s5
	s_mul_hi_u32 s5, s8, s4
	s_mul_i32 s16, s9, s4
	s_add_i32 s3, s5, s3
	s_mul_i32 s4, s8, s4
	s_add_i32 s5, s3, s16
	s_delay_alu instid0(SALU_CYCLE_1)
	s_lshl_b64 s[4:5], s[4:5], 2
	s_waitcnt lgkmcnt(0)
	s_ashr_i32 s3, s2, 31
	s_add_u32 s4, s14, s4
	s_addc_u32 s5, s15, s5
	s_lshl_b64 s[2:3], s[2:3], 2
	s_delay_alu instid0(SALU_CYCLE_1)
	s_add_u32 s2, s4, s2
	s_addc_u32 s3, s5, s3
.LBB97_3:
	s_load_b64 s[0:1], s[0:1], 0x8
	v_lshlrev_b32_e32 v73, 2, v0
	s_waitcnt lgkmcnt(0)
	v_add3_u32 v2, s1, s1, v0
	s_ashr_i32 s5, s0, 31
	s_mov_b32 s4, s0
	s_mov_b32 s14, s1
	s_lshl_b64 s[4:5], s[4:5], 2
	v_add_nc_u32_e32 v9, s1, v2
	v_ashrrev_i32_e32 v3, 31, v2
	s_add_u32 s4, s10, s4
	s_addc_u32 s5, s11, s5
	v_add_co_u32 v5, s0, s4, v73
	v_add_nc_u32_e32 v11, s1, v9
	s_ashr_i32 s15, s1, 31
	v_add_co_ci_u32_e64 v6, null, s5, 0, s0
	v_lshlrev_b64 v[2:3], 2, v[2:3]
	s_delay_alu instid0(VALU_DEP_3)
	v_add_nc_u32_e32 v15, s1, v11
	v_ashrrev_i32_e32 v10, 31, v9
	s_lshl_b64 s[10:11], s[14:15], 2
	v_ashrrev_i32_e32 v12, 31, v11
	v_add_co_u32 v7, vcc_lo, v5, s10
	v_add_nc_u32_e32 v17, s1, v15
	v_add_co_ci_u32_e32 v8, vcc_lo, s11, v6, vcc_lo
	v_lshlrev_b64 v[13:14], 2, v[9:10]
	v_add_co_u32 v9, vcc_lo, s4, v2
	s_delay_alu instid0(VALU_DEP_4) | instskip(SKIP_3) | instid1(VALU_DEP_4)
	v_add_nc_u32_e32 v19, s1, v17
	v_add_co_ci_u32_e32 v10, vcc_lo, s5, v3, vcc_lo
	v_lshlrev_b64 v[2:3], 2, v[11:12]
	v_ashrrev_i32_e32 v16, 31, v15
	v_add_nc_u32_e32 v21, s1, v19
	v_add_co_u32 v11, vcc_lo, s4, v13
	v_ashrrev_i32_e32 v18, 31, v17
	v_add_co_ci_u32_e32 v12, vcc_lo, s5, v14, vcc_lo
	v_lshlrev_b64 v[15:16], 2, v[15:16]
	v_add_nc_u32_e32 v23, s1, v21
	v_add_co_u32 v13, vcc_lo, s4, v2
	v_add_co_ci_u32_e32 v14, vcc_lo, s5, v3, vcc_lo
	v_lshlrev_b64 v[2:3], 2, v[17:18]
	v_ashrrev_i32_e32 v20, 31, v19
	v_add_nc_u32_e32 v25, s1, v23
	v_add_co_u32 v15, vcc_lo, s4, v15
	v_ashrrev_i32_e32 v22, 31, v21
	v_add_co_ci_u32_e32 v16, vcc_lo, s5, v16, vcc_lo
	v_lshlrev_b64 v[19:20], 2, v[19:20]
	v_add_co_u32 v17, vcc_lo, s4, v2
	v_add_nc_u32_e32 v27, s1, v25
	v_add_co_ci_u32_e32 v18, vcc_lo, s5, v3, vcc_lo
	v_lshlrev_b64 v[2:3], 2, v[21:22]
	v_ashrrev_i32_e32 v24, 31, v23
	v_add_co_u32 v19, vcc_lo, s4, v19
	v_ashrrev_i32_e32 v26, 31, v25
	v_add_nc_u32_e32 v30, s1, v27
	v_add_co_ci_u32_e32 v20, vcc_lo, s5, v20, vcc_lo
	v_lshlrev_b64 v[23:24], 2, v[23:24]
	v_add_co_u32 v21, vcc_lo, s4, v2
	v_ashrrev_i32_e32 v28, 31, v27
	v_add_co_ci_u32_e32 v22, vcc_lo, s5, v3, vcc_lo
	v_lshlrev_b64 v[2:3], 2, v[25:26]
	v_add_nc_u32_e32 v32, s1, v30
	v_add_co_u32 v23, vcc_lo, s4, v23
	v_lshlrev_b64 v[28:29], 2, v[27:28]
	v_add_co_ci_u32_e32 v24, vcc_lo, s5, v24, vcc_lo
	v_add_co_u32 v25, vcc_lo, s4, v2
	v_ashrrev_i32_e32 v31, 31, v30
	v_ashrrev_i32_e32 v33, 31, v32
	v_add_nc_u32_e32 v34, s1, v32
	v_add_co_ci_u32_e32 v26, vcc_lo, s5, v3, vcc_lo
	v_add_co_u32 v27, vcc_lo, s4, v28
	v_add_co_ci_u32_e32 v28, vcc_lo, s5, v29, vcc_lo
	v_lshlrev_b64 v[29:30], 2, v[30:31]
	v_lshlrev_b64 v[31:32], 2, v[32:33]
	v_add_nc_u32_e32 v33, s1, v34
	v_ashrrev_i32_e32 v35, 31, v34
	s_clause 0x8
	global_load_b32 v1, v73, s[4:5]
	global_load_b32 v2, v[7:8], off
	global_load_b32 v3, v[9:10], off
	;; [unrolled: 1-line block ×8, first 2 shown]
	v_add_co_u32 v29, vcc_lo, s4, v29
	v_add_nc_u32_e32 v37, s1, v33
	v_lshlrev_b64 v[35:36], 2, v[34:35]
	v_ashrrev_i32_e32 v34, 31, v33
	v_add_co_ci_u32_e32 v30, vcc_lo, s5, v30, vcc_lo
	s_delay_alu instid0(VALU_DEP_4) | instskip(SKIP_1) | instid1(VALU_DEP_4)
	v_add_nc_u32_e32 v41, s1, v37
	v_add_co_u32 v31, vcc_lo, s4, v31
	v_lshlrev_b64 v[39:40], 2, v[33:34]
	v_add_co_ci_u32_e32 v32, vcc_lo, s5, v32, vcc_lo
	v_add_co_u32 v33, vcc_lo, s4, v35
	v_ashrrev_i32_e32 v42, 31, v41
	v_add_nc_u32_e32 v43, s1, v41
	v_add_co_ci_u32_e32 v34, vcc_lo, s5, v36, vcc_lo
	v_add_co_u32 v35, vcc_lo, s4, v39
	v_add_co_ci_u32_e32 v36, vcc_lo, s5, v40, vcc_lo
	v_lshlrev_b64 v[39:40], 2, v[41:42]
	v_add_nc_u32_e32 v41, s1, v43
	v_ashrrev_i32_e32 v38, 31, v37
	v_ashrrev_i32_e32 v44, 31, v43
	s_bitcmp0_b32 s13, 0
	s_delay_alu instid0(VALU_DEP_3) | instskip(NEXT) | instid1(VALU_DEP_3)
	v_add_nc_u32_e32 v45, s1, v41
	v_lshlrev_b64 v[37:38], 2, v[37:38]
	v_ashrrev_i32_e32 v42, 31, v41
	v_lshlrev_b64 v[43:44], 2, v[43:44]
	s_delay_alu instid0(VALU_DEP_4) | instskip(SKIP_3) | instid1(VALU_DEP_4)
	v_add_nc_u32_e32 v47, s1, v45
	v_ashrrev_i32_e32 v46, 31, v45
	v_add_co_u32 v37, vcc_lo, s4, v37
	v_add_co_ci_u32_e32 v38, vcc_lo, s5, v38, vcc_lo
	v_add_nc_u32_e32 v51, s1, v47
	v_add_co_u32 v39, vcc_lo, s4, v39
	v_lshlrev_b64 v[49:50], 2, v[41:42]
	v_ashrrev_i32_e32 v48, 31, v47
	s_delay_alu instid0(VALU_DEP_4) | instskip(SKIP_2) | instid1(VALU_DEP_3)
	v_add_nc_u32_e32 v53, s1, v51
	v_add_co_ci_u32_e32 v40, vcc_lo, s5, v40, vcc_lo
	v_add_co_u32 v41, vcc_lo, s4, v43
	v_add_nc_u32_e32 v55, s1, v53
	v_lshlrev_b64 v[45:46], 2, v[45:46]
	v_ashrrev_i32_e32 v52, 31, v51
	v_add_co_ci_u32_e32 v42, vcc_lo, s5, v44, vcc_lo
	s_delay_alu instid0(VALU_DEP_4) | instskip(SKIP_3) | instid1(VALU_DEP_4)
	v_add_nc_u32_e32 v57, s1, v55
	v_add_co_u32 v43, vcc_lo, s4, v49
	v_lshlrev_b64 v[47:48], 2, v[47:48]
	v_ashrrev_i32_e32 v54, 31, v53
	v_add_nc_u32_e32 v59, s1, v57
	v_add_co_ci_u32_e32 v44, vcc_lo, s5, v50, vcc_lo
	v_add_co_u32 v45, vcc_lo, s4, v45
	s_delay_alu instid0(VALU_DEP_3) | instskip(SKIP_3) | instid1(VALU_DEP_4)
	v_add_nc_u32_e32 v61, s1, v59
	v_lshlrev_b64 v[49:50], 2, v[51:52]
	v_ashrrev_i32_e32 v56, 31, v55
	v_add_co_ci_u32_e32 v46, vcc_lo, s5, v46, vcc_lo
	v_add_nc_u32_e32 v63, s1, v61
	v_add_co_u32 v47, vcc_lo, s4, v47
	v_lshlrev_b64 v[51:52], 2, v[53:54]
	v_ashrrev_i32_e32 v58, 31, v57
	s_delay_alu instid0(VALU_DEP_4) | instskip(SKIP_2) | instid1(VALU_DEP_3)
	v_add_nc_u32_e32 v65, s1, v63
	v_add_co_ci_u32_e32 v48, vcc_lo, s5, v48, vcc_lo
	v_add_co_u32 v49, vcc_lo, s4, v49
	v_add_nc_u32_e32 v67, s1, v65
	v_lshlrev_b64 v[53:54], 2, v[55:56]
	v_ashrrev_i32_e32 v60, 31, v59
	v_add_co_ci_u32_e32 v50, vcc_lo, s5, v50, vcc_lo
	v_add_co_u32 v51, vcc_lo, s4, v51
	v_lshlrev_b64 v[55:56], 2, v[57:58]
	v_ashrrev_i32_e32 v62, 31, v61
	v_add_nc_u32_e32 v69, s1, v67
	v_add_co_ci_u32_e32 v52, vcc_lo, s5, v52, vcc_lo
	v_add_co_u32 v53, vcc_lo, s4, v53
	v_lshlrev_b64 v[57:58], 2, v[59:60]
	v_ashrrev_i32_e32 v64, 31, v63
	v_add_co_ci_u32_e32 v54, vcc_lo, s5, v54, vcc_lo
	v_add_co_u32 v55, vcc_lo, s4, v55
	v_lshlrev_b64 v[59:60], 2, v[61:62]
	v_ashrrev_i32_e32 v66, 31, v65
	v_ashrrev_i32_e32 v68, 31, v67
	v_add_nc_u32_e32 v71, s1, v69
	v_add_co_ci_u32_e32 v56, vcc_lo, s5, v56, vcc_lo
	v_add_co_u32 v57, vcc_lo, s4, v57
	v_lshlrev_b64 v[61:62], 2, v[63:64]
	v_add_co_ci_u32_e32 v58, vcc_lo, s5, v58, vcc_lo
	v_lshlrev_b64 v[63:64], 2, v[65:66]
	v_lshlrev_b64 v[65:66], 2, v[67:68]
	v_add_nc_u32_e32 v67, s1, v71
	v_add_co_u32 v59, vcc_lo, s4, v59
	v_ashrrev_i32_e32 v70, 31, v69
	v_add_co_ci_u32_e32 v60, vcc_lo, s5, v60, vcc_lo
	v_add_co_u32 v61, vcc_lo, s4, v61
	v_ashrrev_i32_e32 v68, 31, v67
	v_add_co_ci_u32_e32 v62, vcc_lo, s5, v62, vcc_lo
	v_add_co_u32 v63, vcc_lo, s4, v63
	v_lshlrev_b64 v[69:70], 2, v[69:70]
	v_ashrrev_i32_e32 v72, 31, v71
	v_add_co_ci_u32_e32 v64, vcc_lo, s5, v64, vcc_lo
	v_add_co_u32 v65, vcc_lo, s4, v65
	v_lshlrev_b64 v[87:88], 2, v[67:68]
	v_add_co_ci_u32_e32 v66, vcc_lo, s5, v66, vcc_lo
	v_lshlrev_b64 v[71:72], 2, v[71:72]
	v_add_co_u32 v67, vcc_lo, s4, v69
	v_add_co_ci_u32_e32 v68, vcc_lo, s5, v70, vcc_lo
	v_add_co_u32 v69, vcc_lo, s4, v87
	v_add_co_ci_u32_e32 v70, vcc_lo, s5, v88, vcc_lo
	v_add_co_u32 v71, vcc_lo, s4, v71
	s_clause 0x7
	global_load_b32 v79, v[23:24], off
	global_load_b32 v80, v[25:26], off
	;; [unrolled: 1-line block ×8, first 2 shown]
	v_add_co_ci_u32_e32 v72, vcc_lo, s5, v72, vcc_lo
	s_clause 0x10
	global_load_b32 v87, v[39:40], off
	global_load_b32 v88, v[41:42], off
	;; [unrolled: 1-line block ×17, first 2 shown]
	s_mov_b32 s1, -1
	s_waitcnt vmcnt(30)
	scratch_store_b128 off, v[1:4], off
	s_waitcnt vmcnt(26)
	scratch_store_b128 off, v[74:77], off offset:16
	s_waitcnt vmcnt(22)
	scratch_store_b128 off, v[78:81], off offset:32
	;; [unrolled: 2-line block ×7, first 2 shown]
	s_waitcnt vmcnt(0)
	scratch_store_b64 off, v[102:103], off offset:128
	s_cbranch_scc1 .LBB97_142
; %bb.4:
	v_cmp_eq_u32_e64 s0, 0, v0
	s_delay_alu instid0(VALU_DEP_1)
	s_and_saveexec_b32 s1, s0
	s_cbranch_execz .LBB97_6
; %bb.5:
	v_mov_b32_e32 v1, 0
	ds_store_b32 v1, v1 offset:136
.LBB97_6:
	s_or_b32 exec_lo, exec_lo, s1
	s_waitcnt lgkmcnt(0)
	s_waitcnt_vscnt null, 0x0
	s_barrier
	buffer_gl0_inv
	scratch_load_b32 v1, v73, off
	s_mov_b32 s4, exec_lo
	s_waitcnt vmcnt(0)
	v_cmpx_eq_f32_e32 0, v1
	s_cbranch_execz .LBB97_10
; %bb.7:
	v_mov_b32_e32 v1, 0
	s_mov_b32 s5, 0
	ds_load_b32 v2, v1 offset:136
	s_waitcnt lgkmcnt(0)
	v_readfirstlane_b32 s1, v2
	v_add_nc_u32_e32 v2, 1, v0
	s_delay_alu instid0(VALU_DEP_2) | instskip(NEXT) | instid1(VALU_DEP_1)
	s_cmp_eq_u32 s1, 0
	v_cmp_gt_i32_e32 vcc_lo, s1, v2
	s_cselect_b32 s10, -1, 0
	s_delay_alu instid0(SALU_CYCLE_1) | instskip(NEXT) | instid1(SALU_CYCLE_1)
	s_or_b32 s10, s10, vcc_lo
	s_and_b32 exec_lo, exec_lo, s10
	s_cbranch_execz .LBB97_10
; %bb.8:
	v_mov_b32_e32 v3, s1
.LBB97_9:                               ; =>This Inner Loop Header: Depth=1
	ds_cmpstore_rtn_b32 v3, v1, v2, v3 offset:136
	s_waitcnt lgkmcnt(0)
	v_cmp_ne_u32_e32 vcc_lo, 0, v3
	v_cmp_le_i32_e64 s1, v3, v2
	s_delay_alu instid0(VALU_DEP_1) | instskip(NEXT) | instid1(SALU_CYCLE_1)
	s_and_b32 s1, vcc_lo, s1
	s_and_b32 s1, exec_lo, s1
	s_delay_alu instid0(SALU_CYCLE_1) | instskip(NEXT) | instid1(SALU_CYCLE_1)
	s_or_b32 s5, s1, s5
	s_and_not1_b32 exec_lo, exec_lo, s5
	s_cbranch_execnz .LBB97_9
.LBB97_10:
	s_or_b32 exec_lo, exec_lo, s4
	v_mov_b32_e32 v1, 0
	s_barrier
	buffer_gl0_inv
	ds_load_b32 v2, v1 offset:136
	s_and_saveexec_b32 s1, s0
	s_cbranch_execz .LBB97_12
; %bb.11:
	s_lshl_b64 s[4:5], s[8:9], 2
	s_delay_alu instid0(SALU_CYCLE_1)
	s_add_u32 s4, s6, s4
	s_addc_u32 s5, s7, s5
	s_waitcnt lgkmcnt(0)
	global_store_b32 v1, v2, s[4:5]
.LBB97_12:
	s_or_b32 exec_lo, exec_lo, s1
	s_waitcnt lgkmcnt(0)
	v_cmp_ne_u32_e32 vcc_lo, 0, v2
	s_mov_b32 s1, 0
	s_cbranch_vccnz .LBB97_142
; %bb.13:
	v_add_nc_u32_e32 v1, 0, v73
	scratch_load_b32 v2, v1, off
	s_waitcnt vmcnt(0)
	v_div_scale_f32 v3, null, v2, v2, 1.0
	v_div_scale_f32 v75, vcc_lo, 1.0, v2, 1.0
	s_delay_alu instid0(VALU_DEP_2) | instskip(SKIP_2) | instid1(VALU_DEP_1)
	v_rcp_f32_e32 v4, v3
	s_waitcnt_depctr 0xfff
	v_fma_f32 v74, -v3, v4, 1.0
	v_fmac_f32_e32 v4, v74, v4
	s_delay_alu instid0(VALU_DEP_1) | instskip(NEXT) | instid1(VALU_DEP_1)
	v_mul_f32_e32 v74, v75, v4
	v_fma_f32 v76, -v3, v74, v75
	s_delay_alu instid0(VALU_DEP_1) | instskip(NEXT) | instid1(VALU_DEP_1)
	v_fmac_f32_e32 v74, v76, v4
	v_fma_f32 v3, -v3, v74, v75
	s_delay_alu instid0(VALU_DEP_1) | instskip(NEXT) | instid1(VALU_DEP_1)
	v_div_fmas_f32 v3, v3, v4, v74
	v_div_fixup_f32 v2, v3, v2, 1.0
	scratch_store_b32 v1, v2, off
	scratch_load_b32 v3, off, off offset:4
	v_xor_b32_e32 v4, 0x80000000, v2
	v_add_nc_u32_e32 v2, 0x90, v73
	s_waitcnt vmcnt(0)
	ds_store_2addr_b32 v73, v4, v3 offset1:36
	s_waitcnt lgkmcnt(0)
	s_waitcnt_vscnt null, 0x0
	s_barrier
	buffer_gl0_inv
	s_and_saveexec_b32 s1, s0
	s_cbranch_execz .LBB97_15
; %bb.14:
	scratch_load_b32 v3, v1, off
	ds_load_b32 v4, v2
	v_mov_b32_e32 v74, 0
	ds_load_b32 v74, v74 offset:4
	s_waitcnt vmcnt(0) lgkmcnt(1)
	v_fma_f32 v3, v3, v4, 0
	s_waitcnt lgkmcnt(0)
	s_delay_alu instid0(VALU_DEP_1)
	v_mul_f32_e32 v3, v3, v74
	scratch_store_b32 off, v3, off offset:4
.LBB97_15:
	s_or_b32 exec_lo, exec_lo, s1
	s_waitcnt_vscnt null, 0x0
	s_barrier
	buffer_gl0_inv
	scratch_load_b32 v3, off, off offset:8
	s_mov_b32 s1, exec_lo
	s_waitcnt vmcnt(0)
	ds_store_b32 v2, v3
	s_waitcnt lgkmcnt(0)
	s_barrier
	buffer_gl0_inv
	v_cmpx_gt_u32_e32 2, v0
	s_cbranch_execz .LBB97_17
; %bb.16:
	scratch_load_b32 v74, v1, off
	scratch_load_b32 v75, off, off offset:4
	ds_load_b32 v76, v2
	v_mov_b32_e32 v3, 0
	ds_load_2addr_b32 v[3:4], v3 offset0:2 offset1:37
	s_waitcnt vmcnt(1) lgkmcnt(1)
	v_fma_f32 v74, v74, v76, 0
	s_waitcnt vmcnt(0) lgkmcnt(0)
	s_delay_alu instid0(VALU_DEP_1) | instskip(NEXT) | instid1(VALU_DEP_1)
	v_fma_f32 v4, v75, v4, v74
	v_cndmask_b32_e64 v4, v74, v4, s0
	s_delay_alu instid0(VALU_DEP_1)
	v_mul_f32_e32 v3, v4, v3
	scratch_store_b32 off, v3, off offset:8
.LBB97_17:
	s_or_b32 exec_lo, exec_lo, s1
	s_waitcnt_vscnt null, 0x0
	s_barrier
	buffer_gl0_inv
	scratch_load_b32 v4, off, off offset:12
	v_add_nc_u32_e32 v3, -1, v0
	s_mov_b32 s0, exec_lo
	s_waitcnt vmcnt(0)
	ds_store_b32 v2, v4
	s_waitcnt lgkmcnt(0)
	s_barrier
	buffer_gl0_inv
	v_cmpx_gt_u32_e32 3, v0
	s_cbranch_execz .LBB97_21
; %bb.18:
	v_add_nc_u32_e32 v74, -1, v0
	v_dual_mov_b32 v4, 0 :: v_dual_add_nc_u32 v75, 0x90, v73
	v_add_nc_u32_e32 v76, 0, v73
	s_mov_b32 s1, 0
.LBB97_19:                              ; =>This Inner Loop Header: Depth=1
	scratch_load_b32 v77, v76, off
	ds_load_b32 v78, v75
	v_add_nc_u32_e32 v74, 1, v74
	v_add_nc_u32_e32 v75, 4, v75
	v_add_nc_u32_e32 v76, 4, v76
	s_delay_alu instid0(VALU_DEP_3)
	v_cmp_lt_u32_e32 vcc_lo, 1, v74
	s_or_b32 s1, vcc_lo, s1
	s_waitcnt vmcnt(0) lgkmcnt(0)
	v_fmac_f32_e32 v4, v77, v78
	s_and_not1_b32 exec_lo, exec_lo, s1
	s_cbranch_execnz .LBB97_19
; %bb.20:
	s_or_b32 exec_lo, exec_lo, s1
	v_mov_b32_e32 v74, 0
	ds_load_b32 v74, v74 offset:12
	s_waitcnt lgkmcnt(0)
	v_mul_f32_e32 v4, v4, v74
	scratch_store_b32 off, v4, off offset:12
.LBB97_21:
	s_or_b32 exec_lo, exec_lo, s0
	s_waitcnt_vscnt null, 0x0
	s_barrier
	buffer_gl0_inv
	scratch_load_b32 v4, off, off offset:16
	s_mov_b32 s0, exec_lo
	s_waitcnt vmcnt(0)
	ds_store_b32 v2, v4
	s_waitcnt lgkmcnt(0)
	s_barrier
	buffer_gl0_inv
	v_cmpx_gt_u32_e32 4, v0
	s_cbranch_execz .LBB97_25
; %bb.22:
	v_add_nc_u32_e32 v74, -1, v0
	v_dual_mov_b32 v4, 0 :: v_dual_add_nc_u32 v75, 0x90, v73
	v_add_nc_u32_e32 v76, 0, v73
	s_mov_b32 s1, 0
.LBB97_23:                              ; =>This Inner Loop Header: Depth=1
	scratch_load_b32 v77, v76, off
	ds_load_b32 v78, v75
	v_add_nc_u32_e32 v74, 1, v74
	v_add_nc_u32_e32 v75, 4, v75
	v_add_nc_u32_e32 v76, 4, v76
	s_delay_alu instid0(VALU_DEP_3)
	v_cmp_lt_u32_e32 vcc_lo, 2, v74
	s_or_b32 s1, vcc_lo, s1
	s_waitcnt vmcnt(0) lgkmcnt(0)
	v_fmac_f32_e32 v4, v77, v78
	s_and_not1_b32 exec_lo, exec_lo, s1
	s_cbranch_execnz .LBB97_23
; %bb.24:
	s_or_b32 exec_lo, exec_lo, s1
	v_mov_b32_e32 v74, 0
	ds_load_b32 v74, v74 offset:16
	s_waitcnt lgkmcnt(0)
	v_mul_f32_e32 v4, v4, v74
	scratch_store_b32 off, v4, off offset:16
.LBB97_25:
	s_or_b32 exec_lo, exec_lo, s0
	s_waitcnt_vscnt null, 0x0
	s_barrier
	buffer_gl0_inv
	scratch_load_b32 v4, off, off offset:20
	;; [unrolled: 39-line block ×21, first 2 shown]
	s_mov_b32 s0, exec_lo
	s_waitcnt vmcnt(0)
	ds_store_b32 v2, v4
	s_waitcnt lgkmcnt(0)
	s_barrier
	buffer_gl0_inv
	v_cmpx_gt_u32_e32 24, v0
	s_cbranch_execz .LBB97_105
; %bb.102:
	v_add_nc_u32_e32 v74, -1, v0
	v_dual_mov_b32 v4, 0 :: v_dual_add_nc_u32 v75, 0x90, v73
	v_add_nc_u32_e32 v76, 0, v73
	s_mov_b32 s1, 0
.LBB97_103:                             ; =>This Inner Loop Header: Depth=1
	scratch_load_b32 v77, v76, off
	ds_load_b32 v78, v75
	v_add_nc_u32_e32 v74, 1, v74
	v_add_nc_u32_e32 v75, 4, v75
	v_add_nc_u32_e32 v76, 4, v76
	s_delay_alu instid0(VALU_DEP_3)
	v_cmp_lt_u32_e32 vcc_lo, 22, v74
	s_or_b32 s1, vcc_lo, s1
	s_waitcnt vmcnt(0) lgkmcnt(0)
	v_fmac_f32_e32 v4, v77, v78
	s_and_not1_b32 exec_lo, exec_lo, s1
	s_cbranch_execnz .LBB97_103
; %bb.104:
	s_or_b32 exec_lo, exec_lo, s1
	v_mov_b32_e32 v74, 0
	ds_load_b32 v74, v74 offset:96
	s_waitcnt lgkmcnt(0)
	v_mul_f32_e32 v4, v4, v74
	scratch_store_b32 off, v4, off offset:96
.LBB97_105:
	s_or_b32 exec_lo, exec_lo, s0
	s_waitcnt_vscnt null, 0x0
	s_barrier
	buffer_gl0_inv
	scratch_load_b32 v4, off, off offset:100
	s_mov_b32 s0, exec_lo
	s_waitcnt vmcnt(0)
	ds_store_b32 v2, v4
	s_waitcnt lgkmcnt(0)
	s_barrier
	buffer_gl0_inv
	v_cmpx_gt_u32_e32 25, v0
	s_cbranch_execz .LBB97_109
; %bb.106:
	v_add_nc_u32_e32 v74, -1, v0
	v_dual_mov_b32 v4, 0 :: v_dual_add_nc_u32 v75, 0x90, v73
	v_add_nc_u32_e32 v76, 0, v73
	s_mov_b32 s1, 0
.LBB97_107:                             ; =>This Inner Loop Header: Depth=1
	scratch_load_b32 v77, v76, off
	ds_load_b32 v78, v75
	v_add_nc_u32_e32 v74, 1, v74
	v_add_nc_u32_e32 v75, 4, v75
	v_add_nc_u32_e32 v76, 4, v76
	s_delay_alu instid0(VALU_DEP_3)
	v_cmp_lt_u32_e32 vcc_lo, 23, v74
	s_or_b32 s1, vcc_lo, s1
	s_waitcnt vmcnt(0) lgkmcnt(0)
	v_fmac_f32_e32 v4, v77, v78
	s_and_not1_b32 exec_lo, exec_lo, s1
	s_cbranch_execnz .LBB97_107
; %bb.108:
	s_or_b32 exec_lo, exec_lo, s1
	v_mov_b32_e32 v74, 0
	ds_load_b32 v74, v74 offset:100
	s_waitcnt lgkmcnt(0)
	v_mul_f32_e32 v4, v4, v74
	scratch_store_b32 off, v4, off offset:100
.LBB97_109:
	s_or_b32 exec_lo, exec_lo, s0
	s_waitcnt_vscnt null, 0x0
	s_barrier
	buffer_gl0_inv
	scratch_load_b32 v4, off, off offset:104
	;; [unrolled: 39-line block ×9, first 2 shown]
	s_mov_b32 s0, exec_lo
	s_waitcnt vmcnt(0)
	ds_store_b32 v2, v4
	s_waitcnt lgkmcnt(0)
	s_barrier
	buffer_gl0_inv
	v_cmpx_ne_u32_e32 33, v0
	s_cbranch_execz .LBB97_141
; %bb.138:
	v_mov_b32_e32 v4, 0
	s_mov_b32 s1, 0
.LBB97_139:                             ; =>This Inner Loop Header: Depth=1
	scratch_load_b32 v73, v1, off
	ds_load_b32 v74, v2
	v_add_nc_u32_e32 v3, 1, v3
	v_add_nc_u32_e32 v2, 4, v2
	s_waitcnt vmcnt(0) lgkmcnt(0)
	v_dual_fmac_f32 v4, v73, v74 :: v_dual_add_nc_u32 v1, 4, v1
	s_delay_alu instid0(VALU_DEP_3) | instskip(SKIP_1) | instid1(SALU_CYCLE_1)
	v_cmp_lt_u32_e32 vcc_lo, 31, v3
	s_or_b32 s1, vcc_lo, s1
	s_and_not1_b32 exec_lo, exec_lo, s1
	s_cbranch_execnz .LBB97_139
; %bb.140:
	s_or_b32 exec_lo, exec_lo, s1
	v_mov_b32_e32 v1, 0
	ds_load_b32 v1, v1 offset:132
	s_waitcnt lgkmcnt(0)
	v_mul_f32_e32 v1, v4, v1
	scratch_store_b32 off, v1, off offset:132
.LBB97_141:
	s_or_b32 exec_lo, exec_lo, s0
	s_mov_b32 s1, -1
	s_waitcnt_vscnt null, 0x0
	s_barrier
	buffer_gl0_inv
.LBB97_142:
	s_and_b32 vcc_lo, exec_lo, s1
	s_cbranch_vccz .LBB97_144
; %bb.143:
	s_lshl_b64 s[0:1], s[8:9], 2
	v_mov_b32_e32 v1, 0
	s_add_u32 s0, s6, s0
	s_addc_u32 s1, s7, s1
	global_load_b32 v1, v1, s[0:1]
	s_waitcnt vmcnt(0)
	v_cmp_ne_u32_e32 vcc_lo, 0, v1
	s_cbranch_vccz .LBB97_145
.LBB97_144:
	s_endpgm
.LBB97_145:
	v_lshl_add_u32 v1, v0, 2, 0x90
	s_mov_b32 s0, exec_lo
	v_cmpx_eq_u32_e32 33, v0
	s_cbranch_execz .LBB97_147
; %bb.146:
	scratch_load_b32 v2, off, off offset:128
	v_mov_b32_e32 v3, 0
	scratch_store_b32 off, v3, off offset:128
	s_waitcnt vmcnt(0)
	ds_store_b32 v1, v2
.LBB97_147:
	s_or_b32 exec_lo, exec_lo, s0
	s_waitcnt lgkmcnt(0)
	s_waitcnt_vscnt null, 0x0
	s_barrier
	buffer_gl0_inv
	scratch_load_b64 v[3:4], off, off offset:128
	v_mov_b32_e32 v2, 0
	s_mov_b32 s0, exec_lo
	ds_load_b32 v73, v2 offset:276
	s_waitcnt vmcnt(0) lgkmcnt(0)
	v_fma_f32 v4, v4, v73, 0
	s_delay_alu instid0(VALU_DEP_1)
	v_sub_f32_e32 v3, v3, v4
	scratch_store_b32 off, v3, off offset:128
	v_cmpx_lt_u32_e32 31, v0
	s_cbranch_execz .LBB97_149
; %bb.148:
	scratch_load_b32 v3, off, off offset:124
	scratch_store_b32 off, v2, off offset:124
	s_waitcnt vmcnt(0)
	ds_store_b32 v1, v3
.LBB97_149:
	s_or_b32 exec_lo, exec_lo, s0
	s_waitcnt lgkmcnt(0)
	s_waitcnt_vscnt null, 0x0
	s_barrier
	buffer_gl0_inv
	scratch_load_b96 v[73:75], off, off offset:124
	ds_load_b64 v[2:3], v2 offset:272
	s_mov_b32 s0, exec_lo
	s_waitcnt vmcnt(0) lgkmcnt(0)
	v_fma_f32 v2, v74, v2, 0
	s_delay_alu instid0(VALU_DEP_1) | instskip(NEXT) | instid1(VALU_DEP_1)
	v_fmac_f32_e32 v2, v75, v3
	v_sub_f32_e32 v2, v73, v2
	scratch_store_b32 off, v2, off offset:124
	v_cmpx_lt_u32_e32 30, v0
	s_cbranch_execz .LBB97_151
; %bb.150:
	scratch_load_b32 v2, off, off offset:120
	v_mov_b32_e32 v3, 0
	scratch_store_b32 off, v3, off offset:120
	s_waitcnt vmcnt(0)
	ds_store_b32 v1, v2
.LBB97_151:
	s_or_b32 exec_lo, exec_lo, s0
	s_waitcnt lgkmcnt(0)
	s_waitcnt_vscnt null, 0x0
	s_barrier
	buffer_gl0_inv
	scratch_load_b128 v[73:76], off, off offset:120
	v_mov_b32_e32 v2, 0
	ds_load_2addr_b32 v[3:4], v2 offset0:67 offset1:68
	ds_load_b32 v77, v2 offset:276
	s_mov_b32 s0, exec_lo
	s_waitcnt vmcnt(0) lgkmcnt(1)
	v_fma_f32 v3, v74, v3, 0
	s_delay_alu instid0(VALU_DEP_1) | instskip(SKIP_1) | instid1(VALU_DEP_1)
	v_fmac_f32_e32 v3, v75, v4
	s_waitcnt lgkmcnt(0)
	v_fmac_f32_e32 v3, v76, v77
	s_delay_alu instid0(VALU_DEP_1)
	v_sub_f32_e32 v3, v73, v3
	scratch_store_b32 off, v3, off offset:120
	v_cmpx_lt_u32_e32 29, v0
	s_cbranch_execz .LBB97_153
; %bb.152:
	scratch_load_b32 v3, off, off offset:116
	scratch_store_b32 off, v2, off offset:116
	s_waitcnt vmcnt(0)
	ds_store_b32 v1, v3
.LBB97_153:
	s_or_b32 exec_lo, exec_lo, s0
	s_waitcnt lgkmcnt(0)
	s_waitcnt_vscnt null, 0x0
	s_barrier
	buffer_gl0_inv
	s_clause 0x1
	scratch_load_b128 v[73:76], off, off offset:116
	scratch_load_b32 v3, off, off offset:132
	ds_load_2addr_b64 v[77:80], v2 offset0:33 offset1:34
	s_mov_b32 s0, exec_lo
	s_waitcnt vmcnt(1) lgkmcnt(0)
	v_fma_f32 v2, v74, v77, 0
	s_delay_alu instid0(VALU_DEP_1) | instskip(NEXT) | instid1(VALU_DEP_1)
	v_fmac_f32_e32 v2, v75, v78
	v_fmac_f32_e32 v2, v76, v79
	s_waitcnt vmcnt(0)
	s_delay_alu instid0(VALU_DEP_1) | instskip(NEXT) | instid1(VALU_DEP_1)
	v_fmac_f32_e32 v2, v3, v80
	v_sub_f32_e32 v2, v73, v2
	scratch_store_b32 off, v2, off offset:116
	v_cmpx_lt_u32_e32 28, v0
	s_cbranch_execz .LBB97_155
; %bb.154:
	scratch_load_b32 v2, off, off offset:112
	v_mov_b32_e32 v3, 0
	scratch_store_b32 off, v3, off offset:112
	s_waitcnt vmcnt(0)
	ds_store_b32 v1, v2
.LBB97_155:
	s_or_b32 exec_lo, exec_lo, s0
	s_waitcnt lgkmcnt(0)
	s_waitcnt_vscnt null, 0x0
	s_barrier
	buffer_gl0_inv
	s_clause 0x1
	scratch_load_b128 v[73:76], off, off offset:112
	scratch_load_b64 v[3:4], off, off offset:128
	v_mov_b32_e32 v2, 0
	ds_load_2addr_b32 v[77:78], v2 offset0:65 offset1:66
	ds_load_2addr_b32 v[79:80], v2 offset0:67 offset1:68
	ds_load_b32 v81, v2 offset:276
	s_mov_b32 s0, exec_lo
	s_waitcnt vmcnt(1) lgkmcnt(2)
	v_fma_f32 v74, v74, v77, 0
	s_delay_alu instid0(VALU_DEP_1) | instskip(SKIP_1) | instid1(VALU_DEP_1)
	v_fmac_f32_e32 v74, v75, v78
	s_waitcnt lgkmcnt(1)
	v_fmac_f32_e32 v74, v76, v79
	s_waitcnt vmcnt(0)
	s_delay_alu instid0(VALU_DEP_1) | instskip(SKIP_1) | instid1(VALU_DEP_1)
	v_fmac_f32_e32 v74, v3, v80
	s_waitcnt lgkmcnt(0)
	v_fmac_f32_e32 v74, v4, v81
	s_delay_alu instid0(VALU_DEP_1)
	v_sub_f32_e32 v3, v73, v74
	scratch_store_b32 off, v3, off offset:112
	v_cmpx_lt_u32_e32 27, v0
	s_cbranch_execz .LBB97_157
; %bb.156:
	scratch_load_b32 v3, off, off offset:108
	scratch_store_b32 off, v2, off offset:108
	s_waitcnt vmcnt(0)
	ds_store_b32 v1, v3
.LBB97_157:
	s_or_b32 exec_lo, exec_lo, s0
	s_waitcnt lgkmcnt(0)
	s_waitcnt_vscnt null, 0x0
	s_barrier
	buffer_gl0_inv
	s_clause 0x1
	scratch_load_b128 v[73:76], off, off offset:108
	scratch_load_b96 v[81:83], off, off offset:124
	ds_load_b128 v[77:80], v2 offset:256
	ds_load_b64 v[2:3], v2 offset:272
	s_mov_b32 s0, exec_lo
	s_waitcnt vmcnt(1) lgkmcnt(1)
	v_fma_f32 v4, v74, v77, 0
	s_delay_alu instid0(VALU_DEP_1) | instskip(NEXT) | instid1(VALU_DEP_1)
	v_fmac_f32_e32 v4, v75, v78
	v_fmac_f32_e32 v4, v76, v79
	s_waitcnt vmcnt(0)
	s_delay_alu instid0(VALU_DEP_1) | instskip(SKIP_1) | instid1(VALU_DEP_1)
	v_fmac_f32_e32 v4, v81, v80
	s_waitcnt lgkmcnt(0)
	v_fmac_f32_e32 v4, v82, v2
	s_delay_alu instid0(VALU_DEP_1) | instskip(NEXT) | instid1(VALU_DEP_1)
	v_fmac_f32_e32 v4, v83, v3
	v_sub_f32_e32 v2, v73, v4
	scratch_store_b32 off, v2, off offset:108
	v_cmpx_lt_u32_e32 26, v0
	s_cbranch_execz .LBB97_159
; %bb.158:
	scratch_load_b32 v2, off, off offset:104
	v_mov_b32_e32 v3, 0
	scratch_store_b32 off, v3, off offset:104
	s_waitcnt vmcnt(0)
	ds_store_b32 v1, v2
.LBB97_159:
	s_or_b32 exec_lo, exec_lo, s0
	s_waitcnt lgkmcnt(0)
	s_waitcnt_vscnt null, 0x0
	s_barrier
	buffer_gl0_inv
	s_clause 0x1
	scratch_load_b128 v[73:76], off, off offset:104
	scratch_load_b128 v[77:80], off, off offset:120
	v_mov_b32_e32 v2, 0
	ds_load_2addr_b32 v[3:4], v2 offset0:63 offset1:64
	ds_load_2addr_b32 v[81:82], v2 offset0:65 offset1:66
	;; [unrolled: 1-line block ×3, first 2 shown]
	ds_load_b32 v85, v2 offset:276
	s_mov_b32 s0, exec_lo
	s_waitcnt vmcnt(1) lgkmcnt(3)
	v_fma_f32 v3, v74, v3, 0
	s_delay_alu instid0(VALU_DEP_1) | instskip(SKIP_1) | instid1(VALU_DEP_1)
	v_fmac_f32_e32 v3, v75, v4
	s_waitcnt lgkmcnt(2)
	v_fmac_f32_e32 v3, v76, v81
	s_waitcnt vmcnt(0)
	s_delay_alu instid0(VALU_DEP_1) | instskip(SKIP_1) | instid1(VALU_DEP_1)
	v_fmac_f32_e32 v3, v77, v82
	s_waitcnt lgkmcnt(1)
	v_fmac_f32_e32 v3, v78, v83
	s_delay_alu instid0(VALU_DEP_1) | instskip(SKIP_1) | instid1(VALU_DEP_1)
	v_fmac_f32_e32 v3, v79, v84
	s_waitcnt lgkmcnt(0)
	v_fmac_f32_e32 v3, v80, v85
	s_delay_alu instid0(VALU_DEP_1)
	v_sub_f32_e32 v3, v73, v3
	scratch_store_b32 off, v3, off offset:104
	v_cmpx_lt_u32_e32 25, v0
	s_cbranch_execz .LBB97_161
; %bb.160:
	scratch_load_b32 v3, off, off offset:100
	scratch_store_b32 off, v2, off offset:100
	s_waitcnt vmcnt(0)
	ds_store_b32 v1, v3
.LBB97_161:
	s_or_b32 exec_lo, exec_lo, s0
	s_waitcnt lgkmcnt(0)
	s_waitcnt_vscnt null, 0x0
	s_barrier
	buffer_gl0_inv
	s_clause 0x2
	scratch_load_b128 v[73:76], off, off offset:100
	scratch_load_b128 v[77:80], off, off offset:116
	scratch_load_b32 v3, off, off offset:132
	ds_load_2addr_b64 v[81:84], v2 offset0:31 offset1:32
	ds_load_2addr_b64 v[85:88], v2 offset0:33 offset1:34
	s_mov_b32 s0, exec_lo
	s_waitcnt vmcnt(2) lgkmcnt(1)
	v_fma_f32 v2, v74, v81, 0
	s_delay_alu instid0(VALU_DEP_1) | instskip(NEXT) | instid1(VALU_DEP_1)
	v_fmac_f32_e32 v2, v75, v82
	v_fmac_f32_e32 v2, v76, v83
	s_waitcnt vmcnt(1)
	s_delay_alu instid0(VALU_DEP_1) | instskip(SKIP_1) | instid1(VALU_DEP_1)
	v_fmac_f32_e32 v2, v77, v84
	s_waitcnt lgkmcnt(0)
	v_fmac_f32_e32 v2, v78, v85
	s_delay_alu instid0(VALU_DEP_1) | instskip(NEXT) | instid1(VALU_DEP_1)
	v_fmac_f32_e32 v2, v79, v86
	v_fmac_f32_e32 v2, v80, v87
	s_waitcnt vmcnt(0)
	s_delay_alu instid0(VALU_DEP_1) | instskip(NEXT) | instid1(VALU_DEP_1)
	v_fmac_f32_e32 v2, v3, v88
	v_sub_f32_e32 v2, v73, v2
	scratch_store_b32 off, v2, off offset:100
	v_cmpx_lt_u32_e32 24, v0
	s_cbranch_execz .LBB97_163
; %bb.162:
	scratch_load_b32 v2, off, off offset:96
	v_mov_b32_e32 v3, 0
	scratch_store_b32 off, v3, off offset:96
	s_waitcnt vmcnt(0)
	ds_store_b32 v1, v2
.LBB97_163:
	s_or_b32 exec_lo, exec_lo, s0
	s_waitcnt lgkmcnt(0)
	s_waitcnt_vscnt null, 0x0
	s_barrier
	buffer_gl0_inv
	s_clause 0x2
	scratch_load_b128 v[73:76], off, off offset:96
	scratch_load_b128 v[77:80], off, off offset:112
	scratch_load_b64 v[3:4], off, off offset:128
	v_mov_b32_e32 v2, 0
	ds_load_2addr_b32 v[81:82], v2 offset0:61 offset1:62
	ds_load_2addr_b32 v[83:84], v2 offset0:63 offset1:64
	;; [unrolled: 1-line block ×4, first 2 shown]
	s_mov_b32 s0, exec_lo
	s_waitcnt vmcnt(2) lgkmcnt(3)
	v_fma_f32 v74, v74, v81, 0
	s_delay_alu instid0(VALU_DEP_1) | instskip(SKIP_4) | instid1(VALU_DEP_1)
	v_fmac_f32_e32 v74, v75, v82
	ds_load_b32 v75, v2 offset:276
	s_waitcnt lgkmcnt(3)
	v_fmac_f32_e32 v74, v76, v83
	s_waitcnt vmcnt(1)
	v_fmac_f32_e32 v74, v77, v84
	s_waitcnt lgkmcnt(2)
	s_delay_alu instid0(VALU_DEP_1) | instskip(NEXT) | instid1(VALU_DEP_1)
	v_fmac_f32_e32 v74, v78, v85
	v_fmac_f32_e32 v74, v79, v86
	s_waitcnt lgkmcnt(1)
	s_delay_alu instid0(VALU_DEP_1) | instskip(SKIP_1) | instid1(VALU_DEP_1)
	v_fmac_f32_e32 v74, v80, v87
	s_waitcnt vmcnt(0)
	v_fmac_f32_e32 v74, v3, v88
	s_waitcnt lgkmcnt(0)
	s_delay_alu instid0(VALU_DEP_1) | instskip(NEXT) | instid1(VALU_DEP_1)
	v_fmac_f32_e32 v74, v4, v75
	v_sub_f32_e32 v3, v73, v74
	scratch_store_b32 off, v3, off offset:96
	v_cmpx_lt_u32_e32 23, v0
	s_cbranch_execz .LBB97_165
; %bb.164:
	scratch_load_b32 v3, off, off offset:92
	scratch_store_b32 off, v2, off offset:92
	s_waitcnt vmcnt(0)
	ds_store_b32 v1, v3
.LBB97_165:
	s_or_b32 exec_lo, exec_lo, s0
	s_waitcnt lgkmcnt(0)
	s_waitcnt_vscnt null, 0x0
	s_barrier
	buffer_gl0_inv
	s_clause 0x2
	scratch_load_b128 v[73:76], off, off offset:92
	scratch_load_b128 v[77:80], off, off offset:108
	scratch_load_b96 v[89:91], off, off offset:124
	ds_load_b128 v[81:84], v2 offset:240
	ds_load_b128 v[85:88], v2 offset:256
	ds_load_b64 v[2:3], v2 offset:272
	s_mov_b32 s0, exec_lo
	s_waitcnt vmcnt(2) lgkmcnt(2)
	v_fma_f32 v4, v74, v81, 0
	s_delay_alu instid0(VALU_DEP_1) | instskip(NEXT) | instid1(VALU_DEP_1)
	v_fmac_f32_e32 v4, v75, v82
	v_fmac_f32_e32 v4, v76, v83
	s_waitcnt vmcnt(1)
	s_delay_alu instid0(VALU_DEP_1) | instskip(SKIP_1) | instid1(VALU_DEP_1)
	v_fmac_f32_e32 v4, v77, v84
	s_waitcnt lgkmcnt(1)
	v_fmac_f32_e32 v4, v78, v85
	s_delay_alu instid0(VALU_DEP_1) | instskip(NEXT) | instid1(VALU_DEP_1)
	v_fmac_f32_e32 v4, v79, v86
	v_fmac_f32_e32 v4, v80, v87
	s_waitcnt vmcnt(0)
	s_delay_alu instid0(VALU_DEP_1) | instskip(SKIP_1) | instid1(VALU_DEP_1)
	v_fmac_f32_e32 v4, v89, v88
	s_waitcnt lgkmcnt(0)
	v_fmac_f32_e32 v4, v90, v2
	s_delay_alu instid0(VALU_DEP_1) | instskip(NEXT) | instid1(VALU_DEP_1)
	v_fmac_f32_e32 v4, v91, v3
	v_sub_f32_e32 v2, v73, v4
	scratch_store_b32 off, v2, off offset:92
	v_cmpx_lt_u32_e32 22, v0
	s_cbranch_execz .LBB97_167
; %bb.166:
	scratch_load_b32 v2, off, off offset:88
	v_mov_b32_e32 v3, 0
	scratch_store_b32 off, v3, off offset:88
	s_waitcnt vmcnt(0)
	ds_store_b32 v1, v2
.LBB97_167:
	s_or_b32 exec_lo, exec_lo, s0
	s_waitcnt lgkmcnt(0)
	s_waitcnt_vscnt null, 0x0
	s_barrier
	buffer_gl0_inv
	s_clause 0x2
	scratch_load_b128 v[73:76], off, off offset:88
	scratch_load_b128 v[77:80], off, off offset:104
	;; [unrolled: 1-line block ×3, first 2 shown]
	v_mov_b32_e32 v2, 0
	ds_load_2addr_b32 v[3:4], v2 offset0:59 offset1:60
	ds_load_2addr_b32 v[85:86], v2 offset0:61 offset1:62
	ds_load_2addr_b32 v[87:88], v2 offset0:63 offset1:64
	ds_load_2addr_b32 v[89:90], v2 offset0:65 offset1:66
	s_mov_b32 s0, exec_lo
	s_waitcnt vmcnt(2) lgkmcnt(3)
	v_fma_f32 v74, v74, v3, 0
	s_delay_alu instid0(VALU_DEP_1)
	v_fmac_f32_e32 v74, v75, v4
	ds_load_2addr_b32 v[3:4], v2 offset0:67 offset1:68
	ds_load_b32 v75, v2 offset:276
	s_waitcnt lgkmcnt(4)
	v_fmac_f32_e32 v74, v76, v85
	s_waitcnt vmcnt(1)
	s_delay_alu instid0(VALU_DEP_1) | instskip(SKIP_1) | instid1(VALU_DEP_1)
	v_fmac_f32_e32 v74, v77, v86
	s_waitcnt lgkmcnt(3)
	v_fmac_f32_e32 v74, v78, v87
	s_delay_alu instid0(VALU_DEP_1) | instskip(SKIP_1) | instid1(VALU_DEP_1)
	v_fmac_f32_e32 v74, v79, v88
	s_waitcnt lgkmcnt(2)
	v_fmac_f32_e32 v74, v80, v89
	s_waitcnt vmcnt(0)
	s_delay_alu instid0(VALU_DEP_1) | instskip(SKIP_1) | instid1(VALU_DEP_1)
	v_fmac_f32_e32 v74, v81, v90
	s_waitcnt lgkmcnt(1)
	v_fmac_f32_e32 v74, v82, v3
	s_delay_alu instid0(VALU_DEP_1) | instskip(SKIP_1) | instid1(VALU_DEP_1)
	v_fmac_f32_e32 v74, v83, v4
	s_waitcnt lgkmcnt(0)
	v_fmac_f32_e32 v74, v84, v75
	s_delay_alu instid0(VALU_DEP_1)
	v_sub_f32_e32 v3, v73, v74
	scratch_store_b32 off, v3, off offset:88
	v_cmpx_lt_u32_e32 21, v0
	s_cbranch_execz .LBB97_169
; %bb.168:
	scratch_load_b32 v3, off, off offset:84
	scratch_store_b32 off, v2, off offset:84
	s_waitcnt vmcnt(0)
	ds_store_b32 v1, v3
.LBB97_169:
	s_or_b32 exec_lo, exec_lo, s0
	s_waitcnt lgkmcnt(0)
	s_waitcnt_vscnt null, 0x0
	s_barrier
	buffer_gl0_inv
	s_clause 0x3
	scratch_load_b128 v[73:76], off, off offset:84
	scratch_load_b128 v[77:80], off, off offset:100
	;; [unrolled: 1-line block ×3, first 2 shown]
	scratch_load_b32 v3, off, off offset:132
	ds_load_2addr_b64 v[85:88], v2 offset0:29 offset1:30
	ds_load_2addr_b64 v[89:92], v2 offset0:31 offset1:32
	s_mov_b32 s0, exec_lo
	s_waitcnt vmcnt(3) lgkmcnt(1)
	v_fma_f32 v4, v74, v85, 0
	s_delay_alu instid0(VALU_DEP_1) | instskip(NEXT) | instid1(VALU_DEP_1)
	v_fmac_f32_e32 v4, v75, v86
	v_fmac_f32_e32 v4, v76, v87
	s_waitcnt vmcnt(2)
	s_delay_alu instid0(VALU_DEP_1) | instskip(SKIP_3) | instid1(VALU_DEP_1)
	v_fmac_f32_e32 v4, v77, v88
	ds_load_2addr_b64 v[74:77], v2 offset0:33 offset1:34
	s_waitcnt lgkmcnt(1)
	v_fmac_f32_e32 v4, v78, v89
	v_fmac_f32_e32 v4, v79, v90
	s_delay_alu instid0(VALU_DEP_1) | instskip(SKIP_1) | instid1(VALU_DEP_1)
	v_fmac_f32_e32 v4, v80, v91
	s_waitcnt vmcnt(1)
	v_fmac_f32_e32 v4, v81, v92
	s_waitcnt lgkmcnt(0)
	s_delay_alu instid0(VALU_DEP_1) | instskip(NEXT) | instid1(VALU_DEP_1)
	v_fmac_f32_e32 v4, v82, v74
	v_fmac_f32_e32 v4, v83, v75
	s_delay_alu instid0(VALU_DEP_1) | instskip(SKIP_1) | instid1(VALU_DEP_1)
	v_fmac_f32_e32 v4, v84, v76
	s_waitcnt vmcnt(0)
	v_fmac_f32_e32 v4, v3, v77
	s_delay_alu instid0(VALU_DEP_1)
	v_sub_f32_e32 v2, v73, v4
	scratch_store_b32 off, v2, off offset:84
	v_cmpx_lt_u32_e32 20, v0
	s_cbranch_execz .LBB97_171
; %bb.170:
	scratch_load_b32 v2, off, off offset:80
	v_mov_b32_e32 v3, 0
	scratch_store_b32 off, v3, off offset:80
	s_waitcnt vmcnt(0)
	ds_store_b32 v1, v2
.LBB97_171:
	s_or_b32 exec_lo, exec_lo, s0
	s_waitcnt lgkmcnt(0)
	s_waitcnt_vscnt null, 0x0
	s_barrier
	buffer_gl0_inv
	s_clause 0x3
	scratch_load_b128 v[73:76], off, off offset:80
	scratch_load_b128 v[77:80], off, off offset:96
	;; [unrolled: 1-line block ×3, first 2 shown]
	scratch_load_b64 v[3:4], off, off offset:128
	v_mov_b32_e32 v2, 0
	ds_load_2addr_b32 v[85:86], v2 offset0:57 offset1:58
	ds_load_2addr_b32 v[87:88], v2 offset0:59 offset1:60
	;; [unrolled: 1-line block ×4, first 2 shown]
	s_mov_b32 s0, exec_lo
	s_waitcnt vmcnt(3) lgkmcnt(3)
	v_fma_f32 v85, v74, v85, 0
	s_delay_alu instid0(VALU_DEP_1) | instskip(SKIP_4) | instid1(VALU_DEP_1)
	v_fmac_f32_e32 v85, v75, v86
	ds_load_2addr_b32 v[74:75], v2 offset0:65 offset1:66
	s_waitcnt lgkmcnt(3)
	v_fmac_f32_e32 v85, v76, v87
	s_waitcnt vmcnt(2)
	v_fmac_f32_e32 v85, v77, v88
	ds_load_2addr_b32 v[76:77], v2 offset0:67 offset1:68
	s_waitcnt lgkmcnt(3)
	v_fmac_f32_e32 v85, v78, v89
	ds_load_b32 v78, v2 offset:276
	v_fmac_f32_e32 v85, v79, v90
	s_waitcnt lgkmcnt(3)
	s_delay_alu instid0(VALU_DEP_1) | instskip(SKIP_1) | instid1(VALU_DEP_1)
	v_fmac_f32_e32 v85, v80, v91
	s_waitcnt vmcnt(1)
	v_fmac_f32_e32 v85, v81, v92
	s_waitcnt lgkmcnt(2)
	s_delay_alu instid0(VALU_DEP_1) | instskip(NEXT) | instid1(VALU_DEP_1)
	v_fmac_f32_e32 v85, v82, v74
	v_fmac_f32_e32 v85, v83, v75
	s_waitcnt lgkmcnt(1)
	s_delay_alu instid0(VALU_DEP_1) | instskip(SKIP_1) | instid1(VALU_DEP_1)
	v_fmac_f32_e32 v85, v84, v76
	s_waitcnt vmcnt(0)
	v_fmac_f32_e32 v85, v3, v77
	s_waitcnt lgkmcnt(0)
	s_delay_alu instid0(VALU_DEP_1) | instskip(NEXT) | instid1(VALU_DEP_1)
	v_fmac_f32_e32 v85, v4, v78
	v_sub_f32_e32 v3, v73, v85
	scratch_store_b32 off, v3, off offset:80
	v_cmpx_lt_u32_e32 19, v0
	s_cbranch_execz .LBB97_173
; %bb.172:
	scratch_load_b32 v3, off, off offset:76
	scratch_store_b32 off, v2, off offset:76
	s_waitcnt vmcnt(0)
	ds_store_b32 v1, v3
.LBB97_173:
	s_or_b32 exec_lo, exec_lo, s0
	s_waitcnt lgkmcnt(0)
	s_waitcnt_vscnt null, 0x0
	s_barrier
	buffer_gl0_inv
	s_clause 0x3
	scratch_load_b128 v[73:76], off, off offset:76
	scratch_load_b128 v[77:80], off, off offset:92
	;; [unrolled: 1-line block ×3, first 2 shown]
	scratch_load_b96 v[93:95], off, off offset:124
	ds_load_b128 v[85:88], v2 offset:224
	ds_load_b128 v[89:92], v2 offset:240
	s_mov_b32 s0, exec_lo
	s_waitcnt vmcnt(3) lgkmcnt(1)
	v_fma_f32 v4, v74, v85, 0
	s_delay_alu instid0(VALU_DEP_1) | instskip(NEXT) | instid1(VALU_DEP_1)
	v_fmac_f32_e32 v4, v75, v86
	v_fmac_f32_e32 v4, v76, v87
	s_waitcnt vmcnt(2)
	s_delay_alu instid0(VALU_DEP_1) | instskip(SKIP_4) | instid1(VALU_DEP_1)
	v_fmac_f32_e32 v4, v77, v88
	ds_load_b128 v[74:77], v2 offset:256
	ds_load_b64 v[2:3], v2 offset:272
	s_waitcnt lgkmcnt(2)
	v_fmac_f32_e32 v4, v78, v89
	v_fmac_f32_e32 v4, v79, v90
	s_delay_alu instid0(VALU_DEP_1) | instskip(SKIP_1) | instid1(VALU_DEP_1)
	v_fmac_f32_e32 v4, v80, v91
	s_waitcnt vmcnt(1)
	v_fmac_f32_e32 v4, v81, v92
	s_waitcnt lgkmcnt(1)
	s_delay_alu instid0(VALU_DEP_1) | instskip(NEXT) | instid1(VALU_DEP_1)
	v_fmac_f32_e32 v4, v82, v74
	v_fmac_f32_e32 v4, v83, v75
	s_delay_alu instid0(VALU_DEP_1) | instskip(SKIP_1) | instid1(VALU_DEP_1)
	v_fmac_f32_e32 v4, v84, v76
	s_waitcnt vmcnt(0)
	v_fmac_f32_e32 v4, v93, v77
	s_waitcnt lgkmcnt(0)
	s_delay_alu instid0(VALU_DEP_1) | instskip(NEXT) | instid1(VALU_DEP_1)
	v_fmac_f32_e32 v4, v94, v2
	v_fmac_f32_e32 v4, v95, v3
	s_delay_alu instid0(VALU_DEP_1)
	v_sub_f32_e32 v2, v73, v4
	scratch_store_b32 off, v2, off offset:76
	v_cmpx_lt_u32_e32 18, v0
	s_cbranch_execz .LBB97_175
; %bb.174:
	scratch_load_b32 v2, off, off offset:72
	v_mov_b32_e32 v3, 0
	scratch_store_b32 off, v3, off offset:72
	s_waitcnt vmcnt(0)
	ds_store_b32 v1, v2
.LBB97_175:
	s_or_b32 exec_lo, exec_lo, s0
	s_waitcnt lgkmcnt(0)
	s_waitcnt_vscnt null, 0x0
	s_barrier
	buffer_gl0_inv
	s_clause 0x3
	scratch_load_b128 v[73:76], off, off offset:72
	scratch_load_b128 v[77:80], off, off offset:88
	;; [unrolled: 1-line block ×4, first 2 shown]
	v_mov_b32_e32 v2, 0
	ds_load_2addr_b32 v[3:4], v2 offset0:55 offset1:56
	ds_load_2addr_b32 v[89:90], v2 offset0:57 offset1:58
	ds_load_2addr_b32 v[91:92], v2 offset0:59 offset1:60
	ds_load_2addr_b32 v[93:94], v2 offset0:61 offset1:62
	s_mov_b32 s0, exec_lo
	s_waitcnt vmcnt(3) lgkmcnt(3)
	v_fma_f32 v95, v74, v3, 0
	s_delay_alu instid0(VALU_DEP_1)
	v_fmac_f32_e32 v95, v75, v4
	ds_load_2addr_b32 v[3:4], v2 offset0:63 offset1:64
	ds_load_2addr_b32 v[74:75], v2 offset0:65 offset1:66
	s_waitcnt lgkmcnt(4)
	v_fmac_f32_e32 v95, v76, v89
	s_waitcnt vmcnt(2)
	s_delay_alu instid0(VALU_DEP_1) | instskip(SKIP_1) | instid1(VALU_DEP_1)
	v_fmac_f32_e32 v95, v77, v90
	s_waitcnt lgkmcnt(3)
	v_fmac_f32_e32 v95, v78, v91
	ds_load_2addr_b32 v[76:77], v2 offset0:67 offset1:68
	ds_load_b32 v78, v2 offset:276
	v_fmac_f32_e32 v95, v79, v92
	s_waitcnt lgkmcnt(4)
	s_delay_alu instid0(VALU_DEP_1) | instskip(SKIP_1) | instid1(VALU_DEP_1)
	v_fmac_f32_e32 v95, v80, v93
	s_waitcnt vmcnt(1)
	v_fmac_f32_e32 v95, v81, v94
	s_waitcnt lgkmcnt(3)
	s_delay_alu instid0(VALU_DEP_1) | instskip(NEXT) | instid1(VALU_DEP_1)
	v_fmac_f32_e32 v95, v82, v3
	v_fmac_f32_e32 v95, v83, v4
	s_waitcnt lgkmcnt(2)
	s_delay_alu instid0(VALU_DEP_1) | instskip(SKIP_1) | instid1(VALU_DEP_1)
	v_fmac_f32_e32 v95, v84, v74
	s_waitcnt vmcnt(0)
	v_fmac_f32_e32 v95, v85, v75
	s_waitcnt lgkmcnt(1)
	s_delay_alu instid0(VALU_DEP_1) | instskip(NEXT) | instid1(VALU_DEP_1)
	v_fmac_f32_e32 v95, v86, v76
	v_fmac_f32_e32 v95, v87, v77
	s_waitcnt lgkmcnt(0)
	s_delay_alu instid0(VALU_DEP_1) | instskip(NEXT) | instid1(VALU_DEP_1)
	v_fmac_f32_e32 v95, v88, v78
	v_sub_f32_e32 v3, v73, v95
	scratch_store_b32 off, v3, off offset:72
	v_cmpx_lt_u32_e32 17, v0
	s_cbranch_execz .LBB97_177
; %bb.176:
	scratch_load_b32 v3, off, off offset:68
	scratch_store_b32 off, v2, off offset:68
	s_waitcnt vmcnt(0)
	ds_store_b32 v1, v3
.LBB97_177:
	s_or_b32 exec_lo, exec_lo, s0
	s_waitcnt lgkmcnt(0)
	s_waitcnt_vscnt null, 0x0
	s_barrier
	buffer_gl0_inv
	s_clause 0x4
	scratch_load_b128 v[73:76], off, off offset:68
	scratch_load_b128 v[77:80], off, off offset:84
	;; [unrolled: 1-line block ×4, first 2 shown]
	scratch_load_b32 v3, off, off offset:132
	ds_load_2addr_b64 v[89:92], v2 offset0:27 offset1:28
	ds_load_2addr_b64 v[93:96], v2 offset0:29 offset1:30
	s_mov_b32 s0, exec_lo
	s_waitcnt vmcnt(4) lgkmcnt(1)
	v_fma_f32 v4, v74, v89, 0
	s_delay_alu instid0(VALU_DEP_1) | instskip(NEXT) | instid1(VALU_DEP_1)
	v_fmac_f32_e32 v4, v75, v90
	v_fmac_f32_e32 v4, v76, v91
	s_waitcnt vmcnt(3)
	s_delay_alu instid0(VALU_DEP_1) | instskip(SKIP_3) | instid1(VALU_DEP_1)
	v_fmac_f32_e32 v4, v77, v92
	ds_load_2addr_b64 v[74:77], v2 offset0:31 offset1:32
	s_waitcnt lgkmcnt(1)
	v_fmac_f32_e32 v4, v78, v93
	v_fmac_f32_e32 v4, v79, v94
	s_delay_alu instid0(VALU_DEP_1) | instskip(SKIP_1) | instid1(VALU_DEP_1)
	v_fmac_f32_e32 v4, v80, v95
	s_waitcnt vmcnt(2)
	v_fmac_f32_e32 v4, v81, v96
	ds_load_2addr_b64 v[78:81], v2 offset0:33 offset1:34
	s_waitcnt lgkmcnt(1)
	v_fmac_f32_e32 v4, v82, v74
	s_delay_alu instid0(VALU_DEP_1) | instskip(NEXT) | instid1(VALU_DEP_1)
	v_fmac_f32_e32 v4, v83, v75
	v_fmac_f32_e32 v4, v84, v76
	s_waitcnt vmcnt(1)
	s_delay_alu instid0(VALU_DEP_1) | instskip(SKIP_1) | instid1(VALU_DEP_1)
	v_fmac_f32_e32 v4, v85, v77
	s_waitcnt lgkmcnt(0)
	v_fmac_f32_e32 v4, v86, v78
	s_delay_alu instid0(VALU_DEP_1) | instskip(NEXT) | instid1(VALU_DEP_1)
	v_fmac_f32_e32 v4, v87, v79
	v_fmac_f32_e32 v4, v88, v80
	s_waitcnt vmcnt(0)
	s_delay_alu instid0(VALU_DEP_1) | instskip(NEXT) | instid1(VALU_DEP_1)
	v_fmac_f32_e32 v4, v3, v81
	v_sub_f32_e32 v2, v73, v4
	scratch_store_b32 off, v2, off offset:68
	v_cmpx_lt_u32_e32 16, v0
	s_cbranch_execz .LBB97_179
; %bb.178:
	scratch_load_b32 v2, off, off offset:64
	v_mov_b32_e32 v3, 0
	scratch_store_b32 off, v3, off offset:64
	s_waitcnt vmcnt(0)
	ds_store_b32 v1, v2
.LBB97_179:
	s_or_b32 exec_lo, exec_lo, s0
	s_waitcnt lgkmcnt(0)
	s_waitcnt_vscnt null, 0x0
	s_barrier
	buffer_gl0_inv
	s_clause 0x4
	scratch_load_b128 v[73:76], off, off offset:64
	scratch_load_b128 v[77:80], off, off offset:80
	;; [unrolled: 1-line block ×4, first 2 shown]
	scratch_load_b64 v[3:4], off, off offset:128
	v_mov_b32_e32 v2, 0
	ds_load_2addr_b32 v[89:90], v2 offset0:53 offset1:54
	ds_load_2addr_b32 v[91:92], v2 offset0:55 offset1:56
	;; [unrolled: 1-line block ×4, first 2 shown]
	s_mov_b32 s0, exec_lo
	s_waitcnt vmcnt(4) lgkmcnt(3)
	v_fma_f32 v89, v74, v89, 0
	s_delay_alu instid0(VALU_DEP_1) | instskip(SKIP_4) | instid1(VALU_DEP_1)
	v_fmac_f32_e32 v89, v75, v90
	ds_load_2addr_b32 v[74:75], v2 offset0:61 offset1:62
	s_waitcnt lgkmcnt(3)
	v_fmac_f32_e32 v89, v76, v91
	s_waitcnt vmcnt(3)
	v_fmac_f32_e32 v89, v77, v92
	ds_load_2addr_b32 v[76:77], v2 offset0:63 offset1:64
	s_waitcnt lgkmcnt(3)
	v_fmac_f32_e32 v89, v78, v93
	s_delay_alu instid0(VALU_DEP_1) | instskip(SKIP_1) | instid1(VALU_DEP_1)
	v_fmac_f32_e32 v89, v79, v94
	s_waitcnt lgkmcnt(2)
	v_fmac_f32_e32 v89, v80, v95
	s_waitcnt vmcnt(2)
	s_delay_alu instid0(VALU_DEP_1)
	v_fmac_f32_e32 v89, v81, v96
	ds_load_2addr_b32 v[78:79], v2 offset0:65 offset1:66
	ds_load_2addr_b32 v[80:81], v2 offset0:67 offset1:68
	s_waitcnt lgkmcnt(3)
	v_fmac_f32_e32 v89, v82, v74
	ds_load_b32 v74, v2 offset:276
	v_fmac_f32_e32 v89, v83, v75
	s_waitcnt lgkmcnt(3)
	s_delay_alu instid0(VALU_DEP_1) | instskip(SKIP_1) | instid1(VALU_DEP_1)
	v_fmac_f32_e32 v89, v84, v76
	s_waitcnt vmcnt(1)
	v_fmac_f32_e32 v89, v85, v77
	s_waitcnt lgkmcnt(2)
	s_delay_alu instid0(VALU_DEP_1) | instskip(NEXT) | instid1(VALU_DEP_1)
	v_fmac_f32_e32 v89, v86, v78
	v_fmac_f32_e32 v89, v87, v79
	s_waitcnt lgkmcnt(1)
	s_delay_alu instid0(VALU_DEP_1) | instskip(SKIP_1) | instid1(VALU_DEP_1)
	v_fmac_f32_e32 v89, v88, v80
	s_waitcnt vmcnt(0)
	v_fmac_f32_e32 v89, v3, v81
	s_waitcnt lgkmcnt(0)
	s_delay_alu instid0(VALU_DEP_1) | instskip(NEXT) | instid1(VALU_DEP_1)
	v_fmac_f32_e32 v89, v4, v74
	v_sub_f32_e32 v3, v73, v89
	scratch_store_b32 off, v3, off offset:64
	v_cmpx_lt_u32_e32 15, v0
	s_cbranch_execz .LBB97_181
; %bb.180:
	scratch_load_b32 v3, off, off offset:60
	scratch_store_b32 off, v2, off offset:60
	s_waitcnt vmcnt(0)
	ds_store_b32 v1, v3
.LBB97_181:
	s_or_b32 exec_lo, exec_lo, s0
	s_waitcnt lgkmcnt(0)
	s_waitcnt_vscnt null, 0x0
	s_barrier
	buffer_gl0_inv
	s_clause 0x4
	scratch_load_b128 v[73:76], off, off offset:60
	scratch_load_b128 v[77:80], off, off offset:76
	;; [unrolled: 1-line block ×4, first 2 shown]
	scratch_load_b96 v[97:99], off, off offset:124
	ds_load_b128 v[89:92], v2 offset:208
	ds_load_b128 v[93:96], v2 offset:224
	s_mov_b32 s0, exec_lo
	s_waitcnt vmcnt(4) lgkmcnt(1)
	v_fma_f32 v4, v74, v89, 0
	s_delay_alu instid0(VALU_DEP_1) | instskip(NEXT) | instid1(VALU_DEP_1)
	v_fmac_f32_e32 v4, v75, v90
	v_fmac_f32_e32 v4, v76, v91
	s_waitcnt vmcnt(3)
	s_delay_alu instid0(VALU_DEP_1) | instskip(SKIP_3) | instid1(VALU_DEP_1)
	v_fmac_f32_e32 v4, v77, v92
	ds_load_b128 v[74:77], v2 offset:240
	s_waitcnt lgkmcnt(1)
	v_fmac_f32_e32 v4, v78, v93
	v_fmac_f32_e32 v4, v79, v94
	s_delay_alu instid0(VALU_DEP_1) | instskip(SKIP_1) | instid1(VALU_DEP_1)
	v_fmac_f32_e32 v4, v80, v95
	s_waitcnt vmcnt(2)
	v_fmac_f32_e32 v4, v81, v96
	ds_load_b128 v[78:81], v2 offset:256
	ds_load_b64 v[2:3], v2 offset:272
	s_waitcnt lgkmcnt(2)
	v_fmac_f32_e32 v4, v82, v74
	s_delay_alu instid0(VALU_DEP_1) | instskip(NEXT) | instid1(VALU_DEP_1)
	v_fmac_f32_e32 v4, v83, v75
	v_fmac_f32_e32 v4, v84, v76
	s_waitcnt vmcnt(1)
	s_delay_alu instid0(VALU_DEP_1) | instskip(SKIP_1) | instid1(VALU_DEP_1)
	v_fmac_f32_e32 v4, v85, v77
	s_waitcnt lgkmcnt(1)
	v_fmac_f32_e32 v4, v86, v78
	s_delay_alu instid0(VALU_DEP_1) | instskip(NEXT) | instid1(VALU_DEP_1)
	v_fmac_f32_e32 v4, v87, v79
	v_fmac_f32_e32 v4, v88, v80
	s_waitcnt vmcnt(0)
	s_delay_alu instid0(VALU_DEP_1) | instskip(SKIP_1) | instid1(VALU_DEP_1)
	v_fmac_f32_e32 v4, v97, v81
	s_waitcnt lgkmcnt(0)
	v_fmac_f32_e32 v4, v98, v2
	s_delay_alu instid0(VALU_DEP_1) | instskip(NEXT) | instid1(VALU_DEP_1)
	v_fmac_f32_e32 v4, v99, v3
	v_sub_f32_e32 v2, v73, v4
	scratch_store_b32 off, v2, off offset:60
	v_cmpx_lt_u32_e32 14, v0
	s_cbranch_execz .LBB97_183
; %bb.182:
	scratch_load_b32 v2, off, off offset:56
	v_mov_b32_e32 v3, 0
	scratch_store_b32 off, v3, off offset:56
	s_waitcnt vmcnt(0)
	ds_store_b32 v1, v2
.LBB97_183:
	s_or_b32 exec_lo, exec_lo, s0
	s_waitcnt lgkmcnt(0)
	s_waitcnt_vscnt null, 0x0
	s_barrier
	buffer_gl0_inv
	s_clause 0x4
	scratch_load_b128 v[73:76], off, off offset:56
	scratch_load_b128 v[77:80], off, off offset:72
	;; [unrolled: 1-line block ×5, first 2 shown]
	v_mov_b32_e32 v2, 0
	ds_load_2addr_b32 v[3:4], v2 offset0:51 offset1:52
	ds_load_2addr_b32 v[93:94], v2 offset0:53 offset1:54
	;; [unrolled: 1-line block ×4, first 2 shown]
	s_mov_b32 s0, exec_lo
	s_waitcnt vmcnt(4) lgkmcnt(3)
	v_fma_f32 v99, v74, v3, 0
	s_delay_alu instid0(VALU_DEP_1)
	v_fmac_f32_e32 v99, v75, v4
	ds_load_2addr_b32 v[3:4], v2 offset0:59 offset1:60
	ds_load_2addr_b32 v[74:75], v2 offset0:61 offset1:62
	s_waitcnt lgkmcnt(4)
	v_fmac_f32_e32 v99, v76, v93
	s_waitcnt vmcnt(3)
	s_delay_alu instid0(VALU_DEP_1) | instskip(SKIP_1) | instid1(VALU_DEP_1)
	v_fmac_f32_e32 v99, v77, v94
	s_waitcnt lgkmcnt(3)
	v_fmac_f32_e32 v99, v78, v95
	s_delay_alu instid0(VALU_DEP_1)
	v_fmac_f32_e32 v99, v79, v96
	ds_load_2addr_b32 v[76:77], v2 offset0:63 offset1:64
	ds_load_2addr_b32 v[78:79], v2 offset0:65 offset1:66
	s_waitcnt lgkmcnt(4)
	v_fmac_f32_e32 v99, v80, v97
	s_waitcnt vmcnt(2)
	s_delay_alu instid0(VALU_DEP_1) | instskip(SKIP_1) | instid1(VALU_DEP_1)
	v_fmac_f32_e32 v99, v81, v98
	s_waitcnt lgkmcnt(3)
	v_fmac_f32_e32 v99, v82, v3
	s_delay_alu instid0(VALU_DEP_1)
	v_fmac_f32_e32 v99, v83, v4
	ds_load_2addr_b32 v[3:4], v2 offset0:67 offset1:68
	s_waitcnt lgkmcnt(3)
	v_fmac_f32_e32 v99, v84, v74
	ds_load_b32 v74, v2 offset:276
	s_waitcnt vmcnt(1)
	v_fmac_f32_e32 v99, v85, v75
	s_waitcnt lgkmcnt(3)
	s_delay_alu instid0(VALU_DEP_1) | instskip(NEXT) | instid1(VALU_DEP_1)
	v_fmac_f32_e32 v99, v86, v76
	v_fmac_f32_e32 v99, v87, v77
	s_waitcnt lgkmcnt(2)
	s_delay_alu instid0(VALU_DEP_1) | instskip(SKIP_1) | instid1(VALU_DEP_1)
	v_fmac_f32_e32 v99, v88, v78
	s_waitcnt vmcnt(0)
	v_fmac_f32_e32 v99, v89, v79
	s_waitcnt lgkmcnt(1)
	s_delay_alu instid0(VALU_DEP_1) | instskip(NEXT) | instid1(VALU_DEP_1)
	v_fmac_f32_e32 v99, v90, v3
	v_fmac_f32_e32 v99, v91, v4
	s_waitcnt lgkmcnt(0)
	s_delay_alu instid0(VALU_DEP_1) | instskip(NEXT) | instid1(VALU_DEP_1)
	v_fmac_f32_e32 v99, v92, v74
	v_sub_f32_e32 v3, v73, v99
	scratch_store_b32 off, v3, off offset:56
	v_cmpx_lt_u32_e32 13, v0
	s_cbranch_execz .LBB97_185
; %bb.184:
	scratch_load_b32 v3, off, off offset:52
	scratch_store_b32 off, v2, off offset:52
	s_waitcnt vmcnt(0)
	ds_store_b32 v1, v3
.LBB97_185:
	s_or_b32 exec_lo, exec_lo, s0
	s_waitcnt lgkmcnt(0)
	s_waitcnt_vscnt null, 0x0
	s_barrier
	buffer_gl0_inv
	s_clause 0x5
	scratch_load_b128 v[73:76], off, off offset:52
	scratch_load_b128 v[77:80], off, off offset:68
	;; [unrolled: 1-line block ×5, first 2 shown]
	scratch_load_b32 v3, off, off offset:132
	ds_load_2addr_b64 v[93:96], v2 offset0:25 offset1:26
	ds_load_2addr_b64 v[97:100], v2 offset0:27 offset1:28
	s_mov_b32 s0, exec_lo
	s_waitcnt vmcnt(5) lgkmcnt(1)
	v_fma_f32 v4, v74, v93, 0
	s_delay_alu instid0(VALU_DEP_1) | instskip(NEXT) | instid1(VALU_DEP_1)
	v_fmac_f32_e32 v4, v75, v94
	v_fmac_f32_e32 v4, v76, v95
	s_waitcnt vmcnt(4)
	s_delay_alu instid0(VALU_DEP_1) | instskip(SKIP_3) | instid1(VALU_DEP_1)
	v_fmac_f32_e32 v4, v77, v96
	ds_load_2addr_b64 v[74:77], v2 offset0:29 offset1:30
	s_waitcnt lgkmcnt(1)
	v_fmac_f32_e32 v4, v78, v97
	v_fmac_f32_e32 v4, v79, v98
	s_delay_alu instid0(VALU_DEP_1) | instskip(SKIP_1) | instid1(VALU_DEP_1)
	v_fmac_f32_e32 v4, v80, v99
	s_waitcnt vmcnt(3)
	v_fmac_f32_e32 v4, v81, v100
	ds_load_2addr_b64 v[78:81], v2 offset0:31 offset1:32
	s_waitcnt lgkmcnt(1)
	v_fmac_f32_e32 v4, v82, v74
	s_delay_alu instid0(VALU_DEP_1) | instskip(NEXT) | instid1(VALU_DEP_1)
	v_fmac_f32_e32 v4, v83, v75
	v_fmac_f32_e32 v4, v84, v76
	s_waitcnt vmcnt(2)
	s_delay_alu instid0(VALU_DEP_1) | instskip(SKIP_3) | instid1(VALU_DEP_1)
	v_fmac_f32_e32 v4, v85, v77
	ds_load_2addr_b64 v[74:77], v2 offset0:33 offset1:34
	s_waitcnt lgkmcnt(1)
	v_fmac_f32_e32 v4, v86, v78
	v_fmac_f32_e32 v4, v87, v79
	s_delay_alu instid0(VALU_DEP_1) | instskip(SKIP_1) | instid1(VALU_DEP_1)
	v_fmac_f32_e32 v4, v88, v80
	s_waitcnt vmcnt(1)
	v_fmac_f32_e32 v4, v89, v81
	s_waitcnt lgkmcnt(0)
	s_delay_alu instid0(VALU_DEP_1) | instskip(NEXT) | instid1(VALU_DEP_1)
	v_fmac_f32_e32 v4, v90, v74
	v_fmac_f32_e32 v4, v91, v75
	s_delay_alu instid0(VALU_DEP_1) | instskip(SKIP_1) | instid1(VALU_DEP_1)
	v_fmac_f32_e32 v4, v92, v76
	s_waitcnt vmcnt(0)
	v_fmac_f32_e32 v4, v3, v77
	s_delay_alu instid0(VALU_DEP_1)
	v_sub_f32_e32 v2, v73, v4
	scratch_store_b32 off, v2, off offset:52
	v_cmpx_lt_u32_e32 12, v0
	s_cbranch_execz .LBB97_187
; %bb.186:
	scratch_load_b32 v2, off, off offset:48
	v_mov_b32_e32 v3, 0
	scratch_store_b32 off, v3, off offset:48
	s_waitcnt vmcnt(0)
	ds_store_b32 v1, v2
.LBB97_187:
	s_or_b32 exec_lo, exec_lo, s0
	s_waitcnt lgkmcnt(0)
	s_waitcnt_vscnt null, 0x0
	s_barrier
	buffer_gl0_inv
	s_clause 0x5
	scratch_load_b128 v[73:76], off, off offset:48
	scratch_load_b128 v[77:80], off, off offset:64
	;; [unrolled: 1-line block ×5, first 2 shown]
	scratch_load_b64 v[3:4], off, off offset:128
	v_mov_b32_e32 v2, 0
	ds_load_2addr_b32 v[93:94], v2 offset0:49 offset1:50
	ds_load_2addr_b32 v[95:96], v2 offset0:51 offset1:52
	;; [unrolled: 1-line block ×4, first 2 shown]
	s_mov_b32 s0, exec_lo
	s_waitcnt vmcnt(5) lgkmcnt(3)
	v_fma_f32 v93, v74, v93, 0
	s_delay_alu instid0(VALU_DEP_1) | instskip(SKIP_4) | instid1(VALU_DEP_1)
	v_fmac_f32_e32 v93, v75, v94
	ds_load_2addr_b32 v[74:75], v2 offset0:57 offset1:58
	s_waitcnt lgkmcnt(3)
	v_fmac_f32_e32 v93, v76, v95
	s_waitcnt vmcnt(4)
	v_fmac_f32_e32 v93, v77, v96
	ds_load_2addr_b32 v[76:77], v2 offset0:59 offset1:60
	s_waitcnt lgkmcnt(3)
	v_fmac_f32_e32 v93, v78, v97
	s_delay_alu instid0(VALU_DEP_1) | instskip(SKIP_1) | instid1(VALU_DEP_1)
	v_fmac_f32_e32 v93, v79, v98
	s_waitcnt lgkmcnt(2)
	v_fmac_f32_e32 v93, v80, v99
	s_waitcnt vmcnt(3)
	s_delay_alu instid0(VALU_DEP_1) | instskip(SKIP_4) | instid1(VALU_DEP_1)
	v_fmac_f32_e32 v93, v81, v100
	ds_load_2addr_b32 v[78:79], v2 offset0:61 offset1:62
	ds_load_2addr_b32 v[80:81], v2 offset0:63 offset1:64
	s_waitcnt lgkmcnt(3)
	v_fmac_f32_e32 v93, v82, v74
	v_fmac_f32_e32 v93, v83, v75
	ds_load_2addr_b32 v[74:75], v2 offset0:65 offset1:66
	s_waitcnt lgkmcnt(3)
	v_fmac_f32_e32 v93, v84, v76
	s_waitcnt vmcnt(2)
	s_delay_alu instid0(VALU_DEP_1)
	v_fmac_f32_e32 v93, v85, v77
	ds_load_2addr_b32 v[76:77], v2 offset0:67 offset1:68
	s_waitcnt lgkmcnt(3)
	v_fmac_f32_e32 v93, v86, v78
	ds_load_b32 v78, v2 offset:276
	v_fmac_f32_e32 v93, v87, v79
	s_waitcnt lgkmcnt(3)
	s_delay_alu instid0(VALU_DEP_1) | instskip(SKIP_1) | instid1(VALU_DEP_1)
	v_fmac_f32_e32 v93, v88, v80
	s_waitcnt vmcnt(1)
	v_fmac_f32_e32 v93, v89, v81
	s_waitcnt lgkmcnt(2)
	s_delay_alu instid0(VALU_DEP_1) | instskip(NEXT) | instid1(VALU_DEP_1)
	v_fmac_f32_e32 v93, v90, v74
	v_fmac_f32_e32 v93, v91, v75
	s_waitcnt lgkmcnt(1)
	s_delay_alu instid0(VALU_DEP_1) | instskip(SKIP_1) | instid1(VALU_DEP_1)
	v_fmac_f32_e32 v93, v92, v76
	s_waitcnt vmcnt(0)
	v_fmac_f32_e32 v93, v3, v77
	s_waitcnt lgkmcnt(0)
	s_delay_alu instid0(VALU_DEP_1) | instskip(NEXT) | instid1(VALU_DEP_1)
	v_fmac_f32_e32 v93, v4, v78
	v_sub_f32_e32 v3, v73, v93
	scratch_store_b32 off, v3, off offset:48
	v_cmpx_lt_u32_e32 11, v0
	s_cbranch_execz .LBB97_189
; %bb.188:
	scratch_load_b32 v3, off, off offset:44
	scratch_store_b32 off, v2, off offset:44
	s_waitcnt vmcnt(0)
	ds_store_b32 v1, v3
.LBB97_189:
	s_or_b32 exec_lo, exec_lo, s0
	s_waitcnt lgkmcnt(0)
	s_waitcnt_vscnt null, 0x0
	s_barrier
	buffer_gl0_inv
	s_clause 0x5
	scratch_load_b128 v[73:76], off, off offset:44
	scratch_load_b128 v[77:80], off, off offset:60
	scratch_load_b128 v[81:84], off, off offset:76
	scratch_load_b128 v[85:88], off, off offset:92
	scratch_load_b128 v[89:92], off, off offset:108
	scratch_load_b96 v[101:103], off, off offset:124
	ds_load_b128 v[93:96], v2 offset:192
	ds_load_b128 v[97:100], v2 offset:208
	s_mov_b32 s0, exec_lo
	s_waitcnt vmcnt(5) lgkmcnt(1)
	v_fma_f32 v4, v74, v93, 0
	s_delay_alu instid0(VALU_DEP_1) | instskip(NEXT) | instid1(VALU_DEP_1)
	v_fmac_f32_e32 v4, v75, v94
	v_fmac_f32_e32 v4, v76, v95
	s_waitcnt vmcnt(4)
	s_delay_alu instid0(VALU_DEP_1) | instskip(SKIP_3) | instid1(VALU_DEP_1)
	v_fmac_f32_e32 v4, v77, v96
	ds_load_b128 v[74:77], v2 offset:224
	s_waitcnt lgkmcnt(1)
	v_fmac_f32_e32 v4, v78, v97
	v_fmac_f32_e32 v4, v79, v98
	s_delay_alu instid0(VALU_DEP_1) | instskip(SKIP_1) | instid1(VALU_DEP_1)
	v_fmac_f32_e32 v4, v80, v99
	s_waitcnt vmcnt(3)
	v_fmac_f32_e32 v4, v81, v100
	ds_load_b128 v[78:81], v2 offset:240
	s_waitcnt lgkmcnt(1)
	v_fmac_f32_e32 v4, v82, v74
	s_delay_alu instid0(VALU_DEP_1) | instskip(NEXT) | instid1(VALU_DEP_1)
	v_fmac_f32_e32 v4, v83, v75
	v_fmac_f32_e32 v4, v84, v76
	s_waitcnt vmcnt(2)
	s_delay_alu instid0(VALU_DEP_1) | instskip(SKIP_4) | instid1(VALU_DEP_1)
	v_fmac_f32_e32 v4, v85, v77
	ds_load_b128 v[74:77], v2 offset:256
	ds_load_b64 v[2:3], v2 offset:272
	s_waitcnt lgkmcnt(2)
	v_fmac_f32_e32 v4, v86, v78
	v_fmac_f32_e32 v4, v87, v79
	s_delay_alu instid0(VALU_DEP_1) | instskip(SKIP_1) | instid1(VALU_DEP_1)
	v_fmac_f32_e32 v4, v88, v80
	s_waitcnt vmcnt(1)
	v_fmac_f32_e32 v4, v89, v81
	s_waitcnt lgkmcnt(1)
	s_delay_alu instid0(VALU_DEP_1) | instskip(NEXT) | instid1(VALU_DEP_1)
	v_fmac_f32_e32 v4, v90, v74
	v_fmac_f32_e32 v4, v91, v75
	s_delay_alu instid0(VALU_DEP_1) | instskip(SKIP_1) | instid1(VALU_DEP_1)
	v_fmac_f32_e32 v4, v92, v76
	s_waitcnt vmcnt(0)
	v_fmac_f32_e32 v4, v101, v77
	s_waitcnt lgkmcnt(0)
	s_delay_alu instid0(VALU_DEP_1) | instskip(NEXT) | instid1(VALU_DEP_1)
	v_fmac_f32_e32 v4, v102, v2
	v_fmac_f32_e32 v4, v103, v3
	s_delay_alu instid0(VALU_DEP_1)
	v_sub_f32_e32 v2, v73, v4
	scratch_store_b32 off, v2, off offset:44
	v_cmpx_lt_u32_e32 10, v0
	s_cbranch_execz .LBB97_191
; %bb.190:
	scratch_load_b32 v2, off, off offset:40
	v_mov_b32_e32 v3, 0
	scratch_store_b32 off, v3, off offset:40
	s_waitcnt vmcnt(0)
	ds_store_b32 v1, v2
.LBB97_191:
	s_or_b32 exec_lo, exec_lo, s0
	s_waitcnt lgkmcnt(0)
	s_waitcnt_vscnt null, 0x0
	s_barrier
	buffer_gl0_inv
	s_clause 0x5
	scratch_load_b128 v[73:76], off, off offset:40
	scratch_load_b128 v[77:80], off, off offset:56
	;; [unrolled: 1-line block ×6, first 2 shown]
	v_mov_b32_e32 v2, 0
	ds_load_2addr_b32 v[3:4], v2 offset0:47 offset1:48
	ds_load_2addr_b32 v[97:98], v2 offset0:49 offset1:50
	;; [unrolled: 1-line block ×4, first 2 shown]
	s_mov_b32 s0, exec_lo
	s_waitcnt vmcnt(5) lgkmcnt(3)
	v_fma_f32 v103, v74, v3, 0
	s_delay_alu instid0(VALU_DEP_1)
	v_fmac_f32_e32 v103, v75, v4
	ds_load_2addr_b32 v[3:4], v2 offset0:55 offset1:56
	ds_load_2addr_b32 v[74:75], v2 offset0:57 offset1:58
	s_waitcnt lgkmcnt(4)
	v_fmac_f32_e32 v103, v76, v97
	s_waitcnt vmcnt(4)
	s_delay_alu instid0(VALU_DEP_1) | instskip(SKIP_1) | instid1(VALU_DEP_1)
	v_fmac_f32_e32 v103, v77, v98
	s_waitcnt lgkmcnt(3)
	v_fmac_f32_e32 v103, v78, v99
	s_delay_alu instid0(VALU_DEP_1)
	v_fmac_f32_e32 v103, v79, v100
	ds_load_2addr_b32 v[76:77], v2 offset0:59 offset1:60
	ds_load_2addr_b32 v[78:79], v2 offset0:61 offset1:62
	s_waitcnt lgkmcnt(4)
	v_fmac_f32_e32 v103, v80, v101
	s_waitcnt vmcnt(3)
	s_delay_alu instid0(VALU_DEP_1) | instskip(SKIP_1) | instid1(VALU_DEP_1)
	v_fmac_f32_e32 v103, v81, v102
	s_waitcnt lgkmcnt(3)
	v_fmac_f32_e32 v103, v82, v3
	s_delay_alu instid0(VALU_DEP_1) | instskip(SKIP_4) | instid1(VALU_DEP_1)
	v_fmac_f32_e32 v103, v83, v4
	ds_load_2addr_b32 v[3:4], v2 offset0:63 offset1:64
	s_waitcnt lgkmcnt(3)
	v_fmac_f32_e32 v103, v84, v74
	s_waitcnt vmcnt(2)
	v_fmac_f32_e32 v103, v85, v75
	ds_load_2addr_b32 v[74:75], v2 offset0:65 offset1:66
	s_waitcnt lgkmcnt(3)
	v_fmac_f32_e32 v103, v86, v76
	s_delay_alu instid0(VALU_DEP_1) | instskip(SKIP_1) | instid1(VALU_DEP_1)
	v_fmac_f32_e32 v103, v87, v77
	s_waitcnt lgkmcnt(2)
	v_fmac_f32_e32 v103, v88, v78
	ds_load_2addr_b32 v[76:77], v2 offset0:67 offset1:68
	ds_load_b32 v78, v2 offset:276
	s_waitcnt vmcnt(1)
	v_fmac_f32_e32 v103, v89, v79
	s_waitcnt lgkmcnt(3)
	s_delay_alu instid0(VALU_DEP_1) | instskip(NEXT) | instid1(VALU_DEP_1)
	v_fmac_f32_e32 v103, v90, v3
	v_fmac_f32_e32 v103, v91, v4
	s_waitcnt lgkmcnt(2)
	s_delay_alu instid0(VALU_DEP_1) | instskip(SKIP_1) | instid1(VALU_DEP_1)
	v_fmac_f32_e32 v103, v92, v74
	s_waitcnt vmcnt(0)
	v_fmac_f32_e32 v103, v93, v75
	s_waitcnt lgkmcnt(1)
	s_delay_alu instid0(VALU_DEP_1) | instskip(NEXT) | instid1(VALU_DEP_1)
	v_fmac_f32_e32 v103, v94, v76
	v_fmac_f32_e32 v103, v95, v77
	s_waitcnt lgkmcnt(0)
	s_delay_alu instid0(VALU_DEP_1) | instskip(NEXT) | instid1(VALU_DEP_1)
	v_fmac_f32_e32 v103, v96, v78
	v_sub_f32_e32 v3, v73, v103
	scratch_store_b32 off, v3, off offset:40
	v_cmpx_lt_u32_e32 9, v0
	s_cbranch_execz .LBB97_193
; %bb.192:
	scratch_load_b32 v3, off, off offset:36
	scratch_store_b32 off, v2, off offset:36
	s_waitcnt vmcnt(0)
	ds_store_b32 v1, v3
.LBB97_193:
	s_or_b32 exec_lo, exec_lo, s0
	s_waitcnt lgkmcnt(0)
	s_waitcnt_vscnt null, 0x0
	s_barrier
	buffer_gl0_inv
	s_clause 0x6
	scratch_load_b128 v[73:76], off, off offset:36
	scratch_load_b128 v[77:80], off, off offset:52
	;; [unrolled: 1-line block ×6, first 2 shown]
	scratch_load_b32 v3, off, off offset:132
	ds_load_2addr_b64 v[97:100], v2 offset0:23 offset1:24
	ds_load_2addr_b64 v[101:104], v2 offset0:25 offset1:26
	s_mov_b32 s0, exec_lo
	s_waitcnt vmcnt(6) lgkmcnt(1)
	v_fma_f32 v4, v74, v97, 0
	s_delay_alu instid0(VALU_DEP_1) | instskip(NEXT) | instid1(VALU_DEP_1)
	v_fmac_f32_e32 v4, v75, v98
	v_fmac_f32_e32 v4, v76, v99
	s_waitcnt vmcnt(5)
	s_delay_alu instid0(VALU_DEP_1) | instskip(SKIP_3) | instid1(VALU_DEP_1)
	v_fmac_f32_e32 v4, v77, v100
	ds_load_2addr_b64 v[74:77], v2 offset0:27 offset1:28
	s_waitcnt lgkmcnt(1)
	v_fmac_f32_e32 v4, v78, v101
	v_fmac_f32_e32 v4, v79, v102
	s_delay_alu instid0(VALU_DEP_1) | instskip(SKIP_1) | instid1(VALU_DEP_1)
	v_fmac_f32_e32 v4, v80, v103
	s_waitcnt vmcnt(4)
	v_fmac_f32_e32 v4, v81, v104
	ds_load_2addr_b64 v[78:81], v2 offset0:29 offset1:30
	s_waitcnt lgkmcnt(1)
	v_fmac_f32_e32 v4, v82, v74
	s_delay_alu instid0(VALU_DEP_1) | instskip(NEXT) | instid1(VALU_DEP_1)
	v_fmac_f32_e32 v4, v83, v75
	v_fmac_f32_e32 v4, v84, v76
	s_waitcnt vmcnt(3)
	s_delay_alu instid0(VALU_DEP_1) | instskip(SKIP_3) | instid1(VALU_DEP_1)
	v_fmac_f32_e32 v4, v85, v77
	ds_load_2addr_b64 v[74:77], v2 offset0:31 offset1:32
	s_waitcnt lgkmcnt(1)
	v_fmac_f32_e32 v4, v86, v78
	v_fmac_f32_e32 v4, v87, v79
	s_delay_alu instid0(VALU_DEP_1) | instskip(SKIP_1) | instid1(VALU_DEP_1)
	v_fmac_f32_e32 v4, v88, v80
	s_waitcnt vmcnt(2)
	v_fmac_f32_e32 v4, v89, v81
	ds_load_2addr_b64 v[78:81], v2 offset0:33 offset1:34
	s_waitcnt lgkmcnt(1)
	v_fmac_f32_e32 v4, v90, v74
	s_delay_alu instid0(VALU_DEP_1) | instskip(NEXT) | instid1(VALU_DEP_1)
	v_fmac_f32_e32 v4, v91, v75
	v_fmac_f32_e32 v4, v92, v76
	s_waitcnt vmcnt(1)
	s_delay_alu instid0(VALU_DEP_1) | instskip(SKIP_1) | instid1(VALU_DEP_1)
	v_fmac_f32_e32 v4, v93, v77
	s_waitcnt lgkmcnt(0)
	v_fmac_f32_e32 v4, v94, v78
	s_delay_alu instid0(VALU_DEP_1) | instskip(NEXT) | instid1(VALU_DEP_1)
	v_fmac_f32_e32 v4, v95, v79
	v_fmac_f32_e32 v4, v96, v80
	s_waitcnt vmcnt(0)
	s_delay_alu instid0(VALU_DEP_1) | instskip(NEXT) | instid1(VALU_DEP_1)
	v_fmac_f32_e32 v4, v3, v81
	v_sub_f32_e32 v2, v73, v4
	scratch_store_b32 off, v2, off offset:36
	v_cmpx_lt_u32_e32 8, v0
	s_cbranch_execz .LBB97_195
; %bb.194:
	scratch_load_b32 v2, off, off offset:32
	v_mov_b32_e32 v3, 0
	scratch_store_b32 off, v3, off offset:32
	s_waitcnt vmcnt(0)
	ds_store_b32 v1, v2
.LBB97_195:
	s_or_b32 exec_lo, exec_lo, s0
	s_waitcnt lgkmcnt(0)
	s_waitcnt_vscnt null, 0x0
	s_barrier
	buffer_gl0_inv
	s_clause 0x6
	scratch_load_b128 v[73:76], off, off offset:32
	scratch_load_b128 v[77:80], off, off offset:48
	scratch_load_b128 v[81:84], off, off offset:64
	scratch_load_b128 v[85:88], off, off offset:80
	scratch_load_b128 v[89:92], off, off offset:96
	scratch_load_b128 v[93:96], off, off offset:112
	scratch_load_b64 v[3:4], off, off offset:128
	v_mov_b32_e32 v2, 0
	ds_load_2addr_b32 v[97:98], v2 offset0:45 offset1:46
	ds_load_2addr_b32 v[99:100], v2 offset0:47 offset1:48
	ds_load_2addr_b32 v[101:102], v2 offset0:49 offset1:50
	ds_load_2addr_b32 v[103:104], v2 offset0:51 offset1:52
	s_mov_b32 s0, exec_lo
	s_waitcnt vmcnt(6) lgkmcnt(3)
	v_fma_f32 v97, v74, v97, 0
	s_delay_alu instid0(VALU_DEP_1) | instskip(SKIP_4) | instid1(VALU_DEP_1)
	v_fmac_f32_e32 v97, v75, v98
	ds_load_2addr_b32 v[74:75], v2 offset0:53 offset1:54
	s_waitcnt lgkmcnt(3)
	v_fmac_f32_e32 v97, v76, v99
	s_waitcnt vmcnt(5)
	v_fmac_f32_e32 v97, v77, v100
	ds_load_2addr_b32 v[76:77], v2 offset0:55 offset1:56
	s_waitcnt lgkmcnt(3)
	v_fmac_f32_e32 v97, v78, v101
	s_delay_alu instid0(VALU_DEP_1) | instskip(SKIP_1) | instid1(VALU_DEP_1)
	v_fmac_f32_e32 v97, v79, v102
	s_waitcnt lgkmcnt(2)
	v_fmac_f32_e32 v97, v80, v103
	s_waitcnt vmcnt(4)
	s_delay_alu instid0(VALU_DEP_1) | instskip(SKIP_4) | instid1(VALU_DEP_1)
	v_fmac_f32_e32 v97, v81, v104
	ds_load_2addr_b32 v[78:79], v2 offset0:57 offset1:58
	ds_load_2addr_b32 v[80:81], v2 offset0:59 offset1:60
	s_waitcnt lgkmcnt(3)
	v_fmac_f32_e32 v97, v82, v74
	v_fmac_f32_e32 v97, v83, v75
	ds_load_2addr_b32 v[74:75], v2 offset0:61 offset1:62
	s_waitcnt lgkmcnt(3)
	v_fmac_f32_e32 v97, v84, v76
	s_waitcnt vmcnt(3)
	s_delay_alu instid0(VALU_DEP_1) | instskip(SKIP_3) | instid1(VALU_DEP_1)
	v_fmac_f32_e32 v97, v85, v77
	ds_load_2addr_b32 v[76:77], v2 offset0:63 offset1:64
	s_waitcnt lgkmcnt(3)
	v_fmac_f32_e32 v97, v86, v78
	v_fmac_f32_e32 v97, v87, v79
	s_waitcnt lgkmcnt(2)
	s_delay_alu instid0(VALU_DEP_1) | instskip(SKIP_1) | instid1(VALU_DEP_1)
	v_fmac_f32_e32 v97, v88, v80
	s_waitcnt vmcnt(2)
	v_fmac_f32_e32 v97, v89, v81
	ds_load_2addr_b32 v[78:79], v2 offset0:65 offset1:66
	ds_load_2addr_b32 v[80:81], v2 offset0:67 offset1:68
	s_waitcnt lgkmcnt(3)
	v_fmac_f32_e32 v97, v90, v74
	ds_load_b32 v74, v2 offset:276
	v_fmac_f32_e32 v97, v91, v75
	s_waitcnt lgkmcnt(3)
	s_delay_alu instid0(VALU_DEP_1) | instskip(SKIP_1) | instid1(VALU_DEP_1)
	v_fmac_f32_e32 v97, v92, v76
	s_waitcnt vmcnt(1)
	v_fmac_f32_e32 v97, v93, v77
	s_waitcnt lgkmcnt(2)
	s_delay_alu instid0(VALU_DEP_1) | instskip(NEXT) | instid1(VALU_DEP_1)
	v_fmac_f32_e32 v97, v94, v78
	v_fmac_f32_e32 v97, v95, v79
	s_waitcnt lgkmcnt(1)
	s_delay_alu instid0(VALU_DEP_1) | instskip(SKIP_1) | instid1(VALU_DEP_1)
	v_fmac_f32_e32 v97, v96, v80
	s_waitcnt vmcnt(0)
	v_fmac_f32_e32 v97, v3, v81
	s_waitcnt lgkmcnt(0)
	s_delay_alu instid0(VALU_DEP_1) | instskip(NEXT) | instid1(VALU_DEP_1)
	v_fmac_f32_e32 v97, v4, v74
	v_sub_f32_e32 v3, v73, v97
	scratch_store_b32 off, v3, off offset:32
	v_cmpx_lt_u32_e32 7, v0
	s_cbranch_execz .LBB97_197
; %bb.196:
	scratch_load_b32 v3, off, off offset:28
	scratch_store_b32 off, v2, off offset:28
	s_waitcnt vmcnt(0)
	ds_store_b32 v1, v3
.LBB97_197:
	s_or_b32 exec_lo, exec_lo, s0
	s_waitcnt lgkmcnt(0)
	s_waitcnt_vscnt null, 0x0
	s_barrier
	buffer_gl0_inv
	s_clause 0x6
	scratch_load_b128 v[73:76], off, off offset:28
	scratch_load_b128 v[77:80], off, off offset:44
	;; [unrolled: 1-line block ×6, first 2 shown]
	scratch_load_b96 v[105:107], off, off offset:124
	ds_load_b128 v[97:100], v2 offset:176
	ds_load_b128 v[101:104], v2 offset:192
	s_mov_b32 s0, exec_lo
	s_waitcnt vmcnt(6) lgkmcnt(1)
	v_fma_f32 v4, v74, v97, 0
	s_delay_alu instid0(VALU_DEP_1) | instskip(NEXT) | instid1(VALU_DEP_1)
	v_fmac_f32_e32 v4, v75, v98
	v_fmac_f32_e32 v4, v76, v99
	s_waitcnt vmcnt(5)
	s_delay_alu instid0(VALU_DEP_1) | instskip(SKIP_3) | instid1(VALU_DEP_1)
	v_fmac_f32_e32 v4, v77, v100
	ds_load_b128 v[74:77], v2 offset:208
	s_waitcnt lgkmcnt(1)
	v_fmac_f32_e32 v4, v78, v101
	v_fmac_f32_e32 v4, v79, v102
	s_delay_alu instid0(VALU_DEP_1) | instskip(SKIP_1) | instid1(VALU_DEP_1)
	v_fmac_f32_e32 v4, v80, v103
	s_waitcnt vmcnt(4)
	v_fmac_f32_e32 v4, v81, v104
	ds_load_b128 v[78:81], v2 offset:224
	s_waitcnt lgkmcnt(1)
	v_fmac_f32_e32 v4, v82, v74
	s_delay_alu instid0(VALU_DEP_1) | instskip(NEXT) | instid1(VALU_DEP_1)
	v_fmac_f32_e32 v4, v83, v75
	v_fmac_f32_e32 v4, v84, v76
	s_waitcnt vmcnt(3)
	s_delay_alu instid0(VALU_DEP_1) | instskip(SKIP_3) | instid1(VALU_DEP_1)
	v_fmac_f32_e32 v4, v85, v77
	ds_load_b128 v[74:77], v2 offset:240
	s_waitcnt lgkmcnt(1)
	v_fmac_f32_e32 v4, v86, v78
	v_fmac_f32_e32 v4, v87, v79
	s_delay_alu instid0(VALU_DEP_1) | instskip(SKIP_1) | instid1(VALU_DEP_1)
	v_fmac_f32_e32 v4, v88, v80
	s_waitcnt vmcnt(2)
	v_fmac_f32_e32 v4, v89, v81
	ds_load_b128 v[78:81], v2 offset:256
	ds_load_b64 v[2:3], v2 offset:272
	s_waitcnt lgkmcnt(2)
	v_fmac_f32_e32 v4, v90, v74
	s_delay_alu instid0(VALU_DEP_1) | instskip(NEXT) | instid1(VALU_DEP_1)
	v_fmac_f32_e32 v4, v91, v75
	v_fmac_f32_e32 v4, v92, v76
	s_waitcnt vmcnt(1)
	s_delay_alu instid0(VALU_DEP_1) | instskip(SKIP_1) | instid1(VALU_DEP_1)
	v_fmac_f32_e32 v4, v93, v77
	s_waitcnt lgkmcnt(1)
	v_fmac_f32_e32 v4, v94, v78
	s_delay_alu instid0(VALU_DEP_1) | instskip(NEXT) | instid1(VALU_DEP_1)
	v_fmac_f32_e32 v4, v95, v79
	v_fmac_f32_e32 v4, v96, v80
	s_waitcnt vmcnt(0)
	s_delay_alu instid0(VALU_DEP_1) | instskip(SKIP_1) | instid1(VALU_DEP_1)
	v_fmac_f32_e32 v4, v105, v81
	s_waitcnt lgkmcnt(0)
	v_fmac_f32_e32 v4, v106, v2
	s_delay_alu instid0(VALU_DEP_1) | instskip(NEXT) | instid1(VALU_DEP_1)
	v_fmac_f32_e32 v4, v107, v3
	v_sub_f32_e32 v2, v73, v4
	scratch_store_b32 off, v2, off offset:28
	v_cmpx_lt_u32_e32 6, v0
	s_cbranch_execz .LBB97_199
; %bb.198:
	scratch_load_b32 v2, off, off offset:24
	v_mov_b32_e32 v3, 0
	scratch_store_b32 off, v3, off offset:24
	s_waitcnt vmcnt(0)
	ds_store_b32 v1, v2
.LBB97_199:
	s_or_b32 exec_lo, exec_lo, s0
	s_waitcnt lgkmcnt(0)
	s_waitcnt_vscnt null, 0x0
	s_barrier
	buffer_gl0_inv
	s_clause 0x6
	scratch_load_b128 v[73:76], off, off offset:24
	scratch_load_b128 v[77:80], off, off offset:40
	scratch_load_b128 v[81:84], off, off offset:56
	scratch_load_b128 v[85:88], off, off offset:72
	scratch_load_b128 v[89:92], off, off offset:88
	scratch_load_b128 v[93:96], off, off offset:104
	scratch_load_b128 v[97:100], off, off offset:120
	v_mov_b32_e32 v2, 0
	ds_load_2addr_b32 v[3:4], v2 offset0:43 offset1:44
	ds_load_2addr_b32 v[101:102], v2 offset0:45 offset1:46
	;; [unrolled: 1-line block ×4, first 2 shown]
	s_mov_b32 s0, exec_lo
	s_waitcnt vmcnt(6) lgkmcnt(3)
	v_fma_f32 v107, v74, v3, 0
	s_delay_alu instid0(VALU_DEP_1)
	v_fmac_f32_e32 v107, v75, v4
	ds_load_2addr_b32 v[3:4], v2 offset0:51 offset1:52
	ds_load_2addr_b32 v[74:75], v2 offset0:53 offset1:54
	s_waitcnt lgkmcnt(4)
	v_fmac_f32_e32 v107, v76, v101
	s_waitcnt vmcnt(5)
	s_delay_alu instid0(VALU_DEP_1) | instskip(SKIP_1) | instid1(VALU_DEP_1)
	v_fmac_f32_e32 v107, v77, v102
	s_waitcnt lgkmcnt(3)
	v_fmac_f32_e32 v107, v78, v103
	s_delay_alu instid0(VALU_DEP_1)
	v_fmac_f32_e32 v107, v79, v104
	ds_load_2addr_b32 v[76:77], v2 offset0:55 offset1:56
	ds_load_2addr_b32 v[78:79], v2 offset0:57 offset1:58
	s_waitcnt lgkmcnt(4)
	v_fmac_f32_e32 v107, v80, v105
	s_waitcnt vmcnt(4)
	s_delay_alu instid0(VALU_DEP_1) | instskip(SKIP_1) | instid1(VALU_DEP_1)
	v_fmac_f32_e32 v107, v81, v106
	s_waitcnt lgkmcnt(3)
	v_fmac_f32_e32 v107, v82, v3
	s_delay_alu instid0(VALU_DEP_1) | instskip(SKIP_4) | instid1(VALU_DEP_1)
	v_fmac_f32_e32 v107, v83, v4
	ds_load_2addr_b32 v[3:4], v2 offset0:59 offset1:60
	s_waitcnt lgkmcnt(3)
	v_fmac_f32_e32 v107, v84, v74
	s_waitcnt vmcnt(3)
	v_fmac_f32_e32 v107, v85, v75
	ds_load_2addr_b32 v[74:75], v2 offset0:61 offset1:62
	s_waitcnt lgkmcnt(3)
	v_fmac_f32_e32 v107, v86, v76
	s_delay_alu instid0(VALU_DEP_1) | instskip(SKIP_1) | instid1(VALU_DEP_1)
	v_fmac_f32_e32 v107, v87, v77
	s_waitcnt lgkmcnt(2)
	v_fmac_f32_e32 v107, v88, v78
	s_waitcnt vmcnt(2)
	s_delay_alu instid0(VALU_DEP_1) | instskip(SKIP_4) | instid1(VALU_DEP_1)
	v_fmac_f32_e32 v107, v89, v79
	ds_load_2addr_b32 v[76:77], v2 offset0:63 offset1:64
	ds_load_2addr_b32 v[78:79], v2 offset0:65 offset1:66
	s_waitcnt lgkmcnt(3)
	v_fmac_f32_e32 v107, v90, v3
	v_fmac_f32_e32 v107, v91, v4
	ds_load_2addr_b32 v[3:4], v2 offset0:67 offset1:68
	s_waitcnt lgkmcnt(3)
	v_fmac_f32_e32 v107, v92, v74
	ds_load_b32 v74, v2 offset:276
	s_waitcnt vmcnt(1)
	v_fmac_f32_e32 v107, v93, v75
	s_waitcnt lgkmcnt(3)
	s_delay_alu instid0(VALU_DEP_1) | instskip(NEXT) | instid1(VALU_DEP_1)
	v_fmac_f32_e32 v107, v94, v76
	v_fmac_f32_e32 v107, v95, v77
	s_waitcnt lgkmcnt(2)
	s_delay_alu instid0(VALU_DEP_1) | instskip(SKIP_1) | instid1(VALU_DEP_1)
	v_fmac_f32_e32 v107, v96, v78
	s_waitcnt vmcnt(0)
	v_fmac_f32_e32 v107, v97, v79
	s_waitcnt lgkmcnt(1)
	s_delay_alu instid0(VALU_DEP_1) | instskip(NEXT) | instid1(VALU_DEP_1)
	v_fmac_f32_e32 v107, v98, v3
	v_fmac_f32_e32 v107, v99, v4
	s_waitcnt lgkmcnt(0)
	s_delay_alu instid0(VALU_DEP_1) | instskip(NEXT) | instid1(VALU_DEP_1)
	v_fmac_f32_e32 v107, v100, v74
	v_sub_f32_e32 v3, v73, v107
	scratch_store_b32 off, v3, off offset:24
	v_cmpx_lt_u32_e32 5, v0
	s_cbranch_execz .LBB97_201
; %bb.200:
	scratch_load_b32 v3, off, off offset:20
	scratch_store_b32 off, v2, off offset:20
	s_waitcnt vmcnt(0)
	ds_store_b32 v1, v3
.LBB97_201:
	s_or_b32 exec_lo, exec_lo, s0
	s_waitcnt lgkmcnt(0)
	s_waitcnt_vscnt null, 0x0
	s_barrier
	buffer_gl0_inv
	s_clause 0x7
	scratch_load_b128 v[73:76], off, off offset:20
	scratch_load_b128 v[77:80], off, off offset:36
	;; [unrolled: 1-line block ×7, first 2 shown]
	scratch_load_b32 v3, off, off offset:132
	ds_load_2addr_b64 v[101:104], v2 offset0:21 offset1:22
	ds_load_2addr_b64 v[105:108], v2 offset0:23 offset1:24
	s_mov_b32 s0, exec_lo
	s_waitcnt vmcnt(7) lgkmcnt(1)
	v_fma_f32 v4, v74, v101, 0
	s_delay_alu instid0(VALU_DEP_1) | instskip(NEXT) | instid1(VALU_DEP_1)
	v_fmac_f32_e32 v4, v75, v102
	v_fmac_f32_e32 v4, v76, v103
	s_waitcnt vmcnt(6)
	s_delay_alu instid0(VALU_DEP_1) | instskip(SKIP_3) | instid1(VALU_DEP_1)
	v_fmac_f32_e32 v4, v77, v104
	ds_load_2addr_b64 v[74:77], v2 offset0:25 offset1:26
	s_waitcnt lgkmcnt(1)
	v_fmac_f32_e32 v4, v78, v105
	v_fmac_f32_e32 v4, v79, v106
	s_delay_alu instid0(VALU_DEP_1) | instskip(SKIP_1) | instid1(VALU_DEP_1)
	v_fmac_f32_e32 v4, v80, v107
	s_waitcnt vmcnt(5)
	v_fmac_f32_e32 v4, v81, v108
	ds_load_2addr_b64 v[78:81], v2 offset0:27 offset1:28
	s_waitcnt lgkmcnt(1)
	v_fmac_f32_e32 v4, v82, v74
	s_delay_alu instid0(VALU_DEP_1) | instskip(NEXT) | instid1(VALU_DEP_1)
	v_fmac_f32_e32 v4, v83, v75
	v_fmac_f32_e32 v4, v84, v76
	s_waitcnt vmcnt(4)
	s_delay_alu instid0(VALU_DEP_1) | instskip(SKIP_3) | instid1(VALU_DEP_1)
	v_fmac_f32_e32 v4, v85, v77
	ds_load_2addr_b64 v[74:77], v2 offset0:29 offset1:30
	s_waitcnt lgkmcnt(1)
	v_fmac_f32_e32 v4, v86, v78
	v_fmac_f32_e32 v4, v87, v79
	s_delay_alu instid0(VALU_DEP_1) | instskip(SKIP_1) | instid1(VALU_DEP_1)
	v_fmac_f32_e32 v4, v88, v80
	s_waitcnt vmcnt(3)
	v_fmac_f32_e32 v4, v89, v81
	ds_load_2addr_b64 v[78:81], v2 offset0:31 offset1:32
	s_waitcnt lgkmcnt(1)
	v_fmac_f32_e32 v4, v90, v74
	s_delay_alu instid0(VALU_DEP_1) | instskip(NEXT) | instid1(VALU_DEP_1)
	v_fmac_f32_e32 v4, v91, v75
	v_fmac_f32_e32 v4, v92, v76
	s_waitcnt vmcnt(2)
	s_delay_alu instid0(VALU_DEP_1) | instskip(SKIP_3) | instid1(VALU_DEP_1)
	v_fmac_f32_e32 v4, v93, v77
	ds_load_2addr_b64 v[74:77], v2 offset0:33 offset1:34
	s_waitcnt lgkmcnt(1)
	v_fmac_f32_e32 v4, v94, v78
	v_fmac_f32_e32 v4, v95, v79
	s_delay_alu instid0(VALU_DEP_1) | instskip(SKIP_1) | instid1(VALU_DEP_1)
	v_fmac_f32_e32 v4, v96, v80
	s_waitcnt vmcnt(1)
	v_fmac_f32_e32 v4, v97, v81
	s_waitcnt lgkmcnt(0)
	s_delay_alu instid0(VALU_DEP_1) | instskip(NEXT) | instid1(VALU_DEP_1)
	v_fmac_f32_e32 v4, v98, v74
	v_fmac_f32_e32 v4, v99, v75
	s_delay_alu instid0(VALU_DEP_1) | instskip(SKIP_1) | instid1(VALU_DEP_1)
	v_fmac_f32_e32 v4, v100, v76
	s_waitcnt vmcnt(0)
	v_fmac_f32_e32 v4, v3, v77
	s_delay_alu instid0(VALU_DEP_1)
	v_sub_f32_e32 v2, v73, v4
	scratch_store_b32 off, v2, off offset:20
	v_cmpx_lt_u32_e32 4, v0
	s_cbranch_execz .LBB97_203
; %bb.202:
	scratch_load_b32 v2, off, off offset:16
	v_mov_b32_e32 v3, 0
	scratch_store_b32 off, v3, off offset:16
	s_waitcnt vmcnt(0)
	ds_store_b32 v1, v2
.LBB97_203:
	s_or_b32 exec_lo, exec_lo, s0
	s_waitcnt lgkmcnt(0)
	s_waitcnt_vscnt null, 0x0
	s_barrier
	buffer_gl0_inv
	s_clause 0x7
	scratch_load_b128 v[73:76], off, off offset:16
	scratch_load_b128 v[77:80], off, off offset:32
	;; [unrolled: 1-line block ×7, first 2 shown]
	scratch_load_b64 v[3:4], off, off offset:128
	v_mov_b32_e32 v2, 0
	ds_load_2addr_b32 v[101:102], v2 offset0:41 offset1:42
	ds_load_2addr_b32 v[103:104], v2 offset0:43 offset1:44
	;; [unrolled: 1-line block ×4, first 2 shown]
	s_mov_b32 s0, exec_lo
	s_waitcnt vmcnt(7) lgkmcnt(3)
	v_fma_f32 v101, v74, v101, 0
	s_delay_alu instid0(VALU_DEP_1) | instskip(SKIP_4) | instid1(VALU_DEP_1)
	v_fmac_f32_e32 v101, v75, v102
	ds_load_2addr_b32 v[74:75], v2 offset0:49 offset1:50
	s_waitcnt lgkmcnt(3)
	v_fmac_f32_e32 v101, v76, v103
	s_waitcnt vmcnt(6)
	v_fmac_f32_e32 v101, v77, v104
	ds_load_2addr_b32 v[76:77], v2 offset0:51 offset1:52
	s_waitcnt lgkmcnt(3)
	v_fmac_f32_e32 v101, v78, v105
	s_delay_alu instid0(VALU_DEP_1) | instskip(SKIP_1) | instid1(VALU_DEP_1)
	v_fmac_f32_e32 v101, v79, v106
	s_waitcnt lgkmcnt(2)
	v_fmac_f32_e32 v101, v80, v107
	s_waitcnt vmcnt(5)
	s_delay_alu instid0(VALU_DEP_1) | instskip(SKIP_4) | instid1(VALU_DEP_1)
	v_fmac_f32_e32 v101, v81, v108
	ds_load_2addr_b32 v[78:79], v2 offset0:53 offset1:54
	ds_load_2addr_b32 v[80:81], v2 offset0:55 offset1:56
	s_waitcnt lgkmcnt(3)
	v_fmac_f32_e32 v101, v82, v74
	v_fmac_f32_e32 v101, v83, v75
	ds_load_2addr_b32 v[74:75], v2 offset0:57 offset1:58
	s_waitcnt lgkmcnt(3)
	v_fmac_f32_e32 v101, v84, v76
	s_waitcnt vmcnt(4)
	s_delay_alu instid0(VALU_DEP_1) | instskip(SKIP_3) | instid1(VALU_DEP_1)
	v_fmac_f32_e32 v101, v85, v77
	ds_load_2addr_b32 v[76:77], v2 offset0:59 offset1:60
	s_waitcnt lgkmcnt(3)
	v_fmac_f32_e32 v101, v86, v78
	v_fmac_f32_e32 v101, v87, v79
	s_waitcnt lgkmcnt(2)
	s_delay_alu instid0(VALU_DEP_1) | instskip(SKIP_1) | instid1(VALU_DEP_1)
	v_fmac_f32_e32 v101, v88, v80
	s_waitcnt vmcnt(3)
	v_fmac_f32_e32 v101, v89, v81
	ds_load_2addr_b32 v[78:79], v2 offset0:61 offset1:62
	ds_load_2addr_b32 v[80:81], v2 offset0:63 offset1:64
	s_waitcnt lgkmcnt(3)
	v_fmac_f32_e32 v101, v90, v74
	s_delay_alu instid0(VALU_DEP_1) | instskip(SKIP_4) | instid1(VALU_DEP_1)
	v_fmac_f32_e32 v101, v91, v75
	ds_load_2addr_b32 v[74:75], v2 offset0:65 offset1:66
	s_waitcnt lgkmcnt(3)
	v_fmac_f32_e32 v101, v92, v76
	s_waitcnt vmcnt(2)
	v_fmac_f32_e32 v101, v93, v77
	ds_load_2addr_b32 v[76:77], v2 offset0:67 offset1:68
	s_waitcnt lgkmcnt(3)
	v_fmac_f32_e32 v101, v94, v78
	ds_load_b32 v78, v2 offset:276
	v_fmac_f32_e32 v101, v95, v79
	s_waitcnt lgkmcnt(3)
	s_delay_alu instid0(VALU_DEP_1) | instskip(SKIP_1) | instid1(VALU_DEP_1)
	v_fmac_f32_e32 v101, v96, v80
	s_waitcnt vmcnt(1)
	v_fmac_f32_e32 v101, v97, v81
	s_waitcnt lgkmcnt(2)
	s_delay_alu instid0(VALU_DEP_1) | instskip(NEXT) | instid1(VALU_DEP_1)
	v_fmac_f32_e32 v101, v98, v74
	v_fmac_f32_e32 v101, v99, v75
	s_waitcnt lgkmcnt(1)
	s_delay_alu instid0(VALU_DEP_1) | instskip(SKIP_1) | instid1(VALU_DEP_1)
	v_fmac_f32_e32 v101, v100, v76
	s_waitcnt vmcnt(0)
	v_fmac_f32_e32 v101, v3, v77
	s_waitcnt lgkmcnt(0)
	s_delay_alu instid0(VALU_DEP_1) | instskip(NEXT) | instid1(VALU_DEP_1)
	v_fmac_f32_e32 v101, v4, v78
	v_sub_f32_e32 v3, v73, v101
	scratch_store_b32 off, v3, off offset:16
	v_cmpx_lt_u32_e32 3, v0
	s_cbranch_execz .LBB97_205
; %bb.204:
	scratch_load_b32 v3, off, off offset:12
	scratch_store_b32 off, v2, off offset:12
	s_waitcnt vmcnt(0)
	ds_store_b32 v1, v3
.LBB97_205:
	s_or_b32 exec_lo, exec_lo, s0
	s_waitcnt lgkmcnt(0)
	s_waitcnt_vscnt null, 0x0
	s_barrier
	buffer_gl0_inv
	s_clause 0x7
	scratch_load_b128 v[73:76], off, off offset:12
	scratch_load_b128 v[77:80], off, off offset:28
	;; [unrolled: 1-line block ×7, first 2 shown]
	scratch_load_b96 v[109:111], off, off offset:124
	ds_load_b128 v[101:104], v2 offset:160
	ds_load_b128 v[105:108], v2 offset:176
	s_mov_b32 s0, exec_lo
	s_waitcnt vmcnt(7) lgkmcnt(1)
	v_fma_f32 v4, v74, v101, 0
	s_delay_alu instid0(VALU_DEP_1) | instskip(NEXT) | instid1(VALU_DEP_1)
	v_fmac_f32_e32 v4, v75, v102
	v_fmac_f32_e32 v4, v76, v103
	s_waitcnt vmcnt(6)
	s_delay_alu instid0(VALU_DEP_1) | instskip(SKIP_3) | instid1(VALU_DEP_1)
	v_fmac_f32_e32 v4, v77, v104
	ds_load_b128 v[74:77], v2 offset:192
	s_waitcnt lgkmcnt(1)
	v_fmac_f32_e32 v4, v78, v105
	v_fmac_f32_e32 v4, v79, v106
	s_delay_alu instid0(VALU_DEP_1) | instskip(SKIP_1) | instid1(VALU_DEP_1)
	v_fmac_f32_e32 v4, v80, v107
	s_waitcnt vmcnt(5)
	v_fmac_f32_e32 v4, v81, v108
	ds_load_b128 v[78:81], v2 offset:208
	s_waitcnt lgkmcnt(1)
	v_fmac_f32_e32 v4, v82, v74
	s_delay_alu instid0(VALU_DEP_1) | instskip(NEXT) | instid1(VALU_DEP_1)
	v_fmac_f32_e32 v4, v83, v75
	v_fmac_f32_e32 v4, v84, v76
	s_waitcnt vmcnt(4)
	s_delay_alu instid0(VALU_DEP_1) | instskip(SKIP_3) | instid1(VALU_DEP_1)
	v_fmac_f32_e32 v4, v85, v77
	ds_load_b128 v[74:77], v2 offset:224
	s_waitcnt lgkmcnt(1)
	v_fmac_f32_e32 v4, v86, v78
	v_fmac_f32_e32 v4, v87, v79
	s_delay_alu instid0(VALU_DEP_1) | instskip(SKIP_1) | instid1(VALU_DEP_1)
	v_fmac_f32_e32 v4, v88, v80
	s_waitcnt vmcnt(3)
	v_fmac_f32_e32 v4, v89, v81
	ds_load_b128 v[78:81], v2 offset:240
	s_waitcnt lgkmcnt(1)
	v_fmac_f32_e32 v4, v90, v74
	s_delay_alu instid0(VALU_DEP_1) | instskip(NEXT) | instid1(VALU_DEP_1)
	v_fmac_f32_e32 v4, v91, v75
	v_fmac_f32_e32 v4, v92, v76
	s_waitcnt vmcnt(2)
	s_delay_alu instid0(VALU_DEP_1) | instskip(SKIP_4) | instid1(VALU_DEP_1)
	v_fmac_f32_e32 v4, v93, v77
	ds_load_b128 v[74:77], v2 offset:256
	ds_load_b64 v[2:3], v2 offset:272
	s_waitcnt lgkmcnt(2)
	v_fmac_f32_e32 v4, v94, v78
	v_fmac_f32_e32 v4, v95, v79
	s_delay_alu instid0(VALU_DEP_1) | instskip(SKIP_1) | instid1(VALU_DEP_1)
	v_fmac_f32_e32 v4, v96, v80
	s_waitcnt vmcnt(1)
	v_fmac_f32_e32 v4, v97, v81
	s_waitcnt lgkmcnt(1)
	s_delay_alu instid0(VALU_DEP_1) | instskip(NEXT) | instid1(VALU_DEP_1)
	v_fmac_f32_e32 v4, v98, v74
	v_fmac_f32_e32 v4, v99, v75
	s_delay_alu instid0(VALU_DEP_1) | instskip(SKIP_1) | instid1(VALU_DEP_1)
	v_fmac_f32_e32 v4, v100, v76
	s_waitcnt vmcnt(0)
	v_fmac_f32_e32 v4, v109, v77
	s_waitcnt lgkmcnt(0)
	s_delay_alu instid0(VALU_DEP_1) | instskip(NEXT) | instid1(VALU_DEP_1)
	v_fmac_f32_e32 v4, v110, v2
	v_fmac_f32_e32 v4, v111, v3
	s_delay_alu instid0(VALU_DEP_1)
	v_sub_f32_e32 v2, v73, v4
	scratch_store_b32 off, v2, off offset:12
	v_cmpx_lt_u32_e32 2, v0
	s_cbranch_execz .LBB97_207
; %bb.206:
	scratch_load_b32 v2, off, off offset:8
	v_mov_b32_e32 v3, 0
	scratch_store_b32 off, v3, off offset:8
	s_waitcnt vmcnt(0)
	ds_store_b32 v1, v2
.LBB97_207:
	s_or_b32 exec_lo, exec_lo, s0
	s_waitcnt lgkmcnt(0)
	s_waitcnt_vscnt null, 0x0
	s_barrier
	buffer_gl0_inv
	s_clause 0x7
	scratch_load_b128 v[73:76], off, off offset:8
	scratch_load_b128 v[77:80], off, off offset:24
	;; [unrolled: 1-line block ×8, first 2 shown]
	v_mov_b32_e32 v2, 0
	ds_load_2addr_b32 v[3:4], v2 offset0:39 offset1:40
	ds_load_2addr_b32 v[105:106], v2 offset0:41 offset1:42
	;; [unrolled: 1-line block ×4, first 2 shown]
	s_mov_b32 s0, exec_lo
	s_waitcnt vmcnt(7) lgkmcnt(3)
	v_fma_f32 v111, v74, v3, 0
	s_delay_alu instid0(VALU_DEP_1)
	v_fmac_f32_e32 v111, v75, v4
	ds_load_2addr_b32 v[3:4], v2 offset0:47 offset1:48
	ds_load_2addr_b32 v[74:75], v2 offset0:49 offset1:50
	s_waitcnt lgkmcnt(4)
	v_fmac_f32_e32 v111, v76, v105
	s_waitcnt vmcnt(6)
	s_delay_alu instid0(VALU_DEP_1) | instskip(SKIP_1) | instid1(VALU_DEP_1)
	v_fmac_f32_e32 v111, v77, v106
	s_waitcnt lgkmcnt(3)
	v_fmac_f32_e32 v111, v78, v107
	s_delay_alu instid0(VALU_DEP_1)
	v_fmac_f32_e32 v111, v79, v108
	ds_load_2addr_b32 v[76:77], v2 offset0:51 offset1:52
	ds_load_2addr_b32 v[78:79], v2 offset0:53 offset1:54
	s_waitcnt lgkmcnt(4)
	v_fmac_f32_e32 v111, v80, v109
	s_waitcnt vmcnt(5)
	s_delay_alu instid0(VALU_DEP_1) | instskip(SKIP_1) | instid1(VALU_DEP_1)
	v_fmac_f32_e32 v111, v81, v110
	s_waitcnt lgkmcnt(3)
	v_fmac_f32_e32 v111, v82, v3
	s_delay_alu instid0(VALU_DEP_1) | instskip(SKIP_4) | instid1(VALU_DEP_1)
	v_fmac_f32_e32 v111, v83, v4
	ds_load_2addr_b32 v[3:4], v2 offset0:55 offset1:56
	s_waitcnt lgkmcnt(3)
	v_fmac_f32_e32 v111, v84, v74
	s_waitcnt vmcnt(4)
	v_fmac_f32_e32 v111, v85, v75
	ds_load_2addr_b32 v[74:75], v2 offset0:57 offset1:58
	s_waitcnt lgkmcnt(3)
	v_fmac_f32_e32 v111, v86, v76
	s_delay_alu instid0(VALU_DEP_1) | instskip(SKIP_1) | instid1(VALU_DEP_1)
	v_fmac_f32_e32 v111, v87, v77
	s_waitcnt lgkmcnt(2)
	v_fmac_f32_e32 v111, v88, v78
	s_waitcnt vmcnt(3)
	s_delay_alu instid0(VALU_DEP_1) | instskip(SKIP_4) | instid1(VALU_DEP_1)
	v_fmac_f32_e32 v111, v89, v79
	ds_load_2addr_b32 v[76:77], v2 offset0:59 offset1:60
	ds_load_2addr_b32 v[78:79], v2 offset0:61 offset1:62
	s_waitcnt lgkmcnt(3)
	v_fmac_f32_e32 v111, v90, v3
	v_fmac_f32_e32 v111, v91, v4
	ds_load_2addr_b32 v[3:4], v2 offset0:63 offset1:64
	s_waitcnt lgkmcnt(3)
	v_fmac_f32_e32 v111, v92, v74
	s_waitcnt vmcnt(2)
	s_delay_alu instid0(VALU_DEP_1) | instskip(SKIP_3) | instid1(VALU_DEP_1)
	v_fmac_f32_e32 v111, v93, v75
	ds_load_2addr_b32 v[74:75], v2 offset0:65 offset1:66
	s_waitcnt lgkmcnt(3)
	v_fmac_f32_e32 v111, v94, v76
	v_fmac_f32_e32 v111, v95, v77
	s_waitcnt lgkmcnt(2)
	s_delay_alu instid0(VALU_DEP_1)
	v_fmac_f32_e32 v111, v96, v78
	ds_load_2addr_b32 v[76:77], v2 offset0:67 offset1:68
	ds_load_b32 v78, v2 offset:276
	s_waitcnt vmcnt(1)
	v_fmac_f32_e32 v111, v97, v79
	s_waitcnt lgkmcnt(3)
	s_delay_alu instid0(VALU_DEP_1) | instskip(NEXT) | instid1(VALU_DEP_1)
	v_fmac_f32_e32 v111, v98, v3
	v_fmac_f32_e32 v111, v99, v4
	s_waitcnt lgkmcnt(2)
	s_delay_alu instid0(VALU_DEP_1) | instskip(SKIP_1) | instid1(VALU_DEP_1)
	v_fmac_f32_e32 v111, v100, v74
	s_waitcnt vmcnt(0)
	v_fmac_f32_e32 v111, v101, v75
	s_waitcnt lgkmcnt(1)
	s_delay_alu instid0(VALU_DEP_1) | instskip(NEXT) | instid1(VALU_DEP_1)
	v_fmac_f32_e32 v111, v102, v76
	v_fmac_f32_e32 v111, v103, v77
	s_waitcnt lgkmcnt(0)
	s_delay_alu instid0(VALU_DEP_1) | instskip(NEXT) | instid1(VALU_DEP_1)
	v_fmac_f32_e32 v111, v104, v78
	v_sub_f32_e32 v3, v73, v111
	scratch_store_b32 off, v3, off offset:8
	v_cmpx_lt_u32_e32 1, v0
	s_cbranch_execz .LBB97_209
; %bb.208:
	scratch_load_b32 v3, off, off offset:4
	scratch_store_b32 off, v2, off offset:4
	s_waitcnt vmcnt(0)
	ds_store_b32 v1, v3
.LBB97_209:
	s_or_b32 exec_lo, exec_lo, s0
	s_waitcnt lgkmcnt(0)
	s_waitcnt_vscnt null, 0x0
	s_barrier
	buffer_gl0_inv
	s_clause 0x8
	scratch_load_b128 v[73:76], off, off offset:4
	scratch_load_b128 v[77:80], off, off offset:20
	;; [unrolled: 1-line block ×8, first 2 shown]
	scratch_load_b32 v3, off, off offset:132
	ds_load_2addr_b64 v[105:108], v2 offset0:19 offset1:20
	ds_load_2addr_b64 v[109:112], v2 offset0:21 offset1:22
	s_mov_b32 s0, exec_lo
	s_waitcnt vmcnt(8) lgkmcnt(1)
	v_fma_f32 v4, v74, v105, 0
	s_delay_alu instid0(VALU_DEP_1) | instskip(NEXT) | instid1(VALU_DEP_1)
	v_fmac_f32_e32 v4, v75, v106
	v_fmac_f32_e32 v4, v76, v107
	s_waitcnt vmcnt(7)
	s_delay_alu instid0(VALU_DEP_1) | instskip(SKIP_3) | instid1(VALU_DEP_1)
	v_fmac_f32_e32 v4, v77, v108
	ds_load_2addr_b64 v[74:77], v2 offset0:23 offset1:24
	s_waitcnt lgkmcnt(1)
	v_fmac_f32_e32 v4, v78, v109
	v_fmac_f32_e32 v4, v79, v110
	s_delay_alu instid0(VALU_DEP_1) | instskip(SKIP_1) | instid1(VALU_DEP_1)
	v_fmac_f32_e32 v4, v80, v111
	s_waitcnt vmcnt(6)
	v_fmac_f32_e32 v4, v81, v112
	ds_load_2addr_b64 v[78:81], v2 offset0:25 offset1:26
	s_waitcnt lgkmcnt(1)
	v_fmac_f32_e32 v4, v82, v74
	s_delay_alu instid0(VALU_DEP_1) | instskip(NEXT) | instid1(VALU_DEP_1)
	v_fmac_f32_e32 v4, v83, v75
	v_fmac_f32_e32 v4, v84, v76
	s_waitcnt vmcnt(5)
	s_delay_alu instid0(VALU_DEP_1) | instskip(SKIP_3) | instid1(VALU_DEP_1)
	v_fmac_f32_e32 v4, v85, v77
	ds_load_2addr_b64 v[74:77], v2 offset0:27 offset1:28
	s_waitcnt lgkmcnt(1)
	v_fmac_f32_e32 v4, v86, v78
	v_fmac_f32_e32 v4, v87, v79
	s_delay_alu instid0(VALU_DEP_1) | instskip(SKIP_1) | instid1(VALU_DEP_1)
	v_fmac_f32_e32 v4, v88, v80
	s_waitcnt vmcnt(4)
	v_fmac_f32_e32 v4, v89, v81
	ds_load_2addr_b64 v[78:81], v2 offset0:29 offset1:30
	s_waitcnt lgkmcnt(1)
	v_fmac_f32_e32 v4, v90, v74
	;; [unrolled: 17-line block ×3, first 2 shown]
	s_delay_alu instid0(VALU_DEP_1) | instskip(NEXT) | instid1(VALU_DEP_1)
	v_fmac_f32_e32 v4, v99, v75
	v_fmac_f32_e32 v4, v100, v76
	s_waitcnt vmcnt(1)
	s_delay_alu instid0(VALU_DEP_1) | instskip(SKIP_1) | instid1(VALU_DEP_1)
	v_fmac_f32_e32 v4, v101, v77
	s_waitcnt lgkmcnt(0)
	v_fmac_f32_e32 v4, v102, v78
	s_delay_alu instid0(VALU_DEP_1) | instskip(NEXT) | instid1(VALU_DEP_1)
	v_fmac_f32_e32 v4, v103, v79
	v_fmac_f32_e32 v4, v104, v80
	s_waitcnt vmcnt(0)
	s_delay_alu instid0(VALU_DEP_1) | instskip(NEXT) | instid1(VALU_DEP_1)
	v_fmac_f32_e32 v4, v3, v81
	v_sub_f32_e32 v2, v73, v4
	scratch_store_b32 off, v2, off offset:4
	v_cmpx_ne_u32_e32 0, v0
	s_cbranch_execz .LBB97_211
; %bb.210:
	scratch_load_b32 v0, off, off
	v_mov_b32_e32 v2, 0
	scratch_store_b32 off, v2, off
	s_waitcnt vmcnt(0)
	ds_store_b32 v1, v0
.LBB97_211:
	s_or_b32 exec_lo, exec_lo, s0
	s_waitcnt lgkmcnt(0)
	s_waitcnt_vscnt null, 0x0
	s_barrier
	buffer_gl0_inv
	s_clause 0x8
	scratch_load_b128 v[73:76], off, off
	scratch_load_b128 v[77:80], off, off offset:16
	scratch_load_b128 v[81:84], off, off offset:32
	;; [unrolled: 1-line block ×7, first 2 shown]
	scratch_load_b64 v[0:1], off, off offset:128
	v_mov_b32_e32 v4, 0
	ds_load_2addr_b32 v[2:3], v4 offset0:37 offset1:38
	ds_load_2addr_b32 v[105:106], v4 offset0:39 offset1:40
	;; [unrolled: 1-line block ×4, first 2 shown]
	s_and_b32 vcc_lo, exec_lo, s12
	s_waitcnt vmcnt(8) lgkmcnt(3)
	v_fma_f32 v111, v74, v2, 0
	s_delay_alu instid0(VALU_DEP_1)
	v_fmac_f32_e32 v111, v75, v3
	ds_load_2addr_b32 v[2:3], v4 offset0:45 offset1:46
	ds_load_2addr_b32 v[74:75], v4 offset0:47 offset1:48
	s_waitcnt lgkmcnt(4)
	v_fmac_f32_e32 v111, v76, v105
	s_waitcnt vmcnt(7)
	s_delay_alu instid0(VALU_DEP_1) | instskip(SKIP_1) | instid1(VALU_DEP_1)
	v_fmac_f32_e32 v111, v77, v106
	s_waitcnt lgkmcnt(3)
	v_fmac_f32_e32 v111, v78, v107
	s_delay_alu instid0(VALU_DEP_1)
	v_fmac_f32_e32 v111, v79, v108
	ds_load_2addr_b32 v[76:77], v4 offset0:49 offset1:50
	ds_load_2addr_b32 v[78:79], v4 offset0:51 offset1:52
	s_waitcnt lgkmcnt(4)
	v_fmac_f32_e32 v111, v80, v109
	s_waitcnt vmcnt(6)
	s_delay_alu instid0(VALU_DEP_1) | instskip(SKIP_1) | instid1(VALU_DEP_1)
	v_fmac_f32_e32 v111, v81, v110
	s_waitcnt lgkmcnt(3)
	v_fmac_f32_e32 v111, v82, v2
	s_delay_alu instid0(VALU_DEP_1) | instskip(SKIP_4) | instid1(VALU_DEP_1)
	v_fmac_f32_e32 v111, v83, v3
	ds_load_2addr_b32 v[2:3], v4 offset0:53 offset1:54
	s_waitcnt lgkmcnt(3)
	v_fmac_f32_e32 v111, v84, v74
	s_waitcnt vmcnt(5)
	v_fmac_f32_e32 v111, v85, v75
	ds_load_2addr_b32 v[74:75], v4 offset0:55 offset1:56
	s_waitcnt lgkmcnt(3)
	v_fmac_f32_e32 v111, v86, v76
	s_delay_alu instid0(VALU_DEP_1) | instskip(SKIP_1) | instid1(VALU_DEP_1)
	v_fmac_f32_e32 v111, v87, v77
	s_waitcnt lgkmcnt(2)
	v_fmac_f32_e32 v111, v88, v78
	s_waitcnt vmcnt(4)
	s_delay_alu instid0(VALU_DEP_1) | instskip(SKIP_4) | instid1(VALU_DEP_1)
	v_fmac_f32_e32 v111, v89, v79
	ds_load_2addr_b32 v[76:77], v4 offset0:57 offset1:58
	ds_load_2addr_b32 v[78:79], v4 offset0:59 offset1:60
	s_waitcnt lgkmcnt(3)
	v_fmac_f32_e32 v111, v90, v2
	v_fmac_f32_e32 v111, v91, v3
	ds_load_2addr_b32 v[2:3], v4 offset0:61 offset1:62
	s_waitcnt lgkmcnt(3)
	v_fmac_f32_e32 v111, v92, v74
	s_waitcnt vmcnt(3)
	s_delay_alu instid0(VALU_DEP_1) | instskip(SKIP_3) | instid1(VALU_DEP_1)
	v_fmac_f32_e32 v111, v93, v75
	ds_load_2addr_b32 v[74:75], v4 offset0:63 offset1:64
	s_waitcnt lgkmcnt(3)
	v_fmac_f32_e32 v111, v94, v76
	v_fmac_f32_e32 v111, v95, v77
	s_waitcnt lgkmcnt(2)
	s_delay_alu instid0(VALU_DEP_1) | instskip(SKIP_1) | instid1(VALU_DEP_1)
	v_fmac_f32_e32 v111, v96, v78
	s_waitcnt vmcnt(2)
	v_fmac_f32_e32 v111, v97, v79
	ds_load_2addr_b32 v[76:77], v4 offset0:65 offset1:66
	ds_load_2addr_b32 v[78:79], v4 offset0:67 offset1:68
	s_waitcnt lgkmcnt(3)
	v_fmac_f32_e32 v111, v98, v2
	ds_load_b32 v2, v4 offset:276
	v_fmac_f32_e32 v111, v99, v3
	s_waitcnt lgkmcnt(3)
	s_delay_alu instid0(VALU_DEP_1) | instskip(SKIP_1) | instid1(VALU_DEP_1)
	v_fmac_f32_e32 v111, v100, v74
	s_waitcnt vmcnt(1)
	v_fmac_f32_e32 v111, v101, v75
	s_waitcnt lgkmcnt(2)
	s_delay_alu instid0(VALU_DEP_1) | instskip(NEXT) | instid1(VALU_DEP_1)
	v_fmac_f32_e32 v111, v102, v76
	v_fmac_f32_e32 v111, v103, v77
	s_waitcnt lgkmcnt(1)
	s_delay_alu instid0(VALU_DEP_1) | instskip(SKIP_1) | instid1(VALU_DEP_1)
	v_fmac_f32_e32 v111, v104, v78
	s_waitcnt vmcnt(0)
	v_fmac_f32_e32 v111, v0, v79
	s_waitcnt lgkmcnt(0)
	s_delay_alu instid0(VALU_DEP_1) | instskip(NEXT) | instid1(VALU_DEP_1)
	v_fmac_f32_e32 v111, v1, v2
	v_sub_f32_e32 v1, v73, v111
	scratch_store_b32 off, v1, off
	s_cbranch_vccz .LBB97_279
; %bb.212:
	v_dual_mov_b32 v1, s2 :: v_dual_mov_b32 v2, s3
	s_mov_b32 s0, exec_lo
	flat_load_b32 v1, v[1:2] offset:128
	s_waitcnt vmcnt(0) lgkmcnt(0)
	v_cmpx_ne_u32_e32 33, v1
	s_cbranch_execz .LBB97_214
; %bb.213:
	v_lshl_add_u32 v1, v1, 2, 0
	scratch_load_b32 v2, v1, off offset:-4
	s_waitcnt vmcnt(0)
	scratch_store_b32 off, v2, off offset:128
	scratch_store_b32 v1, v0, off offset:-4
.LBB97_214:
	s_or_b32 exec_lo, exec_lo, s0
	v_dual_mov_b32 v0, s2 :: v_dual_mov_b32 v1, s3
	s_mov_b32 s0, exec_lo
	flat_load_b32 v0, v[0:1] offset:124
	s_waitcnt vmcnt(0) lgkmcnt(0)
	v_cmpx_ne_u32_e32 32, v0
	s_cbranch_execz .LBB97_216
; %bb.215:
	v_lshl_add_u32 v0, v0, 2, 0
	scratch_load_b32 v1, v0, off offset:-4
	scratch_load_b32 v2, off, off offset:124
	s_waitcnt vmcnt(1)
	scratch_store_b32 off, v1, off offset:124
	s_waitcnt vmcnt(0)
	scratch_store_b32 v0, v2, off offset:-4
.LBB97_216:
	s_or_b32 exec_lo, exec_lo, s0
	v_dual_mov_b32 v0, s2 :: v_dual_mov_b32 v1, s3
	s_mov_b32 s0, exec_lo
	flat_load_b32 v0, v[0:1] offset:120
	s_waitcnt vmcnt(0) lgkmcnt(0)
	v_cmpx_ne_u32_e32 31, v0
	s_cbranch_execz .LBB97_218
; %bb.217:
	v_lshl_add_u32 v0, v0, 2, 0
	scratch_load_b32 v1, v0, off offset:-4
	scratch_load_b32 v2, off, off offset:120
	s_waitcnt vmcnt(1)
	scratch_store_b32 off, v1, off offset:120
	s_waitcnt vmcnt(0)
	scratch_store_b32 v0, v2, off offset:-4
.LBB97_218:
	;; [unrolled: 16-line block ×31, first 2 shown]
	s_or_b32 exec_lo, exec_lo, s0
	v_dual_mov_b32 v0, s2 :: v_dual_mov_b32 v1, s3
	s_mov_b32 s0, exec_lo
	flat_load_b32 v0, v[0:1]
	scratch_load_b32 v1, off, off
	s_waitcnt vmcnt(1) lgkmcnt(0)
	v_cmpx_ne_u32_e32 1, v0
	s_cbranch_execz .LBB97_278
; %bb.277:
	v_lshl_add_u32 v0, v0, 2, 0
	scratch_load_b32 v2, v0, off offset:-4
	s_waitcnt vmcnt(0)
	scratch_store_b32 off, v2, off
	scratch_store_b32 v0, v1, off offset:-4
	scratch_load_b32 v1, off, off
.LBB97_278:
	s_or_b32 exec_lo, exec_lo, s0
.LBB97_279:
	s_clause 0x8
	scratch_load_b128 v[73:76], off, off offset:4
	scratch_load_b128 v[77:80], off, off offset:20
	;; [unrolled: 1-line block ×8, first 2 shown]
	scratch_load_b32 v0, off, off offset:132
	s_waitcnt vmcnt(9)
	global_store_b32 v[5:6], v1, off
	s_waitcnt vmcnt(8)
	s_clause 0x3
	global_store_b32 v[7:8], v73, off
	global_store_b32 v[9:10], v74, off
	global_store_b32 v[11:12], v75, off
	global_store_b32 v[13:14], v76, off
	s_waitcnt vmcnt(7)
	s_clause 0x3
	global_store_b32 v[15:16], v77, off
	global_store_b32 v[17:18], v78, off
	global_store_b32 v[19:20], v79, off
	;; [unrolled: 6-line block ×8, first 2 shown]
	global_store_b32 v[71:72], v104, off
	s_waitcnt vmcnt(0)
	global_store_b32 v[69:70], v0, off
	s_endpgm
	.section	.rodata,"a",@progbits
	.p2align	6, 0x0
	.amdhsa_kernel _ZN9rocsolver6v33100L18getri_kernel_smallILi34EfPKPfEEvT1_iilPiilS6_bb
		.amdhsa_group_segment_fixed_size 280
		.amdhsa_private_segment_fixed_size 144
		.amdhsa_kernarg_size 60
		.amdhsa_user_sgpr_count 15
		.amdhsa_user_sgpr_dispatch_ptr 0
		.amdhsa_user_sgpr_queue_ptr 0
		.amdhsa_user_sgpr_kernarg_segment_ptr 1
		.amdhsa_user_sgpr_dispatch_id 0
		.amdhsa_user_sgpr_private_segment_size 0
		.amdhsa_wavefront_size32 1
		.amdhsa_uses_dynamic_stack 0
		.amdhsa_enable_private_segment 1
		.amdhsa_system_sgpr_workgroup_id_x 1
		.amdhsa_system_sgpr_workgroup_id_y 0
		.amdhsa_system_sgpr_workgroup_id_z 0
		.amdhsa_system_sgpr_workgroup_info 0
		.amdhsa_system_vgpr_workitem_id 0
		.amdhsa_next_free_vgpr 113
		.amdhsa_next_free_sgpr 17
		.amdhsa_reserve_vcc 1
		.amdhsa_float_round_mode_32 0
		.amdhsa_float_round_mode_16_64 0
		.amdhsa_float_denorm_mode_32 3
		.amdhsa_float_denorm_mode_16_64 3
		.amdhsa_dx10_clamp 1
		.amdhsa_ieee_mode 1
		.amdhsa_fp16_overflow 0
		.amdhsa_workgroup_processor_mode 1
		.amdhsa_memory_ordered 1
		.amdhsa_forward_progress 0
		.amdhsa_shared_vgpr_count 0
		.amdhsa_exception_fp_ieee_invalid_op 0
		.amdhsa_exception_fp_denorm_src 0
		.amdhsa_exception_fp_ieee_div_zero 0
		.amdhsa_exception_fp_ieee_overflow 0
		.amdhsa_exception_fp_ieee_underflow 0
		.amdhsa_exception_fp_ieee_inexact 0
		.amdhsa_exception_int_div_zero 0
	.end_amdhsa_kernel
	.section	.text._ZN9rocsolver6v33100L18getri_kernel_smallILi34EfPKPfEEvT1_iilPiilS6_bb,"axG",@progbits,_ZN9rocsolver6v33100L18getri_kernel_smallILi34EfPKPfEEvT1_iilPiilS6_bb,comdat
.Lfunc_end97:
	.size	_ZN9rocsolver6v33100L18getri_kernel_smallILi34EfPKPfEEvT1_iilPiilS6_bb, .Lfunc_end97-_ZN9rocsolver6v33100L18getri_kernel_smallILi34EfPKPfEEvT1_iilPiilS6_bb
                                        ; -- End function
	.section	.AMDGPU.csdata,"",@progbits
; Kernel info:
; codeLenInByte = 21740
; NumSgprs: 19
; NumVgprs: 113
; ScratchSize: 144
; MemoryBound: 0
; FloatMode: 240
; IeeeMode: 1
; LDSByteSize: 280 bytes/workgroup (compile time only)
; SGPRBlocks: 2
; VGPRBlocks: 14
; NumSGPRsForWavesPerEU: 19
; NumVGPRsForWavesPerEU: 113
; Occupancy: 12
; WaveLimiterHint : 1
; COMPUTE_PGM_RSRC2:SCRATCH_EN: 1
; COMPUTE_PGM_RSRC2:USER_SGPR: 15
; COMPUTE_PGM_RSRC2:TRAP_HANDLER: 0
; COMPUTE_PGM_RSRC2:TGID_X_EN: 1
; COMPUTE_PGM_RSRC2:TGID_Y_EN: 0
; COMPUTE_PGM_RSRC2:TGID_Z_EN: 0
; COMPUTE_PGM_RSRC2:TIDIG_COMP_CNT: 0
	.section	.text._ZN9rocsolver6v33100L18getri_kernel_smallILi35EfPKPfEEvT1_iilPiilS6_bb,"axG",@progbits,_ZN9rocsolver6v33100L18getri_kernel_smallILi35EfPKPfEEvT1_iilPiilS6_bb,comdat
	.globl	_ZN9rocsolver6v33100L18getri_kernel_smallILi35EfPKPfEEvT1_iilPiilS6_bb ; -- Begin function _ZN9rocsolver6v33100L18getri_kernel_smallILi35EfPKPfEEvT1_iilPiilS6_bb
	.p2align	8
	.type	_ZN9rocsolver6v33100L18getri_kernel_smallILi35EfPKPfEEvT1_iilPiilS6_bb,@function
_ZN9rocsolver6v33100L18getri_kernel_smallILi35EfPKPfEEvT1_iilPiilS6_bb: ; @_ZN9rocsolver6v33100L18getri_kernel_smallILi35EfPKPfEEvT1_iilPiilS6_bb
; %bb.0:
	s_mov_b32 s2, exec_lo
	v_cmpx_gt_u32_e32 35, v0
	s_cbranch_execz .LBB98_148
; %bb.1:
	s_clause 0x1
	s_load_b32 s13, s[0:1], 0x38
	s_load_b64 s[2:3], s[0:1], 0x0
	s_mov_b32 s8, s15
	s_load_b128 s[4:7], s[0:1], 0x28
	s_waitcnt lgkmcnt(0)
	s_bitcmp1_b32 s13, 8
	s_cselect_b32 s12, -1, 0
	s_ashr_i32 s9, s15, 31
	s_delay_alu instid0(SALU_CYCLE_1) | instskip(NEXT) | instid1(SALU_CYCLE_1)
	s_lshl_b64 s[10:11], s[8:9], 3
	s_add_u32 s2, s2, s10
	s_addc_u32 s3, s3, s11
	s_load_b64 s[10:11], s[2:3], 0x0
	s_bfe_u32 s2, s13, 0x10008
	s_delay_alu instid0(SALU_CYCLE_1)
	s_cmp_eq_u32 s2, 0
                                        ; implicit-def: $sgpr2_sgpr3
	s_cbranch_scc1 .LBB98_3
; %bb.2:
	s_clause 0x1
	s_load_b32 s2, s[0:1], 0x20
	s_load_b64 s[14:15], s[0:1], 0x18
	s_mul_i32 s3, s8, s5
	s_mul_hi_u32 s5, s8, s4
	s_mul_i32 s16, s9, s4
	s_add_i32 s3, s5, s3
	s_mul_i32 s4, s8, s4
	s_add_i32 s5, s3, s16
	s_delay_alu instid0(SALU_CYCLE_1)
	s_lshl_b64 s[4:5], s[4:5], 2
	s_waitcnt lgkmcnt(0)
	s_ashr_i32 s3, s2, 31
	s_add_u32 s4, s14, s4
	s_addc_u32 s5, s15, s5
	s_lshl_b64 s[2:3], s[2:3], 2
	s_delay_alu instid0(SALU_CYCLE_1)
	s_add_u32 s2, s4, s2
	s_addc_u32 s3, s5, s3
.LBB98_3:
	s_load_b64 s[0:1], s[0:1], 0x8
	v_lshlrev_b32_e32 v75, 2, v0
	s_waitcnt lgkmcnt(0)
	v_add3_u32 v2, s1, s1, v0
	s_ashr_i32 s5, s0, 31
	s_mov_b32 s4, s0
	s_mov_b32 s14, s1
	s_lshl_b64 s[4:5], s[4:5], 2
	v_add_nc_u32_e32 v9, s1, v2
	v_ashrrev_i32_e32 v3, 31, v2
	s_add_u32 s4, s10, s4
	s_addc_u32 s5, s11, s5
	v_add_co_u32 v5, s0, s4, v75
	v_add_nc_u32_e32 v11, s1, v9
	s_ashr_i32 s15, s1, 31
	v_add_co_ci_u32_e64 v6, null, s5, 0, s0
	v_lshlrev_b64 v[2:3], 2, v[2:3]
	s_delay_alu instid0(VALU_DEP_3)
	v_add_nc_u32_e32 v15, s1, v11
	v_ashrrev_i32_e32 v10, 31, v9
	s_lshl_b64 s[10:11], s[14:15], 2
	v_ashrrev_i32_e32 v12, 31, v11
	v_add_co_u32 v7, vcc_lo, v5, s10
	v_add_nc_u32_e32 v17, s1, v15
	v_add_co_ci_u32_e32 v8, vcc_lo, s11, v6, vcc_lo
	v_lshlrev_b64 v[13:14], 2, v[9:10]
	v_add_co_u32 v9, vcc_lo, s4, v2
	s_delay_alu instid0(VALU_DEP_4) | instskip(SKIP_3) | instid1(VALU_DEP_4)
	v_add_nc_u32_e32 v19, s1, v17
	v_add_co_ci_u32_e32 v10, vcc_lo, s5, v3, vcc_lo
	v_lshlrev_b64 v[2:3], 2, v[11:12]
	v_ashrrev_i32_e32 v16, 31, v15
	v_add_nc_u32_e32 v21, s1, v19
	v_add_co_u32 v11, vcc_lo, s4, v13
	v_ashrrev_i32_e32 v18, 31, v17
	v_add_co_ci_u32_e32 v12, vcc_lo, s5, v14, vcc_lo
	s_delay_alu instid0(VALU_DEP_4) | instskip(SKIP_3) | instid1(VALU_DEP_4)
	v_add_nc_u32_e32 v23, s1, v21
	v_lshlrev_b64 v[15:16], 2, v[15:16]
	v_add_co_u32 v13, vcc_lo, s4, v2
	v_add_co_ci_u32_e32 v14, vcc_lo, s5, v3, vcc_lo
	v_add_nc_u32_e32 v25, s1, v23
	v_lshlrev_b64 v[2:3], 2, v[17:18]
	v_ashrrev_i32_e32 v20, 31, v19
	v_add_co_u32 v15, vcc_lo, s4, v15
	s_delay_alu instid0(VALU_DEP_4) | instskip(SKIP_3) | instid1(VALU_DEP_4)
	v_add_nc_u32_e32 v27, s1, v25
	v_ashrrev_i32_e32 v22, 31, v21
	v_add_co_ci_u32_e32 v16, vcc_lo, s5, v16, vcc_lo
	v_lshlrev_b64 v[19:20], 2, v[19:20]
	v_add_nc_u32_e32 v29, s1, v27
	v_add_co_u32 v17, vcc_lo, s4, v2
	v_ashrrev_i32_e32 v24, 31, v23
	v_add_co_ci_u32_e32 v18, vcc_lo, s5, v3, vcc_lo
	s_delay_alu instid0(VALU_DEP_4) | instskip(SKIP_3) | instid1(VALU_DEP_4)
	v_add_nc_u32_e32 v31, s1, v29
	v_lshlrev_b64 v[2:3], 2, v[21:22]
	v_ashrrev_i32_e32 v26, 31, v25
	v_add_co_u32 v19, vcc_lo, s4, v19
	v_add_nc_u32_e32 v33, s1, v31
	v_lshlrev_b64 v[23:24], 2, v[23:24]
	v_ashrrev_i32_e32 v28, 31, v27
	v_add_co_ci_u32_e32 v20, vcc_lo, s5, v20, vcc_lo
	s_delay_alu instid0(VALU_DEP_4) | instskip(SKIP_3) | instid1(VALU_DEP_4)
	v_add_nc_u32_e32 v35, s1, v33
	v_add_co_u32 v21, vcc_lo, s4, v2
	v_lshlrev_b64 v[25:26], 2, v[25:26]
	v_ashrrev_i32_e32 v30, 31, v29
	v_add_nc_u32_e32 v37, s1, v35
	v_add_co_ci_u32_e32 v22, vcc_lo, s5, v3, vcc_lo
	v_add_co_u32 v23, vcc_lo, s4, v23
	s_delay_alu instid0(VALU_DEP_3) | instskip(SKIP_3) | instid1(VALU_DEP_4)
	v_add_nc_u32_e32 v39, s1, v37
	v_lshlrev_b64 v[27:28], 2, v[27:28]
	v_ashrrev_i32_e32 v32, 31, v31
	v_add_co_ci_u32_e32 v24, vcc_lo, s5, v24, vcc_lo
	v_add_nc_u32_e32 v41, s1, v39
	v_add_co_u32 v25, vcc_lo, s4, v25
	v_lshlrev_b64 v[29:30], 2, v[29:30]
	v_ashrrev_i32_e32 v34, 31, v33
	s_delay_alu instid0(VALU_DEP_4) | instskip(SKIP_2) | instid1(VALU_DEP_3)
	v_add_nc_u32_e32 v43, s1, v41
	v_add_co_ci_u32_e32 v26, vcc_lo, s5, v26, vcc_lo
	v_add_co_u32 v27, vcc_lo, s4, v27
	v_add_nc_u32_e32 v45, s1, v43
	v_lshlrev_b64 v[31:32], 2, v[31:32]
	v_ashrrev_i32_e32 v36, 31, v35
	v_add_co_ci_u32_e32 v28, vcc_lo, s5, v28, vcc_lo
	s_delay_alu instid0(VALU_DEP_4) | instskip(SKIP_3) | instid1(VALU_DEP_4)
	v_add_nc_u32_e32 v47, s1, v45
	v_add_co_u32 v29, vcc_lo, s4, v29
	v_lshlrev_b64 v[33:34], 2, v[33:34]
	v_ashrrev_i32_e32 v38, 31, v37
	v_add_nc_u32_e32 v49, s1, v47
	v_add_co_ci_u32_e32 v30, vcc_lo, s5, v30, vcc_lo
	v_add_co_u32 v31, vcc_lo, s4, v31
	s_delay_alu instid0(VALU_DEP_3) | instskip(SKIP_3) | instid1(VALU_DEP_4)
	v_add_nc_u32_e32 v51, s1, v49
	v_lshlrev_b64 v[35:36], 2, v[35:36]
	v_ashrrev_i32_e32 v40, 31, v39
	v_add_co_ci_u32_e32 v32, vcc_lo, s5, v32, vcc_lo
	v_add_nc_u32_e32 v53, s1, v51
	v_add_co_u32 v33, vcc_lo, s4, v33
	v_lshlrev_b64 v[37:38], 2, v[37:38]
	v_ashrrev_i32_e32 v42, 31, v41
	s_delay_alu instid0(VALU_DEP_4) | instskip(SKIP_2) | instid1(VALU_DEP_3)
	v_add_nc_u32_e32 v55, s1, v53
	v_add_co_ci_u32_e32 v34, vcc_lo, s5, v34, vcc_lo
	v_add_co_u32 v35, vcc_lo, s4, v35
	v_add_nc_u32_e32 v57, s1, v55
	v_lshlrev_b64 v[39:40], 2, v[39:40]
	v_ashrrev_i32_e32 v44, 31, v43
	v_add_co_ci_u32_e32 v36, vcc_lo, s5, v36, vcc_lo
	v_add_co_u32 v37, vcc_lo, s4, v37
	v_lshlrev_b64 v[41:42], 2, v[41:42]
	v_add_nc_u32_e32 v59, s1, v57
	v_ashrrev_i32_e32 v46, 31, v45
	v_add_co_ci_u32_e32 v38, vcc_lo, s5, v38, vcc_lo
	v_add_co_u32 v39, vcc_lo, s4, v39
	v_lshlrev_b64 v[43:44], 2, v[43:44]
	v_ashrrev_i32_e32 v48, 31, v47
	v_add_co_ci_u32_e32 v40, vcc_lo, s5, v40, vcc_lo
	v_add_nc_u32_e32 v61, s1, v59
	v_add_co_u32 v41, vcc_lo, s4, v41
	v_lshlrev_b64 v[45:46], 2, v[45:46]
	v_ashrrev_i32_e32 v50, 31, v49
	v_add_co_ci_u32_e32 v42, vcc_lo, s5, v42, vcc_lo
	v_add_co_u32 v43, vcc_lo, s4, v43
	v_lshlrev_b64 v[47:48], 2, v[47:48]
	v_ashrrev_i32_e32 v52, 31, v51
	v_add_nc_u32_e32 v63, s1, v61
	v_add_co_ci_u32_e32 v44, vcc_lo, s5, v44, vcc_lo
	v_add_co_u32 v45, vcc_lo, s4, v45
	v_lshlrev_b64 v[49:50], 2, v[49:50]
	v_ashrrev_i32_e32 v54, 31, v53
	v_add_co_ci_u32_e32 v46, vcc_lo, s5, v46, vcc_lo
	v_add_co_u32 v47, vcc_lo, s4, v47
	v_lshlrev_b64 v[51:52], 2, v[51:52]
	v_add_nc_u32_e32 v65, s1, v63
	v_ashrrev_i32_e32 v56, 31, v55
	v_add_co_ci_u32_e32 v48, vcc_lo, s5, v48, vcc_lo
	v_add_co_u32 v49, vcc_lo, s4, v49
	v_lshlrev_b64 v[53:54], 2, v[53:54]
	v_ashrrev_i32_e32 v58, 31, v57
	v_add_co_ci_u32_e32 v50, vcc_lo, s5, v50, vcc_lo
	v_add_nc_u32_e32 v67, s1, v65
	v_add_co_u32 v51, vcc_lo, s4, v51
	v_lshlrev_b64 v[55:56], 2, v[55:56]
	v_ashrrev_i32_e32 v60, 31, v59
	v_add_co_ci_u32_e32 v52, vcc_lo, s5, v52, vcc_lo
	v_add_co_u32 v53, vcc_lo, s4, v53
	v_lshlrev_b64 v[57:58], 2, v[57:58]
	v_ashrrev_i32_e32 v62, 31, v61
	v_add_nc_u32_e32 v69, s1, v67
	v_add_co_ci_u32_e32 v54, vcc_lo, s5, v54, vcc_lo
	v_add_co_u32 v55, vcc_lo, s4, v55
	v_lshlrev_b64 v[59:60], 2, v[59:60]
	v_ashrrev_i32_e32 v64, 31, v63
	v_add_co_ci_u32_e32 v56, vcc_lo, s5, v56, vcc_lo
	v_add_co_u32 v57, vcc_lo, s4, v57
	v_lshlrev_b64 v[61:62], 2, v[61:62]
	v_add_nc_u32_e32 v71, s1, v69
	v_ashrrev_i32_e32 v66, 31, v65
	v_add_co_ci_u32_e32 v58, vcc_lo, s5, v58, vcc_lo
	v_add_co_u32 v59, vcc_lo, s4, v59
	v_lshlrev_b64 v[63:64], 2, v[63:64]
	v_ashrrev_i32_e32 v68, 31, v67
	v_add_co_ci_u32_e32 v60, vcc_lo, s5, v60, vcc_lo
	v_add_nc_u32_e32 v73, s1, v71
	v_add_co_u32 v61, vcc_lo, s4, v61
	v_lshlrev_b64 v[65:66], 2, v[65:66]
	v_ashrrev_i32_e32 v70, 31, v69
	v_add_co_ci_u32_e32 v62, vcc_lo, s5, v62, vcc_lo
	v_add_co_u32 v63, vcc_lo, s4, v63
	v_lshlrev_b64 v[67:68], 2, v[67:68]
	v_ashrrev_i32_e32 v72, 31, v71
	v_ashrrev_i32_e32 v74, 31, v73
	v_add_co_ci_u32_e32 v64, vcc_lo, s5, v64, vcc_lo
	v_add_co_u32 v65, vcc_lo, s4, v65
	v_lshlrev_b64 v[69:70], 2, v[69:70]
	v_add_co_ci_u32_e32 v66, vcc_lo, s5, v66, vcc_lo
	v_add_co_u32 v67, vcc_lo, s4, v67
	v_lshlrev_b64 v[81:82], 2, v[71:72]
	v_lshlrev_b64 v[71:72], 2, v[73:74]
	v_add_co_ci_u32_e32 v68, vcc_lo, s5, v68, vcc_lo
	v_add_co_u32 v69, vcc_lo, s4, v69
	v_add_co_ci_u32_e32 v70, vcc_lo, s5, v70, vcc_lo
	s_delay_alu instid0(VALU_DEP_4)
	v_add_co_u32 v71, vcc_lo, s4, v71
	v_add_co_ci_u32_e32 v72, vcc_lo, s5, v72, vcc_lo
	v_add_co_u32 v73, vcc_lo, s4, v81
	s_clause 0x8
	global_load_b32 v1, v75, s[4:5]
	global_load_b32 v2, v[7:8], off
	global_load_b32 v3, v[9:10], off
	global_load_b32 v4, v[11:12], off
	global_load_b32 v76, v[13:14], off
	global_load_b32 v77, v[15:16], off
	global_load_b32 v78, v[17:18], off
	global_load_b32 v79, v[19:20], off
	global_load_b32 v80, v[21:22], off
	v_add_co_ci_u32_e32 v74, vcc_lo, s5, v82, vcc_lo
	s_clause 0x19
	global_load_b32 v81, v[23:24], off
	global_load_b32 v82, v[25:26], off
	global_load_b32 v83, v[27:28], off
	global_load_b32 v84, v[29:30], off
	global_load_b32 v85, v[31:32], off
	global_load_b32 v86, v[33:34], off
	global_load_b32 v87, v[35:36], off
	global_load_b32 v88, v[37:38], off
	global_load_b32 v89, v[39:40], off
	global_load_b32 v90, v[41:42], off
	global_load_b32 v91, v[43:44], off
	global_load_b32 v92, v[45:46], off
	global_load_b32 v93, v[47:48], off
	global_load_b32 v94, v[49:50], off
	global_load_b32 v95, v[51:52], off
	global_load_b32 v96, v[53:54], off
	global_load_b32 v97, v[55:56], off
	global_load_b32 v98, v[57:58], off
	global_load_b32 v99, v[59:60], off
	global_load_b32 v100, v[61:62], off
	global_load_b32 v101, v[63:64], off
	global_load_b32 v102, v[65:66], off
	global_load_b32 v103, v[67:68], off
	global_load_b32 v106, v[71:72], off
	global_load_b32 v105, v[73:74], off
	global_load_b32 v104, v[69:70], off
	s_bitcmp0_b32 s13, 0
	s_mov_b32 s1, -1
	s_waitcnt vmcnt(31)
	scratch_store_b128 off, v[1:4], off
	s_waitcnt vmcnt(27)
	scratch_store_b128 off, v[76:79], off offset:16
	s_waitcnt vmcnt(23)
	scratch_store_b128 off, v[80:83], off offset:32
	;; [unrolled: 2-line block ×7, first 2 shown]
	s_waitcnt vmcnt(0)
	scratch_store_b96 off, v[104:106], off offset:128
	s_cbranch_scc1 .LBB98_146
; %bb.4:
	v_cmp_eq_u32_e64 s0, 0, v0
	s_delay_alu instid0(VALU_DEP_1)
	s_and_saveexec_b32 s1, s0
	s_cbranch_execz .LBB98_6
; %bb.5:
	v_mov_b32_e32 v1, 0
	ds_store_b32 v1, v1 offset:140
.LBB98_6:
	s_or_b32 exec_lo, exec_lo, s1
	s_waitcnt lgkmcnt(0)
	s_waitcnt_vscnt null, 0x0
	s_barrier
	buffer_gl0_inv
	scratch_load_b32 v1, v75, off
	s_mov_b32 s4, exec_lo
	s_waitcnt vmcnt(0)
	v_cmpx_eq_f32_e32 0, v1
	s_cbranch_execz .LBB98_10
; %bb.7:
	v_mov_b32_e32 v1, 0
	s_mov_b32 s5, 0
	ds_load_b32 v2, v1 offset:140
	s_waitcnt lgkmcnt(0)
	v_readfirstlane_b32 s1, v2
	v_add_nc_u32_e32 v2, 1, v0
	s_delay_alu instid0(VALU_DEP_2) | instskip(NEXT) | instid1(VALU_DEP_1)
	s_cmp_eq_u32 s1, 0
	v_cmp_gt_i32_e32 vcc_lo, s1, v2
	s_cselect_b32 s10, -1, 0
	s_delay_alu instid0(SALU_CYCLE_1) | instskip(NEXT) | instid1(SALU_CYCLE_1)
	s_or_b32 s10, s10, vcc_lo
	s_and_b32 exec_lo, exec_lo, s10
	s_cbranch_execz .LBB98_10
; %bb.8:
	v_mov_b32_e32 v3, s1
.LBB98_9:                               ; =>This Inner Loop Header: Depth=1
	ds_cmpstore_rtn_b32 v3, v1, v2, v3 offset:140
	s_waitcnt lgkmcnt(0)
	v_cmp_ne_u32_e32 vcc_lo, 0, v3
	v_cmp_le_i32_e64 s1, v3, v2
	s_delay_alu instid0(VALU_DEP_1) | instskip(NEXT) | instid1(SALU_CYCLE_1)
	s_and_b32 s1, vcc_lo, s1
	s_and_b32 s1, exec_lo, s1
	s_delay_alu instid0(SALU_CYCLE_1) | instskip(NEXT) | instid1(SALU_CYCLE_1)
	s_or_b32 s5, s1, s5
	s_and_not1_b32 exec_lo, exec_lo, s5
	s_cbranch_execnz .LBB98_9
.LBB98_10:
	s_or_b32 exec_lo, exec_lo, s4
	v_mov_b32_e32 v1, 0
	s_barrier
	buffer_gl0_inv
	ds_load_b32 v2, v1 offset:140
	s_and_saveexec_b32 s1, s0
	s_cbranch_execz .LBB98_12
; %bb.11:
	s_lshl_b64 s[4:5], s[8:9], 2
	s_delay_alu instid0(SALU_CYCLE_1)
	s_add_u32 s4, s6, s4
	s_addc_u32 s5, s7, s5
	s_waitcnt lgkmcnt(0)
	global_store_b32 v1, v2, s[4:5]
.LBB98_12:
	s_or_b32 exec_lo, exec_lo, s1
	s_waitcnt lgkmcnt(0)
	v_cmp_ne_u32_e32 vcc_lo, 0, v2
	s_mov_b32 s1, 0
	s_cbranch_vccnz .LBB98_146
; %bb.13:
	v_add_nc_u32_e32 v1, 0, v75
	scratch_load_b32 v2, v1, off
	s_waitcnt vmcnt(0)
	v_div_scale_f32 v3, null, v2, v2, 1.0
	v_div_scale_f32 v77, vcc_lo, 1.0, v2, 1.0
	s_delay_alu instid0(VALU_DEP_2) | instskip(SKIP_2) | instid1(VALU_DEP_1)
	v_rcp_f32_e32 v4, v3
	s_waitcnt_depctr 0xfff
	v_fma_f32 v76, -v3, v4, 1.0
	v_fmac_f32_e32 v4, v76, v4
	s_delay_alu instid0(VALU_DEP_1) | instskip(NEXT) | instid1(VALU_DEP_1)
	v_mul_f32_e32 v76, v77, v4
	v_fma_f32 v78, -v3, v76, v77
	s_delay_alu instid0(VALU_DEP_1) | instskip(NEXT) | instid1(VALU_DEP_1)
	v_fmac_f32_e32 v76, v78, v4
	v_fma_f32 v3, -v3, v76, v77
	s_delay_alu instid0(VALU_DEP_1) | instskip(NEXT) | instid1(VALU_DEP_1)
	v_div_fmas_f32 v3, v3, v4, v76
	v_div_fixup_f32 v2, v3, v2, 1.0
	scratch_store_b32 v1, v2, off
	scratch_load_b32 v3, off, off offset:4
	v_xor_b32_e32 v4, 0x80000000, v2
	v_add_nc_u32_e32 v2, 0x90, v75
	s_waitcnt vmcnt(0)
	ds_store_2addr_b32 v75, v4, v3 offset1:36
	s_waitcnt lgkmcnt(0)
	s_waitcnt_vscnt null, 0x0
	s_barrier
	buffer_gl0_inv
	s_and_saveexec_b32 s1, s0
	s_cbranch_execz .LBB98_15
; %bb.14:
	scratch_load_b32 v3, v1, off
	ds_load_b32 v4, v2
	v_mov_b32_e32 v76, 0
	ds_load_b32 v76, v76 offset:4
	s_waitcnt vmcnt(0) lgkmcnt(1)
	v_fma_f32 v3, v3, v4, 0
	s_waitcnt lgkmcnt(0)
	s_delay_alu instid0(VALU_DEP_1)
	v_mul_f32_e32 v3, v3, v76
	scratch_store_b32 off, v3, off offset:4
.LBB98_15:
	s_or_b32 exec_lo, exec_lo, s1
	s_waitcnt_vscnt null, 0x0
	s_barrier
	buffer_gl0_inv
	scratch_load_b32 v3, off, off offset:8
	s_mov_b32 s1, exec_lo
	s_waitcnt vmcnt(0)
	ds_store_b32 v2, v3
	s_waitcnt lgkmcnt(0)
	s_barrier
	buffer_gl0_inv
	v_cmpx_gt_u32_e32 2, v0
	s_cbranch_execz .LBB98_17
; %bb.16:
	scratch_load_b32 v76, v1, off
	scratch_load_b32 v77, off, off offset:4
	ds_load_b32 v78, v2
	v_mov_b32_e32 v3, 0
	ds_load_2addr_b32 v[3:4], v3 offset0:2 offset1:37
	s_waitcnt vmcnt(1) lgkmcnt(1)
	v_fma_f32 v76, v76, v78, 0
	s_waitcnt vmcnt(0) lgkmcnt(0)
	s_delay_alu instid0(VALU_DEP_1) | instskip(NEXT) | instid1(VALU_DEP_1)
	v_fma_f32 v4, v77, v4, v76
	v_cndmask_b32_e64 v4, v76, v4, s0
	s_delay_alu instid0(VALU_DEP_1)
	v_mul_f32_e32 v3, v4, v3
	scratch_store_b32 off, v3, off offset:8
.LBB98_17:
	s_or_b32 exec_lo, exec_lo, s1
	s_waitcnt_vscnt null, 0x0
	s_barrier
	buffer_gl0_inv
	scratch_load_b32 v4, off, off offset:12
	v_add_nc_u32_e32 v3, -1, v0
	s_mov_b32 s0, exec_lo
	s_waitcnt vmcnt(0)
	ds_store_b32 v2, v4
	s_waitcnt lgkmcnt(0)
	s_barrier
	buffer_gl0_inv
	v_cmpx_gt_u32_e32 3, v0
	s_cbranch_execz .LBB98_21
; %bb.18:
	v_add_nc_u32_e32 v76, -1, v0
	v_dual_mov_b32 v4, 0 :: v_dual_add_nc_u32 v77, 0x90, v75
	v_add_nc_u32_e32 v78, 0, v75
	s_mov_b32 s1, 0
.LBB98_19:                              ; =>This Inner Loop Header: Depth=1
	scratch_load_b32 v79, v78, off
	ds_load_b32 v80, v77
	v_add_nc_u32_e32 v76, 1, v76
	v_add_nc_u32_e32 v77, 4, v77
	v_add_nc_u32_e32 v78, 4, v78
	s_delay_alu instid0(VALU_DEP_3)
	v_cmp_lt_u32_e32 vcc_lo, 1, v76
	s_or_b32 s1, vcc_lo, s1
	s_waitcnt vmcnt(0) lgkmcnt(0)
	v_fmac_f32_e32 v4, v79, v80
	s_and_not1_b32 exec_lo, exec_lo, s1
	s_cbranch_execnz .LBB98_19
; %bb.20:
	s_or_b32 exec_lo, exec_lo, s1
	v_mov_b32_e32 v76, 0
	ds_load_b32 v76, v76 offset:12
	s_waitcnt lgkmcnt(0)
	v_mul_f32_e32 v4, v4, v76
	scratch_store_b32 off, v4, off offset:12
.LBB98_21:
	s_or_b32 exec_lo, exec_lo, s0
	s_waitcnt_vscnt null, 0x0
	s_barrier
	buffer_gl0_inv
	scratch_load_b32 v4, off, off offset:16
	s_mov_b32 s0, exec_lo
	s_waitcnt vmcnt(0)
	ds_store_b32 v2, v4
	s_waitcnt lgkmcnt(0)
	s_barrier
	buffer_gl0_inv
	v_cmpx_gt_u32_e32 4, v0
	s_cbranch_execz .LBB98_25
; %bb.22:
	v_add_nc_u32_e32 v76, -1, v0
	v_dual_mov_b32 v4, 0 :: v_dual_add_nc_u32 v77, 0x90, v75
	v_add_nc_u32_e32 v78, 0, v75
	s_mov_b32 s1, 0
.LBB98_23:                              ; =>This Inner Loop Header: Depth=1
	scratch_load_b32 v79, v78, off
	ds_load_b32 v80, v77
	v_add_nc_u32_e32 v76, 1, v76
	v_add_nc_u32_e32 v77, 4, v77
	v_add_nc_u32_e32 v78, 4, v78
	s_delay_alu instid0(VALU_DEP_3)
	v_cmp_lt_u32_e32 vcc_lo, 2, v76
	s_or_b32 s1, vcc_lo, s1
	s_waitcnt vmcnt(0) lgkmcnt(0)
	v_fmac_f32_e32 v4, v79, v80
	s_and_not1_b32 exec_lo, exec_lo, s1
	s_cbranch_execnz .LBB98_23
; %bb.24:
	s_or_b32 exec_lo, exec_lo, s1
	v_mov_b32_e32 v76, 0
	ds_load_b32 v76, v76 offset:16
	s_waitcnt lgkmcnt(0)
	v_mul_f32_e32 v4, v4, v76
	scratch_store_b32 off, v4, off offset:16
.LBB98_25:
	s_or_b32 exec_lo, exec_lo, s0
	s_waitcnt_vscnt null, 0x0
	s_barrier
	buffer_gl0_inv
	scratch_load_b32 v4, off, off offset:20
	;; [unrolled: 39-line block ×21, first 2 shown]
	s_mov_b32 s0, exec_lo
	s_waitcnt vmcnt(0)
	ds_store_b32 v2, v4
	s_waitcnt lgkmcnt(0)
	s_barrier
	buffer_gl0_inv
	v_cmpx_gt_u32_e32 24, v0
	s_cbranch_execz .LBB98_105
; %bb.102:
	v_add_nc_u32_e32 v76, -1, v0
	v_dual_mov_b32 v4, 0 :: v_dual_add_nc_u32 v77, 0x90, v75
	v_add_nc_u32_e32 v78, 0, v75
	s_mov_b32 s1, 0
.LBB98_103:                             ; =>This Inner Loop Header: Depth=1
	scratch_load_b32 v79, v78, off
	ds_load_b32 v80, v77
	v_add_nc_u32_e32 v76, 1, v76
	v_add_nc_u32_e32 v77, 4, v77
	v_add_nc_u32_e32 v78, 4, v78
	s_delay_alu instid0(VALU_DEP_3)
	v_cmp_lt_u32_e32 vcc_lo, 22, v76
	s_or_b32 s1, vcc_lo, s1
	s_waitcnt vmcnt(0) lgkmcnt(0)
	v_fmac_f32_e32 v4, v79, v80
	s_and_not1_b32 exec_lo, exec_lo, s1
	s_cbranch_execnz .LBB98_103
; %bb.104:
	s_or_b32 exec_lo, exec_lo, s1
	v_mov_b32_e32 v76, 0
	ds_load_b32 v76, v76 offset:96
	s_waitcnt lgkmcnt(0)
	v_mul_f32_e32 v4, v4, v76
	scratch_store_b32 off, v4, off offset:96
.LBB98_105:
	s_or_b32 exec_lo, exec_lo, s0
	s_waitcnt_vscnt null, 0x0
	s_barrier
	buffer_gl0_inv
	scratch_load_b32 v4, off, off offset:100
	s_mov_b32 s0, exec_lo
	s_waitcnt vmcnt(0)
	ds_store_b32 v2, v4
	s_waitcnt lgkmcnt(0)
	s_barrier
	buffer_gl0_inv
	v_cmpx_gt_u32_e32 25, v0
	s_cbranch_execz .LBB98_109
; %bb.106:
	v_add_nc_u32_e32 v76, -1, v0
	v_dual_mov_b32 v4, 0 :: v_dual_add_nc_u32 v77, 0x90, v75
	v_add_nc_u32_e32 v78, 0, v75
	s_mov_b32 s1, 0
.LBB98_107:                             ; =>This Inner Loop Header: Depth=1
	scratch_load_b32 v79, v78, off
	ds_load_b32 v80, v77
	v_add_nc_u32_e32 v76, 1, v76
	v_add_nc_u32_e32 v77, 4, v77
	v_add_nc_u32_e32 v78, 4, v78
	s_delay_alu instid0(VALU_DEP_3)
	v_cmp_lt_u32_e32 vcc_lo, 23, v76
	s_or_b32 s1, vcc_lo, s1
	s_waitcnt vmcnt(0) lgkmcnt(0)
	v_fmac_f32_e32 v4, v79, v80
	s_and_not1_b32 exec_lo, exec_lo, s1
	s_cbranch_execnz .LBB98_107
; %bb.108:
	s_or_b32 exec_lo, exec_lo, s1
	v_mov_b32_e32 v76, 0
	ds_load_b32 v76, v76 offset:100
	s_waitcnt lgkmcnt(0)
	v_mul_f32_e32 v4, v4, v76
	scratch_store_b32 off, v4, off offset:100
.LBB98_109:
	s_or_b32 exec_lo, exec_lo, s0
	s_waitcnt_vscnt null, 0x0
	s_barrier
	buffer_gl0_inv
	scratch_load_b32 v4, off, off offset:104
	s_mov_b32 s0, exec_lo
	s_waitcnt vmcnt(0)
	ds_store_b32 v2, v4
	s_waitcnt lgkmcnt(0)
	s_barrier
	buffer_gl0_inv
	v_cmpx_gt_u32_e32 26, v0
	s_cbranch_execz .LBB98_113
; %bb.110:
	v_add_nc_u32_e32 v76, -1, v0
	v_dual_mov_b32 v4, 0 :: v_dual_add_nc_u32 v77, 0x90, v75
	v_add_nc_u32_e32 v78, 0, v75
	s_mov_b32 s1, 0
.LBB98_111:                             ; =>This Inner Loop Header: Depth=1
	scratch_load_b32 v79, v78, off
	ds_load_b32 v80, v77
	v_add_nc_u32_e32 v76, 1, v76
	v_add_nc_u32_e32 v77, 4, v77
	v_add_nc_u32_e32 v78, 4, v78
	s_delay_alu instid0(VALU_DEP_3)
	v_cmp_lt_u32_e32 vcc_lo, 24, v76
	s_or_b32 s1, vcc_lo, s1
	s_waitcnt vmcnt(0) lgkmcnt(0)
	v_fmac_f32_e32 v4, v79, v80
	s_and_not1_b32 exec_lo, exec_lo, s1
	s_cbranch_execnz .LBB98_111
; %bb.112:
	s_or_b32 exec_lo, exec_lo, s1
	v_mov_b32_e32 v76, 0
	ds_load_b32 v76, v76 offset:104
	s_waitcnt lgkmcnt(0)
	v_mul_f32_e32 v4, v4, v76
	scratch_store_b32 off, v4, off offset:104
.LBB98_113:
	s_or_b32 exec_lo, exec_lo, s0
	s_waitcnt_vscnt null, 0x0
	s_barrier
	buffer_gl0_inv
	scratch_load_b32 v4, off, off offset:108
	s_mov_b32 s0, exec_lo
	s_waitcnt vmcnt(0)
	ds_store_b32 v2, v4
	s_waitcnt lgkmcnt(0)
	s_barrier
	buffer_gl0_inv
	v_cmpx_gt_u32_e32 27, v0
	s_cbranch_execz .LBB98_117
; %bb.114:
	v_add_nc_u32_e32 v76, -1, v0
	v_dual_mov_b32 v4, 0 :: v_dual_add_nc_u32 v77, 0x90, v75
	v_add_nc_u32_e32 v78, 0, v75
	s_mov_b32 s1, 0
.LBB98_115:                             ; =>This Inner Loop Header: Depth=1
	scratch_load_b32 v79, v78, off
	ds_load_b32 v80, v77
	v_add_nc_u32_e32 v76, 1, v76
	v_add_nc_u32_e32 v77, 4, v77
	v_add_nc_u32_e32 v78, 4, v78
	s_delay_alu instid0(VALU_DEP_3)
	v_cmp_lt_u32_e32 vcc_lo, 25, v76
	s_or_b32 s1, vcc_lo, s1
	s_waitcnt vmcnt(0) lgkmcnt(0)
	v_fmac_f32_e32 v4, v79, v80
	s_and_not1_b32 exec_lo, exec_lo, s1
	s_cbranch_execnz .LBB98_115
; %bb.116:
	s_or_b32 exec_lo, exec_lo, s1
	v_mov_b32_e32 v76, 0
	ds_load_b32 v76, v76 offset:108
	s_waitcnt lgkmcnt(0)
	v_mul_f32_e32 v4, v4, v76
	scratch_store_b32 off, v4, off offset:108
.LBB98_117:
	s_or_b32 exec_lo, exec_lo, s0
	s_waitcnt_vscnt null, 0x0
	s_barrier
	buffer_gl0_inv
	scratch_load_b32 v4, off, off offset:112
	s_mov_b32 s0, exec_lo
	s_waitcnt vmcnt(0)
	ds_store_b32 v2, v4
	s_waitcnt lgkmcnt(0)
	s_barrier
	buffer_gl0_inv
	v_cmpx_gt_u32_e32 28, v0
	s_cbranch_execz .LBB98_121
; %bb.118:
	v_add_nc_u32_e32 v76, -1, v0
	v_dual_mov_b32 v4, 0 :: v_dual_add_nc_u32 v77, 0x90, v75
	v_add_nc_u32_e32 v78, 0, v75
	s_mov_b32 s1, 0
.LBB98_119:                             ; =>This Inner Loop Header: Depth=1
	scratch_load_b32 v79, v78, off
	ds_load_b32 v80, v77
	v_add_nc_u32_e32 v76, 1, v76
	v_add_nc_u32_e32 v77, 4, v77
	v_add_nc_u32_e32 v78, 4, v78
	s_delay_alu instid0(VALU_DEP_3)
	v_cmp_lt_u32_e32 vcc_lo, 26, v76
	s_or_b32 s1, vcc_lo, s1
	s_waitcnt vmcnt(0) lgkmcnt(0)
	v_fmac_f32_e32 v4, v79, v80
	s_and_not1_b32 exec_lo, exec_lo, s1
	s_cbranch_execnz .LBB98_119
; %bb.120:
	s_or_b32 exec_lo, exec_lo, s1
	v_mov_b32_e32 v76, 0
	ds_load_b32 v76, v76 offset:112
	s_waitcnt lgkmcnt(0)
	v_mul_f32_e32 v4, v4, v76
	scratch_store_b32 off, v4, off offset:112
.LBB98_121:
	s_or_b32 exec_lo, exec_lo, s0
	s_waitcnt_vscnt null, 0x0
	s_barrier
	buffer_gl0_inv
	scratch_load_b32 v4, off, off offset:116
	s_mov_b32 s0, exec_lo
	s_waitcnt vmcnt(0)
	ds_store_b32 v2, v4
	s_waitcnt lgkmcnt(0)
	s_barrier
	buffer_gl0_inv
	v_cmpx_gt_u32_e32 29, v0
	s_cbranch_execz .LBB98_125
; %bb.122:
	v_add_nc_u32_e32 v76, -1, v0
	v_dual_mov_b32 v4, 0 :: v_dual_add_nc_u32 v77, 0x90, v75
	v_add_nc_u32_e32 v78, 0, v75
	s_mov_b32 s1, 0
.LBB98_123:                             ; =>This Inner Loop Header: Depth=1
	scratch_load_b32 v79, v78, off
	ds_load_b32 v80, v77
	v_add_nc_u32_e32 v76, 1, v76
	v_add_nc_u32_e32 v77, 4, v77
	v_add_nc_u32_e32 v78, 4, v78
	s_delay_alu instid0(VALU_DEP_3)
	v_cmp_lt_u32_e32 vcc_lo, 27, v76
	s_or_b32 s1, vcc_lo, s1
	s_waitcnt vmcnt(0) lgkmcnt(0)
	v_fmac_f32_e32 v4, v79, v80
	s_and_not1_b32 exec_lo, exec_lo, s1
	s_cbranch_execnz .LBB98_123
; %bb.124:
	s_or_b32 exec_lo, exec_lo, s1
	v_mov_b32_e32 v76, 0
	ds_load_b32 v76, v76 offset:116
	s_waitcnt lgkmcnt(0)
	v_mul_f32_e32 v4, v4, v76
	scratch_store_b32 off, v4, off offset:116
.LBB98_125:
	s_or_b32 exec_lo, exec_lo, s0
	s_waitcnt_vscnt null, 0x0
	s_barrier
	buffer_gl0_inv
	scratch_load_b32 v4, off, off offset:120
	s_mov_b32 s0, exec_lo
	s_waitcnt vmcnt(0)
	ds_store_b32 v2, v4
	s_waitcnt lgkmcnt(0)
	s_barrier
	buffer_gl0_inv
	v_cmpx_gt_u32_e32 30, v0
	s_cbranch_execz .LBB98_129
; %bb.126:
	v_add_nc_u32_e32 v76, -1, v0
	v_dual_mov_b32 v4, 0 :: v_dual_add_nc_u32 v77, 0x90, v75
	v_add_nc_u32_e32 v78, 0, v75
	s_mov_b32 s1, 0
.LBB98_127:                             ; =>This Inner Loop Header: Depth=1
	scratch_load_b32 v79, v78, off
	ds_load_b32 v80, v77
	v_add_nc_u32_e32 v76, 1, v76
	v_add_nc_u32_e32 v77, 4, v77
	v_add_nc_u32_e32 v78, 4, v78
	s_delay_alu instid0(VALU_DEP_3)
	v_cmp_lt_u32_e32 vcc_lo, 28, v76
	s_or_b32 s1, vcc_lo, s1
	s_waitcnt vmcnt(0) lgkmcnt(0)
	v_fmac_f32_e32 v4, v79, v80
	s_and_not1_b32 exec_lo, exec_lo, s1
	s_cbranch_execnz .LBB98_127
; %bb.128:
	s_or_b32 exec_lo, exec_lo, s1
	v_mov_b32_e32 v76, 0
	ds_load_b32 v76, v76 offset:120
	s_waitcnt lgkmcnt(0)
	v_mul_f32_e32 v4, v4, v76
	scratch_store_b32 off, v4, off offset:120
.LBB98_129:
	s_or_b32 exec_lo, exec_lo, s0
	s_waitcnt_vscnt null, 0x0
	s_barrier
	buffer_gl0_inv
	scratch_load_b32 v4, off, off offset:124
	s_mov_b32 s0, exec_lo
	s_waitcnt vmcnt(0)
	ds_store_b32 v2, v4
	s_waitcnt lgkmcnt(0)
	s_barrier
	buffer_gl0_inv
	v_cmpx_gt_u32_e32 31, v0
	s_cbranch_execz .LBB98_133
; %bb.130:
	v_add_nc_u32_e32 v76, -1, v0
	v_dual_mov_b32 v4, 0 :: v_dual_add_nc_u32 v77, 0x90, v75
	v_add_nc_u32_e32 v78, 0, v75
	s_mov_b32 s1, 0
.LBB98_131:                             ; =>This Inner Loop Header: Depth=1
	scratch_load_b32 v79, v78, off
	ds_load_b32 v80, v77
	v_add_nc_u32_e32 v76, 1, v76
	v_add_nc_u32_e32 v77, 4, v77
	v_add_nc_u32_e32 v78, 4, v78
	s_delay_alu instid0(VALU_DEP_3)
	v_cmp_lt_u32_e32 vcc_lo, 29, v76
	s_or_b32 s1, vcc_lo, s1
	s_waitcnt vmcnt(0) lgkmcnt(0)
	v_fmac_f32_e32 v4, v79, v80
	s_and_not1_b32 exec_lo, exec_lo, s1
	s_cbranch_execnz .LBB98_131
; %bb.132:
	s_or_b32 exec_lo, exec_lo, s1
	v_mov_b32_e32 v76, 0
	ds_load_b32 v76, v76 offset:124
	s_waitcnt lgkmcnt(0)
	v_mul_f32_e32 v4, v4, v76
	scratch_store_b32 off, v4, off offset:124
.LBB98_133:
	s_or_b32 exec_lo, exec_lo, s0
	s_waitcnt_vscnt null, 0x0
	s_barrier
	buffer_gl0_inv
	scratch_load_b32 v4, off, off offset:128
	s_mov_b32 s0, exec_lo
	s_waitcnt vmcnt(0)
	ds_store_b32 v2, v4
	s_waitcnt lgkmcnt(0)
	s_barrier
	buffer_gl0_inv
	v_cmpx_gt_u32_e32 32, v0
	s_cbranch_execz .LBB98_137
; %bb.134:
	v_add_nc_u32_e32 v76, -1, v0
	v_dual_mov_b32 v4, 0 :: v_dual_add_nc_u32 v77, 0x90, v75
	v_add_nc_u32_e32 v78, 0, v75
	s_mov_b32 s1, 0
.LBB98_135:                             ; =>This Inner Loop Header: Depth=1
	scratch_load_b32 v79, v78, off
	ds_load_b32 v80, v77
	v_add_nc_u32_e32 v76, 1, v76
	v_add_nc_u32_e32 v77, 4, v77
	v_add_nc_u32_e32 v78, 4, v78
	s_delay_alu instid0(VALU_DEP_3)
	v_cmp_lt_u32_e32 vcc_lo, 30, v76
	s_or_b32 s1, vcc_lo, s1
	s_waitcnt vmcnt(0) lgkmcnt(0)
	v_fmac_f32_e32 v4, v79, v80
	s_and_not1_b32 exec_lo, exec_lo, s1
	s_cbranch_execnz .LBB98_135
; %bb.136:
	s_or_b32 exec_lo, exec_lo, s1
	v_mov_b32_e32 v76, 0
	ds_load_b32 v76, v76 offset:128
	s_waitcnt lgkmcnt(0)
	v_mul_f32_e32 v4, v4, v76
	scratch_store_b32 off, v4, off offset:128
.LBB98_137:
	s_or_b32 exec_lo, exec_lo, s0
	s_waitcnt_vscnt null, 0x0
	s_barrier
	buffer_gl0_inv
	scratch_load_b32 v4, off, off offset:132
	s_mov_b32 s0, exec_lo
	s_waitcnt vmcnt(0)
	ds_store_b32 v2, v4
	s_waitcnt lgkmcnt(0)
	s_barrier
	buffer_gl0_inv
	v_cmpx_gt_u32_e32 33, v0
	s_cbranch_execz .LBB98_141
; %bb.138:
	v_add_nc_u32_e32 v76, -1, v0
	v_dual_mov_b32 v4, 0 :: v_dual_add_nc_u32 v77, 0x90, v75
	v_add_nc_u32_e32 v75, 0, v75
	s_mov_b32 s1, 0
.LBB98_139:                             ; =>This Inner Loop Header: Depth=1
	scratch_load_b32 v78, v75, off
	ds_load_b32 v79, v77
	v_add_nc_u32_e32 v76, 1, v76
	v_add_nc_u32_e32 v77, 4, v77
	v_add_nc_u32_e32 v75, 4, v75
	s_delay_alu instid0(VALU_DEP_3)
	v_cmp_lt_u32_e32 vcc_lo, 31, v76
	s_or_b32 s1, vcc_lo, s1
	s_waitcnt vmcnt(0) lgkmcnt(0)
	v_fmac_f32_e32 v4, v78, v79
	s_and_not1_b32 exec_lo, exec_lo, s1
	s_cbranch_execnz .LBB98_139
; %bb.140:
	s_or_b32 exec_lo, exec_lo, s1
	v_mov_b32_e32 v75, 0
	ds_load_b32 v75, v75 offset:132
	s_waitcnt lgkmcnt(0)
	v_mul_f32_e32 v4, v4, v75
	scratch_store_b32 off, v4, off offset:132
.LBB98_141:
	s_or_b32 exec_lo, exec_lo, s0
	s_waitcnt_vscnt null, 0x0
	s_barrier
	buffer_gl0_inv
	scratch_load_b32 v4, off, off offset:136
	s_mov_b32 s0, exec_lo
	s_waitcnt vmcnt(0)
	ds_store_b32 v2, v4
	s_waitcnt lgkmcnt(0)
	s_barrier
	buffer_gl0_inv
	v_cmpx_ne_u32_e32 34, v0
	s_cbranch_execz .LBB98_145
; %bb.142:
	v_mov_b32_e32 v4, 0
	s_mov_b32 s1, 0
.LBB98_143:                             ; =>This Inner Loop Header: Depth=1
	scratch_load_b32 v75, v1, off
	ds_load_b32 v76, v2
	v_add_nc_u32_e32 v3, 1, v3
	v_add_nc_u32_e32 v2, 4, v2
	s_waitcnt vmcnt(0) lgkmcnt(0)
	v_dual_fmac_f32 v4, v75, v76 :: v_dual_add_nc_u32 v1, 4, v1
	s_delay_alu instid0(VALU_DEP_3) | instskip(SKIP_1) | instid1(SALU_CYCLE_1)
	v_cmp_lt_u32_e32 vcc_lo, 32, v3
	s_or_b32 s1, vcc_lo, s1
	s_and_not1_b32 exec_lo, exec_lo, s1
	s_cbranch_execnz .LBB98_143
; %bb.144:
	s_or_b32 exec_lo, exec_lo, s1
	v_mov_b32_e32 v1, 0
	ds_load_b32 v1, v1 offset:136
	s_waitcnt lgkmcnt(0)
	v_mul_f32_e32 v1, v4, v1
	scratch_store_b32 off, v1, off offset:136
.LBB98_145:
	s_or_b32 exec_lo, exec_lo, s0
	s_mov_b32 s1, -1
	s_waitcnt_vscnt null, 0x0
	s_barrier
	buffer_gl0_inv
.LBB98_146:
	s_and_b32 vcc_lo, exec_lo, s1
	s_cbranch_vccz .LBB98_148
; %bb.147:
	s_lshl_b64 s[0:1], s[8:9], 2
	v_mov_b32_e32 v1, 0
	s_add_u32 s0, s6, s0
	s_addc_u32 s1, s7, s1
	global_load_b32 v1, v1, s[0:1]
	s_waitcnt vmcnt(0)
	v_cmp_ne_u32_e32 vcc_lo, 0, v1
	s_cbranch_vccz .LBB98_149
.LBB98_148:
	s_endpgm
.LBB98_149:
	v_lshl_add_u32 v1, v0, 2, 0x90
	s_mov_b32 s0, exec_lo
	v_cmpx_eq_u32_e32 34, v0
	s_cbranch_execz .LBB98_151
; %bb.150:
	scratch_load_b32 v2, off, off offset:132
	v_mov_b32_e32 v3, 0
	scratch_store_b32 off, v3, off offset:132
	s_waitcnt vmcnt(0)
	ds_store_b32 v1, v2
.LBB98_151:
	s_or_b32 exec_lo, exec_lo, s0
	s_waitcnt lgkmcnt(0)
	s_waitcnt_vscnt null, 0x0
	s_barrier
	buffer_gl0_inv
	scratch_load_b64 v[3:4], off, off offset:132
	v_mov_b32_e32 v2, 0
	s_mov_b32 s0, exec_lo
	ds_load_b32 v75, v2 offset:280
	s_waitcnt vmcnt(0) lgkmcnt(0)
	v_fma_f32 v4, v4, v75, 0
	s_delay_alu instid0(VALU_DEP_1)
	v_sub_f32_e32 v3, v3, v4
	scratch_store_b32 off, v3, off offset:132
	v_cmpx_lt_u32_e32 32, v0
	s_cbranch_execz .LBB98_153
; %bb.152:
	scratch_load_b32 v3, off, off offset:128
	scratch_store_b32 off, v2, off offset:128
	s_waitcnt vmcnt(0)
	ds_store_b32 v1, v3
.LBB98_153:
	s_or_b32 exec_lo, exec_lo, s0
	s_waitcnt lgkmcnt(0)
	s_waitcnt_vscnt null, 0x0
	s_barrier
	buffer_gl0_inv
	scratch_load_b96 v[75:77], off, off offset:128
	ds_load_2addr_b32 v[2:3], v2 offset0:69 offset1:70
	s_mov_b32 s0, exec_lo
	s_waitcnt vmcnt(0) lgkmcnt(0)
	v_fma_f32 v2, v76, v2, 0
	s_delay_alu instid0(VALU_DEP_1) | instskip(NEXT) | instid1(VALU_DEP_1)
	v_fmac_f32_e32 v2, v77, v3
	v_sub_f32_e32 v2, v75, v2
	scratch_store_b32 off, v2, off offset:128
	v_cmpx_lt_u32_e32 31, v0
	s_cbranch_execz .LBB98_155
; %bb.154:
	scratch_load_b32 v2, off, off offset:124
	v_mov_b32_e32 v3, 0
	scratch_store_b32 off, v3, off offset:124
	s_waitcnt vmcnt(0)
	ds_store_b32 v1, v2
.LBB98_155:
	s_or_b32 exec_lo, exec_lo, s0
	s_waitcnt lgkmcnt(0)
	s_waitcnt_vscnt null, 0x0
	s_barrier
	buffer_gl0_inv
	scratch_load_b128 v[75:78], off, off offset:124
	v_mov_b32_e32 v2, 0
	s_mov_b32 s0, exec_lo
	ds_load_b96 v[79:81], v2 offset:272
	s_waitcnt vmcnt(0) lgkmcnt(0)
	v_fma_f32 v3, v76, v79, 0
	s_delay_alu instid0(VALU_DEP_1) | instskip(NEXT) | instid1(VALU_DEP_1)
	v_fmac_f32_e32 v3, v77, v80
	v_fmac_f32_e32 v3, v78, v81
	s_delay_alu instid0(VALU_DEP_1)
	v_sub_f32_e32 v3, v75, v3
	scratch_store_b32 off, v3, off offset:124
	v_cmpx_lt_u32_e32 30, v0
	s_cbranch_execz .LBB98_157
; %bb.156:
	scratch_load_b32 v3, off, off offset:120
	scratch_store_b32 off, v2, off offset:120
	s_waitcnt vmcnt(0)
	ds_store_b32 v1, v3
.LBB98_157:
	s_or_b32 exec_lo, exec_lo, s0
	s_waitcnt lgkmcnt(0)
	s_waitcnt_vscnt null, 0x0
	s_barrier
	buffer_gl0_inv
	s_clause 0x1
	scratch_load_b128 v[75:78], off, off offset:120
	scratch_load_b32 v81, off, off offset:136
	ds_load_2addr_b32 v[3:4], v2 offset0:67 offset1:68
	ds_load_2addr_b32 v[79:80], v2 offset0:69 offset1:70
	s_mov_b32 s0, exec_lo
	s_waitcnt vmcnt(1) lgkmcnt(1)
	v_fma_f32 v2, v76, v3, 0
	s_delay_alu instid0(VALU_DEP_1) | instskip(SKIP_1) | instid1(VALU_DEP_1)
	v_fmac_f32_e32 v2, v77, v4
	s_waitcnt lgkmcnt(0)
	v_fmac_f32_e32 v2, v78, v79
	s_waitcnt vmcnt(0)
	s_delay_alu instid0(VALU_DEP_1) | instskip(NEXT) | instid1(VALU_DEP_1)
	v_fmac_f32_e32 v2, v81, v80
	v_sub_f32_e32 v2, v75, v2
	scratch_store_b32 off, v2, off offset:120
	v_cmpx_lt_u32_e32 29, v0
	s_cbranch_execz .LBB98_159
; %bb.158:
	scratch_load_b32 v2, off, off offset:116
	v_mov_b32_e32 v3, 0
	scratch_store_b32 off, v3, off offset:116
	s_waitcnt vmcnt(0)
	ds_store_b32 v1, v2
.LBB98_159:
	s_or_b32 exec_lo, exec_lo, s0
	s_waitcnt lgkmcnt(0)
	s_waitcnt_vscnt null, 0x0
	s_barrier
	buffer_gl0_inv
	s_clause 0x1
	scratch_load_b128 v[75:78], off, off offset:116
	scratch_load_b64 v[3:4], off, off offset:132
	v_mov_b32_e32 v2, 0
	ds_load_2addr_b64 v[79:82], v2 offset0:33 offset1:34
	ds_load_b32 v83, v2 offset:280
	s_mov_b32 s0, exec_lo
	s_waitcnt vmcnt(1) lgkmcnt(1)
	v_fma_f32 v76, v76, v79, 0
	s_delay_alu instid0(VALU_DEP_1) | instskip(NEXT) | instid1(VALU_DEP_1)
	v_fmac_f32_e32 v76, v77, v80
	v_fmac_f32_e32 v76, v78, v81
	s_waitcnt vmcnt(0)
	s_delay_alu instid0(VALU_DEP_1) | instskip(SKIP_1) | instid1(VALU_DEP_1)
	v_fmac_f32_e32 v76, v3, v82
	s_waitcnt lgkmcnt(0)
	v_fmac_f32_e32 v76, v4, v83
	s_delay_alu instid0(VALU_DEP_1)
	v_sub_f32_e32 v3, v75, v76
	scratch_store_b32 off, v3, off offset:116
	v_cmpx_lt_u32_e32 28, v0
	s_cbranch_execz .LBB98_161
; %bb.160:
	scratch_load_b32 v3, off, off offset:112
	scratch_store_b32 off, v2, off offset:112
	s_waitcnt vmcnt(0)
	ds_store_b32 v1, v3
.LBB98_161:
	s_or_b32 exec_lo, exec_lo, s0
	s_waitcnt lgkmcnt(0)
	s_waitcnt_vscnt null, 0x0
	s_barrier
	buffer_gl0_inv
	s_clause 0x1
	scratch_load_b128 v[75:78], off, off offset:112
	scratch_load_b96 v[79:81], off, off offset:128
	ds_load_2addr_b32 v[3:4], v2 offset0:65 offset1:66
	ds_load_2addr_b32 v[82:83], v2 offset0:67 offset1:68
	;; [unrolled: 1-line block ×3, first 2 shown]
	s_mov_b32 s0, exec_lo
	s_waitcnt vmcnt(1) lgkmcnt(2)
	v_fma_f32 v2, v76, v3, 0
	s_delay_alu instid0(VALU_DEP_1) | instskip(SKIP_1) | instid1(VALU_DEP_1)
	v_fmac_f32_e32 v2, v77, v4
	s_waitcnt lgkmcnt(1)
	v_fmac_f32_e32 v2, v78, v82
	s_waitcnt vmcnt(0)
	s_delay_alu instid0(VALU_DEP_1) | instskip(SKIP_1) | instid1(VALU_DEP_1)
	v_fmac_f32_e32 v2, v79, v83
	s_waitcnt lgkmcnt(0)
	v_fmac_f32_e32 v2, v80, v84
	s_delay_alu instid0(VALU_DEP_1) | instskip(NEXT) | instid1(VALU_DEP_1)
	v_fmac_f32_e32 v2, v81, v85
	v_sub_f32_e32 v2, v75, v2
	scratch_store_b32 off, v2, off offset:112
	v_cmpx_lt_u32_e32 27, v0
	s_cbranch_execz .LBB98_163
; %bb.162:
	scratch_load_b32 v2, off, off offset:108
	v_mov_b32_e32 v3, 0
	scratch_store_b32 off, v3, off offset:108
	s_waitcnt vmcnt(0)
	ds_store_b32 v1, v2
.LBB98_163:
	s_or_b32 exec_lo, exec_lo, s0
	s_waitcnt lgkmcnt(0)
	s_waitcnt_vscnt null, 0x0
	s_barrier
	buffer_gl0_inv
	s_clause 0x1
	scratch_load_b128 v[75:78], off, off offset:108
	scratch_load_b128 v[79:82], off, off offset:124
	v_mov_b32_e32 v2, 0
	ds_load_b128 v[83:86], v2 offset:256
	ds_load_b96 v[87:89], v2 offset:272
	s_mov_b32 s0, exec_lo
	s_waitcnt vmcnt(1) lgkmcnt(1)
	v_fma_f32 v3, v76, v83, 0
	s_delay_alu instid0(VALU_DEP_1) | instskip(NEXT) | instid1(VALU_DEP_1)
	v_fmac_f32_e32 v3, v77, v84
	v_fmac_f32_e32 v3, v78, v85
	s_waitcnt vmcnt(0)
	s_delay_alu instid0(VALU_DEP_1) | instskip(SKIP_1) | instid1(VALU_DEP_1)
	v_fmac_f32_e32 v3, v79, v86
	s_waitcnt lgkmcnt(0)
	v_fmac_f32_e32 v3, v80, v87
	s_delay_alu instid0(VALU_DEP_1) | instskip(NEXT) | instid1(VALU_DEP_1)
	v_fmac_f32_e32 v3, v81, v88
	v_fmac_f32_e32 v3, v82, v89
	s_delay_alu instid0(VALU_DEP_1)
	v_sub_f32_e32 v3, v75, v3
	scratch_store_b32 off, v3, off offset:108
	v_cmpx_lt_u32_e32 26, v0
	s_cbranch_execz .LBB98_165
; %bb.164:
	scratch_load_b32 v3, off, off offset:104
	scratch_store_b32 off, v2, off offset:104
	s_waitcnt vmcnt(0)
	ds_store_b32 v1, v3
.LBB98_165:
	s_or_b32 exec_lo, exec_lo, s0
	s_waitcnt lgkmcnt(0)
	s_waitcnt_vscnt null, 0x0
	s_barrier
	buffer_gl0_inv
	s_clause 0x2
	scratch_load_b128 v[75:78], off, off offset:104
	scratch_load_b128 v[79:82], off, off offset:120
	scratch_load_b32 v89, off, off offset:136
	ds_load_2addr_b32 v[3:4], v2 offset0:63 offset1:64
	ds_load_2addr_b32 v[83:84], v2 offset0:65 offset1:66
	;; [unrolled: 1-line block ×4, first 2 shown]
	s_mov_b32 s0, exec_lo
	s_waitcnt vmcnt(2) lgkmcnt(3)
	v_fma_f32 v2, v76, v3, 0
	s_delay_alu instid0(VALU_DEP_1) | instskip(SKIP_1) | instid1(VALU_DEP_1)
	v_fmac_f32_e32 v2, v77, v4
	s_waitcnt lgkmcnt(2)
	v_fmac_f32_e32 v2, v78, v83
	s_waitcnt vmcnt(1)
	s_delay_alu instid0(VALU_DEP_1) | instskip(SKIP_1) | instid1(VALU_DEP_1)
	v_fmac_f32_e32 v2, v79, v84
	s_waitcnt lgkmcnt(1)
	v_fmac_f32_e32 v2, v80, v85
	s_delay_alu instid0(VALU_DEP_1) | instskip(SKIP_1) | instid1(VALU_DEP_1)
	v_fmac_f32_e32 v2, v81, v86
	s_waitcnt lgkmcnt(0)
	v_fmac_f32_e32 v2, v82, v87
	s_waitcnt vmcnt(0)
	s_delay_alu instid0(VALU_DEP_1) | instskip(NEXT) | instid1(VALU_DEP_1)
	v_fmac_f32_e32 v2, v89, v88
	v_sub_f32_e32 v2, v75, v2
	scratch_store_b32 off, v2, off offset:104
	v_cmpx_lt_u32_e32 25, v0
	s_cbranch_execz .LBB98_167
; %bb.166:
	scratch_load_b32 v2, off, off offset:100
	v_mov_b32_e32 v3, 0
	scratch_store_b32 off, v3, off offset:100
	s_waitcnt vmcnt(0)
	ds_store_b32 v1, v2
.LBB98_167:
	s_or_b32 exec_lo, exec_lo, s0
	s_waitcnt lgkmcnt(0)
	s_waitcnt_vscnt null, 0x0
	s_barrier
	buffer_gl0_inv
	s_clause 0x2
	scratch_load_b128 v[75:78], off, off offset:100
	scratch_load_b128 v[79:82], off, off offset:116
	scratch_load_b64 v[3:4], off, off offset:132
	v_mov_b32_e32 v2, 0
	ds_load_2addr_b64 v[83:86], v2 offset0:31 offset1:32
	ds_load_2addr_b64 v[87:90], v2 offset0:33 offset1:34
	s_mov_b32 s0, exec_lo
	s_waitcnt vmcnt(2) lgkmcnt(1)
	v_fma_f32 v76, v76, v83, 0
	s_delay_alu instid0(VALU_DEP_1) | instskip(SKIP_3) | instid1(VALU_DEP_1)
	v_fmac_f32_e32 v76, v77, v84
	ds_load_b32 v77, v2 offset:280
	v_fmac_f32_e32 v76, v78, v85
	s_waitcnt vmcnt(1)
	v_fmac_f32_e32 v76, v79, v86
	s_waitcnt lgkmcnt(1)
	s_delay_alu instid0(VALU_DEP_1) | instskip(NEXT) | instid1(VALU_DEP_1)
	v_fmac_f32_e32 v76, v80, v87
	v_fmac_f32_e32 v76, v81, v88
	s_delay_alu instid0(VALU_DEP_1) | instskip(SKIP_1) | instid1(VALU_DEP_1)
	v_fmac_f32_e32 v76, v82, v89
	s_waitcnt vmcnt(0)
	v_fmac_f32_e32 v76, v3, v90
	s_waitcnt lgkmcnt(0)
	s_delay_alu instid0(VALU_DEP_1) | instskip(NEXT) | instid1(VALU_DEP_1)
	v_fmac_f32_e32 v76, v4, v77
	v_sub_f32_e32 v3, v75, v76
	scratch_store_b32 off, v3, off offset:100
	v_cmpx_lt_u32_e32 24, v0
	s_cbranch_execz .LBB98_169
; %bb.168:
	scratch_load_b32 v3, off, off offset:96
	scratch_store_b32 off, v2, off offset:96
	s_waitcnt vmcnt(0)
	ds_store_b32 v1, v3
.LBB98_169:
	s_or_b32 exec_lo, exec_lo, s0
	s_waitcnt lgkmcnt(0)
	s_waitcnt_vscnt null, 0x0
	s_barrier
	buffer_gl0_inv
	s_clause 0x2
	scratch_load_b128 v[75:78], off, off offset:96
	scratch_load_b128 v[79:82], off, off offset:112
	scratch_load_b96 v[83:85], off, off offset:128
	ds_load_2addr_b32 v[3:4], v2 offset0:61 offset1:62
	ds_load_2addr_b32 v[86:87], v2 offset0:63 offset1:64
	;; [unrolled: 1-line block ×4, first 2 shown]
	s_mov_b32 s0, exec_lo
	s_waitcnt vmcnt(2) lgkmcnt(3)
	v_fma_f32 v76, v76, v3, 0
	ds_load_2addr_b32 v[2:3], v2 offset0:69 offset1:70
	v_fmac_f32_e32 v76, v77, v4
	s_waitcnt lgkmcnt(3)
	s_delay_alu instid0(VALU_DEP_1) | instskip(SKIP_1) | instid1(VALU_DEP_1)
	v_fmac_f32_e32 v76, v78, v86
	s_waitcnt vmcnt(1)
	v_fmac_f32_e32 v76, v79, v87
	s_waitcnt lgkmcnt(2)
	s_delay_alu instid0(VALU_DEP_1) | instskip(NEXT) | instid1(VALU_DEP_1)
	v_fmac_f32_e32 v76, v80, v88
	v_fmac_f32_e32 v76, v81, v89
	s_waitcnt lgkmcnt(1)
	s_delay_alu instid0(VALU_DEP_1) | instskip(SKIP_1) | instid1(VALU_DEP_1)
	v_fmac_f32_e32 v76, v82, v90
	s_waitcnt vmcnt(0)
	v_fmac_f32_e32 v76, v83, v91
	s_waitcnt lgkmcnt(0)
	s_delay_alu instid0(VALU_DEP_1) | instskip(NEXT) | instid1(VALU_DEP_1)
	v_fmac_f32_e32 v76, v84, v2
	v_fmac_f32_e32 v76, v85, v3
	s_delay_alu instid0(VALU_DEP_1)
	v_sub_f32_e32 v2, v75, v76
	scratch_store_b32 off, v2, off offset:96
	v_cmpx_lt_u32_e32 23, v0
	s_cbranch_execz .LBB98_171
; %bb.170:
	scratch_load_b32 v2, off, off offset:92
	v_mov_b32_e32 v3, 0
	scratch_store_b32 off, v3, off offset:92
	s_waitcnt vmcnt(0)
	ds_store_b32 v1, v2
.LBB98_171:
	s_or_b32 exec_lo, exec_lo, s0
	s_waitcnt lgkmcnt(0)
	s_waitcnt_vscnt null, 0x0
	s_barrier
	buffer_gl0_inv
	s_clause 0x2
	scratch_load_b128 v[75:78], off, off offset:92
	scratch_load_b128 v[79:82], off, off offset:108
	;; [unrolled: 1-line block ×3, first 2 shown]
	v_mov_b32_e32 v2, 0
	ds_load_b128 v[87:90], v2 offset:240
	ds_load_b128 v[91:94], v2 offset:256
	s_mov_b32 s0, exec_lo
	s_waitcnt vmcnt(2) lgkmcnt(1)
	v_fma_f32 v3, v76, v87, 0
	s_delay_alu instid0(VALU_DEP_1) | instskip(NEXT) | instid1(VALU_DEP_1)
	v_fmac_f32_e32 v3, v77, v88
	v_fmac_f32_e32 v3, v78, v89
	ds_load_b96 v[76:78], v2 offset:272
	s_waitcnt vmcnt(1)
	v_fmac_f32_e32 v3, v79, v90
	s_waitcnt lgkmcnt(1)
	s_delay_alu instid0(VALU_DEP_1) | instskip(NEXT) | instid1(VALU_DEP_1)
	v_fmac_f32_e32 v3, v80, v91
	v_fmac_f32_e32 v3, v81, v92
	s_delay_alu instid0(VALU_DEP_1) | instskip(SKIP_1) | instid1(VALU_DEP_1)
	v_fmac_f32_e32 v3, v82, v93
	s_waitcnt vmcnt(0)
	v_fmac_f32_e32 v3, v83, v94
	s_waitcnt lgkmcnt(0)
	s_delay_alu instid0(VALU_DEP_1) | instskip(NEXT) | instid1(VALU_DEP_1)
	v_fmac_f32_e32 v3, v84, v76
	v_fmac_f32_e32 v3, v85, v77
	s_delay_alu instid0(VALU_DEP_1) | instskip(NEXT) | instid1(VALU_DEP_1)
	v_fmac_f32_e32 v3, v86, v78
	v_sub_f32_e32 v3, v75, v3
	scratch_store_b32 off, v3, off offset:92
	v_cmpx_lt_u32_e32 22, v0
	s_cbranch_execz .LBB98_173
; %bb.172:
	scratch_load_b32 v3, off, off offset:88
	scratch_store_b32 off, v2, off offset:88
	s_waitcnt vmcnt(0)
	ds_store_b32 v1, v3
.LBB98_173:
	s_or_b32 exec_lo, exec_lo, s0
	s_waitcnt lgkmcnt(0)
	s_waitcnt_vscnt null, 0x0
	s_barrier
	buffer_gl0_inv
	s_clause 0x3
	scratch_load_b128 v[75:78], off, off offset:88
	scratch_load_b128 v[79:82], off, off offset:104
	;; [unrolled: 1-line block ×3, first 2 shown]
	scratch_load_b32 v93, off, off offset:136
	ds_load_2addr_b32 v[3:4], v2 offset0:59 offset1:60
	ds_load_2addr_b32 v[87:88], v2 offset0:61 offset1:62
	;; [unrolled: 1-line block ×4, first 2 shown]
	s_mov_b32 s0, exec_lo
	s_waitcnt vmcnt(3) lgkmcnt(3)
	v_fma_f32 v94, v76, v3, 0
	s_delay_alu instid0(VALU_DEP_1)
	v_fmac_f32_e32 v94, v77, v4
	ds_load_2addr_b32 v[3:4], v2 offset0:67 offset1:68
	ds_load_2addr_b32 v[76:77], v2 offset0:69 offset1:70
	s_waitcnt lgkmcnt(4)
	v_fmac_f32_e32 v94, v78, v87
	s_waitcnt vmcnt(2)
	s_delay_alu instid0(VALU_DEP_1) | instskip(SKIP_1) | instid1(VALU_DEP_1)
	v_fmac_f32_e32 v94, v79, v88
	s_waitcnt lgkmcnt(3)
	v_fmac_f32_e32 v94, v80, v89
	s_delay_alu instid0(VALU_DEP_1) | instskip(SKIP_1) | instid1(VALU_DEP_1)
	v_fmac_f32_e32 v94, v81, v90
	s_waitcnt lgkmcnt(2)
	v_fmac_f32_e32 v94, v82, v91
	s_waitcnt vmcnt(1)
	s_delay_alu instid0(VALU_DEP_1) | instskip(SKIP_1) | instid1(VALU_DEP_1)
	v_fmac_f32_e32 v94, v83, v92
	s_waitcnt lgkmcnt(1)
	v_fmac_f32_e32 v94, v84, v3
	s_delay_alu instid0(VALU_DEP_1) | instskip(SKIP_1) | instid1(VALU_DEP_1)
	v_fmac_f32_e32 v94, v85, v4
	s_waitcnt lgkmcnt(0)
	v_fmac_f32_e32 v94, v86, v76
	s_waitcnt vmcnt(0)
	s_delay_alu instid0(VALU_DEP_1) | instskip(NEXT) | instid1(VALU_DEP_1)
	v_fmac_f32_e32 v94, v93, v77
	v_sub_f32_e32 v2, v75, v94
	scratch_store_b32 off, v2, off offset:88
	v_cmpx_lt_u32_e32 21, v0
	s_cbranch_execz .LBB98_175
; %bb.174:
	scratch_load_b32 v2, off, off offset:84
	v_mov_b32_e32 v3, 0
	scratch_store_b32 off, v3, off offset:84
	s_waitcnt vmcnt(0)
	ds_store_b32 v1, v2
.LBB98_175:
	s_or_b32 exec_lo, exec_lo, s0
	s_waitcnt lgkmcnt(0)
	s_waitcnt_vscnt null, 0x0
	s_barrier
	buffer_gl0_inv
	s_clause 0x3
	scratch_load_b128 v[75:78], off, off offset:84
	scratch_load_b128 v[79:82], off, off offset:100
	;; [unrolled: 1-line block ×3, first 2 shown]
	scratch_load_b64 v[3:4], off, off offset:132
	v_mov_b32_e32 v2, 0
	ds_load_2addr_b64 v[87:90], v2 offset0:29 offset1:30
	ds_load_2addr_b64 v[91:94], v2 offset0:31 offset1:32
	s_mov_b32 s0, exec_lo
	s_waitcnt vmcnt(3) lgkmcnt(1)
	v_fma_f32 v87, v76, v87, 0
	s_delay_alu instid0(VALU_DEP_1) | instskip(NEXT) | instid1(VALU_DEP_1)
	v_fmac_f32_e32 v87, v77, v88
	v_fmac_f32_e32 v87, v78, v89
	s_waitcnt vmcnt(2)
	s_delay_alu instid0(VALU_DEP_1)
	v_fmac_f32_e32 v87, v79, v90
	ds_load_2addr_b64 v[76:79], v2 offset0:33 offset1:34
	s_waitcnt lgkmcnt(1)
	v_fmac_f32_e32 v87, v80, v91
	ds_load_b32 v80, v2 offset:280
	v_fmac_f32_e32 v87, v81, v92
	s_delay_alu instid0(VALU_DEP_1) | instskip(SKIP_1) | instid1(VALU_DEP_1)
	v_fmac_f32_e32 v87, v82, v93
	s_waitcnt vmcnt(1)
	v_fmac_f32_e32 v87, v83, v94
	s_waitcnt lgkmcnt(1)
	s_delay_alu instid0(VALU_DEP_1) | instskip(NEXT) | instid1(VALU_DEP_1)
	v_fmac_f32_e32 v87, v84, v76
	v_fmac_f32_e32 v87, v85, v77
	s_delay_alu instid0(VALU_DEP_1) | instskip(SKIP_1) | instid1(VALU_DEP_1)
	v_fmac_f32_e32 v87, v86, v78
	s_waitcnt vmcnt(0)
	v_fmac_f32_e32 v87, v3, v79
	s_waitcnt lgkmcnt(0)
	s_delay_alu instid0(VALU_DEP_1) | instskip(NEXT) | instid1(VALU_DEP_1)
	v_fmac_f32_e32 v87, v4, v80
	v_sub_f32_e32 v3, v75, v87
	scratch_store_b32 off, v3, off offset:84
	v_cmpx_lt_u32_e32 20, v0
	s_cbranch_execz .LBB98_177
; %bb.176:
	scratch_load_b32 v3, off, off offset:80
	scratch_store_b32 off, v2, off offset:80
	s_waitcnt vmcnt(0)
	ds_store_b32 v1, v3
.LBB98_177:
	s_or_b32 exec_lo, exec_lo, s0
	s_waitcnt lgkmcnt(0)
	s_waitcnt_vscnt null, 0x0
	s_barrier
	buffer_gl0_inv
	s_clause 0x3
	scratch_load_b128 v[75:78], off, off offset:80
	scratch_load_b128 v[79:82], off, off offset:96
	scratch_load_b128 v[83:86], off, off offset:112
	scratch_load_b96 v[87:89], off, off offset:128
	ds_load_2addr_b32 v[3:4], v2 offset0:57 offset1:58
	ds_load_2addr_b32 v[90:91], v2 offset0:59 offset1:60
	;; [unrolled: 1-line block ×3, first 2 shown]
	s_mov_b32 s0, exec_lo
	s_waitcnt vmcnt(3) lgkmcnt(2)
	v_fma_f32 v94, v76, v3, 0
	s_delay_alu instid0(VALU_DEP_1)
	v_fmac_f32_e32 v94, v77, v4
	ds_load_2addr_b32 v[3:4], v2 offset0:63 offset1:64
	ds_load_2addr_b32 v[76:77], v2 offset0:65 offset1:66
	s_waitcnt lgkmcnt(3)
	v_fmac_f32_e32 v94, v78, v90
	s_waitcnt vmcnt(2)
	s_delay_alu instid0(VALU_DEP_1) | instskip(SKIP_3) | instid1(VALU_DEP_1)
	v_fmac_f32_e32 v94, v79, v91
	ds_load_2addr_b32 v[78:79], v2 offset0:67 offset1:68
	s_waitcnt lgkmcnt(3)
	v_fmac_f32_e32 v94, v80, v92
	v_fmac_f32_e32 v94, v81, v93
	s_waitcnt lgkmcnt(2)
	s_delay_alu instid0(VALU_DEP_1) | instskip(SKIP_4) | instid1(VALU_DEP_1)
	v_fmac_f32_e32 v94, v82, v3
	ds_load_2addr_b32 v[2:3], v2 offset0:69 offset1:70
	s_waitcnt vmcnt(1)
	v_fmac_f32_e32 v94, v83, v4
	s_waitcnt lgkmcnt(2)
	v_fmac_f32_e32 v94, v84, v76
	s_delay_alu instid0(VALU_DEP_1) | instskip(SKIP_1) | instid1(VALU_DEP_1)
	v_fmac_f32_e32 v94, v85, v77
	s_waitcnt lgkmcnt(1)
	v_fmac_f32_e32 v94, v86, v78
	s_waitcnt vmcnt(0)
	s_delay_alu instid0(VALU_DEP_1) | instskip(SKIP_1) | instid1(VALU_DEP_1)
	v_fmac_f32_e32 v94, v87, v79
	s_waitcnt lgkmcnt(0)
	v_fmac_f32_e32 v94, v88, v2
	s_delay_alu instid0(VALU_DEP_1) | instskip(NEXT) | instid1(VALU_DEP_1)
	v_fmac_f32_e32 v94, v89, v3
	v_sub_f32_e32 v2, v75, v94
	scratch_store_b32 off, v2, off offset:80
	v_cmpx_lt_u32_e32 19, v0
	s_cbranch_execz .LBB98_179
; %bb.178:
	scratch_load_b32 v2, off, off offset:76
	v_mov_b32_e32 v3, 0
	scratch_store_b32 off, v3, off offset:76
	s_waitcnt vmcnt(0)
	ds_store_b32 v1, v2
.LBB98_179:
	s_or_b32 exec_lo, exec_lo, s0
	s_waitcnt lgkmcnt(0)
	s_waitcnt_vscnt null, 0x0
	s_barrier
	buffer_gl0_inv
	s_clause 0x3
	scratch_load_b128 v[75:78], off, off offset:76
	scratch_load_b128 v[79:82], off, off offset:92
	scratch_load_b128 v[83:86], off, off offset:108
	scratch_load_b128 v[87:90], off, off offset:124
	v_mov_b32_e32 v2, 0
	ds_load_b128 v[91:94], v2 offset:224
	ds_load_b128 v[95:98], v2 offset:240
	s_mov_b32 s0, exec_lo
	s_waitcnt vmcnt(3) lgkmcnt(1)
	v_fma_f32 v3, v76, v91, 0
	s_delay_alu instid0(VALU_DEP_1) | instskip(NEXT) | instid1(VALU_DEP_1)
	v_fmac_f32_e32 v3, v77, v92
	v_fmac_f32_e32 v3, v78, v93
	s_waitcnt vmcnt(2)
	s_delay_alu instid0(VALU_DEP_1) | instskip(SKIP_3) | instid1(VALU_DEP_1)
	v_fmac_f32_e32 v3, v79, v94
	ds_load_b128 v[76:79], v2 offset:256
	s_waitcnt lgkmcnt(1)
	v_fmac_f32_e32 v3, v80, v95
	v_fmac_f32_e32 v3, v81, v96
	s_delay_alu instid0(VALU_DEP_1) | instskip(SKIP_4) | instid1(VALU_DEP_1)
	v_fmac_f32_e32 v3, v82, v97
	ds_load_b96 v[80:82], v2 offset:272
	s_waitcnt vmcnt(1)
	v_fmac_f32_e32 v3, v83, v98
	s_waitcnt lgkmcnt(1)
	v_fmac_f32_e32 v3, v84, v76
	s_delay_alu instid0(VALU_DEP_1) | instskip(NEXT) | instid1(VALU_DEP_1)
	v_fmac_f32_e32 v3, v85, v77
	v_fmac_f32_e32 v3, v86, v78
	s_waitcnt vmcnt(0)
	s_delay_alu instid0(VALU_DEP_1) | instskip(SKIP_1) | instid1(VALU_DEP_1)
	v_fmac_f32_e32 v3, v87, v79
	s_waitcnt lgkmcnt(0)
	v_fmac_f32_e32 v3, v88, v80
	s_delay_alu instid0(VALU_DEP_1) | instskip(NEXT) | instid1(VALU_DEP_1)
	v_fmac_f32_e32 v3, v89, v81
	v_fmac_f32_e32 v3, v90, v82
	s_delay_alu instid0(VALU_DEP_1)
	v_sub_f32_e32 v3, v75, v3
	scratch_store_b32 off, v3, off offset:76
	v_cmpx_lt_u32_e32 18, v0
	s_cbranch_execz .LBB98_181
; %bb.180:
	scratch_load_b32 v3, off, off offset:72
	scratch_store_b32 off, v2, off offset:72
	s_waitcnt vmcnt(0)
	ds_store_b32 v1, v3
.LBB98_181:
	s_or_b32 exec_lo, exec_lo, s0
	s_waitcnt lgkmcnt(0)
	s_waitcnt_vscnt null, 0x0
	s_barrier
	buffer_gl0_inv
	s_clause 0x4
	scratch_load_b128 v[75:78], off, off offset:72
	scratch_load_b128 v[79:82], off, off offset:88
	scratch_load_b128 v[83:86], off, off offset:104
	scratch_load_b128 v[87:90], off, off offset:120
	scratch_load_b32 v97, off, off offset:136
	ds_load_2addr_b32 v[3:4], v2 offset0:55 offset1:56
	ds_load_2addr_b32 v[91:92], v2 offset0:57 offset1:58
	;; [unrolled: 1-line block ×4, first 2 shown]
	s_mov_b32 s0, exec_lo
	s_waitcnt vmcnt(4) lgkmcnt(3)
	v_fma_f32 v98, v76, v3, 0
	s_delay_alu instid0(VALU_DEP_1)
	v_fmac_f32_e32 v98, v77, v4
	ds_load_2addr_b32 v[3:4], v2 offset0:63 offset1:64
	ds_load_2addr_b32 v[76:77], v2 offset0:65 offset1:66
	s_waitcnt lgkmcnt(4)
	v_fmac_f32_e32 v98, v78, v91
	s_waitcnt vmcnt(3)
	s_delay_alu instid0(VALU_DEP_1) | instskip(SKIP_1) | instid1(VALU_DEP_1)
	v_fmac_f32_e32 v98, v79, v92
	s_waitcnt lgkmcnt(3)
	v_fmac_f32_e32 v98, v80, v93
	s_delay_alu instid0(VALU_DEP_1)
	v_fmac_f32_e32 v98, v81, v94
	ds_load_2addr_b32 v[78:79], v2 offset0:67 offset1:68
	ds_load_2addr_b32 v[80:81], v2 offset0:69 offset1:70
	s_waitcnt lgkmcnt(4)
	v_fmac_f32_e32 v98, v82, v95
	s_waitcnt vmcnt(2)
	s_delay_alu instid0(VALU_DEP_1) | instskip(SKIP_1) | instid1(VALU_DEP_1)
	v_fmac_f32_e32 v98, v83, v96
	s_waitcnt lgkmcnt(3)
	v_fmac_f32_e32 v98, v84, v3
	s_delay_alu instid0(VALU_DEP_1) | instskip(SKIP_1) | instid1(VALU_DEP_1)
	v_fmac_f32_e32 v98, v85, v4
	s_waitcnt lgkmcnt(2)
	v_fmac_f32_e32 v98, v86, v76
	s_waitcnt vmcnt(1)
	s_delay_alu instid0(VALU_DEP_1) | instskip(SKIP_1) | instid1(VALU_DEP_1)
	v_fmac_f32_e32 v98, v87, v77
	s_waitcnt lgkmcnt(1)
	v_fmac_f32_e32 v98, v88, v78
	s_delay_alu instid0(VALU_DEP_1) | instskip(SKIP_1) | instid1(VALU_DEP_1)
	v_fmac_f32_e32 v98, v89, v79
	s_waitcnt lgkmcnt(0)
	v_fmac_f32_e32 v98, v90, v80
	s_waitcnt vmcnt(0)
	s_delay_alu instid0(VALU_DEP_1) | instskip(NEXT) | instid1(VALU_DEP_1)
	v_fmac_f32_e32 v98, v97, v81
	v_sub_f32_e32 v2, v75, v98
	scratch_store_b32 off, v2, off offset:72
	v_cmpx_lt_u32_e32 17, v0
	s_cbranch_execz .LBB98_183
; %bb.182:
	scratch_load_b32 v2, off, off offset:68
	v_mov_b32_e32 v3, 0
	scratch_store_b32 off, v3, off offset:68
	s_waitcnt vmcnt(0)
	ds_store_b32 v1, v2
.LBB98_183:
	s_or_b32 exec_lo, exec_lo, s0
	s_waitcnt lgkmcnt(0)
	s_waitcnt_vscnt null, 0x0
	s_barrier
	buffer_gl0_inv
	s_clause 0x4
	scratch_load_b128 v[75:78], off, off offset:68
	scratch_load_b128 v[79:82], off, off offset:84
	;; [unrolled: 1-line block ×4, first 2 shown]
	scratch_load_b64 v[3:4], off, off offset:132
	v_mov_b32_e32 v2, 0
	ds_load_2addr_b64 v[91:94], v2 offset0:27 offset1:28
	ds_load_2addr_b64 v[95:98], v2 offset0:29 offset1:30
	s_mov_b32 s0, exec_lo
	s_waitcnt vmcnt(4) lgkmcnt(1)
	v_fma_f32 v91, v76, v91, 0
	s_delay_alu instid0(VALU_DEP_1) | instskip(NEXT) | instid1(VALU_DEP_1)
	v_fmac_f32_e32 v91, v77, v92
	v_fmac_f32_e32 v91, v78, v93
	s_waitcnt vmcnt(3)
	s_delay_alu instid0(VALU_DEP_1) | instskip(SKIP_3) | instid1(VALU_DEP_1)
	v_fmac_f32_e32 v91, v79, v94
	ds_load_2addr_b64 v[76:79], v2 offset0:31 offset1:32
	s_waitcnt lgkmcnt(1)
	v_fmac_f32_e32 v91, v80, v95
	v_fmac_f32_e32 v91, v81, v96
	s_delay_alu instid0(VALU_DEP_1) | instskip(SKIP_1) | instid1(VALU_DEP_1)
	v_fmac_f32_e32 v91, v82, v97
	s_waitcnt vmcnt(2)
	v_fmac_f32_e32 v91, v83, v98
	ds_load_2addr_b64 v[80:83], v2 offset0:33 offset1:34
	s_waitcnt lgkmcnt(1)
	v_fmac_f32_e32 v91, v84, v76
	ds_load_b32 v76, v2 offset:280
	v_fmac_f32_e32 v91, v85, v77
	s_delay_alu instid0(VALU_DEP_1) | instskip(SKIP_1) | instid1(VALU_DEP_1)
	v_fmac_f32_e32 v91, v86, v78
	s_waitcnt vmcnt(1)
	v_fmac_f32_e32 v91, v87, v79
	s_waitcnt lgkmcnt(1)
	s_delay_alu instid0(VALU_DEP_1) | instskip(NEXT) | instid1(VALU_DEP_1)
	v_fmac_f32_e32 v91, v88, v80
	v_fmac_f32_e32 v91, v89, v81
	s_delay_alu instid0(VALU_DEP_1) | instskip(SKIP_1) | instid1(VALU_DEP_1)
	v_fmac_f32_e32 v91, v90, v82
	s_waitcnt vmcnt(0)
	v_fmac_f32_e32 v91, v3, v83
	s_waitcnt lgkmcnt(0)
	s_delay_alu instid0(VALU_DEP_1) | instskip(NEXT) | instid1(VALU_DEP_1)
	v_fmac_f32_e32 v91, v4, v76
	v_sub_f32_e32 v3, v75, v91
	scratch_store_b32 off, v3, off offset:68
	v_cmpx_lt_u32_e32 16, v0
	s_cbranch_execz .LBB98_185
; %bb.184:
	scratch_load_b32 v3, off, off offset:64
	scratch_store_b32 off, v2, off offset:64
	s_waitcnt vmcnt(0)
	ds_store_b32 v1, v3
.LBB98_185:
	s_or_b32 exec_lo, exec_lo, s0
	s_waitcnt lgkmcnt(0)
	s_waitcnt_vscnt null, 0x0
	s_barrier
	buffer_gl0_inv
	s_clause 0x4
	scratch_load_b128 v[75:78], off, off offset:64
	scratch_load_b128 v[79:82], off, off offset:80
	;; [unrolled: 1-line block ×4, first 2 shown]
	scratch_load_b96 v[91:93], off, off offset:128
	ds_load_2addr_b32 v[3:4], v2 offset0:53 offset1:54
	ds_load_2addr_b32 v[94:95], v2 offset0:55 offset1:56
	;; [unrolled: 1-line block ×4, first 2 shown]
	s_mov_b32 s0, exec_lo
	s_waitcnt vmcnt(4) lgkmcnt(3)
	v_fma_f32 v100, v76, v3, 0
	s_delay_alu instid0(VALU_DEP_1)
	v_fmac_f32_e32 v100, v77, v4
	ds_load_2addr_b32 v[3:4], v2 offset0:61 offset1:62
	ds_load_2addr_b32 v[76:77], v2 offset0:63 offset1:64
	s_waitcnt lgkmcnt(4)
	v_fmac_f32_e32 v100, v78, v94
	s_waitcnt vmcnt(3)
	s_delay_alu instid0(VALU_DEP_1) | instskip(SKIP_1) | instid1(VALU_DEP_1)
	v_fmac_f32_e32 v100, v79, v95
	s_waitcnt lgkmcnt(3)
	v_fmac_f32_e32 v100, v80, v96
	s_delay_alu instid0(VALU_DEP_1)
	v_fmac_f32_e32 v100, v81, v97
	ds_load_2addr_b32 v[78:79], v2 offset0:65 offset1:66
	ds_load_2addr_b32 v[80:81], v2 offset0:67 offset1:68
	s_waitcnt lgkmcnt(4)
	v_fmac_f32_e32 v100, v82, v98
	s_waitcnt vmcnt(2)
	s_delay_alu instid0(VALU_DEP_1) | instskip(SKIP_1) | instid1(VALU_DEP_1)
	v_fmac_f32_e32 v100, v83, v99
	s_waitcnt lgkmcnt(3)
	v_fmac_f32_e32 v100, v84, v3
	ds_load_2addr_b32 v[2:3], v2 offset0:69 offset1:70
	v_fmac_f32_e32 v100, v85, v4
	s_waitcnt lgkmcnt(3)
	s_delay_alu instid0(VALU_DEP_1) | instskip(SKIP_1) | instid1(VALU_DEP_1)
	v_fmac_f32_e32 v100, v86, v76
	s_waitcnt vmcnt(1)
	v_fmac_f32_e32 v100, v87, v77
	s_waitcnt lgkmcnt(2)
	s_delay_alu instid0(VALU_DEP_1) | instskip(NEXT) | instid1(VALU_DEP_1)
	v_fmac_f32_e32 v100, v88, v78
	v_fmac_f32_e32 v100, v89, v79
	s_waitcnt lgkmcnt(1)
	s_delay_alu instid0(VALU_DEP_1) | instskip(SKIP_1) | instid1(VALU_DEP_1)
	v_fmac_f32_e32 v100, v90, v80
	s_waitcnt vmcnt(0)
	v_fmac_f32_e32 v100, v91, v81
	s_waitcnt lgkmcnt(0)
	s_delay_alu instid0(VALU_DEP_1) | instskip(NEXT) | instid1(VALU_DEP_1)
	v_fmac_f32_e32 v100, v92, v2
	v_fmac_f32_e32 v100, v93, v3
	s_delay_alu instid0(VALU_DEP_1)
	v_sub_f32_e32 v2, v75, v100
	scratch_store_b32 off, v2, off offset:64
	v_cmpx_lt_u32_e32 15, v0
	s_cbranch_execz .LBB98_187
; %bb.186:
	scratch_load_b32 v2, off, off offset:60
	v_mov_b32_e32 v3, 0
	scratch_store_b32 off, v3, off offset:60
	s_waitcnt vmcnt(0)
	ds_store_b32 v1, v2
.LBB98_187:
	s_or_b32 exec_lo, exec_lo, s0
	s_waitcnt lgkmcnt(0)
	s_waitcnt_vscnt null, 0x0
	s_barrier
	buffer_gl0_inv
	s_clause 0x4
	scratch_load_b128 v[75:78], off, off offset:60
	scratch_load_b128 v[79:82], off, off offset:76
	;; [unrolled: 1-line block ×5, first 2 shown]
	v_mov_b32_e32 v2, 0
	ds_load_b128 v[95:98], v2 offset:208
	ds_load_b128 v[99:102], v2 offset:224
	s_mov_b32 s0, exec_lo
	s_waitcnt vmcnt(4) lgkmcnt(1)
	v_fma_f32 v3, v76, v95, 0
	s_delay_alu instid0(VALU_DEP_1) | instskip(NEXT) | instid1(VALU_DEP_1)
	v_fmac_f32_e32 v3, v77, v96
	v_fmac_f32_e32 v3, v78, v97
	s_waitcnt vmcnt(3)
	s_delay_alu instid0(VALU_DEP_1) | instskip(SKIP_3) | instid1(VALU_DEP_1)
	v_fmac_f32_e32 v3, v79, v98
	ds_load_b128 v[76:79], v2 offset:240
	s_waitcnt lgkmcnt(1)
	v_fmac_f32_e32 v3, v80, v99
	v_fmac_f32_e32 v3, v81, v100
	s_delay_alu instid0(VALU_DEP_1) | instskip(SKIP_1) | instid1(VALU_DEP_1)
	v_fmac_f32_e32 v3, v82, v101
	s_waitcnt vmcnt(2)
	v_fmac_f32_e32 v3, v83, v102
	ds_load_b128 v[80:83], v2 offset:256
	s_waitcnt lgkmcnt(1)
	v_fmac_f32_e32 v3, v84, v76
	s_delay_alu instid0(VALU_DEP_1) | instskip(NEXT) | instid1(VALU_DEP_1)
	v_fmac_f32_e32 v3, v85, v77
	v_fmac_f32_e32 v3, v86, v78
	ds_load_b96 v[76:78], v2 offset:272
	s_waitcnt vmcnt(1)
	v_fmac_f32_e32 v3, v87, v79
	s_waitcnt lgkmcnt(1)
	s_delay_alu instid0(VALU_DEP_1) | instskip(NEXT) | instid1(VALU_DEP_1)
	v_fmac_f32_e32 v3, v88, v80
	v_fmac_f32_e32 v3, v89, v81
	s_delay_alu instid0(VALU_DEP_1) | instskip(SKIP_1) | instid1(VALU_DEP_1)
	v_fmac_f32_e32 v3, v90, v82
	s_waitcnt vmcnt(0)
	v_fmac_f32_e32 v3, v91, v83
	s_waitcnt lgkmcnt(0)
	s_delay_alu instid0(VALU_DEP_1) | instskip(NEXT) | instid1(VALU_DEP_1)
	v_fmac_f32_e32 v3, v92, v76
	v_fmac_f32_e32 v3, v93, v77
	s_delay_alu instid0(VALU_DEP_1) | instskip(NEXT) | instid1(VALU_DEP_1)
	v_fmac_f32_e32 v3, v94, v78
	v_sub_f32_e32 v3, v75, v3
	scratch_store_b32 off, v3, off offset:60
	v_cmpx_lt_u32_e32 14, v0
	s_cbranch_execz .LBB98_189
; %bb.188:
	scratch_load_b32 v3, off, off offset:56
	scratch_store_b32 off, v2, off offset:56
	s_waitcnt vmcnt(0)
	ds_store_b32 v1, v3
.LBB98_189:
	s_or_b32 exec_lo, exec_lo, s0
	s_waitcnt lgkmcnt(0)
	s_waitcnt_vscnt null, 0x0
	s_barrier
	buffer_gl0_inv
	s_clause 0x5
	scratch_load_b128 v[75:78], off, off offset:56
	scratch_load_b128 v[79:82], off, off offset:72
	;; [unrolled: 1-line block ×5, first 2 shown]
	scratch_load_b32 v101, off, off offset:136
	ds_load_2addr_b32 v[3:4], v2 offset0:51 offset1:52
	ds_load_2addr_b32 v[95:96], v2 offset0:53 offset1:54
	;; [unrolled: 1-line block ×4, first 2 shown]
	s_mov_b32 s0, exec_lo
	s_waitcnt vmcnt(5) lgkmcnt(3)
	v_fma_f32 v102, v76, v3, 0
	s_delay_alu instid0(VALU_DEP_1)
	v_fmac_f32_e32 v102, v77, v4
	ds_load_2addr_b32 v[3:4], v2 offset0:59 offset1:60
	ds_load_2addr_b32 v[76:77], v2 offset0:61 offset1:62
	s_waitcnt lgkmcnt(4)
	v_fmac_f32_e32 v102, v78, v95
	s_waitcnt vmcnt(4)
	s_delay_alu instid0(VALU_DEP_1) | instskip(SKIP_1) | instid1(VALU_DEP_1)
	v_fmac_f32_e32 v102, v79, v96
	s_waitcnt lgkmcnt(3)
	v_fmac_f32_e32 v102, v80, v97
	s_delay_alu instid0(VALU_DEP_1)
	v_fmac_f32_e32 v102, v81, v98
	ds_load_2addr_b32 v[78:79], v2 offset0:63 offset1:64
	ds_load_2addr_b32 v[80:81], v2 offset0:65 offset1:66
	s_waitcnt lgkmcnt(4)
	v_fmac_f32_e32 v102, v82, v99
	s_waitcnt vmcnt(3)
	s_delay_alu instid0(VALU_DEP_1) | instskip(SKIP_1) | instid1(VALU_DEP_1)
	v_fmac_f32_e32 v102, v83, v100
	s_waitcnt lgkmcnt(3)
	v_fmac_f32_e32 v102, v84, v3
	s_delay_alu instid0(VALU_DEP_1) | instskip(SKIP_4) | instid1(VALU_DEP_1)
	v_fmac_f32_e32 v102, v85, v4
	ds_load_2addr_b32 v[3:4], v2 offset0:67 offset1:68
	s_waitcnt lgkmcnt(3)
	v_fmac_f32_e32 v102, v86, v76
	s_waitcnt vmcnt(2)
	v_fmac_f32_e32 v102, v87, v77
	ds_load_2addr_b32 v[76:77], v2 offset0:69 offset1:70
	s_waitcnt lgkmcnt(3)
	v_fmac_f32_e32 v102, v88, v78
	s_delay_alu instid0(VALU_DEP_1) | instskip(SKIP_1) | instid1(VALU_DEP_1)
	v_fmac_f32_e32 v102, v89, v79
	s_waitcnt lgkmcnt(2)
	v_fmac_f32_e32 v102, v90, v80
	s_waitcnt vmcnt(1)
	s_delay_alu instid0(VALU_DEP_1) | instskip(SKIP_1) | instid1(VALU_DEP_1)
	v_fmac_f32_e32 v102, v91, v81
	s_waitcnt lgkmcnt(1)
	v_fmac_f32_e32 v102, v92, v3
	s_delay_alu instid0(VALU_DEP_1) | instskip(SKIP_1) | instid1(VALU_DEP_1)
	v_fmac_f32_e32 v102, v93, v4
	s_waitcnt lgkmcnt(0)
	v_fmac_f32_e32 v102, v94, v76
	s_waitcnt vmcnt(0)
	s_delay_alu instid0(VALU_DEP_1) | instskip(NEXT) | instid1(VALU_DEP_1)
	v_fmac_f32_e32 v102, v101, v77
	v_sub_f32_e32 v2, v75, v102
	scratch_store_b32 off, v2, off offset:56
	v_cmpx_lt_u32_e32 13, v0
	s_cbranch_execz .LBB98_191
; %bb.190:
	scratch_load_b32 v2, off, off offset:52
	v_mov_b32_e32 v3, 0
	scratch_store_b32 off, v3, off offset:52
	s_waitcnt vmcnt(0)
	ds_store_b32 v1, v2
.LBB98_191:
	s_or_b32 exec_lo, exec_lo, s0
	s_waitcnt lgkmcnt(0)
	s_waitcnt_vscnt null, 0x0
	s_barrier
	buffer_gl0_inv
	s_clause 0x5
	scratch_load_b128 v[75:78], off, off offset:52
	scratch_load_b128 v[79:82], off, off offset:68
	;; [unrolled: 1-line block ×5, first 2 shown]
	scratch_load_b64 v[3:4], off, off offset:132
	v_mov_b32_e32 v2, 0
	ds_load_2addr_b64 v[95:98], v2 offset0:25 offset1:26
	ds_load_2addr_b64 v[99:102], v2 offset0:27 offset1:28
	s_mov_b32 s0, exec_lo
	s_waitcnt vmcnt(5) lgkmcnt(1)
	v_fma_f32 v95, v76, v95, 0
	s_delay_alu instid0(VALU_DEP_1) | instskip(NEXT) | instid1(VALU_DEP_1)
	v_fmac_f32_e32 v95, v77, v96
	v_fmac_f32_e32 v95, v78, v97
	s_waitcnt vmcnt(4)
	s_delay_alu instid0(VALU_DEP_1) | instskip(SKIP_3) | instid1(VALU_DEP_1)
	v_fmac_f32_e32 v95, v79, v98
	ds_load_2addr_b64 v[76:79], v2 offset0:29 offset1:30
	s_waitcnt lgkmcnt(1)
	v_fmac_f32_e32 v95, v80, v99
	v_fmac_f32_e32 v95, v81, v100
	s_delay_alu instid0(VALU_DEP_1) | instskip(SKIP_1) | instid1(VALU_DEP_1)
	v_fmac_f32_e32 v95, v82, v101
	s_waitcnt vmcnt(3)
	v_fmac_f32_e32 v95, v83, v102
	ds_load_2addr_b64 v[80:83], v2 offset0:31 offset1:32
	s_waitcnt lgkmcnt(1)
	v_fmac_f32_e32 v95, v84, v76
	s_delay_alu instid0(VALU_DEP_1) | instskip(NEXT) | instid1(VALU_DEP_1)
	v_fmac_f32_e32 v95, v85, v77
	v_fmac_f32_e32 v95, v86, v78
	s_waitcnt vmcnt(2)
	s_delay_alu instid0(VALU_DEP_1)
	v_fmac_f32_e32 v95, v87, v79
	ds_load_2addr_b64 v[76:79], v2 offset0:33 offset1:34
	s_waitcnt lgkmcnt(1)
	v_fmac_f32_e32 v95, v88, v80
	ds_load_b32 v80, v2 offset:280
	v_fmac_f32_e32 v95, v89, v81
	s_delay_alu instid0(VALU_DEP_1) | instskip(SKIP_1) | instid1(VALU_DEP_1)
	v_fmac_f32_e32 v95, v90, v82
	s_waitcnt vmcnt(1)
	v_fmac_f32_e32 v95, v91, v83
	s_waitcnt lgkmcnt(1)
	s_delay_alu instid0(VALU_DEP_1) | instskip(NEXT) | instid1(VALU_DEP_1)
	v_fmac_f32_e32 v95, v92, v76
	v_fmac_f32_e32 v95, v93, v77
	s_delay_alu instid0(VALU_DEP_1) | instskip(SKIP_1) | instid1(VALU_DEP_1)
	v_fmac_f32_e32 v95, v94, v78
	s_waitcnt vmcnt(0)
	v_fmac_f32_e32 v95, v3, v79
	s_waitcnt lgkmcnt(0)
	s_delay_alu instid0(VALU_DEP_1) | instskip(NEXT) | instid1(VALU_DEP_1)
	v_fmac_f32_e32 v95, v4, v80
	v_sub_f32_e32 v3, v75, v95
	scratch_store_b32 off, v3, off offset:52
	v_cmpx_lt_u32_e32 12, v0
	s_cbranch_execz .LBB98_193
; %bb.192:
	scratch_load_b32 v3, off, off offset:48
	scratch_store_b32 off, v2, off offset:48
	s_waitcnt vmcnt(0)
	ds_store_b32 v1, v3
.LBB98_193:
	s_or_b32 exec_lo, exec_lo, s0
	s_waitcnt lgkmcnt(0)
	s_waitcnt_vscnt null, 0x0
	s_barrier
	buffer_gl0_inv
	s_clause 0x5
	scratch_load_b128 v[75:78], off, off offset:48
	scratch_load_b128 v[79:82], off, off offset:64
	;; [unrolled: 1-line block ×5, first 2 shown]
	scratch_load_b96 v[95:97], off, off offset:128
	ds_load_2addr_b32 v[3:4], v2 offset0:49 offset1:50
	ds_load_2addr_b32 v[98:99], v2 offset0:51 offset1:52
	;; [unrolled: 1-line block ×4, first 2 shown]
	s_mov_b32 s0, exec_lo
	s_waitcnt vmcnt(5) lgkmcnt(3)
	v_fma_f32 v104, v76, v3, 0
	s_delay_alu instid0(VALU_DEP_1)
	v_fmac_f32_e32 v104, v77, v4
	ds_load_2addr_b32 v[3:4], v2 offset0:57 offset1:58
	ds_load_2addr_b32 v[76:77], v2 offset0:59 offset1:60
	s_waitcnt lgkmcnt(4)
	v_fmac_f32_e32 v104, v78, v98
	s_waitcnt vmcnt(4)
	s_delay_alu instid0(VALU_DEP_1) | instskip(SKIP_1) | instid1(VALU_DEP_1)
	v_fmac_f32_e32 v104, v79, v99
	s_waitcnt lgkmcnt(3)
	v_fmac_f32_e32 v104, v80, v100
	s_delay_alu instid0(VALU_DEP_1)
	v_fmac_f32_e32 v104, v81, v101
	ds_load_2addr_b32 v[78:79], v2 offset0:61 offset1:62
	ds_load_2addr_b32 v[80:81], v2 offset0:63 offset1:64
	s_waitcnt lgkmcnt(4)
	v_fmac_f32_e32 v104, v82, v102
	s_waitcnt vmcnt(3)
	s_delay_alu instid0(VALU_DEP_1) | instskip(SKIP_1) | instid1(VALU_DEP_1)
	v_fmac_f32_e32 v104, v83, v103
	s_waitcnt lgkmcnt(3)
	v_fmac_f32_e32 v104, v84, v3
	s_delay_alu instid0(VALU_DEP_1) | instskip(SKIP_4) | instid1(VALU_DEP_1)
	v_fmac_f32_e32 v104, v85, v4
	ds_load_2addr_b32 v[3:4], v2 offset0:65 offset1:66
	s_waitcnt lgkmcnt(3)
	v_fmac_f32_e32 v104, v86, v76
	s_waitcnt vmcnt(2)
	v_fmac_f32_e32 v104, v87, v77
	ds_load_2addr_b32 v[76:77], v2 offset0:67 offset1:68
	s_waitcnt lgkmcnt(3)
	v_fmac_f32_e32 v104, v88, v78
	s_delay_alu instid0(VALU_DEP_1) | instskip(SKIP_4) | instid1(VALU_DEP_1)
	v_fmac_f32_e32 v104, v89, v79
	ds_load_2addr_b32 v[78:79], v2 offset0:69 offset1:70
	s_waitcnt lgkmcnt(3)
	v_fmac_f32_e32 v104, v90, v80
	s_waitcnt vmcnt(1)
	v_fmac_f32_e32 v104, v91, v81
	s_waitcnt lgkmcnt(2)
	s_delay_alu instid0(VALU_DEP_1) | instskip(NEXT) | instid1(VALU_DEP_1)
	v_fmac_f32_e32 v104, v92, v3
	v_fmac_f32_e32 v104, v93, v4
	s_waitcnt lgkmcnt(1)
	s_delay_alu instid0(VALU_DEP_1) | instskip(SKIP_1) | instid1(VALU_DEP_1)
	v_fmac_f32_e32 v104, v94, v76
	s_waitcnt vmcnt(0)
	v_fmac_f32_e32 v104, v95, v77
	s_waitcnt lgkmcnt(0)
	s_delay_alu instid0(VALU_DEP_1) | instskip(NEXT) | instid1(VALU_DEP_1)
	v_fmac_f32_e32 v104, v96, v78
	v_fmac_f32_e32 v104, v97, v79
	s_delay_alu instid0(VALU_DEP_1)
	v_sub_f32_e32 v2, v75, v104
	scratch_store_b32 off, v2, off offset:48
	v_cmpx_lt_u32_e32 11, v0
	s_cbranch_execz .LBB98_195
; %bb.194:
	scratch_load_b32 v2, off, off offset:44
	v_mov_b32_e32 v3, 0
	scratch_store_b32 off, v3, off offset:44
	s_waitcnt vmcnt(0)
	ds_store_b32 v1, v2
.LBB98_195:
	s_or_b32 exec_lo, exec_lo, s0
	s_waitcnt lgkmcnt(0)
	s_waitcnt_vscnt null, 0x0
	s_barrier
	buffer_gl0_inv
	s_clause 0x5
	scratch_load_b128 v[75:78], off, off offset:44
	scratch_load_b128 v[79:82], off, off offset:60
	;; [unrolled: 1-line block ×6, first 2 shown]
	v_mov_b32_e32 v2, 0
	ds_load_b128 v[99:102], v2 offset:192
	ds_load_b128 v[103:106], v2 offset:208
	s_mov_b32 s0, exec_lo
	s_waitcnt vmcnt(5) lgkmcnt(1)
	v_fma_f32 v3, v76, v99, 0
	s_delay_alu instid0(VALU_DEP_1) | instskip(NEXT) | instid1(VALU_DEP_1)
	v_fmac_f32_e32 v3, v77, v100
	v_fmac_f32_e32 v3, v78, v101
	s_waitcnt vmcnt(4)
	s_delay_alu instid0(VALU_DEP_1) | instskip(SKIP_3) | instid1(VALU_DEP_1)
	v_fmac_f32_e32 v3, v79, v102
	ds_load_b128 v[76:79], v2 offset:224
	s_waitcnt lgkmcnt(1)
	v_fmac_f32_e32 v3, v80, v103
	v_fmac_f32_e32 v3, v81, v104
	s_delay_alu instid0(VALU_DEP_1) | instskip(SKIP_1) | instid1(VALU_DEP_1)
	v_fmac_f32_e32 v3, v82, v105
	s_waitcnt vmcnt(3)
	v_fmac_f32_e32 v3, v83, v106
	ds_load_b128 v[80:83], v2 offset:240
	s_waitcnt lgkmcnt(1)
	v_fmac_f32_e32 v3, v84, v76
	s_delay_alu instid0(VALU_DEP_1) | instskip(NEXT) | instid1(VALU_DEP_1)
	v_fmac_f32_e32 v3, v85, v77
	v_fmac_f32_e32 v3, v86, v78
	s_waitcnt vmcnt(2)
	s_delay_alu instid0(VALU_DEP_1) | instskip(SKIP_3) | instid1(VALU_DEP_1)
	v_fmac_f32_e32 v3, v87, v79
	ds_load_b128 v[76:79], v2 offset:256
	s_waitcnt lgkmcnt(1)
	v_fmac_f32_e32 v3, v88, v80
	v_fmac_f32_e32 v3, v89, v81
	s_delay_alu instid0(VALU_DEP_1) | instskip(SKIP_4) | instid1(VALU_DEP_1)
	v_fmac_f32_e32 v3, v90, v82
	ds_load_b96 v[80:82], v2 offset:272
	s_waitcnt vmcnt(1)
	v_fmac_f32_e32 v3, v91, v83
	s_waitcnt lgkmcnt(1)
	v_fmac_f32_e32 v3, v92, v76
	s_delay_alu instid0(VALU_DEP_1) | instskip(NEXT) | instid1(VALU_DEP_1)
	v_fmac_f32_e32 v3, v93, v77
	v_fmac_f32_e32 v3, v94, v78
	s_waitcnt vmcnt(0)
	s_delay_alu instid0(VALU_DEP_1) | instskip(SKIP_1) | instid1(VALU_DEP_1)
	v_fmac_f32_e32 v3, v95, v79
	s_waitcnt lgkmcnt(0)
	v_fmac_f32_e32 v3, v96, v80
	s_delay_alu instid0(VALU_DEP_1) | instskip(NEXT) | instid1(VALU_DEP_1)
	v_fmac_f32_e32 v3, v97, v81
	v_fmac_f32_e32 v3, v98, v82
	s_delay_alu instid0(VALU_DEP_1)
	v_sub_f32_e32 v3, v75, v3
	scratch_store_b32 off, v3, off offset:44
	v_cmpx_lt_u32_e32 10, v0
	s_cbranch_execz .LBB98_197
; %bb.196:
	scratch_load_b32 v3, off, off offset:40
	scratch_store_b32 off, v2, off offset:40
	s_waitcnt vmcnt(0)
	ds_store_b32 v1, v3
.LBB98_197:
	s_or_b32 exec_lo, exec_lo, s0
	s_waitcnt lgkmcnt(0)
	s_waitcnt_vscnt null, 0x0
	s_barrier
	buffer_gl0_inv
	s_clause 0x6
	scratch_load_b128 v[75:78], off, off offset:40
	scratch_load_b128 v[79:82], off, off offset:56
	;; [unrolled: 1-line block ×6, first 2 shown]
	scratch_load_b32 v105, off, off offset:136
	ds_load_2addr_b32 v[3:4], v2 offset0:47 offset1:48
	ds_load_2addr_b32 v[99:100], v2 offset0:49 offset1:50
	;; [unrolled: 1-line block ×4, first 2 shown]
	s_mov_b32 s0, exec_lo
	s_waitcnt vmcnt(6) lgkmcnt(3)
	v_fma_f32 v106, v76, v3, 0
	s_delay_alu instid0(VALU_DEP_1)
	v_fmac_f32_e32 v106, v77, v4
	ds_load_2addr_b32 v[3:4], v2 offset0:55 offset1:56
	ds_load_2addr_b32 v[76:77], v2 offset0:57 offset1:58
	s_waitcnt lgkmcnt(4)
	v_fmac_f32_e32 v106, v78, v99
	s_waitcnt vmcnt(5)
	s_delay_alu instid0(VALU_DEP_1) | instskip(SKIP_1) | instid1(VALU_DEP_1)
	v_fmac_f32_e32 v106, v79, v100
	s_waitcnt lgkmcnt(3)
	v_fmac_f32_e32 v106, v80, v101
	s_delay_alu instid0(VALU_DEP_1)
	v_fmac_f32_e32 v106, v81, v102
	ds_load_2addr_b32 v[78:79], v2 offset0:59 offset1:60
	ds_load_2addr_b32 v[80:81], v2 offset0:61 offset1:62
	s_waitcnt lgkmcnt(4)
	v_fmac_f32_e32 v106, v82, v103
	s_waitcnt vmcnt(4)
	s_delay_alu instid0(VALU_DEP_1) | instskip(SKIP_1) | instid1(VALU_DEP_1)
	v_fmac_f32_e32 v106, v83, v104
	s_waitcnt lgkmcnt(3)
	v_fmac_f32_e32 v106, v84, v3
	s_delay_alu instid0(VALU_DEP_1) | instskip(SKIP_4) | instid1(VALU_DEP_1)
	v_fmac_f32_e32 v106, v85, v4
	ds_load_2addr_b32 v[3:4], v2 offset0:63 offset1:64
	s_waitcnt lgkmcnt(3)
	v_fmac_f32_e32 v106, v86, v76
	s_waitcnt vmcnt(3)
	v_fmac_f32_e32 v106, v87, v77
	ds_load_2addr_b32 v[76:77], v2 offset0:65 offset1:66
	s_waitcnt lgkmcnt(3)
	v_fmac_f32_e32 v106, v88, v78
	s_delay_alu instid0(VALU_DEP_1) | instskip(SKIP_1) | instid1(VALU_DEP_1)
	v_fmac_f32_e32 v106, v89, v79
	s_waitcnt lgkmcnt(2)
	v_fmac_f32_e32 v106, v90, v80
	s_waitcnt vmcnt(2)
	s_delay_alu instid0(VALU_DEP_1) | instskip(SKIP_4) | instid1(VALU_DEP_1)
	v_fmac_f32_e32 v106, v91, v81
	ds_load_2addr_b32 v[78:79], v2 offset0:67 offset1:68
	ds_load_2addr_b32 v[80:81], v2 offset0:69 offset1:70
	s_waitcnt lgkmcnt(3)
	v_fmac_f32_e32 v106, v92, v3
	v_fmac_f32_e32 v106, v93, v4
	s_waitcnt lgkmcnt(2)
	s_delay_alu instid0(VALU_DEP_1) | instskip(SKIP_1) | instid1(VALU_DEP_1)
	v_fmac_f32_e32 v106, v94, v76
	s_waitcnt vmcnt(1)
	v_fmac_f32_e32 v106, v95, v77
	s_waitcnt lgkmcnt(1)
	s_delay_alu instid0(VALU_DEP_1) | instskip(NEXT) | instid1(VALU_DEP_1)
	v_fmac_f32_e32 v106, v96, v78
	v_fmac_f32_e32 v106, v97, v79
	s_waitcnt lgkmcnt(0)
	s_delay_alu instid0(VALU_DEP_1) | instskip(SKIP_1) | instid1(VALU_DEP_1)
	v_fmac_f32_e32 v106, v98, v80
	s_waitcnt vmcnt(0)
	v_fmac_f32_e32 v106, v105, v81
	s_delay_alu instid0(VALU_DEP_1)
	v_sub_f32_e32 v2, v75, v106
	scratch_store_b32 off, v2, off offset:40
	v_cmpx_lt_u32_e32 9, v0
	s_cbranch_execz .LBB98_199
; %bb.198:
	scratch_load_b32 v2, off, off offset:36
	v_mov_b32_e32 v3, 0
	scratch_store_b32 off, v3, off offset:36
	s_waitcnt vmcnt(0)
	ds_store_b32 v1, v2
.LBB98_199:
	s_or_b32 exec_lo, exec_lo, s0
	s_waitcnt lgkmcnt(0)
	s_waitcnt_vscnt null, 0x0
	s_barrier
	buffer_gl0_inv
	s_clause 0x6
	scratch_load_b128 v[75:78], off, off offset:36
	scratch_load_b128 v[79:82], off, off offset:52
	;; [unrolled: 1-line block ×6, first 2 shown]
	scratch_load_b64 v[3:4], off, off offset:132
	v_mov_b32_e32 v2, 0
	ds_load_2addr_b64 v[99:102], v2 offset0:23 offset1:24
	ds_load_2addr_b64 v[103:106], v2 offset0:25 offset1:26
	s_mov_b32 s0, exec_lo
	s_waitcnt vmcnt(6) lgkmcnt(1)
	v_fma_f32 v99, v76, v99, 0
	s_delay_alu instid0(VALU_DEP_1) | instskip(NEXT) | instid1(VALU_DEP_1)
	v_fmac_f32_e32 v99, v77, v100
	v_fmac_f32_e32 v99, v78, v101
	s_waitcnt vmcnt(5)
	s_delay_alu instid0(VALU_DEP_1) | instskip(SKIP_3) | instid1(VALU_DEP_1)
	v_fmac_f32_e32 v99, v79, v102
	ds_load_2addr_b64 v[76:79], v2 offset0:27 offset1:28
	s_waitcnt lgkmcnt(1)
	v_fmac_f32_e32 v99, v80, v103
	v_fmac_f32_e32 v99, v81, v104
	s_delay_alu instid0(VALU_DEP_1) | instskip(SKIP_1) | instid1(VALU_DEP_1)
	v_fmac_f32_e32 v99, v82, v105
	s_waitcnt vmcnt(4)
	v_fmac_f32_e32 v99, v83, v106
	ds_load_2addr_b64 v[80:83], v2 offset0:29 offset1:30
	s_waitcnt lgkmcnt(1)
	v_fmac_f32_e32 v99, v84, v76
	s_delay_alu instid0(VALU_DEP_1) | instskip(NEXT) | instid1(VALU_DEP_1)
	v_fmac_f32_e32 v99, v85, v77
	v_fmac_f32_e32 v99, v86, v78
	s_waitcnt vmcnt(3)
	s_delay_alu instid0(VALU_DEP_1) | instskip(SKIP_3) | instid1(VALU_DEP_1)
	v_fmac_f32_e32 v99, v87, v79
	ds_load_2addr_b64 v[76:79], v2 offset0:31 offset1:32
	s_waitcnt lgkmcnt(1)
	v_fmac_f32_e32 v99, v88, v80
	v_fmac_f32_e32 v99, v89, v81
	s_delay_alu instid0(VALU_DEP_1) | instskip(SKIP_1) | instid1(VALU_DEP_1)
	v_fmac_f32_e32 v99, v90, v82
	s_waitcnt vmcnt(2)
	v_fmac_f32_e32 v99, v91, v83
	ds_load_2addr_b64 v[80:83], v2 offset0:33 offset1:34
	s_waitcnt lgkmcnt(1)
	v_fmac_f32_e32 v99, v92, v76
	ds_load_b32 v76, v2 offset:280
	v_fmac_f32_e32 v99, v93, v77
	s_delay_alu instid0(VALU_DEP_1) | instskip(SKIP_1) | instid1(VALU_DEP_1)
	v_fmac_f32_e32 v99, v94, v78
	s_waitcnt vmcnt(1)
	v_fmac_f32_e32 v99, v95, v79
	s_waitcnt lgkmcnt(1)
	s_delay_alu instid0(VALU_DEP_1) | instskip(NEXT) | instid1(VALU_DEP_1)
	v_fmac_f32_e32 v99, v96, v80
	v_fmac_f32_e32 v99, v97, v81
	s_delay_alu instid0(VALU_DEP_1) | instskip(SKIP_1) | instid1(VALU_DEP_1)
	v_fmac_f32_e32 v99, v98, v82
	s_waitcnt vmcnt(0)
	v_fmac_f32_e32 v99, v3, v83
	s_waitcnt lgkmcnt(0)
	s_delay_alu instid0(VALU_DEP_1) | instskip(NEXT) | instid1(VALU_DEP_1)
	v_fmac_f32_e32 v99, v4, v76
	v_sub_f32_e32 v3, v75, v99
	scratch_store_b32 off, v3, off offset:36
	v_cmpx_lt_u32_e32 8, v0
	s_cbranch_execz .LBB98_201
; %bb.200:
	scratch_load_b32 v3, off, off offset:32
	scratch_store_b32 off, v2, off offset:32
	s_waitcnt vmcnt(0)
	ds_store_b32 v1, v3
.LBB98_201:
	s_or_b32 exec_lo, exec_lo, s0
	s_waitcnt lgkmcnt(0)
	s_waitcnt_vscnt null, 0x0
	s_barrier
	buffer_gl0_inv
	s_clause 0x6
	scratch_load_b128 v[75:78], off, off offset:32
	scratch_load_b128 v[79:82], off, off offset:48
	;; [unrolled: 1-line block ×6, first 2 shown]
	scratch_load_b96 v[99:101], off, off offset:128
	ds_load_2addr_b32 v[3:4], v2 offset0:45 offset1:46
	ds_load_2addr_b32 v[102:103], v2 offset0:47 offset1:48
	;; [unrolled: 1-line block ×4, first 2 shown]
	s_mov_b32 s0, exec_lo
	s_waitcnt vmcnt(6) lgkmcnt(3)
	v_fma_f32 v108, v76, v3, 0
	s_delay_alu instid0(VALU_DEP_1)
	v_fmac_f32_e32 v108, v77, v4
	ds_load_2addr_b32 v[3:4], v2 offset0:53 offset1:54
	ds_load_2addr_b32 v[76:77], v2 offset0:55 offset1:56
	s_waitcnt lgkmcnt(4)
	v_fmac_f32_e32 v108, v78, v102
	s_waitcnt vmcnt(5)
	s_delay_alu instid0(VALU_DEP_1) | instskip(SKIP_1) | instid1(VALU_DEP_1)
	v_fmac_f32_e32 v108, v79, v103
	s_waitcnt lgkmcnt(3)
	v_fmac_f32_e32 v108, v80, v104
	s_delay_alu instid0(VALU_DEP_1)
	v_fmac_f32_e32 v108, v81, v105
	ds_load_2addr_b32 v[78:79], v2 offset0:57 offset1:58
	ds_load_2addr_b32 v[80:81], v2 offset0:59 offset1:60
	s_waitcnt lgkmcnt(4)
	v_fmac_f32_e32 v108, v82, v106
	s_waitcnt vmcnt(4)
	s_delay_alu instid0(VALU_DEP_1) | instskip(SKIP_1) | instid1(VALU_DEP_1)
	v_fmac_f32_e32 v108, v83, v107
	s_waitcnt lgkmcnt(3)
	v_fmac_f32_e32 v108, v84, v3
	s_delay_alu instid0(VALU_DEP_1) | instskip(SKIP_4) | instid1(VALU_DEP_1)
	v_fmac_f32_e32 v108, v85, v4
	ds_load_2addr_b32 v[3:4], v2 offset0:61 offset1:62
	s_waitcnt lgkmcnt(3)
	v_fmac_f32_e32 v108, v86, v76
	s_waitcnt vmcnt(3)
	v_fmac_f32_e32 v108, v87, v77
	ds_load_2addr_b32 v[76:77], v2 offset0:63 offset1:64
	s_waitcnt lgkmcnt(3)
	v_fmac_f32_e32 v108, v88, v78
	s_delay_alu instid0(VALU_DEP_1) | instskip(SKIP_1) | instid1(VALU_DEP_1)
	v_fmac_f32_e32 v108, v89, v79
	s_waitcnt lgkmcnt(2)
	v_fmac_f32_e32 v108, v90, v80
	s_waitcnt vmcnt(2)
	s_delay_alu instid0(VALU_DEP_1)
	v_fmac_f32_e32 v108, v91, v81
	ds_load_2addr_b32 v[78:79], v2 offset0:65 offset1:66
	ds_load_2addr_b32 v[80:81], v2 offset0:67 offset1:68
	s_waitcnt lgkmcnt(3)
	v_fmac_f32_e32 v108, v92, v3
	ds_load_2addr_b32 v[2:3], v2 offset0:69 offset1:70
	v_fmac_f32_e32 v108, v93, v4
	s_waitcnt lgkmcnt(3)
	s_delay_alu instid0(VALU_DEP_1) | instskip(SKIP_1) | instid1(VALU_DEP_1)
	v_fmac_f32_e32 v108, v94, v76
	s_waitcnt vmcnt(1)
	v_fmac_f32_e32 v108, v95, v77
	s_waitcnt lgkmcnt(2)
	s_delay_alu instid0(VALU_DEP_1) | instskip(NEXT) | instid1(VALU_DEP_1)
	v_fmac_f32_e32 v108, v96, v78
	v_fmac_f32_e32 v108, v97, v79
	s_waitcnt lgkmcnt(1)
	s_delay_alu instid0(VALU_DEP_1) | instskip(SKIP_1) | instid1(VALU_DEP_1)
	v_fmac_f32_e32 v108, v98, v80
	s_waitcnt vmcnt(0)
	v_fmac_f32_e32 v108, v99, v81
	s_waitcnt lgkmcnt(0)
	s_delay_alu instid0(VALU_DEP_1) | instskip(NEXT) | instid1(VALU_DEP_1)
	v_fmac_f32_e32 v108, v100, v2
	v_fmac_f32_e32 v108, v101, v3
	s_delay_alu instid0(VALU_DEP_1)
	v_sub_f32_e32 v2, v75, v108
	scratch_store_b32 off, v2, off offset:32
	v_cmpx_lt_u32_e32 7, v0
	s_cbranch_execz .LBB98_203
; %bb.202:
	scratch_load_b32 v2, off, off offset:28
	v_mov_b32_e32 v3, 0
	scratch_store_b32 off, v3, off offset:28
	s_waitcnt vmcnt(0)
	ds_store_b32 v1, v2
.LBB98_203:
	s_or_b32 exec_lo, exec_lo, s0
	s_waitcnt lgkmcnt(0)
	s_waitcnt_vscnt null, 0x0
	s_barrier
	buffer_gl0_inv
	s_clause 0x6
	scratch_load_b128 v[75:78], off, off offset:28
	scratch_load_b128 v[79:82], off, off offset:44
	;; [unrolled: 1-line block ×7, first 2 shown]
	v_mov_b32_e32 v2, 0
	ds_load_b128 v[103:106], v2 offset:176
	ds_load_b128 v[107:110], v2 offset:192
	s_mov_b32 s0, exec_lo
	s_waitcnt vmcnt(6) lgkmcnt(1)
	v_fma_f32 v3, v76, v103, 0
	s_delay_alu instid0(VALU_DEP_1) | instskip(NEXT) | instid1(VALU_DEP_1)
	v_fmac_f32_e32 v3, v77, v104
	v_fmac_f32_e32 v3, v78, v105
	s_waitcnt vmcnt(5)
	s_delay_alu instid0(VALU_DEP_1) | instskip(SKIP_3) | instid1(VALU_DEP_1)
	v_fmac_f32_e32 v3, v79, v106
	ds_load_b128 v[76:79], v2 offset:208
	s_waitcnt lgkmcnt(1)
	v_fmac_f32_e32 v3, v80, v107
	v_fmac_f32_e32 v3, v81, v108
	s_delay_alu instid0(VALU_DEP_1) | instskip(SKIP_1) | instid1(VALU_DEP_1)
	v_fmac_f32_e32 v3, v82, v109
	s_waitcnt vmcnt(4)
	v_fmac_f32_e32 v3, v83, v110
	ds_load_b128 v[80:83], v2 offset:224
	s_waitcnt lgkmcnt(1)
	v_fmac_f32_e32 v3, v84, v76
	s_delay_alu instid0(VALU_DEP_1) | instskip(NEXT) | instid1(VALU_DEP_1)
	v_fmac_f32_e32 v3, v85, v77
	v_fmac_f32_e32 v3, v86, v78
	s_waitcnt vmcnt(3)
	s_delay_alu instid0(VALU_DEP_1) | instskip(SKIP_3) | instid1(VALU_DEP_1)
	v_fmac_f32_e32 v3, v87, v79
	ds_load_b128 v[76:79], v2 offset:240
	s_waitcnt lgkmcnt(1)
	v_fmac_f32_e32 v3, v88, v80
	v_fmac_f32_e32 v3, v89, v81
	s_delay_alu instid0(VALU_DEP_1) | instskip(SKIP_1) | instid1(VALU_DEP_1)
	v_fmac_f32_e32 v3, v90, v82
	s_waitcnt vmcnt(2)
	v_fmac_f32_e32 v3, v91, v83
	ds_load_b128 v[80:83], v2 offset:256
	s_waitcnt lgkmcnt(1)
	v_fmac_f32_e32 v3, v92, v76
	s_delay_alu instid0(VALU_DEP_1) | instskip(NEXT) | instid1(VALU_DEP_1)
	v_fmac_f32_e32 v3, v93, v77
	v_fmac_f32_e32 v3, v94, v78
	ds_load_b96 v[76:78], v2 offset:272
	s_waitcnt vmcnt(1)
	v_fmac_f32_e32 v3, v95, v79
	s_waitcnt lgkmcnt(1)
	s_delay_alu instid0(VALU_DEP_1) | instskip(NEXT) | instid1(VALU_DEP_1)
	v_fmac_f32_e32 v3, v96, v80
	v_fmac_f32_e32 v3, v97, v81
	s_delay_alu instid0(VALU_DEP_1) | instskip(SKIP_1) | instid1(VALU_DEP_1)
	v_fmac_f32_e32 v3, v98, v82
	s_waitcnt vmcnt(0)
	v_fmac_f32_e32 v3, v99, v83
	s_waitcnt lgkmcnt(0)
	s_delay_alu instid0(VALU_DEP_1) | instskip(NEXT) | instid1(VALU_DEP_1)
	v_fmac_f32_e32 v3, v100, v76
	v_fmac_f32_e32 v3, v101, v77
	s_delay_alu instid0(VALU_DEP_1) | instskip(NEXT) | instid1(VALU_DEP_1)
	v_fmac_f32_e32 v3, v102, v78
	v_sub_f32_e32 v3, v75, v3
	scratch_store_b32 off, v3, off offset:28
	v_cmpx_lt_u32_e32 6, v0
	s_cbranch_execz .LBB98_205
; %bb.204:
	scratch_load_b32 v3, off, off offset:24
	scratch_store_b32 off, v2, off offset:24
	s_waitcnt vmcnt(0)
	ds_store_b32 v1, v3
.LBB98_205:
	s_or_b32 exec_lo, exec_lo, s0
	s_waitcnt lgkmcnt(0)
	s_waitcnt_vscnt null, 0x0
	s_barrier
	buffer_gl0_inv
	s_clause 0x7
	scratch_load_b128 v[75:78], off, off offset:24
	scratch_load_b128 v[79:82], off, off offset:40
	;; [unrolled: 1-line block ×7, first 2 shown]
	scratch_load_b32 v109, off, off offset:136
	ds_load_2addr_b32 v[3:4], v2 offset0:43 offset1:44
	ds_load_2addr_b32 v[103:104], v2 offset0:45 offset1:46
	ds_load_2addr_b32 v[105:106], v2 offset0:47 offset1:48
	ds_load_2addr_b32 v[107:108], v2 offset0:49 offset1:50
	s_mov_b32 s0, exec_lo
	s_waitcnt vmcnt(7) lgkmcnt(3)
	v_fma_f32 v110, v76, v3, 0
	s_delay_alu instid0(VALU_DEP_1)
	v_fmac_f32_e32 v110, v77, v4
	ds_load_2addr_b32 v[3:4], v2 offset0:51 offset1:52
	ds_load_2addr_b32 v[76:77], v2 offset0:53 offset1:54
	s_waitcnt lgkmcnt(4)
	v_fmac_f32_e32 v110, v78, v103
	s_waitcnt vmcnt(6)
	s_delay_alu instid0(VALU_DEP_1) | instskip(SKIP_1) | instid1(VALU_DEP_1)
	v_fmac_f32_e32 v110, v79, v104
	s_waitcnt lgkmcnt(3)
	v_fmac_f32_e32 v110, v80, v105
	s_delay_alu instid0(VALU_DEP_1)
	v_fmac_f32_e32 v110, v81, v106
	ds_load_2addr_b32 v[78:79], v2 offset0:55 offset1:56
	ds_load_2addr_b32 v[80:81], v2 offset0:57 offset1:58
	s_waitcnt lgkmcnt(4)
	v_fmac_f32_e32 v110, v82, v107
	s_waitcnt vmcnt(5)
	s_delay_alu instid0(VALU_DEP_1) | instskip(SKIP_1) | instid1(VALU_DEP_1)
	v_fmac_f32_e32 v110, v83, v108
	s_waitcnt lgkmcnt(3)
	v_fmac_f32_e32 v110, v84, v3
	s_delay_alu instid0(VALU_DEP_1) | instskip(SKIP_4) | instid1(VALU_DEP_1)
	v_fmac_f32_e32 v110, v85, v4
	ds_load_2addr_b32 v[3:4], v2 offset0:59 offset1:60
	s_waitcnt lgkmcnt(3)
	v_fmac_f32_e32 v110, v86, v76
	s_waitcnt vmcnt(4)
	v_fmac_f32_e32 v110, v87, v77
	ds_load_2addr_b32 v[76:77], v2 offset0:61 offset1:62
	s_waitcnt lgkmcnt(3)
	v_fmac_f32_e32 v110, v88, v78
	s_delay_alu instid0(VALU_DEP_1) | instskip(SKIP_1) | instid1(VALU_DEP_1)
	v_fmac_f32_e32 v110, v89, v79
	s_waitcnt lgkmcnt(2)
	v_fmac_f32_e32 v110, v90, v80
	s_waitcnt vmcnt(3)
	s_delay_alu instid0(VALU_DEP_1) | instskip(SKIP_4) | instid1(VALU_DEP_1)
	v_fmac_f32_e32 v110, v91, v81
	ds_load_2addr_b32 v[78:79], v2 offset0:63 offset1:64
	ds_load_2addr_b32 v[80:81], v2 offset0:65 offset1:66
	s_waitcnt lgkmcnt(3)
	v_fmac_f32_e32 v110, v92, v3
	v_fmac_f32_e32 v110, v93, v4
	ds_load_2addr_b32 v[3:4], v2 offset0:67 offset1:68
	s_waitcnt lgkmcnt(3)
	v_fmac_f32_e32 v110, v94, v76
	s_waitcnt vmcnt(2)
	s_delay_alu instid0(VALU_DEP_1) | instskip(SKIP_3) | instid1(VALU_DEP_1)
	v_fmac_f32_e32 v110, v95, v77
	ds_load_2addr_b32 v[76:77], v2 offset0:69 offset1:70
	s_waitcnt lgkmcnt(3)
	v_fmac_f32_e32 v110, v96, v78
	v_fmac_f32_e32 v110, v97, v79
	s_waitcnt lgkmcnt(2)
	s_delay_alu instid0(VALU_DEP_1) | instskip(SKIP_1) | instid1(VALU_DEP_1)
	v_fmac_f32_e32 v110, v98, v80
	s_waitcnt vmcnt(1)
	v_fmac_f32_e32 v110, v99, v81
	s_waitcnt lgkmcnt(1)
	s_delay_alu instid0(VALU_DEP_1) | instskip(NEXT) | instid1(VALU_DEP_1)
	v_fmac_f32_e32 v110, v100, v3
	v_fmac_f32_e32 v110, v101, v4
	s_waitcnt lgkmcnt(0)
	s_delay_alu instid0(VALU_DEP_1) | instskip(SKIP_1) | instid1(VALU_DEP_1)
	v_fmac_f32_e32 v110, v102, v76
	s_waitcnt vmcnt(0)
	v_fmac_f32_e32 v110, v109, v77
	s_delay_alu instid0(VALU_DEP_1)
	v_sub_f32_e32 v2, v75, v110
	scratch_store_b32 off, v2, off offset:24
	v_cmpx_lt_u32_e32 5, v0
	s_cbranch_execz .LBB98_207
; %bb.206:
	scratch_load_b32 v2, off, off offset:20
	v_mov_b32_e32 v3, 0
	scratch_store_b32 off, v3, off offset:20
	s_waitcnt vmcnt(0)
	ds_store_b32 v1, v2
.LBB98_207:
	s_or_b32 exec_lo, exec_lo, s0
	s_waitcnt lgkmcnt(0)
	s_waitcnt_vscnt null, 0x0
	s_barrier
	buffer_gl0_inv
	s_clause 0x7
	scratch_load_b128 v[75:78], off, off offset:20
	scratch_load_b128 v[79:82], off, off offset:36
	;; [unrolled: 1-line block ×7, first 2 shown]
	scratch_load_b64 v[3:4], off, off offset:132
	v_mov_b32_e32 v2, 0
	ds_load_2addr_b64 v[103:106], v2 offset0:21 offset1:22
	ds_load_2addr_b64 v[107:110], v2 offset0:23 offset1:24
	s_mov_b32 s0, exec_lo
	s_waitcnt vmcnt(7) lgkmcnt(1)
	v_fma_f32 v103, v76, v103, 0
	s_delay_alu instid0(VALU_DEP_1) | instskip(NEXT) | instid1(VALU_DEP_1)
	v_fmac_f32_e32 v103, v77, v104
	v_fmac_f32_e32 v103, v78, v105
	s_waitcnt vmcnt(6)
	s_delay_alu instid0(VALU_DEP_1) | instskip(SKIP_3) | instid1(VALU_DEP_1)
	v_fmac_f32_e32 v103, v79, v106
	ds_load_2addr_b64 v[76:79], v2 offset0:25 offset1:26
	s_waitcnt lgkmcnt(1)
	v_fmac_f32_e32 v103, v80, v107
	v_fmac_f32_e32 v103, v81, v108
	s_delay_alu instid0(VALU_DEP_1) | instskip(SKIP_1) | instid1(VALU_DEP_1)
	v_fmac_f32_e32 v103, v82, v109
	s_waitcnt vmcnt(5)
	v_fmac_f32_e32 v103, v83, v110
	ds_load_2addr_b64 v[80:83], v2 offset0:27 offset1:28
	s_waitcnt lgkmcnt(1)
	v_fmac_f32_e32 v103, v84, v76
	s_delay_alu instid0(VALU_DEP_1) | instskip(NEXT) | instid1(VALU_DEP_1)
	v_fmac_f32_e32 v103, v85, v77
	v_fmac_f32_e32 v103, v86, v78
	s_waitcnt vmcnt(4)
	s_delay_alu instid0(VALU_DEP_1) | instskip(SKIP_3) | instid1(VALU_DEP_1)
	v_fmac_f32_e32 v103, v87, v79
	ds_load_2addr_b64 v[76:79], v2 offset0:29 offset1:30
	s_waitcnt lgkmcnt(1)
	v_fmac_f32_e32 v103, v88, v80
	v_fmac_f32_e32 v103, v89, v81
	s_delay_alu instid0(VALU_DEP_1) | instskip(SKIP_1) | instid1(VALU_DEP_1)
	v_fmac_f32_e32 v103, v90, v82
	s_waitcnt vmcnt(3)
	v_fmac_f32_e32 v103, v91, v83
	ds_load_2addr_b64 v[80:83], v2 offset0:31 offset1:32
	s_waitcnt lgkmcnt(1)
	v_fmac_f32_e32 v103, v92, v76
	s_delay_alu instid0(VALU_DEP_1) | instskip(NEXT) | instid1(VALU_DEP_1)
	v_fmac_f32_e32 v103, v93, v77
	v_fmac_f32_e32 v103, v94, v78
	s_waitcnt vmcnt(2)
	s_delay_alu instid0(VALU_DEP_1)
	v_fmac_f32_e32 v103, v95, v79
	ds_load_2addr_b64 v[76:79], v2 offset0:33 offset1:34
	s_waitcnt lgkmcnt(1)
	v_fmac_f32_e32 v103, v96, v80
	ds_load_b32 v80, v2 offset:280
	v_fmac_f32_e32 v103, v97, v81
	s_delay_alu instid0(VALU_DEP_1) | instskip(SKIP_1) | instid1(VALU_DEP_1)
	v_fmac_f32_e32 v103, v98, v82
	s_waitcnt vmcnt(1)
	v_fmac_f32_e32 v103, v99, v83
	s_waitcnt lgkmcnt(1)
	s_delay_alu instid0(VALU_DEP_1) | instskip(NEXT) | instid1(VALU_DEP_1)
	v_fmac_f32_e32 v103, v100, v76
	v_fmac_f32_e32 v103, v101, v77
	s_delay_alu instid0(VALU_DEP_1) | instskip(SKIP_1) | instid1(VALU_DEP_1)
	v_fmac_f32_e32 v103, v102, v78
	s_waitcnt vmcnt(0)
	v_fmac_f32_e32 v103, v3, v79
	s_waitcnt lgkmcnt(0)
	s_delay_alu instid0(VALU_DEP_1) | instskip(NEXT) | instid1(VALU_DEP_1)
	v_fmac_f32_e32 v103, v4, v80
	v_sub_f32_e32 v3, v75, v103
	scratch_store_b32 off, v3, off offset:20
	v_cmpx_lt_u32_e32 4, v0
	s_cbranch_execz .LBB98_209
; %bb.208:
	scratch_load_b32 v3, off, off offset:16
	scratch_store_b32 off, v2, off offset:16
	s_waitcnt vmcnt(0)
	ds_store_b32 v1, v3
.LBB98_209:
	s_or_b32 exec_lo, exec_lo, s0
	s_waitcnt lgkmcnt(0)
	s_waitcnt_vscnt null, 0x0
	s_barrier
	buffer_gl0_inv
	s_clause 0x7
	scratch_load_b128 v[75:78], off, off offset:16
	scratch_load_b128 v[79:82], off, off offset:32
	;; [unrolled: 1-line block ×7, first 2 shown]
	scratch_load_b96 v[103:105], off, off offset:128
	ds_load_2addr_b32 v[3:4], v2 offset0:41 offset1:42
	ds_load_2addr_b32 v[106:107], v2 offset0:43 offset1:44
	;; [unrolled: 1-line block ×4, first 2 shown]
	s_mov_b32 s0, exec_lo
	s_waitcnt vmcnt(7) lgkmcnt(3)
	v_fma_f32 v112, v76, v3, 0
	s_delay_alu instid0(VALU_DEP_1)
	v_fmac_f32_e32 v112, v77, v4
	ds_load_2addr_b32 v[3:4], v2 offset0:49 offset1:50
	ds_load_2addr_b32 v[76:77], v2 offset0:51 offset1:52
	s_waitcnt lgkmcnt(4)
	v_fmac_f32_e32 v112, v78, v106
	s_waitcnt vmcnt(6)
	s_delay_alu instid0(VALU_DEP_1) | instskip(SKIP_1) | instid1(VALU_DEP_1)
	v_fmac_f32_e32 v112, v79, v107
	s_waitcnt lgkmcnt(3)
	v_fmac_f32_e32 v112, v80, v108
	s_delay_alu instid0(VALU_DEP_1)
	v_fmac_f32_e32 v112, v81, v109
	ds_load_2addr_b32 v[78:79], v2 offset0:53 offset1:54
	ds_load_2addr_b32 v[80:81], v2 offset0:55 offset1:56
	s_waitcnt lgkmcnt(4)
	v_fmac_f32_e32 v112, v82, v110
	s_waitcnt vmcnt(5)
	s_delay_alu instid0(VALU_DEP_1) | instskip(SKIP_1) | instid1(VALU_DEP_1)
	v_fmac_f32_e32 v112, v83, v111
	s_waitcnt lgkmcnt(3)
	v_fmac_f32_e32 v112, v84, v3
	s_delay_alu instid0(VALU_DEP_1) | instskip(SKIP_4) | instid1(VALU_DEP_1)
	v_fmac_f32_e32 v112, v85, v4
	ds_load_2addr_b32 v[3:4], v2 offset0:57 offset1:58
	s_waitcnt lgkmcnt(3)
	v_fmac_f32_e32 v112, v86, v76
	s_waitcnt vmcnt(4)
	v_fmac_f32_e32 v112, v87, v77
	ds_load_2addr_b32 v[76:77], v2 offset0:59 offset1:60
	s_waitcnt lgkmcnt(3)
	v_fmac_f32_e32 v112, v88, v78
	s_delay_alu instid0(VALU_DEP_1) | instskip(SKIP_1) | instid1(VALU_DEP_1)
	v_fmac_f32_e32 v112, v89, v79
	s_waitcnt lgkmcnt(2)
	v_fmac_f32_e32 v112, v90, v80
	s_waitcnt vmcnt(3)
	s_delay_alu instid0(VALU_DEP_1) | instskip(SKIP_4) | instid1(VALU_DEP_1)
	v_fmac_f32_e32 v112, v91, v81
	ds_load_2addr_b32 v[78:79], v2 offset0:61 offset1:62
	ds_load_2addr_b32 v[80:81], v2 offset0:63 offset1:64
	s_waitcnt lgkmcnt(3)
	v_fmac_f32_e32 v112, v92, v3
	v_fmac_f32_e32 v112, v93, v4
	ds_load_2addr_b32 v[3:4], v2 offset0:65 offset1:66
	s_waitcnt lgkmcnt(3)
	v_fmac_f32_e32 v112, v94, v76
	s_waitcnt vmcnt(2)
	s_delay_alu instid0(VALU_DEP_1) | instskip(SKIP_3) | instid1(VALU_DEP_1)
	v_fmac_f32_e32 v112, v95, v77
	ds_load_2addr_b32 v[76:77], v2 offset0:67 offset1:68
	s_waitcnt lgkmcnt(3)
	v_fmac_f32_e32 v112, v96, v78
	v_fmac_f32_e32 v112, v97, v79
	ds_load_2addr_b32 v[78:79], v2 offset0:69 offset1:70
	s_waitcnt lgkmcnt(3)
	v_fmac_f32_e32 v112, v98, v80
	s_waitcnt vmcnt(1)
	s_delay_alu instid0(VALU_DEP_1) | instskip(SKIP_1) | instid1(VALU_DEP_1)
	v_fmac_f32_e32 v112, v99, v81
	s_waitcnt lgkmcnt(2)
	v_fmac_f32_e32 v112, v100, v3
	s_delay_alu instid0(VALU_DEP_1) | instskip(SKIP_1) | instid1(VALU_DEP_1)
	v_fmac_f32_e32 v112, v101, v4
	s_waitcnt lgkmcnt(1)
	v_fmac_f32_e32 v112, v102, v76
	s_waitcnt vmcnt(0)
	s_delay_alu instid0(VALU_DEP_1) | instskip(SKIP_1) | instid1(VALU_DEP_1)
	v_fmac_f32_e32 v112, v103, v77
	s_waitcnt lgkmcnt(0)
	v_fmac_f32_e32 v112, v104, v78
	s_delay_alu instid0(VALU_DEP_1) | instskip(NEXT) | instid1(VALU_DEP_1)
	v_fmac_f32_e32 v112, v105, v79
	v_sub_f32_e32 v2, v75, v112
	scratch_store_b32 off, v2, off offset:16
	v_cmpx_lt_u32_e32 3, v0
	s_cbranch_execz .LBB98_211
; %bb.210:
	scratch_load_b32 v2, off, off offset:12
	v_mov_b32_e32 v3, 0
	scratch_store_b32 off, v3, off offset:12
	s_waitcnt vmcnt(0)
	ds_store_b32 v1, v2
.LBB98_211:
	s_or_b32 exec_lo, exec_lo, s0
	s_waitcnt lgkmcnt(0)
	s_waitcnt_vscnt null, 0x0
	s_barrier
	buffer_gl0_inv
	s_clause 0x7
	scratch_load_b128 v[75:78], off, off offset:12
	scratch_load_b128 v[79:82], off, off offset:28
	;; [unrolled: 1-line block ×8, first 2 shown]
	v_mov_b32_e32 v2, 0
	ds_load_b128 v[107:110], v2 offset:160
	ds_load_b128 v[111:114], v2 offset:176
	s_mov_b32 s0, exec_lo
	s_waitcnt vmcnt(7) lgkmcnt(1)
	v_fma_f32 v3, v76, v107, 0
	s_delay_alu instid0(VALU_DEP_1) | instskip(NEXT) | instid1(VALU_DEP_1)
	v_fmac_f32_e32 v3, v77, v108
	v_fmac_f32_e32 v3, v78, v109
	s_waitcnt vmcnt(6)
	s_delay_alu instid0(VALU_DEP_1) | instskip(SKIP_3) | instid1(VALU_DEP_1)
	v_fmac_f32_e32 v3, v79, v110
	ds_load_b128 v[76:79], v2 offset:192
	s_waitcnt lgkmcnt(1)
	v_fmac_f32_e32 v3, v80, v111
	v_fmac_f32_e32 v3, v81, v112
	s_delay_alu instid0(VALU_DEP_1) | instskip(SKIP_1) | instid1(VALU_DEP_1)
	v_fmac_f32_e32 v3, v82, v113
	s_waitcnt vmcnt(5)
	v_fmac_f32_e32 v3, v83, v114
	ds_load_b128 v[80:83], v2 offset:208
	s_waitcnt lgkmcnt(1)
	v_fmac_f32_e32 v3, v84, v76
	s_delay_alu instid0(VALU_DEP_1) | instskip(NEXT) | instid1(VALU_DEP_1)
	v_fmac_f32_e32 v3, v85, v77
	v_fmac_f32_e32 v3, v86, v78
	s_waitcnt vmcnt(4)
	s_delay_alu instid0(VALU_DEP_1) | instskip(SKIP_3) | instid1(VALU_DEP_1)
	v_fmac_f32_e32 v3, v87, v79
	ds_load_b128 v[76:79], v2 offset:224
	s_waitcnt lgkmcnt(1)
	v_fmac_f32_e32 v3, v88, v80
	v_fmac_f32_e32 v3, v89, v81
	s_delay_alu instid0(VALU_DEP_1) | instskip(SKIP_1) | instid1(VALU_DEP_1)
	v_fmac_f32_e32 v3, v90, v82
	s_waitcnt vmcnt(3)
	v_fmac_f32_e32 v3, v91, v83
	ds_load_b128 v[80:83], v2 offset:240
	s_waitcnt lgkmcnt(1)
	v_fmac_f32_e32 v3, v92, v76
	s_delay_alu instid0(VALU_DEP_1) | instskip(NEXT) | instid1(VALU_DEP_1)
	v_fmac_f32_e32 v3, v93, v77
	v_fmac_f32_e32 v3, v94, v78
	s_waitcnt vmcnt(2)
	s_delay_alu instid0(VALU_DEP_1) | instskip(SKIP_3) | instid1(VALU_DEP_1)
	v_fmac_f32_e32 v3, v95, v79
	ds_load_b128 v[76:79], v2 offset:256
	s_waitcnt lgkmcnt(1)
	v_fmac_f32_e32 v3, v96, v80
	v_fmac_f32_e32 v3, v97, v81
	s_delay_alu instid0(VALU_DEP_1) | instskip(SKIP_4) | instid1(VALU_DEP_1)
	v_fmac_f32_e32 v3, v98, v82
	ds_load_b96 v[80:82], v2 offset:272
	s_waitcnt vmcnt(1)
	v_fmac_f32_e32 v3, v99, v83
	s_waitcnt lgkmcnt(1)
	v_fmac_f32_e32 v3, v100, v76
	s_delay_alu instid0(VALU_DEP_1) | instskip(NEXT) | instid1(VALU_DEP_1)
	v_fmac_f32_e32 v3, v101, v77
	v_fmac_f32_e32 v3, v102, v78
	s_waitcnt vmcnt(0)
	s_delay_alu instid0(VALU_DEP_1) | instskip(SKIP_1) | instid1(VALU_DEP_1)
	v_fmac_f32_e32 v3, v103, v79
	s_waitcnt lgkmcnt(0)
	v_fmac_f32_e32 v3, v104, v80
	s_delay_alu instid0(VALU_DEP_1) | instskip(NEXT) | instid1(VALU_DEP_1)
	v_fmac_f32_e32 v3, v105, v81
	v_fmac_f32_e32 v3, v106, v82
	s_delay_alu instid0(VALU_DEP_1)
	v_sub_f32_e32 v3, v75, v3
	scratch_store_b32 off, v3, off offset:12
	v_cmpx_lt_u32_e32 2, v0
	s_cbranch_execz .LBB98_213
; %bb.212:
	scratch_load_b32 v3, off, off offset:8
	scratch_store_b32 off, v2, off offset:8
	s_waitcnt vmcnt(0)
	ds_store_b32 v1, v3
.LBB98_213:
	s_or_b32 exec_lo, exec_lo, s0
	s_waitcnt lgkmcnt(0)
	s_waitcnt_vscnt null, 0x0
	s_barrier
	buffer_gl0_inv
	s_clause 0x8
	scratch_load_b128 v[75:78], off, off offset:8
	scratch_load_b128 v[79:82], off, off offset:24
	scratch_load_b128 v[83:86], off, off offset:40
	scratch_load_b128 v[87:90], off, off offset:56
	scratch_load_b128 v[91:94], off, off offset:72
	scratch_load_b128 v[95:98], off, off offset:88
	scratch_load_b128 v[99:102], off, off offset:104
	scratch_load_b128 v[103:106], off, off offset:120
	scratch_load_b32 v113, off, off offset:136
	ds_load_2addr_b32 v[3:4], v2 offset0:39 offset1:40
	ds_load_2addr_b32 v[107:108], v2 offset0:41 offset1:42
	;; [unrolled: 1-line block ×4, first 2 shown]
	s_mov_b32 s0, exec_lo
	s_waitcnt vmcnt(8) lgkmcnt(3)
	v_fma_f32 v114, v76, v3, 0
	s_delay_alu instid0(VALU_DEP_1)
	v_fmac_f32_e32 v114, v77, v4
	ds_load_2addr_b32 v[3:4], v2 offset0:47 offset1:48
	ds_load_2addr_b32 v[76:77], v2 offset0:49 offset1:50
	s_waitcnt lgkmcnt(4)
	v_fmac_f32_e32 v114, v78, v107
	s_waitcnt vmcnt(7)
	s_delay_alu instid0(VALU_DEP_1) | instskip(SKIP_1) | instid1(VALU_DEP_1)
	v_fmac_f32_e32 v114, v79, v108
	s_waitcnt lgkmcnt(3)
	v_fmac_f32_e32 v114, v80, v109
	s_delay_alu instid0(VALU_DEP_1)
	v_fmac_f32_e32 v114, v81, v110
	ds_load_2addr_b32 v[78:79], v2 offset0:51 offset1:52
	ds_load_2addr_b32 v[80:81], v2 offset0:53 offset1:54
	s_waitcnt lgkmcnt(4)
	v_fmac_f32_e32 v114, v82, v111
	s_waitcnt vmcnt(6)
	s_delay_alu instid0(VALU_DEP_1) | instskip(SKIP_1) | instid1(VALU_DEP_1)
	v_fmac_f32_e32 v114, v83, v112
	s_waitcnt lgkmcnt(3)
	v_fmac_f32_e32 v114, v84, v3
	s_delay_alu instid0(VALU_DEP_1) | instskip(SKIP_4) | instid1(VALU_DEP_1)
	v_fmac_f32_e32 v114, v85, v4
	ds_load_2addr_b32 v[3:4], v2 offset0:55 offset1:56
	s_waitcnt lgkmcnt(3)
	v_fmac_f32_e32 v114, v86, v76
	s_waitcnt vmcnt(5)
	v_fmac_f32_e32 v114, v87, v77
	ds_load_2addr_b32 v[76:77], v2 offset0:57 offset1:58
	s_waitcnt lgkmcnt(3)
	v_fmac_f32_e32 v114, v88, v78
	s_delay_alu instid0(VALU_DEP_1) | instskip(SKIP_1) | instid1(VALU_DEP_1)
	v_fmac_f32_e32 v114, v89, v79
	s_waitcnt lgkmcnt(2)
	v_fmac_f32_e32 v114, v90, v80
	s_waitcnt vmcnt(4)
	s_delay_alu instid0(VALU_DEP_1) | instskip(SKIP_4) | instid1(VALU_DEP_1)
	v_fmac_f32_e32 v114, v91, v81
	ds_load_2addr_b32 v[78:79], v2 offset0:59 offset1:60
	ds_load_2addr_b32 v[80:81], v2 offset0:61 offset1:62
	s_waitcnt lgkmcnt(3)
	v_fmac_f32_e32 v114, v92, v3
	v_fmac_f32_e32 v114, v93, v4
	ds_load_2addr_b32 v[3:4], v2 offset0:63 offset1:64
	s_waitcnt lgkmcnt(3)
	v_fmac_f32_e32 v114, v94, v76
	s_waitcnt vmcnt(3)
	s_delay_alu instid0(VALU_DEP_1) | instskip(SKIP_3) | instid1(VALU_DEP_1)
	v_fmac_f32_e32 v114, v95, v77
	ds_load_2addr_b32 v[76:77], v2 offset0:65 offset1:66
	s_waitcnt lgkmcnt(3)
	v_fmac_f32_e32 v114, v96, v78
	v_fmac_f32_e32 v114, v97, v79
	s_waitcnt lgkmcnt(2)
	s_delay_alu instid0(VALU_DEP_1) | instskip(SKIP_1) | instid1(VALU_DEP_1)
	v_fmac_f32_e32 v114, v98, v80
	s_waitcnt vmcnt(2)
	v_fmac_f32_e32 v114, v99, v81
	ds_load_2addr_b32 v[78:79], v2 offset0:67 offset1:68
	ds_load_2addr_b32 v[80:81], v2 offset0:69 offset1:70
	s_waitcnt lgkmcnt(3)
	v_fmac_f32_e32 v114, v100, v3
	s_delay_alu instid0(VALU_DEP_1) | instskip(SKIP_1) | instid1(VALU_DEP_1)
	v_fmac_f32_e32 v114, v101, v4
	s_waitcnt lgkmcnt(2)
	v_fmac_f32_e32 v114, v102, v76
	s_waitcnt vmcnt(1)
	s_delay_alu instid0(VALU_DEP_1) | instskip(SKIP_1) | instid1(VALU_DEP_1)
	v_fmac_f32_e32 v114, v103, v77
	s_waitcnt lgkmcnt(1)
	v_fmac_f32_e32 v114, v104, v78
	s_delay_alu instid0(VALU_DEP_1) | instskip(SKIP_1) | instid1(VALU_DEP_1)
	v_fmac_f32_e32 v114, v105, v79
	s_waitcnt lgkmcnt(0)
	v_fmac_f32_e32 v114, v106, v80
	s_waitcnt vmcnt(0)
	s_delay_alu instid0(VALU_DEP_1) | instskip(NEXT) | instid1(VALU_DEP_1)
	v_fmac_f32_e32 v114, v113, v81
	v_sub_f32_e32 v2, v75, v114
	scratch_store_b32 off, v2, off offset:8
	v_cmpx_lt_u32_e32 1, v0
	s_cbranch_execz .LBB98_215
; %bb.214:
	scratch_load_b32 v2, off, off offset:4
	v_mov_b32_e32 v3, 0
	scratch_store_b32 off, v3, off offset:4
	s_waitcnt vmcnt(0)
	ds_store_b32 v1, v2
.LBB98_215:
	s_or_b32 exec_lo, exec_lo, s0
	s_waitcnt lgkmcnt(0)
	s_waitcnt_vscnt null, 0x0
	s_barrier
	buffer_gl0_inv
	s_clause 0x8
	scratch_load_b128 v[75:78], off, off offset:4
	scratch_load_b128 v[79:82], off, off offset:20
	;; [unrolled: 1-line block ×8, first 2 shown]
	scratch_load_b64 v[115:116], off, off offset:132
	v_mov_b32_e32 v3, 0
	ds_load_2addr_b64 v[107:110], v3 offset0:19 offset1:20
	ds_load_2addr_b64 v[111:114], v3 offset0:21 offset1:22
	s_mov_b32 s0, exec_lo
	s_waitcnt vmcnt(8) lgkmcnt(1)
	v_fma_f32 v2, v76, v107, 0
	s_delay_alu instid0(VALU_DEP_1) | instskip(SKIP_3) | instid1(VALU_DEP_1)
	v_fmac_f32_e32 v2, v77, v108
	ds_load_b32 v4, v3 offset:280
	v_fmac_f32_e32 v2, v78, v109
	s_waitcnt vmcnt(7)
	v_fmac_f32_e32 v2, v79, v110
	ds_load_2addr_b64 v[76:79], v3 offset0:23 offset1:24
	s_waitcnt lgkmcnt(2)
	v_fmac_f32_e32 v2, v80, v111
	s_delay_alu instid0(VALU_DEP_1) | instskip(NEXT) | instid1(VALU_DEP_1)
	v_fmac_f32_e32 v2, v81, v112
	v_fmac_f32_e32 v2, v82, v113
	s_waitcnt vmcnt(6)
	s_delay_alu instid0(VALU_DEP_1) | instskip(SKIP_3) | instid1(VALU_DEP_1)
	v_fmac_f32_e32 v2, v83, v114
	ds_load_2addr_b64 v[80:83], v3 offset0:25 offset1:26
	s_waitcnt lgkmcnt(1)
	v_fmac_f32_e32 v2, v84, v76
	v_fmac_f32_e32 v2, v85, v77
	s_delay_alu instid0(VALU_DEP_1) | instskip(SKIP_1) | instid1(VALU_DEP_1)
	v_fmac_f32_e32 v2, v86, v78
	s_waitcnt vmcnt(5)
	v_fmac_f32_e32 v2, v87, v79
	ds_load_2addr_b64 v[76:79], v3 offset0:27 offset1:28
	s_waitcnt lgkmcnt(1)
	v_fmac_f32_e32 v2, v88, v80
	s_delay_alu instid0(VALU_DEP_1) | instskip(NEXT) | instid1(VALU_DEP_1)
	v_fmac_f32_e32 v2, v89, v81
	v_fmac_f32_e32 v2, v90, v82
	s_waitcnt vmcnt(4)
	s_delay_alu instid0(VALU_DEP_1) | instskip(SKIP_3) | instid1(VALU_DEP_1)
	v_fmac_f32_e32 v2, v91, v83
	ds_load_2addr_b64 v[80:83], v3 offset0:29 offset1:30
	s_waitcnt lgkmcnt(1)
	v_fmac_f32_e32 v2, v92, v76
	v_fmac_f32_e32 v2, v93, v77
	s_delay_alu instid0(VALU_DEP_1) | instskip(SKIP_1) | instid1(VALU_DEP_1)
	;; [unrolled: 17-line block ×3, first 2 shown]
	v_fmac_f32_e32 v2, v102, v78
	s_waitcnt vmcnt(1)
	v_fmac_f32_e32 v2, v103, v79
	s_waitcnt lgkmcnt(0)
	s_delay_alu instid0(VALU_DEP_1) | instskip(NEXT) | instid1(VALU_DEP_1)
	v_fmac_f32_e32 v2, v104, v80
	v_fmac_f32_e32 v2, v105, v81
	s_delay_alu instid0(VALU_DEP_1) | instskip(SKIP_1) | instid1(VALU_DEP_1)
	v_fmac_f32_e32 v2, v106, v82
	s_waitcnt vmcnt(0)
	v_fmac_f32_e32 v2, v115, v83
	s_delay_alu instid0(VALU_DEP_1) | instskip(NEXT) | instid1(VALU_DEP_1)
	v_fmac_f32_e32 v2, v116, v4
	v_sub_f32_e32 v2, v75, v2
	scratch_store_b32 off, v2, off offset:4
	v_cmpx_ne_u32_e32 0, v0
	s_cbranch_execz .LBB98_217
; %bb.216:
	scratch_load_b32 v0, off, off
	scratch_store_b32 off, v3, off
	s_waitcnt vmcnt(0)
	ds_store_b32 v1, v0
.LBB98_217:
	s_or_b32 exec_lo, exec_lo, s0
	s_waitcnt lgkmcnt(0)
	s_waitcnt_vscnt null, 0x0
	s_barrier
	buffer_gl0_inv
	s_clause 0x8
	scratch_load_b128 v[75:78], off, off
	scratch_load_b128 v[79:82], off, off offset:16
	scratch_load_b128 v[83:86], off, off offset:32
	;; [unrolled: 1-line block ×7, first 2 shown]
	scratch_load_b96 v[0:2], off, off offset:128
	ds_load_2addr_b32 v[107:108], v3 offset0:37 offset1:38
	ds_load_2addr_b32 v[109:110], v3 offset0:39 offset1:40
	;; [unrolled: 1-line block ×4, first 2 shown]
	s_and_b32 vcc_lo, exec_lo, s12
	s_waitcnt vmcnt(8) lgkmcnt(3)
	v_fma_f32 v107, v76, v107, 0
	s_delay_alu instid0(VALU_DEP_1) | instskip(SKIP_4) | instid1(VALU_DEP_1)
	v_fmac_f32_e32 v107, v77, v108
	ds_load_2addr_b32 v[76:77], v3 offset0:45 offset1:46
	s_waitcnt lgkmcnt(3)
	v_fmac_f32_e32 v107, v78, v109
	s_waitcnt vmcnt(7)
	v_fmac_f32_e32 v107, v79, v110
	ds_load_2addr_b32 v[78:79], v3 offset0:47 offset1:48
	s_waitcnt lgkmcnt(3)
	v_fmac_f32_e32 v107, v80, v111
	s_delay_alu instid0(VALU_DEP_1) | instskip(SKIP_1) | instid1(VALU_DEP_1)
	v_fmac_f32_e32 v107, v81, v112
	s_waitcnt lgkmcnt(2)
	v_fmac_f32_e32 v107, v82, v113
	s_waitcnt vmcnt(6)
	s_delay_alu instid0(VALU_DEP_1) | instskip(SKIP_4) | instid1(VALU_DEP_1)
	v_fmac_f32_e32 v107, v83, v114
	ds_load_2addr_b32 v[80:81], v3 offset0:49 offset1:50
	ds_load_2addr_b32 v[82:83], v3 offset0:51 offset1:52
	s_waitcnt lgkmcnt(3)
	v_fmac_f32_e32 v107, v84, v76
	v_fmac_f32_e32 v107, v85, v77
	ds_load_2addr_b32 v[76:77], v3 offset0:53 offset1:54
	s_waitcnt lgkmcnt(3)
	v_fmac_f32_e32 v107, v86, v78
	s_waitcnt vmcnt(5)
	s_delay_alu instid0(VALU_DEP_1) | instskip(SKIP_3) | instid1(VALU_DEP_1)
	v_fmac_f32_e32 v107, v87, v79
	ds_load_2addr_b32 v[78:79], v3 offset0:55 offset1:56
	s_waitcnt lgkmcnt(3)
	v_fmac_f32_e32 v107, v88, v80
	v_fmac_f32_e32 v107, v89, v81
	s_waitcnt lgkmcnt(2)
	s_delay_alu instid0(VALU_DEP_1) | instskip(SKIP_1) | instid1(VALU_DEP_1)
	v_fmac_f32_e32 v107, v90, v82
	s_waitcnt vmcnt(4)
	v_fmac_f32_e32 v107, v91, v83
	ds_load_2addr_b32 v[80:81], v3 offset0:57 offset1:58
	ds_load_2addr_b32 v[82:83], v3 offset0:59 offset1:60
	s_waitcnt lgkmcnt(3)
	v_fmac_f32_e32 v107, v92, v76
	s_delay_alu instid0(VALU_DEP_1) | instskip(SKIP_4) | instid1(VALU_DEP_1)
	v_fmac_f32_e32 v107, v93, v77
	ds_load_2addr_b32 v[76:77], v3 offset0:61 offset1:62
	s_waitcnt lgkmcnt(3)
	v_fmac_f32_e32 v107, v94, v78
	s_waitcnt vmcnt(3)
	v_fmac_f32_e32 v107, v95, v79
	ds_load_2addr_b32 v[78:79], v3 offset0:63 offset1:64
	s_waitcnt lgkmcnt(3)
	v_fmac_f32_e32 v107, v96, v80
	s_delay_alu instid0(VALU_DEP_1) | instskip(SKIP_1) | instid1(VALU_DEP_1)
	v_fmac_f32_e32 v107, v97, v81
	s_waitcnt lgkmcnt(2)
	v_fmac_f32_e32 v107, v98, v82
	s_waitcnt vmcnt(2)
	s_delay_alu instid0(VALU_DEP_1)
	v_fmac_f32_e32 v107, v99, v83
	ds_load_2addr_b32 v[80:81], v3 offset0:65 offset1:66
	ds_load_2addr_b32 v[82:83], v3 offset0:67 offset1:68
	;; [unrolled: 1-line block ×3, first 2 shown]
	s_waitcnt lgkmcnt(4)
	v_fmac_f32_e32 v107, v100, v76
	s_delay_alu instid0(VALU_DEP_1) | instskip(SKIP_1) | instid1(VALU_DEP_1)
	v_fmac_f32_e32 v107, v101, v77
	s_waitcnt lgkmcnt(3)
	v_fmac_f32_e32 v107, v102, v78
	s_waitcnt vmcnt(1)
	s_delay_alu instid0(VALU_DEP_1) | instskip(SKIP_1) | instid1(VALU_DEP_1)
	v_fmac_f32_e32 v107, v103, v79
	s_waitcnt lgkmcnt(2)
	v_fmac_f32_e32 v107, v104, v80
	s_delay_alu instid0(VALU_DEP_1) | instskip(SKIP_1) | instid1(VALU_DEP_1)
	v_fmac_f32_e32 v107, v105, v81
	s_waitcnt lgkmcnt(1)
	v_fmac_f32_e32 v107, v106, v82
	s_waitcnt vmcnt(0)
	s_delay_alu instid0(VALU_DEP_1) | instskip(SKIP_1) | instid1(VALU_DEP_1)
	v_fmac_f32_e32 v107, v0, v83
	s_waitcnt lgkmcnt(0)
	v_fmac_f32_e32 v107, v1, v3
	s_delay_alu instid0(VALU_DEP_1) | instskip(NEXT) | instid1(VALU_DEP_1)
	v_fmac_f32_e32 v107, v2, v4
	v_sub_f32_e32 v0, v75, v107
	scratch_store_b32 off, v0, off
	s_cbranch_vccz .LBB98_287
; %bb.218:
	v_dual_mov_b32 v2, s2 :: v_dual_mov_b32 v3, s3
	s_mov_b32 s0, exec_lo
	flat_load_b32 v0, v[2:3] offset:132
	s_waitcnt vmcnt(0) lgkmcnt(0)
	v_cmpx_ne_u32_e32 34, v0
	s_cbranch_execz .LBB98_220
; %bb.219:
	v_lshl_add_u32 v0, v0, 2, 0
	scratch_load_b32 v2, v0, off offset:-4
	s_waitcnt vmcnt(0)
	scratch_store_b32 off, v2, off offset:132
	scratch_store_b32 v0, v1, off offset:-4
.LBB98_220:
	s_or_b32 exec_lo, exec_lo, s0
	v_dual_mov_b32 v0, s2 :: v_dual_mov_b32 v1, s3
	s_mov_b32 s0, exec_lo
	flat_load_b32 v0, v[0:1] offset:128
	s_waitcnt vmcnt(0) lgkmcnt(0)
	v_cmpx_ne_u32_e32 33, v0
	s_cbranch_execz .LBB98_222
; %bb.221:
	v_lshl_add_u32 v0, v0, 2, 0
	scratch_load_b32 v1, v0, off offset:-4
	scratch_load_b32 v2, off, off offset:128
	s_waitcnt vmcnt(1)
	scratch_store_b32 off, v1, off offset:128
	s_waitcnt vmcnt(0)
	scratch_store_b32 v0, v2, off offset:-4
.LBB98_222:
	s_or_b32 exec_lo, exec_lo, s0
	v_dual_mov_b32 v0, s2 :: v_dual_mov_b32 v1, s3
	s_mov_b32 s0, exec_lo
	flat_load_b32 v0, v[0:1] offset:124
	s_waitcnt vmcnt(0) lgkmcnt(0)
	v_cmpx_ne_u32_e32 32, v0
	s_cbranch_execz .LBB98_224
; %bb.223:
	v_lshl_add_u32 v0, v0, 2, 0
	scratch_load_b32 v1, v0, off offset:-4
	scratch_load_b32 v2, off, off offset:124
	s_waitcnt vmcnt(1)
	scratch_store_b32 off, v1, off offset:124
	s_waitcnt vmcnt(0)
	scratch_store_b32 v0, v2, off offset:-4
.LBB98_224:
	;; [unrolled: 16-line block ×32, first 2 shown]
	s_or_b32 exec_lo, exec_lo, s0
	v_dual_mov_b32 v0, s2 :: v_dual_mov_b32 v1, s3
	s_mov_b32 s0, exec_lo
	flat_load_b32 v1, v[0:1]
	scratch_load_b32 v0, off, off
	s_waitcnt vmcnt(1) lgkmcnt(0)
	v_cmpx_ne_u32_e32 1, v1
	s_cbranch_execz .LBB98_286
; %bb.285:
	v_lshl_add_u32 v1, v1, 2, 0
	scratch_load_b32 v2, v1, off offset:-4
	s_waitcnt vmcnt(0)
	scratch_store_b32 off, v2, off
	scratch_store_b32 v1, v0, off offset:-4
	scratch_load_b32 v0, off, off
.LBB98_286:
	s_or_b32 exec_lo, exec_lo, s0
.LBB98_287:
	s_clause 0x8
	scratch_load_b128 v[1:4], off, off offset:4
	scratch_load_b128 v[75:78], off, off offset:20
	;; [unrolled: 1-line block ×8, first 2 shown]
	scratch_load_b64 v[103:104], off, off offset:132
	s_waitcnt vmcnt(9)
	global_store_b32 v[5:6], v0, off
	s_waitcnt vmcnt(8)
	s_clause 0x3
	global_store_b32 v[7:8], v1, off
	global_store_b32 v[9:10], v2, off
	global_store_b32 v[11:12], v3, off
	global_store_b32 v[13:14], v4, off
	s_waitcnt vmcnt(7)
	s_clause 0x3
	global_store_b32 v[15:16], v75, off
	global_store_b32 v[17:18], v76, off
	global_store_b32 v[19:20], v77, off
	;; [unrolled: 6-line block ×8, first 2 shown]
	global_store_b32 v[69:70], v102, off
	s_waitcnt vmcnt(0)
	s_clause 0x1
	global_store_b32 v[73:74], v103, off
	global_store_b32 v[71:72], v104, off
	s_endpgm
	.section	.rodata,"a",@progbits
	.p2align	6, 0x0
	.amdhsa_kernel _ZN9rocsolver6v33100L18getri_kernel_smallILi35EfPKPfEEvT1_iilPiilS6_bb
		.amdhsa_group_segment_fixed_size 284
		.amdhsa_private_segment_fixed_size 144
		.amdhsa_kernarg_size 60
		.amdhsa_user_sgpr_count 15
		.amdhsa_user_sgpr_dispatch_ptr 0
		.amdhsa_user_sgpr_queue_ptr 0
		.amdhsa_user_sgpr_kernarg_segment_ptr 1
		.amdhsa_user_sgpr_dispatch_id 0
		.amdhsa_user_sgpr_private_segment_size 0
		.amdhsa_wavefront_size32 1
		.amdhsa_uses_dynamic_stack 0
		.amdhsa_enable_private_segment 1
		.amdhsa_system_sgpr_workgroup_id_x 1
		.amdhsa_system_sgpr_workgroup_id_y 0
		.amdhsa_system_sgpr_workgroup_id_z 0
		.amdhsa_system_sgpr_workgroup_info 0
		.amdhsa_system_vgpr_workitem_id 0
		.amdhsa_next_free_vgpr 117
		.amdhsa_next_free_sgpr 17
		.amdhsa_reserve_vcc 1
		.amdhsa_float_round_mode_32 0
		.amdhsa_float_round_mode_16_64 0
		.amdhsa_float_denorm_mode_32 3
		.amdhsa_float_denorm_mode_16_64 3
		.amdhsa_dx10_clamp 1
		.amdhsa_ieee_mode 1
		.amdhsa_fp16_overflow 0
		.amdhsa_workgroup_processor_mode 1
		.amdhsa_memory_ordered 1
		.amdhsa_forward_progress 0
		.amdhsa_shared_vgpr_count 0
		.amdhsa_exception_fp_ieee_invalid_op 0
		.amdhsa_exception_fp_denorm_src 0
		.amdhsa_exception_fp_ieee_div_zero 0
		.amdhsa_exception_fp_ieee_overflow 0
		.amdhsa_exception_fp_ieee_underflow 0
		.amdhsa_exception_fp_ieee_inexact 0
		.amdhsa_exception_int_div_zero 0
	.end_amdhsa_kernel
	.section	.text._ZN9rocsolver6v33100L18getri_kernel_smallILi35EfPKPfEEvT1_iilPiilS6_bb,"axG",@progbits,_ZN9rocsolver6v33100L18getri_kernel_smallILi35EfPKPfEEvT1_iilPiilS6_bb,comdat
.Lfunc_end98:
	.size	_ZN9rocsolver6v33100L18getri_kernel_smallILi35EfPKPfEEvT1_iilPiilS6_bb, .Lfunc_end98-_ZN9rocsolver6v33100L18getri_kernel_smallILi35EfPKPfEEvT1_iilPiilS6_bb
                                        ; -- End function
	.section	.AMDGPU.csdata,"",@progbits
; Kernel info:
; codeLenInByte = 22560
; NumSgprs: 19
; NumVgprs: 117
; ScratchSize: 144
; MemoryBound: 0
; FloatMode: 240
; IeeeMode: 1
; LDSByteSize: 284 bytes/workgroup (compile time only)
; SGPRBlocks: 2
; VGPRBlocks: 14
; NumSGPRsForWavesPerEU: 19
; NumVGPRsForWavesPerEU: 117
; Occupancy: 12
; WaveLimiterHint : 1
; COMPUTE_PGM_RSRC2:SCRATCH_EN: 1
; COMPUTE_PGM_RSRC2:USER_SGPR: 15
; COMPUTE_PGM_RSRC2:TRAP_HANDLER: 0
; COMPUTE_PGM_RSRC2:TGID_X_EN: 1
; COMPUTE_PGM_RSRC2:TGID_Y_EN: 0
; COMPUTE_PGM_RSRC2:TGID_Z_EN: 0
; COMPUTE_PGM_RSRC2:TIDIG_COMP_CNT: 0
	.section	.text._ZN9rocsolver6v33100L18getri_kernel_smallILi36EfPKPfEEvT1_iilPiilS6_bb,"axG",@progbits,_ZN9rocsolver6v33100L18getri_kernel_smallILi36EfPKPfEEvT1_iilPiilS6_bb,comdat
	.globl	_ZN9rocsolver6v33100L18getri_kernel_smallILi36EfPKPfEEvT1_iilPiilS6_bb ; -- Begin function _ZN9rocsolver6v33100L18getri_kernel_smallILi36EfPKPfEEvT1_iilPiilS6_bb
	.p2align	8
	.type	_ZN9rocsolver6v33100L18getri_kernel_smallILi36EfPKPfEEvT1_iilPiilS6_bb,@function
_ZN9rocsolver6v33100L18getri_kernel_smallILi36EfPKPfEEvT1_iilPiilS6_bb: ; @_ZN9rocsolver6v33100L18getri_kernel_smallILi36EfPKPfEEvT1_iilPiilS6_bb
; %bb.0:
	s_mov_b32 s2, exec_lo
	v_cmpx_gt_u32_e32 36, v0
	s_cbranch_execz .LBB99_152
; %bb.1:
	s_clause 0x1
	s_load_b32 s13, s[0:1], 0x38
	s_load_b64 s[2:3], s[0:1], 0x0
	s_mov_b32 s8, s15
	s_load_b128 s[4:7], s[0:1], 0x28
	s_waitcnt lgkmcnt(0)
	s_bitcmp1_b32 s13, 8
	s_cselect_b32 s12, -1, 0
	s_ashr_i32 s9, s15, 31
	s_delay_alu instid0(SALU_CYCLE_1) | instskip(NEXT) | instid1(SALU_CYCLE_1)
	s_lshl_b64 s[10:11], s[8:9], 3
	s_add_u32 s2, s2, s10
	s_addc_u32 s3, s3, s11
	s_load_b64 s[10:11], s[2:3], 0x0
	s_bfe_u32 s2, s13, 0x10008
	s_delay_alu instid0(SALU_CYCLE_1)
	s_cmp_eq_u32 s2, 0
                                        ; implicit-def: $sgpr2_sgpr3
	s_cbranch_scc1 .LBB99_3
; %bb.2:
	s_clause 0x1
	s_load_b32 s2, s[0:1], 0x20
	s_load_b64 s[14:15], s[0:1], 0x18
	s_mul_i32 s3, s8, s5
	s_mul_hi_u32 s5, s8, s4
	s_mul_i32 s16, s9, s4
	s_add_i32 s3, s5, s3
	s_mul_i32 s4, s8, s4
	s_add_i32 s5, s3, s16
	s_delay_alu instid0(SALU_CYCLE_1)
	s_lshl_b64 s[4:5], s[4:5], 2
	s_waitcnt lgkmcnt(0)
	s_ashr_i32 s3, s2, 31
	s_add_u32 s4, s14, s4
	s_addc_u32 s5, s15, s5
	s_lshl_b64 s[2:3], s[2:3], 2
	s_delay_alu instid0(SALU_CYCLE_1)
	s_add_u32 s2, s4, s2
	s_addc_u32 s3, s5, s3
.LBB99_3:
	s_load_b64 s[0:1], s[0:1], 0x8
	v_lshlrev_b32_e32 v1, 2, v0
	s_waitcnt lgkmcnt(0)
	v_add3_u32 v2, s1, s1, v0
	s_ashr_i32 s5, s0, 31
	s_mov_b32 s4, s0
	s_mov_b32 s14, s1
	s_lshl_b64 s[4:5], s[4:5], 2
	v_add_nc_u32_e32 v8, s1, v2
	v_ashrrev_i32_e32 v3, 31, v2
	s_add_u32 s4, s10, s4
	s_addc_u32 s5, s11, s5
	v_add_co_u32 v4, s0, s4, v1
	v_add_nc_u32_e32 v10, s1, v8
	s_ashr_i32 s15, s1, 31
	v_add_co_ci_u32_e64 v5, null, s5, 0, s0
	v_lshlrev_b64 v[2:3], 2, v[2:3]
	s_delay_alu instid0(VALU_DEP_3)
	v_add_nc_u32_e32 v12, s1, v10
	v_ashrrev_i32_e32 v9, 31, v8
	s_lshl_b64 s[10:11], s[14:15], 2
	v_ashrrev_i32_e32 v11, 31, v10
	v_add_co_u32 v6, vcc_lo, v4, s10
	v_add_nc_u32_e32 v14, s1, v12
	v_add_co_ci_u32_e32 v7, vcc_lo, s11, v5, vcc_lo
	v_lshlrev_b64 v[33:34], 2, v[8:9]
	v_add_co_u32 v8, vcc_lo, s4, v2
	s_delay_alu instid0(VALU_DEP_4) | instskip(SKIP_3) | instid1(VALU_DEP_4)
	v_add_nc_u32_e32 v16, s1, v14
	v_add_co_ci_u32_e32 v9, vcc_lo, s5, v3, vcc_lo
	v_ashrrev_i32_e32 v13, 31, v12
	v_lshlrev_b64 v[2:3], 2, v[10:11]
	v_add_nc_u32_e32 v18, s1, v16
	v_add_co_u32 v10, vcc_lo, s4, v33
	v_ashrrev_i32_e32 v15, 31, v14
	v_add_co_ci_u32_e32 v11, vcc_lo, s5, v34, vcc_lo
	s_delay_alu instid0(VALU_DEP_4) | instskip(SKIP_3) | instid1(VALU_DEP_4)
	v_add_nc_u32_e32 v20, s1, v18
	v_lshlrev_b64 v[33:34], 2, v[12:13]
	v_add_co_u32 v12, vcc_lo, s4, v2
	v_add_co_ci_u32_e32 v13, vcc_lo, s5, v3, vcc_lo
	v_add_nc_u32_e32 v22, s1, v20
	v_lshlrev_b64 v[2:3], 2, v[14:15]
	v_ashrrev_i32_e32 v17, 31, v16
	v_add_co_u32 v14, vcc_lo, s4, v33
	s_delay_alu instid0(VALU_DEP_4) | instskip(SKIP_3) | instid1(VALU_DEP_4)
	v_add_nc_u32_e32 v24, s1, v22
	v_ashrrev_i32_e32 v19, 31, v18
	v_add_co_ci_u32_e32 v15, vcc_lo, s5, v34, vcc_lo
	v_lshlrev_b64 v[33:34], 2, v[16:17]
	v_add_nc_u32_e32 v26, s1, v24
	v_add_co_u32 v16, vcc_lo, s4, v2
	v_add_co_ci_u32_e32 v17, vcc_lo, s5, v3, vcc_lo
	s_delay_alu instid0(VALU_DEP_3) | instskip(SKIP_3) | instid1(VALU_DEP_4)
	v_add_nc_u32_e32 v28, s1, v26
	v_lshlrev_b64 v[2:3], 2, v[18:19]
	v_ashrrev_i32_e32 v21, 31, v20
	v_add_co_u32 v18, vcc_lo, s4, v33
	v_add_nc_u32_e32 v30, s1, v28
	v_ashrrev_i32_e32 v23, 31, v22
	v_add_co_ci_u32_e32 v19, vcc_lo, s5, v34, vcc_lo
	v_lshlrev_b64 v[33:34], 2, v[20:21]
	s_delay_alu instid0(VALU_DEP_4) | instskip(SKIP_2) | instid1(VALU_DEP_3)
	v_add_nc_u32_e32 v32, s1, v30
	v_add_co_u32 v20, vcc_lo, s4, v2
	v_add_co_ci_u32_e32 v21, vcc_lo, s5, v3, vcc_lo
	v_add_nc_u32_e32 v35, s1, v32
	v_lshlrev_b64 v[2:3], 2, v[22:23]
	v_ashrrev_i32_e32 v25, 31, v24
	v_add_co_u32 v22, vcc_lo, s4, v33
	s_delay_alu instid0(VALU_DEP_4) | instskip(SKIP_3) | instid1(VALU_DEP_4)
	v_add_nc_u32_e32 v37, s1, v35
	v_ashrrev_i32_e32 v27, 31, v26
	v_add_co_ci_u32_e32 v23, vcc_lo, s5, v34, vcc_lo
	v_lshlrev_b64 v[33:34], 2, v[24:25]
	v_add_nc_u32_e32 v39, s1, v37
	v_add_co_u32 v24, vcc_lo, s4, v2
	v_add_co_ci_u32_e32 v25, vcc_lo, s5, v3, vcc_lo
	s_delay_alu instid0(VALU_DEP_3) | instskip(SKIP_3) | instid1(VALU_DEP_4)
	v_add_nc_u32_e32 v41, s1, v39
	v_lshlrev_b64 v[2:3], 2, v[26:27]
	v_ashrrev_i32_e32 v29, 31, v28
	v_add_co_u32 v26, vcc_lo, s4, v33
	v_add_nc_u32_e32 v43, s1, v41
	v_ashrrev_i32_e32 v31, 31, v30
	v_add_co_ci_u32_e32 v27, vcc_lo, s5, v34, vcc_lo
	v_lshlrev_b64 v[44:45], 2, v[28:29]
	s_delay_alu instid0(VALU_DEP_4) | instskip(SKIP_2) | instid1(VALU_DEP_3)
	v_add_nc_u32_e32 v46, s1, v43
	v_add_co_u32 v28, vcc_lo, s4, v2
	v_add_co_ci_u32_e32 v29, vcc_lo, s5, v3, vcc_lo
	v_add_nc_u32_e32 v48, s1, v46
	v_lshlrev_b64 v[2:3], 2, v[30:31]
	v_ashrrev_i32_e32 v33, 31, v32
	v_add_co_u32 v30, vcc_lo, s4, v44
	s_delay_alu instid0(VALU_DEP_4) | instskip(SKIP_3) | instid1(VALU_DEP_4)
	v_add_nc_u32_e32 v50, s1, v48
	v_ashrrev_i32_e32 v36, 31, v35
	v_add_co_ci_u32_e32 v31, vcc_lo, s5, v45, vcc_lo
	v_lshlrev_b64 v[44:45], 2, v[32:33]
	v_add_nc_u32_e32 v52, s1, v50
	v_add_co_u32 v32, vcc_lo, s4, v2
	v_add_co_ci_u32_e32 v33, vcc_lo, s5, v3, vcc_lo
	s_delay_alu instid0(VALU_DEP_3) | instskip(SKIP_3) | instid1(VALU_DEP_4)
	v_add_nc_u32_e32 v54, s1, v52
	v_ashrrev_i32_e32 v38, 31, v37
	v_lshlrev_b64 v[2:3], 2, v[35:36]
	v_add_co_u32 v34, vcc_lo, s4, v44
	v_add_nc_u32_e32 v56, s1, v54
	v_ashrrev_i32_e32 v40, 31, v39
	v_add_co_ci_u32_e32 v35, vcc_lo, s5, v45, vcc_lo
	v_lshlrev_b64 v[44:45], 2, v[37:38]
	s_delay_alu instid0(VALU_DEP_4) | instskip(SKIP_3) | instid1(VALU_DEP_4)
	v_add_nc_u32_e32 v58, s1, v56
	v_add_co_u32 v36, vcc_lo, s4, v2
	v_ashrrev_i32_e32 v42, 31, v41
	v_add_co_ci_u32_e32 v37, vcc_lo, s5, v3, vcc_lo
	v_add_nc_u32_e32 v60, s1, v58
	v_lshlrev_b64 v[2:3], 2, v[39:40]
	v_add_co_u32 v38, vcc_lo, s4, v44
	v_lshlrev_b64 v[71:72], 2, v[41:42]
	s_delay_alu instid0(VALU_DEP_4) | instskip(SKIP_3) | instid1(VALU_DEP_4)
	v_add_nc_u32_e32 v62, s1, v60
	v_ashrrev_i32_e32 v44, 31, v43
	v_add_co_ci_u32_e32 v39, vcc_lo, s5, v45, vcc_lo
	v_add_co_u32 v40, vcc_lo, s4, v2
	v_add_nc_u32_e32 v64, s1, v62
	v_ashrrev_i32_e32 v47, 31, v46
	v_add_co_ci_u32_e32 v41, vcc_lo, s5, v3, vcc_lo
	v_lshlrev_b64 v[2:3], 2, v[43:44]
	s_delay_alu instid0(VALU_DEP_4) | instskip(SKIP_2) | instid1(VALU_DEP_3)
	v_add_nc_u32_e32 v66, s1, v64
	v_add_co_u32 v44, vcc_lo, s4, v71
	v_add_co_ci_u32_e32 v45, vcc_lo, s5, v72, vcc_lo
	v_add_nc_u32_e32 v68, s1, v66
	v_lshlrev_b64 v[71:72], 2, v[46:47]
	v_ashrrev_i32_e32 v49, 31, v48
	v_add_co_u32 v46, vcc_lo, s4, v2
	s_delay_alu instid0(VALU_DEP_4) | instskip(SKIP_1) | instid1(VALU_DEP_4)
	v_add_nc_u32_e32 v70, s1, v68
	v_add_co_ci_u32_e32 v47, vcc_lo, s5, v3, vcc_lo
	v_lshlrev_b64 v[2:3], 2, v[48:49]
	v_ashrrev_i32_e32 v51, 31, v50
	s_delay_alu instid0(VALU_DEP_4) | instskip(SKIP_2) | instid1(VALU_DEP_3)
	v_add_nc_u32_e32 v73, s1, v70
	v_add_co_u32 v48, vcc_lo, s4, v71
	v_add_co_ci_u32_e32 v49, vcc_lo, s5, v72, vcc_lo
	v_add_nc_u32_e32 v42, s1, v73
	v_ashrrev_i32_e32 v53, 31, v52
	v_lshlrev_b64 v[71:72], 2, v[50:51]
	v_ashrrev_i32_e32 v55, 31, v54
	v_ashrrev_i32_e32 v57, 31, v56
	;; [unrolled: 1-line block ×7, first 2 shown]
	v_lshlrev_b64 v[42:43], 2, v[42:43]
	v_ashrrev_i32_e32 v67, 31, v66
	v_ashrrev_i32_e32 v69, 31, v68
	s_clause 0x10
	global_load_b32 v76, v1, s[4:5]
	global_load_b32 v77, v[6:7], off
	global_load_b32 v78, v[8:9], off
	;; [unrolled: 1-line block ×16, first 2 shown]
	v_add_co_u32 v42, vcc_lo, s4, v42
	v_add_co_ci_u32_e32 v43, vcc_lo, s5, v43, vcc_lo
	v_add_co_u32 v50, vcc_lo, s4, v2
	v_add_co_ci_u32_e32 v51, vcc_lo, s5, v3, vcc_lo
	v_lshlrev_b64 v[2:3], 2, v[52:53]
	v_add_co_u32 v52, vcc_lo, s4, v71
	v_add_co_ci_u32_e32 v53, vcc_lo, s5, v72, vcc_lo
	v_lshlrev_b64 v[71:72], 2, v[54:55]
	s_delay_alu instid0(VALU_DEP_4) | instskip(SKIP_2) | instid1(VALU_DEP_4)
	v_add_co_u32 v54, vcc_lo, s4, v2
	v_add_co_ci_u32_e32 v55, vcc_lo, s5, v3, vcc_lo
	v_lshlrev_b64 v[2:3], 2, v[56:57]
	v_add_co_u32 v56, vcc_lo, s4, v71
	v_add_co_ci_u32_e32 v57, vcc_lo, s5, v72, vcc_lo
	v_lshlrev_b64 v[71:72], 2, v[58:59]
	s_delay_alu instid0(VALU_DEP_4) | instskip(SKIP_2) | instid1(VALU_DEP_4)
	;; [unrolled: 7-line block ×3, first 2 shown]
	v_add_co_u32 v62, vcc_lo, s4, v2
	v_add_co_ci_u32_e32 v63, vcc_lo, s5, v3, vcc_lo
	v_lshlrev_b64 v[2:3], 2, v[64:65]
	v_add_co_u32 v64, vcc_lo, s4, v71
	v_add_co_ci_u32_e32 v65, vcc_lo, s5, v72, vcc_lo
	v_lshlrev_b64 v[74:75], 2, v[66:67]
	s_delay_alu instid0(VALU_DEP_4)
	v_add_co_u32 v66, vcc_lo, s4, v2
	v_add_co_ci_u32_e32 v67, vcc_lo, s5, v3, vcc_lo
	v_lshlrev_b64 v[2:3], 2, v[68:69]
	v_ashrrev_i32_e32 v71, 31, v70
	v_add_co_u32 v68, vcc_lo, s4, v74
	v_ashrrev_i32_e32 v74, 31, v73
	v_add_co_ci_u32_e32 v69, vcc_lo, s5, v75, vcc_lo
	s_delay_alu instid0(VALU_DEP_4) | instskip(SKIP_3) | instid1(VALU_DEP_4)
	v_lshlrev_b64 v[101:102], 2, v[70:71]
	v_add_co_u32 v70, vcc_lo, s4, v2
	v_add_co_ci_u32_e32 v71, vcc_lo, s5, v3, vcc_lo
	v_lshlrev_b64 v[2:3], 2, v[73:74]
	v_add_co_u32 v72, vcc_lo, s4, v101
	v_add_co_ci_u32_e32 v73, vcc_lo, s5, v102, vcc_lo
	s_clause 0x7
	global_load_b32 v93, v[38:39], off
	global_load_b32 v94, v[40:41], off
	global_load_b32 v95, v[44:45], off
	global_load_b32 v96, v[46:47], off
	global_load_b32 v97, v[48:49], off
	global_load_b32 v98, v[50:51], off
	global_load_b32 v99, v[52:53], off
	global_load_b32 v100, v[54:55], off
	v_add_co_u32 v74, vcc_lo, s4, v2
	v_add_co_ci_u32_e32 v75, vcc_lo, s5, v3, vcc_lo
	s_clause 0xa
	global_load_b32 v101, v[56:57], off
	global_load_b32 v102, v[58:59], off
	;; [unrolled: 1-line block ×11, first 2 shown]
	s_bitcmp0_b32 s13, 0
	s_mov_b32 s1, -1
	s_waitcnt vmcnt(32)
	scratch_store_b128 off, v[76:79], off
	s_waitcnt vmcnt(28)
	scratch_store_b128 off, v[80:83], off offset:16
	s_waitcnt vmcnt(24)
	scratch_store_b128 off, v[84:87], off offset:32
	;; [unrolled: 2-line block ×8, first 2 shown]
	s_cbranch_scc1 .LBB99_150
; %bb.4:
	v_cmp_eq_u32_e64 s0, 0, v0
	s_delay_alu instid0(VALU_DEP_1)
	s_and_saveexec_b32 s1, s0
	s_cbranch_execz .LBB99_6
; %bb.5:
	v_mov_b32_e32 v2, 0
	ds_store_b32 v2, v2 offset:288
.LBB99_6:
	s_or_b32 exec_lo, exec_lo, s1
	s_waitcnt lgkmcnt(0)
	s_waitcnt_vscnt null, 0x0
	s_barrier
	buffer_gl0_inv
	scratch_load_b32 v2, v1, off
	s_mov_b32 s4, exec_lo
	s_waitcnt vmcnt(0)
	v_cmpx_eq_f32_e32 0, v2
	s_cbranch_execz .LBB99_10
; %bb.7:
	v_mov_b32_e32 v2, 0
	s_mov_b32 s5, 0
	ds_load_b32 v3, v2 offset:288
	s_waitcnt lgkmcnt(0)
	v_readfirstlane_b32 s1, v3
	v_add_nc_u32_e32 v3, 1, v0
	s_delay_alu instid0(VALU_DEP_2) | instskip(NEXT) | instid1(VALU_DEP_1)
	s_cmp_eq_u32 s1, 0
	v_cmp_gt_i32_e32 vcc_lo, s1, v3
	s_cselect_b32 s10, -1, 0
	s_delay_alu instid0(SALU_CYCLE_1) | instskip(NEXT) | instid1(SALU_CYCLE_1)
	s_or_b32 s10, s10, vcc_lo
	s_and_b32 exec_lo, exec_lo, s10
	s_cbranch_execz .LBB99_10
; %bb.8:
	v_mov_b32_e32 v76, s1
.LBB99_9:                               ; =>This Inner Loop Header: Depth=1
	ds_cmpstore_rtn_b32 v76, v2, v3, v76 offset:288
	s_waitcnt lgkmcnt(0)
	v_cmp_ne_u32_e32 vcc_lo, 0, v76
	v_cmp_le_i32_e64 s1, v76, v3
	s_delay_alu instid0(VALU_DEP_1) | instskip(NEXT) | instid1(SALU_CYCLE_1)
	s_and_b32 s1, vcc_lo, s1
	s_and_b32 s1, exec_lo, s1
	s_delay_alu instid0(SALU_CYCLE_1) | instskip(NEXT) | instid1(SALU_CYCLE_1)
	s_or_b32 s5, s1, s5
	s_and_not1_b32 exec_lo, exec_lo, s5
	s_cbranch_execnz .LBB99_9
.LBB99_10:
	s_or_b32 exec_lo, exec_lo, s4
	v_mov_b32_e32 v2, 0
	s_barrier
	buffer_gl0_inv
	ds_load_b32 v3, v2 offset:288
	s_and_saveexec_b32 s1, s0
	s_cbranch_execz .LBB99_12
; %bb.11:
	s_lshl_b64 s[4:5], s[8:9], 2
	s_delay_alu instid0(SALU_CYCLE_1)
	s_add_u32 s4, s6, s4
	s_addc_u32 s5, s7, s5
	s_waitcnt lgkmcnt(0)
	global_store_b32 v2, v3, s[4:5]
.LBB99_12:
	s_or_b32 exec_lo, exec_lo, s1
	s_waitcnt lgkmcnt(0)
	v_cmp_ne_u32_e32 vcc_lo, 0, v3
	s_mov_b32 s1, 0
	s_cbranch_vccnz .LBB99_150
; %bb.13:
	v_add_nc_u32_e32 v2, 0, v1
	scratch_load_b32 v3, v2, off
	s_waitcnt vmcnt(0)
	v_div_scale_f32 v76, null, v3, v3, 1.0
	v_div_scale_f32 v79, vcc_lo, 1.0, v3, 1.0
	s_delay_alu instid0(VALU_DEP_2) | instskip(SKIP_2) | instid1(VALU_DEP_1)
	v_rcp_f32_e32 v77, v76
	s_waitcnt_depctr 0xfff
	v_fma_f32 v78, -v76, v77, 1.0
	v_fmac_f32_e32 v77, v78, v77
	s_delay_alu instid0(VALU_DEP_1) | instskip(NEXT) | instid1(VALU_DEP_1)
	v_mul_f32_e32 v78, v79, v77
	v_fma_f32 v80, -v76, v78, v79
	s_delay_alu instid0(VALU_DEP_1) | instskip(NEXT) | instid1(VALU_DEP_1)
	v_fmac_f32_e32 v78, v80, v77
	v_fma_f32 v76, -v76, v78, v79
	s_delay_alu instid0(VALU_DEP_1) | instskip(NEXT) | instid1(VALU_DEP_1)
	v_div_fmas_f32 v76, v76, v77, v78
	v_div_fixup_f32 v3, v76, v3, 1.0
	scratch_store_b32 v2, v3, off
	scratch_load_b32 v76, off, off offset:4
	v_xor_b32_e32 v77, 0x80000000, v3
	v_add_nc_u32_e32 v3, 0x90, v1
	s_waitcnt vmcnt(0)
	ds_store_2addr_b32 v1, v77, v76 offset1:36
	s_waitcnt lgkmcnt(0)
	s_waitcnt_vscnt null, 0x0
	s_barrier
	buffer_gl0_inv
	s_and_saveexec_b32 s1, s0
	s_cbranch_execz .LBB99_15
; %bb.14:
	scratch_load_b32 v76, v2, off
	ds_load_b32 v77, v3
	v_mov_b32_e32 v78, 0
	ds_load_b32 v78, v78 offset:4
	s_waitcnt vmcnt(0) lgkmcnt(1)
	v_fma_f32 v76, v76, v77, 0
	s_waitcnt lgkmcnt(0)
	s_delay_alu instid0(VALU_DEP_1)
	v_mul_f32_e32 v76, v76, v78
	scratch_store_b32 off, v76, off offset:4
.LBB99_15:
	s_or_b32 exec_lo, exec_lo, s1
	s_waitcnt_vscnt null, 0x0
	s_barrier
	buffer_gl0_inv
	scratch_load_b32 v76, off, off offset:8
	s_mov_b32 s1, exec_lo
	s_waitcnt vmcnt(0)
	ds_store_b32 v3, v76
	s_waitcnt lgkmcnt(0)
	s_barrier
	buffer_gl0_inv
	v_cmpx_gt_u32_e32 2, v0
	s_cbranch_execz .LBB99_17
; %bb.16:
	scratch_load_b32 v78, v2, off
	scratch_load_b32 v79, off, off offset:4
	ds_load_b32 v80, v3
	v_mov_b32_e32 v76, 0
	ds_load_2addr_b32 v[76:77], v76 offset0:2 offset1:37
	s_waitcnt vmcnt(1) lgkmcnt(1)
	v_fma_f32 v78, v78, v80, 0
	s_waitcnt vmcnt(0) lgkmcnt(0)
	s_delay_alu instid0(VALU_DEP_1) | instskip(NEXT) | instid1(VALU_DEP_1)
	v_fma_f32 v77, v79, v77, v78
	v_cndmask_b32_e64 v77, v78, v77, s0
	s_delay_alu instid0(VALU_DEP_1)
	v_mul_f32_e32 v76, v77, v76
	scratch_store_b32 off, v76, off offset:8
.LBB99_17:
	s_or_b32 exec_lo, exec_lo, s1
	s_waitcnt_vscnt null, 0x0
	s_barrier
	buffer_gl0_inv
	scratch_load_b32 v77, off, off offset:12
	v_add_nc_u32_e32 v76, -1, v0
	s_mov_b32 s0, exec_lo
	s_waitcnt vmcnt(0)
	ds_store_b32 v3, v77
	s_waitcnt lgkmcnt(0)
	s_barrier
	buffer_gl0_inv
	v_cmpx_gt_u32_e32 3, v0
	s_cbranch_execz .LBB99_21
; %bb.18:
	v_dual_mov_b32 v77, 0 :: v_dual_add_nc_u32 v78, -1, v0
	v_add_nc_u32_e32 v79, 0x90, v1
	v_add_nc_u32_e32 v80, 0, v1
	s_mov_b32 s1, 0
.LBB99_19:                              ; =>This Inner Loop Header: Depth=1
	scratch_load_b32 v81, v80, off
	ds_load_b32 v82, v79
	v_add_nc_u32_e32 v78, 1, v78
	v_add_nc_u32_e32 v79, 4, v79
	v_add_nc_u32_e32 v80, 4, v80
	s_delay_alu instid0(VALU_DEP_3)
	v_cmp_lt_u32_e32 vcc_lo, 1, v78
	s_or_b32 s1, vcc_lo, s1
	s_waitcnt vmcnt(0) lgkmcnt(0)
	v_fmac_f32_e32 v77, v81, v82
	s_and_not1_b32 exec_lo, exec_lo, s1
	s_cbranch_execnz .LBB99_19
; %bb.20:
	s_or_b32 exec_lo, exec_lo, s1
	v_mov_b32_e32 v78, 0
	ds_load_b32 v78, v78 offset:12
	s_waitcnt lgkmcnt(0)
	v_mul_f32_e32 v77, v77, v78
	scratch_store_b32 off, v77, off offset:12
.LBB99_21:
	s_or_b32 exec_lo, exec_lo, s0
	s_waitcnt_vscnt null, 0x0
	s_barrier
	buffer_gl0_inv
	scratch_load_b32 v77, off, off offset:16
	s_mov_b32 s0, exec_lo
	s_waitcnt vmcnt(0)
	ds_store_b32 v3, v77
	s_waitcnt lgkmcnt(0)
	s_barrier
	buffer_gl0_inv
	v_cmpx_gt_u32_e32 4, v0
	s_cbranch_execz .LBB99_25
; %bb.22:
	v_dual_mov_b32 v77, 0 :: v_dual_add_nc_u32 v78, -1, v0
	v_add_nc_u32_e32 v79, 0x90, v1
	v_add_nc_u32_e32 v80, 0, v1
	s_mov_b32 s1, 0
.LBB99_23:                              ; =>This Inner Loop Header: Depth=1
	scratch_load_b32 v81, v80, off
	ds_load_b32 v82, v79
	v_add_nc_u32_e32 v78, 1, v78
	v_add_nc_u32_e32 v79, 4, v79
	v_add_nc_u32_e32 v80, 4, v80
	s_delay_alu instid0(VALU_DEP_3)
	v_cmp_lt_u32_e32 vcc_lo, 2, v78
	s_or_b32 s1, vcc_lo, s1
	s_waitcnt vmcnt(0) lgkmcnt(0)
	v_fmac_f32_e32 v77, v81, v82
	s_and_not1_b32 exec_lo, exec_lo, s1
	s_cbranch_execnz .LBB99_23
; %bb.24:
	s_or_b32 exec_lo, exec_lo, s1
	v_mov_b32_e32 v78, 0
	ds_load_b32 v78, v78 offset:16
	s_waitcnt lgkmcnt(0)
	v_mul_f32_e32 v77, v77, v78
	scratch_store_b32 off, v77, off offset:16
.LBB99_25:
	s_or_b32 exec_lo, exec_lo, s0
	s_waitcnt_vscnt null, 0x0
	s_barrier
	buffer_gl0_inv
	scratch_load_b32 v77, off, off offset:20
	;; [unrolled: 39-line block ×21, first 2 shown]
	s_mov_b32 s0, exec_lo
	s_waitcnt vmcnt(0)
	ds_store_b32 v3, v77
	s_waitcnt lgkmcnt(0)
	s_barrier
	buffer_gl0_inv
	v_cmpx_gt_u32_e32 24, v0
	s_cbranch_execz .LBB99_105
; %bb.102:
	v_dual_mov_b32 v77, 0 :: v_dual_add_nc_u32 v78, -1, v0
	v_add_nc_u32_e32 v79, 0x90, v1
	v_add_nc_u32_e32 v80, 0, v1
	s_mov_b32 s1, 0
.LBB99_103:                             ; =>This Inner Loop Header: Depth=1
	scratch_load_b32 v81, v80, off
	ds_load_b32 v82, v79
	v_add_nc_u32_e32 v78, 1, v78
	v_add_nc_u32_e32 v79, 4, v79
	v_add_nc_u32_e32 v80, 4, v80
	s_delay_alu instid0(VALU_DEP_3)
	v_cmp_lt_u32_e32 vcc_lo, 22, v78
	s_or_b32 s1, vcc_lo, s1
	s_waitcnt vmcnt(0) lgkmcnt(0)
	v_fmac_f32_e32 v77, v81, v82
	s_and_not1_b32 exec_lo, exec_lo, s1
	s_cbranch_execnz .LBB99_103
; %bb.104:
	s_or_b32 exec_lo, exec_lo, s1
	v_mov_b32_e32 v78, 0
	ds_load_b32 v78, v78 offset:96
	s_waitcnt lgkmcnt(0)
	v_mul_f32_e32 v77, v77, v78
	scratch_store_b32 off, v77, off offset:96
.LBB99_105:
	s_or_b32 exec_lo, exec_lo, s0
	s_waitcnt_vscnt null, 0x0
	s_barrier
	buffer_gl0_inv
	scratch_load_b32 v77, off, off offset:100
	s_mov_b32 s0, exec_lo
	s_waitcnt vmcnt(0)
	ds_store_b32 v3, v77
	s_waitcnt lgkmcnt(0)
	s_barrier
	buffer_gl0_inv
	v_cmpx_gt_u32_e32 25, v0
	s_cbranch_execz .LBB99_109
; %bb.106:
	v_dual_mov_b32 v77, 0 :: v_dual_add_nc_u32 v78, -1, v0
	v_add_nc_u32_e32 v79, 0x90, v1
	v_add_nc_u32_e32 v80, 0, v1
	s_mov_b32 s1, 0
.LBB99_107:                             ; =>This Inner Loop Header: Depth=1
	scratch_load_b32 v81, v80, off
	ds_load_b32 v82, v79
	v_add_nc_u32_e32 v78, 1, v78
	v_add_nc_u32_e32 v79, 4, v79
	v_add_nc_u32_e32 v80, 4, v80
	s_delay_alu instid0(VALU_DEP_3)
	v_cmp_lt_u32_e32 vcc_lo, 23, v78
	s_or_b32 s1, vcc_lo, s1
	s_waitcnt vmcnt(0) lgkmcnt(0)
	v_fmac_f32_e32 v77, v81, v82
	s_and_not1_b32 exec_lo, exec_lo, s1
	s_cbranch_execnz .LBB99_107
; %bb.108:
	s_or_b32 exec_lo, exec_lo, s1
	v_mov_b32_e32 v78, 0
	ds_load_b32 v78, v78 offset:100
	s_waitcnt lgkmcnt(0)
	v_mul_f32_e32 v77, v77, v78
	scratch_store_b32 off, v77, off offset:100
.LBB99_109:
	s_or_b32 exec_lo, exec_lo, s0
	s_waitcnt_vscnt null, 0x0
	s_barrier
	buffer_gl0_inv
	scratch_load_b32 v77, off, off offset:104
	;; [unrolled: 39-line block ×10, first 2 shown]
	s_mov_b32 s0, exec_lo
	s_waitcnt vmcnt(0)
	ds_store_b32 v3, v77
	s_waitcnt lgkmcnt(0)
	s_barrier
	buffer_gl0_inv
	v_cmpx_gt_u32_e32 34, v0
	s_cbranch_execz .LBB99_145
; %bb.142:
	v_add_nc_u32_e32 v77, -1, v0
	v_add_nc_u32_e32 v78, 0x90, v1
	v_add_nc_u32_e32 v79, 0, v1
	v_mov_b32_e32 v1, 0
	s_mov_b32 s1, 0
.LBB99_143:                             ; =>This Inner Loop Header: Depth=1
	scratch_load_b32 v80, v79, off
	ds_load_b32 v81, v78
	v_add_nc_u32_e32 v77, 1, v77
	v_add_nc_u32_e32 v78, 4, v78
	;; [unrolled: 1-line block ×3, first 2 shown]
	s_delay_alu instid0(VALU_DEP_3)
	v_cmp_lt_u32_e32 vcc_lo, 32, v77
	s_or_b32 s1, vcc_lo, s1
	s_waitcnt vmcnt(0) lgkmcnt(0)
	v_fmac_f32_e32 v1, v80, v81
	s_and_not1_b32 exec_lo, exec_lo, s1
	s_cbranch_execnz .LBB99_143
; %bb.144:
	s_or_b32 exec_lo, exec_lo, s1
	v_mov_b32_e32 v77, 0
	ds_load_b32 v77, v77 offset:136
	s_waitcnt lgkmcnt(0)
	v_mul_f32_e32 v1, v1, v77
	scratch_store_b32 off, v1, off offset:136
.LBB99_145:
	s_or_b32 exec_lo, exec_lo, s0
	s_waitcnt_vscnt null, 0x0
	s_barrier
	buffer_gl0_inv
	scratch_load_b32 v1, off, off offset:140
	s_mov_b32 s0, exec_lo
	s_waitcnt vmcnt(0)
	ds_store_b32 v3, v1
	s_waitcnt lgkmcnt(0)
	s_barrier
	buffer_gl0_inv
	v_cmpx_ne_u32_e32 35, v0
	s_cbranch_execz .LBB99_149
; %bb.146:
	v_mov_b32_e32 v1, 0
	s_mov_b32 s1, 0
.LBB99_147:                             ; =>This Inner Loop Header: Depth=1
	scratch_load_b32 v77, v2, off
	ds_load_b32 v78, v3
	v_add_nc_u32_e32 v76, 1, v76
	v_add_nc_u32_e32 v3, 4, v3
	;; [unrolled: 1-line block ×3, first 2 shown]
	s_waitcnt vmcnt(0) lgkmcnt(0)
	v_fmac_f32_e32 v1, v77, v78
	v_cmp_lt_u32_e32 vcc_lo, 33, v76
	s_or_b32 s1, vcc_lo, s1
	s_delay_alu instid0(SALU_CYCLE_1)
	s_and_not1_b32 exec_lo, exec_lo, s1
	s_cbranch_execnz .LBB99_147
; %bb.148:
	s_or_b32 exec_lo, exec_lo, s1
	v_mov_b32_e32 v2, 0
	ds_load_b32 v2, v2 offset:140
	s_waitcnt lgkmcnt(0)
	v_mul_f32_e32 v1, v1, v2
	scratch_store_b32 off, v1, off offset:140
.LBB99_149:
	s_or_b32 exec_lo, exec_lo, s0
	s_mov_b32 s1, -1
	s_waitcnt_vscnt null, 0x0
	s_barrier
	buffer_gl0_inv
.LBB99_150:
	s_and_b32 vcc_lo, exec_lo, s1
	s_cbranch_vccz .LBB99_152
; %bb.151:
	s_lshl_b64 s[0:1], s[8:9], 2
	v_mov_b32_e32 v1, 0
	s_add_u32 s0, s6, s0
	s_addc_u32 s1, s7, s1
	global_load_b32 v1, v1, s[0:1]
	s_waitcnt vmcnt(0)
	v_cmp_ne_u32_e32 vcc_lo, 0, v1
	s_cbranch_vccz .LBB99_153
.LBB99_152:
	s_endpgm
.LBB99_153:
	v_lshl_add_u32 v1, v0, 2, 0x90
	s_mov_b32 s0, exec_lo
	v_cmpx_eq_u32_e32 35, v0
	s_cbranch_execz .LBB99_155
; %bb.154:
	scratch_load_b32 v2, off, off offset:136
	v_mov_b32_e32 v3, 0
	scratch_store_b32 off, v3, off offset:136
	s_waitcnt vmcnt(0)
	ds_store_b32 v1, v2
.LBB99_155:
	s_or_b32 exec_lo, exec_lo, s0
	s_waitcnt lgkmcnt(0)
	s_waitcnt_vscnt null, 0x0
	s_barrier
	buffer_gl0_inv
	scratch_load_b64 v[76:77], off, off offset:136
	v_mov_b32_e32 v2, 0
	s_mov_b32 s0, exec_lo
	ds_load_b32 v3, v2 offset:284
	s_waitcnt vmcnt(0) lgkmcnt(0)
	v_fma_f32 v3, v77, v3, 0
	s_delay_alu instid0(VALU_DEP_1)
	v_sub_f32_e32 v3, v76, v3
	scratch_store_b32 off, v3, off offset:136
	v_cmpx_lt_u32_e32 33, v0
	s_cbranch_execz .LBB99_157
; %bb.156:
	scratch_load_b32 v3, off, off offset:132
	scratch_store_b32 off, v2, off offset:132
	s_waitcnt vmcnt(0)
	ds_store_b32 v1, v3
.LBB99_157:
	s_or_b32 exec_lo, exec_lo, s0
	s_waitcnt lgkmcnt(0)
	s_waitcnt_vscnt null, 0x0
	s_barrier
	buffer_gl0_inv
	scratch_load_b96 v[76:78], off, off offset:132
	ds_load_b64 v[2:3], v2 offset:280
	s_mov_b32 s0, exec_lo
	s_waitcnt vmcnt(0) lgkmcnt(0)
	v_fma_f32 v2, v77, v2, 0
	s_delay_alu instid0(VALU_DEP_1) | instskip(NEXT) | instid1(VALU_DEP_1)
	v_fmac_f32_e32 v2, v78, v3
	v_sub_f32_e32 v2, v76, v2
	scratch_store_b32 off, v2, off offset:132
	v_cmpx_lt_u32_e32 32, v0
	s_cbranch_execz .LBB99_159
; %bb.158:
	scratch_load_b32 v2, off, off offset:128
	v_mov_b32_e32 v3, 0
	scratch_store_b32 off, v3, off offset:128
	s_waitcnt vmcnt(0)
	ds_store_b32 v1, v2
.LBB99_159:
	s_or_b32 exec_lo, exec_lo, s0
	s_waitcnt lgkmcnt(0)
	s_waitcnt_vscnt null, 0x0
	s_barrier
	buffer_gl0_inv
	scratch_load_b128 v[76:79], off, off offset:128
	v_mov_b32_e32 v2, 0
	ds_load_2addr_b32 v[80:81], v2 offset0:69 offset1:70
	ds_load_b32 v3, v2 offset:284
	s_mov_b32 s0, exec_lo
	s_waitcnt vmcnt(0) lgkmcnt(1)
	v_fma_f32 v77, v77, v80, 0
	s_delay_alu instid0(VALU_DEP_1) | instskip(SKIP_1) | instid1(VALU_DEP_1)
	v_fmac_f32_e32 v77, v78, v81
	s_waitcnt lgkmcnt(0)
	v_fmac_f32_e32 v77, v79, v3
	s_delay_alu instid0(VALU_DEP_1)
	v_sub_f32_e32 v3, v76, v77
	scratch_store_b32 off, v3, off offset:128
	v_cmpx_lt_u32_e32 31, v0
	s_cbranch_execz .LBB99_161
; %bb.160:
	scratch_load_b32 v3, off, off offset:124
	scratch_store_b32 off, v2, off offset:124
	s_waitcnt vmcnt(0)
	ds_store_b32 v1, v3
.LBB99_161:
	s_or_b32 exec_lo, exec_lo, s0
	s_waitcnt lgkmcnt(0)
	s_waitcnt_vscnt null, 0x0
	s_barrier
	buffer_gl0_inv
	s_clause 0x1
	scratch_load_b128 v[76:79], off, off offset:124
	scratch_load_b32 v3, off, off offset:140
	ds_load_b128 v[80:83], v2 offset:272
	s_mov_b32 s0, exec_lo
	s_waitcnt vmcnt(1) lgkmcnt(0)
	v_fma_f32 v2, v77, v80, 0
	s_delay_alu instid0(VALU_DEP_1) | instskip(NEXT) | instid1(VALU_DEP_1)
	v_fmac_f32_e32 v2, v78, v81
	v_fmac_f32_e32 v2, v79, v82
	s_waitcnt vmcnt(0)
	s_delay_alu instid0(VALU_DEP_1) | instskip(NEXT) | instid1(VALU_DEP_1)
	v_fmac_f32_e32 v2, v3, v83
	v_sub_f32_e32 v2, v76, v2
	scratch_store_b32 off, v2, off offset:124
	v_cmpx_lt_u32_e32 30, v0
	s_cbranch_execz .LBB99_163
; %bb.162:
	scratch_load_b32 v2, off, off offset:120
	v_mov_b32_e32 v3, 0
	scratch_store_b32 off, v3, off offset:120
	s_waitcnt vmcnt(0)
	ds_store_b32 v1, v2
.LBB99_163:
	s_or_b32 exec_lo, exec_lo, s0
	s_waitcnt lgkmcnt(0)
	s_waitcnt_vscnt null, 0x0
	s_barrier
	buffer_gl0_inv
	s_clause 0x1
	scratch_load_b128 v[76:79], off, off offset:120
	scratch_load_b64 v[80:81], off, off offset:136
	v_mov_b32_e32 v2, 0
	ds_load_2addr_b32 v[82:83], v2 offset0:67 offset1:68
	ds_load_2addr_b32 v[84:85], v2 offset0:69 offset1:70
	ds_load_b32 v3, v2 offset:284
	s_mov_b32 s0, exec_lo
	s_waitcnt vmcnt(1) lgkmcnt(2)
	v_fma_f32 v77, v77, v82, 0
	s_delay_alu instid0(VALU_DEP_1) | instskip(SKIP_1) | instid1(VALU_DEP_1)
	v_fmac_f32_e32 v77, v78, v83
	s_waitcnt lgkmcnt(1)
	v_fmac_f32_e32 v77, v79, v84
	s_waitcnt vmcnt(0)
	s_delay_alu instid0(VALU_DEP_1) | instskip(SKIP_1) | instid1(VALU_DEP_1)
	v_fmac_f32_e32 v77, v80, v85
	s_waitcnt lgkmcnt(0)
	v_fmac_f32_e32 v77, v81, v3
	s_delay_alu instid0(VALU_DEP_1)
	v_sub_f32_e32 v3, v76, v77
	scratch_store_b32 off, v3, off offset:120
	v_cmpx_lt_u32_e32 29, v0
	s_cbranch_execz .LBB99_165
; %bb.164:
	scratch_load_b32 v3, off, off offset:116
	scratch_store_b32 off, v2, off offset:116
	s_waitcnt vmcnt(0)
	ds_store_b32 v1, v3
.LBB99_165:
	s_or_b32 exec_lo, exec_lo, s0
	s_waitcnt lgkmcnt(0)
	s_waitcnt_vscnt null, 0x0
	s_barrier
	buffer_gl0_inv
	s_clause 0x1
	scratch_load_b128 v[76:79], off, off offset:116
	scratch_load_b96 v[84:86], off, off offset:132
	ds_load_2addr_b64 v[80:83], v2 offset0:33 offset1:34
	ds_load_b64 v[2:3], v2 offset:280
	s_mov_b32 s0, exec_lo
	s_waitcnt vmcnt(1) lgkmcnt(1)
	v_fma_f32 v77, v77, v80, 0
	s_delay_alu instid0(VALU_DEP_1) | instskip(NEXT) | instid1(VALU_DEP_1)
	v_fmac_f32_e32 v77, v78, v81
	v_fmac_f32_e32 v77, v79, v82
	s_waitcnt vmcnt(0)
	s_delay_alu instid0(VALU_DEP_1) | instskip(SKIP_1) | instid1(VALU_DEP_1)
	v_fmac_f32_e32 v77, v84, v83
	s_waitcnt lgkmcnt(0)
	v_fmac_f32_e32 v77, v85, v2
	s_delay_alu instid0(VALU_DEP_1) | instskip(NEXT) | instid1(VALU_DEP_1)
	v_fmac_f32_e32 v77, v86, v3
	v_sub_f32_e32 v2, v76, v77
	scratch_store_b32 off, v2, off offset:116
	v_cmpx_lt_u32_e32 28, v0
	s_cbranch_execz .LBB99_167
; %bb.166:
	scratch_load_b32 v2, off, off offset:112
	v_mov_b32_e32 v3, 0
	scratch_store_b32 off, v3, off offset:112
	s_waitcnt vmcnt(0)
	ds_store_b32 v1, v2
.LBB99_167:
	s_or_b32 exec_lo, exec_lo, s0
	s_waitcnt lgkmcnt(0)
	s_waitcnt_vscnt null, 0x0
	s_barrier
	buffer_gl0_inv
	s_clause 0x1
	scratch_load_b128 v[76:79], off, off offset:112
	scratch_load_b128 v[80:83], off, off offset:128
	v_mov_b32_e32 v2, 0
	ds_load_2addr_b32 v[84:85], v2 offset0:65 offset1:66
	ds_load_2addr_b32 v[86:87], v2 offset0:67 offset1:68
	ds_load_2addr_b32 v[88:89], v2 offset0:69 offset1:70
	ds_load_b32 v3, v2 offset:284
	s_mov_b32 s0, exec_lo
	s_waitcnt vmcnt(1) lgkmcnt(3)
	v_fma_f32 v77, v77, v84, 0
	s_delay_alu instid0(VALU_DEP_1) | instskip(SKIP_1) | instid1(VALU_DEP_1)
	v_fmac_f32_e32 v77, v78, v85
	s_waitcnt lgkmcnt(2)
	v_fmac_f32_e32 v77, v79, v86
	s_waitcnt vmcnt(0)
	s_delay_alu instid0(VALU_DEP_1) | instskip(SKIP_1) | instid1(VALU_DEP_1)
	v_fmac_f32_e32 v77, v80, v87
	s_waitcnt lgkmcnt(1)
	v_fmac_f32_e32 v77, v81, v88
	s_delay_alu instid0(VALU_DEP_1) | instskip(SKIP_1) | instid1(VALU_DEP_1)
	v_fmac_f32_e32 v77, v82, v89
	s_waitcnt lgkmcnt(0)
	v_fmac_f32_e32 v77, v83, v3
	s_delay_alu instid0(VALU_DEP_1)
	v_sub_f32_e32 v3, v76, v77
	scratch_store_b32 off, v3, off offset:112
	v_cmpx_lt_u32_e32 27, v0
	s_cbranch_execz .LBB99_169
; %bb.168:
	scratch_load_b32 v3, off, off offset:108
	scratch_store_b32 off, v2, off offset:108
	s_waitcnt vmcnt(0)
	ds_store_b32 v1, v3
.LBB99_169:
	s_or_b32 exec_lo, exec_lo, s0
	s_waitcnt lgkmcnt(0)
	s_waitcnt_vscnt null, 0x0
	s_barrier
	buffer_gl0_inv
	s_clause 0x2
	scratch_load_b128 v[76:79], off, off offset:108
	scratch_load_b128 v[80:83], off, off offset:124
	scratch_load_b32 v3, off, off offset:140
	ds_load_b128 v[84:87], v2 offset:256
	ds_load_b128 v[88:91], v2 offset:272
	s_mov_b32 s0, exec_lo
	s_waitcnt vmcnt(2) lgkmcnt(1)
	v_fma_f32 v2, v77, v84, 0
	s_delay_alu instid0(VALU_DEP_1) | instskip(NEXT) | instid1(VALU_DEP_1)
	v_fmac_f32_e32 v2, v78, v85
	v_fmac_f32_e32 v2, v79, v86
	s_waitcnt vmcnt(1)
	s_delay_alu instid0(VALU_DEP_1) | instskip(SKIP_1) | instid1(VALU_DEP_1)
	v_fmac_f32_e32 v2, v80, v87
	s_waitcnt lgkmcnt(0)
	v_fmac_f32_e32 v2, v81, v88
	s_delay_alu instid0(VALU_DEP_1) | instskip(NEXT) | instid1(VALU_DEP_1)
	v_fmac_f32_e32 v2, v82, v89
	v_fmac_f32_e32 v2, v83, v90
	s_waitcnt vmcnt(0)
	s_delay_alu instid0(VALU_DEP_1) | instskip(NEXT) | instid1(VALU_DEP_1)
	v_fmac_f32_e32 v2, v3, v91
	v_sub_f32_e32 v2, v76, v2
	scratch_store_b32 off, v2, off offset:108
	v_cmpx_lt_u32_e32 26, v0
	s_cbranch_execz .LBB99_171
; %bb.170:
	scratch_load_b32 v2, off, off offset:104
	v_mov_b32_e32 v3, 0
	scratch_store_b32 off, v3, off offset:104
	s_waitcnt vmcnt(0)
	ds_store_b32 v1, v2
.LBB99_171:
	s_or_b32 exec_lo, exec_lo, s0
	s_waitcnt lgkmcnt(0)
	s_waitcnt_vscnt null, 0x0
	s_barrier
	buffer_gl0_inv
	s_clause 0x2
	scratch_load_b128 v[76:79], off, off offset:104
	scratch_load_b128 v[80:83], off, off offset:120
	scratch_load_b64 v[84:85], off, off offset:136
	v_mov_b32_e32 v2, 0
	ds_load_2addr_b32 v[86:87], v2 offset0:63 offset1:64
	ds_load_2addr_b32 v[88:89], v2 offset0:65 offset1:66
	;; [unrolled: 1-line block ×4, first 2 shown]
	s_mov_b32 s0, exec_lo
	s_waitcnt vmcnt(2) lgkmcnt(3)
	v_fma_f32 v3, v77, v86, 0
	s_delay_alu instid0(VALU_DEP_1) | instskip(SKIP_4) | instid1(VALU_DEP_1)
	v_fmac_f32_e32 v3, v78, v87
	ds_load_b32 v77, v2 offset:284
	s_waitcnt lgkmcnt(3)
	v_fmac_f32_e32 v3, v79, v88
	s_waitcnt vmcnt(1)
	v_fmac_f32_e32 v3, v80, v89
	s_waitcnt lgkmcnt(2)
	s_delay_alu instid0(VALU_DEP_1) | instskip(NEXT) | instid1(VALU_DEP_1)
	v_fmac_f32_e32 v3, v81, v90
	v_fmac_f32_e32 v3, v82, v91
	s_waitcnt lgkmcnt(1)
	s_delay_alu instid0(VALU_DEP_1) | instskip(SKIP_1) | instid1(VALU_DEP_1)
	v_fmac_f32_e32 v3, v83, v92
	s_waitcnt vmcnt(0)
	v_fmac_f32_e32 v3, v84, v93
	s_waitcnt lgkmcnt(0)
	s_delay_alu instid0(VALU_DEP_1) | instskip(NEXT) | instid1(VALU_DEP_1)
	v_fmac_f32_e32 v3, v85, v77
	v_sub_f32_e32 v3, v76, v3
	scratch_store_b32 off, v3, off offset:104
	v_cmpx_lt_u32_e32 25, v0
	s_cbranch_execz .LBB99_173
; %bb.172:
	scratch_load_b32 v3, off, off offset:100
	scratch_store_b32 off, v2, off offset:100
	s_waitcnt vmcnt(0)
	ds_store_b32 v1, v3
.LBB99_173:
	s_or_b32 exec_lo, exec_lo, s0
	s_waitcnt lgkmcnt(0)
	s_waitcnt_vscnt null, 0x0
	s_barrier
	buffer_gl0_inv
	s_clause 0x2
	scratch_load_b128 v[76:79], off, off offset:100
	scratch_load_b128 v[80:83], off, off offset:116
	scratch_load_b96 v[92:94], off, off offset:132
	ds_load_2addr_b64 v[84:87], v2 offset0:31 offset1:32
	ds_load_2addr_b64 v[88:91], v2 offset0:33 offset1:34
	ds_load_b64 v[2:3], v2 offset:280
	s_mov_b32 s0, exec_lo
	s_waitcnt vmcnt(2) lgkmcnt(2)
	v_fma_f32 v77, v77, v84, 0
	s_delay_alu instid0(VALU_DEP_1) | instskip(NEXT) | instid1(VALU_DEP_1)
	v_fmac_f32_e32 v77, v78, v85
	v_fmac_f32_e32 v77, v79, v86
	s_waitcnt vmcnt(1)
	s_delay_alu instid0(VALU_DEP_1) | instskip(SKIP_1) | instid1(VALU_DEP_1)
	v_fmac_f32_e32 v77, v80, v87
	s_waitcnt lgkmcnt(1)
	v_fmac_f32_e32 v77, v81, v88
	s_delay_alu instid0(VALU_DEP_1) | instskip(NEXT) | instid1(VALU_DEP_1)
	v_fmac_f32_e32 v77, v82, v89
	v_fmac_f32_e32 v77, v83, v90
	s_waitcnt vmcnt(0)
	s_delay_alu instid0(VALU_DEP_1) | instskip(SKIP_1) | instid1(VALU_DEP_1)
	v_fmac_f32_e32 v77, v92, v91
	s_waitcnt lgkmcnt(0)
	v_fmac_f32_e32 v77, v93, v2
	s_delay_alu instid0(VALU_DEP_1) | instskip(NEXT) | instid1(VALU_DEP_1)
	v_fmac_f32_e32 v77, v94, v3
	v_sub_f32_e32 v2, v76, v77
	scratch_store_b32 off, v2, off offset:100
	v_cmpx_lt_u32_e32 24, v0
	s_cbranch_execz .LBB99_175
; %bb.174:
	scratch_load_b32 v2, off, off offset:96
	v_mov_b32_e32 v3, 0
	scratch_store_b32 off, v3, off offset:96
	s_waitcnt vmcnt(0)
	ds_store_b32 v1, v2
.LBB99_175:
	s_or_b32 exec_lo, exec_lo, s0
	s_waitcnt lgkmcnt(0)
	s_waitcnt_vscnt null, 0x0
	s_barrier
	buffer_gl0_inv
	s_clause 0x2
	scratch_load_b128 v[76:79], off, off offset:96
	scratch_load_b128 v[80:83], off, off offset:112
	;; [unrolled: 1-line block ×3, first 2 shown]
	v_mov_b32_e32 v2, 0
	ds_load_2addr_b32 v[88:89], v2 offset0:61 offset1:62
	ds_load_2addr_b32 v[90:91], v2 offset0:63 offset1:64
	;; [unrolled: 1-line block ×4, first 2 shown]
	s_mov_b32 s0, exec_lo
	s_waitcnt vmcnt(2) lgkmcnt(3)
	v_fma_f32 v3, v77, v88, 0
	s_delay_alu instid0(VALU_DEP_1)
	v_fmac_f32_e32 v3, v78, v89
	ds_load_2addr_b32 v[77:78], v2 offset0:69 offset1:70
	s_waitcnt lgkmcnt(3)
	v_fmac_f32_e32 v3, v79, v90
	ds_load_b32 v79, v2 offset:284
	s_waitcnt vmcnt(1)
	v_fmac_f32_e32 v3, v80, v91
	s_waitcnt lgkmcnt(3)
	s_delay_alu instid0(VALU_DEP_1) | instskip(NEXT) | instid1(VALU_DEP_1)
	v_fmac_f32_e32 v3, v81, v92
	v_fmac_f32_e32 v3, v82, v93
	s_waitcnt lgkmcnt(2)
	s_delay_alu instid0(VALU_DEP_1) | instskip(SKIP_1) | instid1(VALU_DEP_1)
	v_fmac_f32_e32 v3, v83, v94
	s_waitcnt vmcnt(0)
	v_fmac_f32_e32 v3, v84, v95
	s_waitcnt lgkmcnt(1)
	s_delay_alu instid0(VALU_DEP_1) | instskip(NEXT) | instid1(VALU_DEP_1)
	v_fmac_f32_e32 v3, v85, v77
	v_fmac_f32_e32 v3, v86, v78
	s_waitcnt lgkmcnt(0)
	s_delay_alu instid0(VALU_DEP_1) | instskip(NEXT) | instid1(VALU_DEP_1)
	v_fmac_f32_e32 v3, v87, v79
	v_sub_f32_e32 v3, v76, v3
	scratch_store_b32 off, v3, off offset:96
	v_cmpx_lt_u32_e32 23, v0
	s_cbranch_execz .LBB99_177
; %bb.176:
	scratch_load_b32 v3, off, off offset:92
	scratch_store_b32 off, v2, off offset:92
	s_waitcnt vmcnt(0)
	ds_store_b32 v1, v3
.LBB99_177:
	s_or_b32 exec_lo, exec_lo, s0
	s_waitcnt lgkmcnt(0)
	s_waitcnt_vscnt null, 0x0
	s_barrier
	buffer_gl0_inv
	s_clause 0x3
	scratch_load_b128 v[76:79], off, off offset:92
	scratch_load_b128 v[80:83], off, off offset:108
	;; [unrolled: 1-line block ×3, first 2 shown]
	scratch_load_b32 v3, off, off offset:140
	ds_load_b128 v[88:91], v2 offset:240
	ds_load_b128 v[92:95], v2 offset:256
	s_mov_b32 s0, exec_lo
	s_waitcnt vmcnt(3) lgkmcnt(1)
	v_fma_f32 v88, v77, v88, 0
	s_delay_alu instid0(VALU_DEP_1) | instskip(NEXT) | instid1(VALU_DEP_1)
	v_fmac_f32_e32 v88, v78, v89
	v_fmac_f32_e32 v88, v79, v90
	s_waitcnt vmcnt(2)
	s_delay_alu instid0(VALU_DEP_1) | instskip(SKIP_3) | instid1(VALU_DEP_1)
	v_fmac_f32_e32 v88, v80, v91
	ds_load_b128 v[77:80], v2 offset:272
	s_waitcnt lgkmcnt(1)
	v_fmac_f32_e32 v88, v81, v92
	v_fmac_f32_e32 v88, v82, v93
	s_delay_alu instid0(VALU_DEP_1) | instskip(SKIP_1) | instid1(VALU_DEP_1)
	v_fmac_f32_e32 v88, v83, v94
	s_waitcnt vmcnt(1)
	v_fmac_f32_e32 v88, v84, v95
	s_waitcnt lgkmcnt(0)
	s_delay_alu instid0(VALU_DEP_1) | instskip(NEXT) | instid1(VALU_DEP_1)
	v_fmac_f32_e32 v88, v85, v77
	v_fmac_f32_e32 v88, v86, v78
	s_delay_alu instid0(VALU_DEP_1) | instskip(SKIP_1) | instid1(VALU_DEP_1)
	v_fmac_f32_e32 v88, v87, v79
	s_waitcnt vmcnt(0)
	v_fmac_f32_e32 v88, v3, v80
	s_delay_alu instid0(VALU_DEP_1)
	v_sub_f32_e32 v2, v76, v88
	scratch_store_b32 off, v2, off offset:92
	v_cmpx_lt_u32_e32 22, v0
	s_cbranch_execz .LBB99_179
; %bb.178:
	scratch_load_b32 v2, off, off offset:88
	v_mov_b32_e32 v3, 0
	scratch_store_b32 off, v3, off offset:88
	s_waitcnt vmcnt(0)
	ds_store_b32 v1, v2
.LBB99_179:
	s_or_b32 exec_lo, exec_lo, s0
	s_waitcnt lgkmcnt(0)
	s_waitcnt_vscnt null, 0x0
	s_barrier
	buffer_gl0_inv
	s_clause 0x3
	scratch_load_b128 v[76:79], off, off offset:88
	scratch_load_b128 v[80:83], off, off offset:104
	;; [unrolled: 1-line block ×3, first 2 shown]
	scratch_load_b64 v[88:89], off, off offset:136
	v_mov_b32_e32 v2, 0
	ds_load_2addr_b32 v[90:91], v2 offset0:59 offset1:60
	ds_load_2addr_b32 v[92:93], v2 offset0:61 offset1:62
	ds_load_2addr_b32 v[94:95], v2 offset0:63 offset1:64
	ds_load_2addr_b32 v[96:97], v2 offset0:65 offset1:66
	s_mov_b32 s0, exec_lo
	s_waitcnt vmcnt(3) lgkmcnt(3)
	v_fma_f32 v3, v77, v90, 0
	s_delay_alu instid0(VALU_DEP_1) | instskip(SKIP_4) | instid1(VALU_DEP_1)
	v_fmac_f32_e32 v3, v78, v91
	ds_load_2addr_b32 v[77:78], v2 offset0:67 offset1:68
	s_waitcnt lgkmcnt(3)
	v_fmac_f32_e32 v3, v79, v92
	s_waitcnt vmcnt(2)
	v_fmac_f32_e32 v3, v80, v93
	ds_load_2addr_b32 v[79:80], v2 offset0:69 offset1:70
	s_waitcnt lgkmcnt(3)
	v_fmac_f32_e32 v3, v81, v94
	ds_load_b32 v81, v2 offset:284
	v_fmac_f32_e32 v3, v82, v95
	s_waitcnt lgkmcnt(3)
	s_delay_alu instid0(VALU_DEP_1) | instskip(SKIP_1) | instid1(VALU_DEP_1)
	v_fmac_f32_e32 v3, v83, v96
	s_waitcnt vmcnt(1)
	v_fmac_f32_e32 v3, v84, v97
	s_waitcnt lgkmcnt(2)
	s_delay_alu instid0(VALU_DEP_1) | instskip(NEXT) | instid1(VALU_DEP_1)
	v_fmac_f32_e32 v3, v85, v77
	v_fmac_f32_e32 v3, v86, v78
	s_waitcnt lgkmcnt(1)
	s_delay_alu instid0(VALU_DEP_1) | instskip(SKIP_1) | instid1(VALU_DEP_1)
	v_fmac_f32_e32 v3, v87, v79
	s_waitcnt vmcnt(0)
	v_fmac_f32_e32 v3, v88, v80
	s_waitcnt lgkmcnt(0)
	s_delay_alu instid0(VALU_DEP_1) | instskip(NEXT) | instid1(VALU_DEP_1)
	v_fmac_f32_e32 v3, v89, v81
	v_sub_f32_e32 v3, v76, v3
	scratch_store_b32 off, v3, off offset:88
	v_cmpx_lt_u32_e32 21, v0
	s_cbranch_execz .LBB99_181
; %bb.180:
	scratch_load_b32 v3, off, off offset:84
	scratch_store_b32 off, v2, off offset:84
	s_waitcnt vmcnt(0)
	ds_store_b32 v1, v3
.LBB99_181:
	s_or_b32 exec_lo, exec_lo, s0
	s_waitcnt lgkmcnt(0)
	s_waitcnt_vscnt null, 0x0
	s_barrier
	buffer_gl0_inv
	s_clause 0x3
	scratch_load_b128 v[76:79], off, off offset:84
	scratch_load_b128 v[80:83], off, off offset:100
	;; [unrolled: 1-line block ×3, first 2 shown]
	scratch_load_b96 v[96:98], off, off offset:132
	ds_load_2addr_b64 v[88:91], v2 offset0:29 offset1:30
	ds_load_2addr_b64 v[92:95], v2 offset0:31 offset1:32
	s_mov_b32 s0, exec_lo
	s_waitcnt vmcnt(3) lgkmcnt(1)
	v_fma_f32 v88, v77, v88, 0
	s_delay_alu instid0(VALU_DEP_1) | instskip(NEXT) | instid1(VALU_DEP_1)
	v_fmac_f32_e32 v88, v78, v89
	v_fmac_f32_e32 v88, v79, v90
	s_waitcnt vmcnt(2)
	s_delay_alu instid0(VALU_DEP_1) | instskip(SKIP_4) | instid1(VALU_DEP_1)
	v_fmac_f32_e32 v88, v80, v91
	ds_load_2addr_b64 v[77:80], v2 offset0:33 offset1:34
	ds_load_b64 v[2:3], v2 offset:280
	s_waitcnt lgkmcnt(2)
	v_fmac_f32_e32 v88, v81, v92
	v_fmac_f32_e32 v88, v82, v93
	s_delay_alu instid0(VALU_DEP_1) | instskip(SKIP_1) | instid1(VALU_DEP_1)
	v_fmac_f32_e32 v88, v83, v94
	s_waitcnt vmcnt(1)
	v_fmac_f32_e32 v88, v84, v95
	s_waitcnt lgkmcnt(1)
	s_delay_alu instid0(VALU_DEP_1) | instskip(NEXT) | instid1(VALU_DEP_1)
	v_fmac_f32_e32 v88, v85, v77
	v_fmac_f32_e32 v88, v86, v78
	s_delay_alu instid0(VALU_DEP_1) | instskip(SKIP_1) | instid1(VALU_DEP_1)
	v_fmac_f32_e32 v88, v87, v79
	s_waitcnt vmcnt(0)
	v_fmac_f32_e32 v88, v96, v80
	s_waitcnt lgkmcnt(0)
	s_delay_alu instid0(VALU_DEP_1) | instskip(NEXT) | instid1(VALU_DEP_1)
	v_fmac_f32_e32 v88, v97, v2
	v_fmac_f32_e32 v88, v98, v3
	s_delay_alu instid0(VALU_DEP_1)
	v_sub_f32_e32 v2, v76, v88
	scratch_store_b32 off, v2, off offset:84
	v_cmpx_lt_u32_e32 20, v0
	s_cbranch_execz .LBB99_183
; %bb.182:
	scratch_load_b32 v2, off, off offset:80
	v_mov_b32_e32 v3, 0
	scratch_store_b32 off, v3, off offset:80
	s_waitcnt vmcnt(0)
	ds_store_b32 v1, v2
.LBB99_183:
	s_or_b32 exec_lo, exec_lo, s0
	s_waitcnt lgkmcnt(0)
	s_waitcnt_vscnt null, 0x0
	s_barrier
	buffer_gl0_inv
	s_clause 0x3
	scratch_load_b128 v[76:79], off, off offset:80
	scratch_load_b128 v[80:83], off, off offset:96
	;; [unrolled: 1-line block ×4, first 2 shown]
	v_mov_b32_e32 v2, 0
	ds_load_2addr_b32 v[92:93], v2 offset0:57 offset1:58
	ds_load_2addr_b32 v[94:95], v2 offset0:59 offset1:60
	;; [unrolled: 1-line block ×4, first 2 shown]
	s_mov_b32 s0, exec_lo
	s_waitcnt vmcnt(3) lgkmcnt(3)
	v_fma_f32 v3, v77, v92, 0
	s_delay_alu instid0(VALU_DEP_1) | instskip(SKIP_4) | instid1(VALU_DEP_1)
	v_fmac_f32_e32 v3, v78, v93
	ds_load_2addr_b32 v[77:78], v2 offset0:65 offset1:66
	s_waitcnt lgkmcnt(3)
	v_fmac_f32_e32 v3, v79, v94
	s_waitcnt vmcnt(2)
	v_fmac_f32_e32 v3, v80, v95
	ds_load_2addr_b32 v[79:80], v2 offset0:67 offset1:68
	s_waitcnt lgkmcnt(3)
	v_fmac_f32_e32 v3, v81, v96
	s_delay_alu instid0(VALU_DEP_1) | instskip(SKIP_1) | instid1(VALU_DEP_1)
	v_fmac_f32_e32 v3, v82, v97
	s_waitcnt lgkmcnt(2)
	v_fmac_f32_e32 v3, v83, v98
	ds_load_2addr_b32 v[81:82], v2 offset0:69 offset1:70
	ds_load_b32 v83, v2 offset:284
	s_waitcnt vmcnt(1)
	v_fmac_f32_e32 v3, v84, v99
	s_waitcnt lgkmcnt(3)
	s_delay_alu instid0(VALU_DEP_1) | instskip(NEXT) | instid1(VALU_DEP_1)
	v_fmac_f32_e32 v3, v85, v77
	v_fmac_f32_e32 v3, v86, v78
	s_waitcnt lgkmcnt(2)
	s_delay_alu instid0(VALU_DEP_1) | instskip(SKIP_1) | instid1(VALU_DEP_1)
	v_fmac_f32_e32 v3, v87, v79
	s_waitcnt vmcnt(0)
	v_fmac_f32_e32 v3, v88, v80
	s_waitcnt lgkmcnt(1)
	s_delay_alu instid0(VALU_DEP_1) | instskip(NEXT) | instid1(VALU_DEP_1)
	v_fmac_f32_e32 v3, v89, v81
	v_fmac_f32_e32 v3, v90, v82
	s_waitcnt lgkmcnt(0)
	s_delay_alu instid0(VALU_DEP_1) | instskip(NEXT) | instid1(VALU_DEP_1)
	v_fmac_f32_e32 v3, v91, v83
	v_sub_f32_e32 v3, v76, v3
	scratch_store_b32 off, v3, off offset:80
	v_cmpx_lt_u32_e32 19, v0
	s_cbranch_execz .LBB99_185
; %bb.184:
	scratch_load_b32 v3, off, off offset:76
	scratch_store_b32 off, v2, off offset:76
	s_waitcnt vmcnt(0)
	ds_store_b32 v1, v3
.LBB99_185:
	s_or_b32 exec_lo, exec_lo, s0
	s_waitcnt lgkmcnt(0)
	s_waitcnt_vscnt null, 0x0
	s_barrier
	buffer_gl0_inv
	s_clause 0x4
	scratch_load_b128 v[76:79], off, off offset:76
	scratch_load_b128 v[80:83], off, off offset:92
	;; [unrolled: 1-line block ×4, first 2 shown]
	scratch_load_b32 v3, off, off offset:140
	ds_load_b128 v[92:95], v2 offset:224
	ds_load_b128 v[96:99], v2 offset:240
	s_mov_b32 s0, exec_lo
	s_waitcnt vmcnt(4) lgkmcnt(1)
	v_fma_f32 v92, v77, v92, 0
	s_delay_alu instid0(VALU_DEP_1) | instskip(NEXT) | instid1(VALU_DEP_1)
	v_fmac_f32_e32 v92, v78, v93
	v_fmac_f32_e32 v92, v79, v94
	s_waitcnt vmcnt(3)
	s_delay_alu instid0(VALU_DEP_1) | instskip(SKIP_3) | instid1(VALU_DEP_1)
	v_fmac_f32_e32 v92, v80, v95
	ds_load_b128 v[77:80], v2 offset:256
	s_waitcnt lgkmcnt(1)
	v_fmac_f32_e32 v92, v81, v96
	v_fmac_f32_e32 v92, v82, v97
	s_delay_alu instid0(VALU_DEP_1) | instskip(SKIP_1) | instid1(VALU_DEP_1)
	v_fmac_f32_e32 v92, v83, v98
	s_waitcnt vmcnt(2)
	v_fmac_f32_e32 v92, v84, v99
	ds_load_b128 v[81:84], v2 offset:272
	s_waitcnt lgkmcnt(1)
	v_fmac_f32_e32 v92, v85, v77
	s_delay_alu instid0(VALU_DEP_1) | instskip(NEXT) | instid1(VALU_DEP_1)
	v_fmac_f32_e32 v92, v86, v78
	v_fmac_f32_e32 v92, v87, v79
	s_waitcnt vmcnt(1)
	s_delay_alu instid0(VALU_DEP_1) | instskip(SKIP_1) | instid1(VALU_DEP_1)
	v_fmac_f32_e32 v92, v88, v80
	s_waitcnt lgkmcnt(0)
	v_fmac_f32_e32 v92, v89, v81
	s_delay_alu instid0(VALU_DEP_1) | instskip(NEXT) | instid1(VALU_DEP_1)
	v_fmac_f32_e32 v92, v90, v82
	v_fmac_f32_e32 v92, v91, v83
	s_waitcnt vmcnt(0)
	s_delay_alu instid0(VALU_DEP_1) | instskip(NEXT) | instid1(VALU_DEP_1)
	v_fmac_f32_e32 v92, v3, v84
	v_sub_f32_e32 v2, v76, v92
	scratch_store_b32 off, v2, off offset:76
	v_cmpx_lt_u32_e32 18, v0
	s_cbranch_execz .LBB99_187
; %bb.186:
	scratch_load_b32 v2, off, off offset:72
	v_mov_b32_e32 v3, 0
	scratch_store_b32 off, v3, off offset:72
	s_waitcnt vmcnt(0)
	ds_store_b32 v1, v2
.LBB99_187:
	s_or_b32 exec_lo, exec_lo, s0
	s_waitcnt lgkmcnt(0)
	s_waitcnt_vscnt null, 0x0
	s_barrier
	buffer_gl0_inv
	s_clause 0x4
	scratch_load_b128 v[76:79], off, off offset:72
	scratch_load_b128 v[80:83], off, off offset:88
	;; [unrolled: 1-line block ×4, first 2 shown]
	scratch_load_b64 v[92:93], off, off offset:136
	v_mov_b32_e32 v2, 0
	ds_load_2addr_b32 v[94:95], v2 offset0:55 offset1:56
	ds_load_2addr_b32 v[96:97], v2 offset0:57 offset1:58
	;; [unrolled: 1-line block ×4, first 2 shown]
	s_mov_b32 s0, exec_lo
	s_waitcnt vmcnt(4) lgkmcnt(3)
	v_fma_f32 v3, v77, v94, 0
	s_delay_alu instid0(VALU_DEP_1) | instskip(SKIP_4) | instid1(VALU_DEP_1)
	v_fmac_f32_e32 v3, v78, v95
	ds_load_2addr_b32 v[77:78], v2 offset0:63 offset1:64
	s_waitcnt lgkmcnt(3)
	v_fmac_f32_e32 v3, v79, v96
	s_waitcnt vmcnt(3)
	v_fmac_f32_e32 v3, v80, v97
	ds_load_2addr_b32 v[79:80], v2 offset0:65 offset1:66
	s_waitcnt lgkmcnt(3)
	v_fmac_f32_e32 v3, v81, v98
	s_delay_alu instid0(VALU_DEP_1) | instskip(SKIP_1) | instid1(VALU_DEP_1)
	v_fmac_f32_e32 v3, v82, v99
	s_waitcnt lgkmcnt(2)
	v_fmac_f32_e32 v3, v83, v100
	s_waitcnt vmcnt(2)
	s_delay_alu instid0(VALU_DEP_1)
	v_fmac_f32_e32 v3, v84, v101
	ds_load_2addr_b32 v[81:82], v2 offset0:67 offset1:68
	ds_load_2addr_b32 v[83:84], v2 offset0:69 offset1:70
	s_waitcnt lgkmcnt(3)
	v_fmac_f32_e32 v3, v85, v77
	ds_load_b32 v77, v2 offset:284
	v_fmac_f32_e32 v3, v86, v78
	s_waitcnt lgkmcnt(3)
	s_delay_alu instid0(VALU_DEP_1) | instskip(SKIP_1) | instid1(VALU_DEP_1)
	v_fmac_f32_e32 v3, v87, v79
	s_waitcnt vmcnt(1)
	v_fmac_f32_e32 v3, v88, v80
	s_waitcnt lgkmcnt(2)
	s_delay_alu instid0(VALU_DEP_1) | instskip(NEXT) | instid1(VALU_DEP_1)
	v_fmac_f32_e32 v3, v89, v81
	v_fmac_f32_e32 v3, v90, v82
	s_waitcnt lgkmcnt(1)
	s_delay_alu instid0(VALU_DEP_1) | instskip(SKIP_1) | instid1(VALU_DEP_1)
	v_fmac_f32_e32 v3, v91, v83
	s_waitcnt vmcnt(0)
	v_fmac_f32_e32 v3, v92, v84
	s_waitcnt lgkmcnt(0)
	s_delay_alu instid0(VALU_DEP_1) | instskip(NEXT) | instid1(VALU_DEP_1)
	v_fmac_f32_e32 v3, v93, v77
	v_sub_f32_e32 v3, v76, v3
	scratch_store_b32 off, v3, off offset:72
	v_cmpx_lt_u32_e32 17, v0
	s_cbranch_execz .LBB99_189
; %bb.188:
	scratch_load_b32 v3, off, off offset:68
	scratch_store_b32 off, v2, off offset:68
	s_waitcnt vmcnt(0)
	ds_store_b32 v1, v3
.LBB99_189:
	s_or_b32 exec_lo, exec_lo, s0
	s_waitcnt lgkmcnt(0)
	s_waitcnt_vscnt null, 0x0
	s_barrier
	buffer_gl0_inv
	s_clause 0x4
	scratch_load_b128 v[76:79], off, off offset:68
	scratch_load_b128 v[80:83], off, off offset:84
	;; [unrolled: 1-line block ×4, first 2 shown]
	scratch_load_b96 v[100:102], off, off offset:132
	ds_load_2addr_b64 v[92:95], v2 offset0:27 offset1:28
	ds_load_2addr_b64 v[96:99], v2 offset0:29 offset1:30
	s_mov_b32 s0, exec_lo
	s_waitcnt vmcnt(4) lgkmcnt(1)
	v_fma_f32 v92, v77, v92, 0
	s_delay_alu instid0(VALU_DEP_1) | instskip(NEXT) | instid1(VALU_DEP_1)
	v_fmac_f32_e32 v92, v78, v93
	v_fmac_f32_e32 v92, v79, v94
	s_waitcnt vmcnt(3)
	s_delay_alu instid0(VALU_DEP_1) | instskip(SKIP_3) | instid1(VALU_DEP_1)
	v_fmac_f32_e32 v92, v80, v95
	ds_load_2addr_b64 v[77:80], v2 offset0:31 offset1:32
	s_waitcnt lgkmcnt(1)
	v_fmac_f32_e32 v92, v81, v96
	v_fmac_f32_e32 v92, v82, v97
	s_delay_alu instid0(VALU_DEP_1) | instskip(SKIP_1) | instid1(VALU_DEP_1)
	v_fmac_f32_e32 v92, v83, v98
	s_waitcnt vmcnt(2)
	v_fmac_f32_e32 v92, v84, v99
	ds_load_2addr_b64 v[81:84], v2 offset0:33 offset1:34
	ds_load_b64 v[2:3], v2 offset:280
	s_waitcnt lgkmcnt(2)
	v_fmac_f32_e32 v92, v85, v77
	s_delay_alu instid0(VALU_DEP_1) | instskip(NEXT) | instid1(VALU_DEP_1)
	v_fmac_f32_e32 v92, v86, v78
	v_fmac_f32_e32 v92, v87, v79
	s_waitcnt vmcnt(1)
	s_delay_alu instid0(VALU_DEP_1) | instskip(SKIP_1) | instid1(VALU_DEP_1)
	v_fmac_f32_e32 v92, v88, v80
	s_waitcnt lgkmcnt(1)
	v_fmac_f32_e32 v92, v89, v81
	s_delay_alu instid0(VALU_DEP_1) | instskip(NEXT) | instid1(VALU_DEP_1)
	v_fmac_f32_e32 v92, v90, v82
	v_fmac_f32_e32 v92, v91, v83
	s_waitcnt vmcnt(0)
	s_delay_alu instid0(VALU_DEP_1) | instskip(SKIP_1) | instid1(VALU_DEP_1)
	v_fmac_f32_e32 v92, v100, v84
	s_waitcnt lgkmcnt(0)
	v_fmac_f32_e32 v92, v101, v2
	s_delay_alu instid0(VALU_DEP_1) | instskip(NEXT) | instid1(VALU_DEP_1)
	v_fmac_f32_e32 v92, v102, v3
	v_sub_f32_e32 v2, v76, v92
	scratch_store_b32 off, v2, off offset:68
	v_cmpx_lt_u32_e32 16, v0
	s_cbranch_execz .LBB99_191
; %bb.190:
	scratch_load_b32 v2, off, off offset:64
	v_mov_b32_e32 v3, 0
	scratch_store_b32 off, v3, off offset:64
	s_waitcnt vmcnt(0)
	ds_store_b32 v1, v2
.LBB99_191:
	s_or_b32 exec_lo, exec_lo, s0
	s_waitcnt lgkmcnt(0)
	s_waitcnt_vscnt null, 0x0
	s_barrier
	buffer_gl0_inv
	s_clause 0x4
	scratch_load_b128 v[76:79], off, off offset:64
	scratch_load_b128 v[80:83], off, off offset:80
	;; [unrolled: 1-line block ×5, first 2 shown]
	v_mov_b32_e32 v2, 0
	ds_load_2addr_b32 v[96:97], v2 offset0:53 offset1:54
	ds_load_2addr_b32 v[98:99], v2 offset0:55 offset1:56
	;; [unrolled: 1-line block ×4, first 2 shown]
	s_mov_b32 s0, exec_lo
	s_waitcnt vmcnt(4) lgkmcnt(3)
	v_fma_f32 v3, v77, v96, 0
	s_delay_alu instid0(VALU_DEP_1) | instskip(SKIP_4) | instid1(VALU_DEP_1)
	v_fmac_f32_e32 v3, v78, v97
	ds_load_2addr_b32 v[77:78], v2 offset0:61 offset1:62
	s_waitcnt lgkmcnt(3)
	v_fmac_f32_e32 v3, v79, v98
	s_waitcnt vmcnt(3)
	v_fmac_f32_e32 v3, v80, v99
	ds_load_2addr_b32 v[79:80], v2 offset0:63 offset1:64
	s_waitcnt lgkmcnt(3)
	v_fmac_f32_e32 v3, v81, v100
	s_delay_alu instid0(VALU_DEP_1) | instskip(SKIP_1) | instid1(VALU_DEP_1)
	v_fmac_f32_e32 v3, v82, v101
	s_waitcnt lgkmcnt(2)
	v_fmac_f32_e32 v3, v83, v102
	s_waitcnt vmcnt(2)
	s_delay_alu instid0(VALU_DEP_1) | instskip(SKIP_4) | instid1(VALU_DEP_1)
	v_fmac_f32_e32 v3, v84, v103
	ds_load_2addr_b32 v[81:82], v2 offset0:65 offset1:66
	ds_load_2addr_b32 v[83:84], v2 offset0:67 offset1:68
	s_waitcnt lgkmcnt(3)
	v_fmac_f32_e32 v3, v85, v77
	v_fmac_f32_e32 v3, v86, v78
	ds_load_2addr_b32 v[77:78], v2 offset0:69 offset1:70
	s_waitcnt lgkmcnt(3)
	v_fmac_f32_e32 v3, v87, v79
	ds_load_b32 v79, v2 offset:284
	s_waitcnt vmcnt(1)
	v_fmac_f32_e32 v3, v88, v80
	s_waitcnt lgkmcnt(3)
	s_delay_alu instid0(VALU_DEP_1) | instskip(NEXT) | instid1(VALU_DEP_1)
	v_fmac_f32_e32 v3, v89, v81
	v_fmac_f32_e32 v3, v90, v82
	s_waitcnt lgkmcnt(2)
	s_delay_alu instid0(VALU_DEP_1) | instskip(SKIP_1) | instid1(VALU_DEP_1)
	v_fmac_f32_e32 v3, v91, v83
	s_waitcnt vmcnt(0)
	v_fmac_f32_e32 v3, v92, v84
	s_waitcnt lgkmcnt(1)
	s_delay_alu instid0(VALU_DEP_1) | instskip(NEXT) | instid1(VALU_DEP_1)
	v_fmac_f32_e32 v3, v93, v77
	v_fmac_f32_e32 v3, v94, v78
	s_waitcnt lgkmcnt(0)
	s_delay_alu instid0(VALU_DEP_1) | instskip(NEXT) | instid1(VALU_DEP_1)
	v_fmac_f32_e32 v3, v95, v79
	v_sub_f32_e32 v3, v76, v3
	scratch_store_b32 off, v3, off offset:64
	v_cmpx_lt_u32_e32 15, v0
	s_cbranch_execz .LBB99_193
; %bb.192:
	scratch_load_b32 v3, off, off offset:60
	scratch_store_b32 off, v2, off offset:60
	s_waitcnt vmcnt(0)
	ds_store_b32 v1, v3
.LBB99_193:
	s_or_b32 exec_lo, exec_lo, s0
	s_waitcnt lgkmcnt(0)
	s_waitcnt_vscnt null, 0x0
	s_barrier
	buffer_gl0_inv
	s_clause 0x5
	scratch_load_b128 v[76:79], off, off offset:60
	scratch_load_b128 v[80:83], off, off offset:76
	;; [unrolled: 1-line block ×5, first 2 shown]
	scratch_load_b32 v3, off, off offset:140
	ds_load_b128 v[96:99], v2 offset:208
	ds_load_b128 v[100:103], v2 offset:224
	s_mov_b32 s0, exec_lo
	s_waitcnt vmcnt(5) lgkmcnt(1)
	v_fma_f32 v96, v77, v96, 0
	s_delay_alu instid0(VALU_DEP_1) | instskip(NEXT) | instid1(VALU_DEP_1)
	v_fmac_f32_e32 v96, v78, v97
	v_fmac_f32_e32 v96, v79, v98
	s_waitcnt vmcnt(4)
	s_delay_alu instid0(VALU_DEP_1) | instskip(SKIP_3) | instid1(VALU_DEP_1)
	v_fmac_f32_e32 v96, v80, v99
	ds_load_b128 v[77:80], v2 offset:240
	s_waitcnt lgkmcnt(1)
	v_fmac_f32_e32 v96, v81, v100
	v_fmac_f32_e32 v96, v82, v101
	s_delay_alu instid0(VALU_DEP_1) | instskip(SKIP_1) | instid1(VALU_DEP_1)
	v_fmac_f32_e32 v96, v83, v102
	s_waitcnt vmcnt(3)
	v_fmac_f32_e32 v96, v84, v103
	ds_load_b128 v[81:84], v2 offset:256
	s_waitcnt lgkmcnt(1)
	v_fmac_f32_e32 v96, v85, v77
	s_delay_alu instid0(VALU_DEP_1) | instskip(NEXT) | instid1(VALU_DEP_1)
	v_fmac_f32_e32 v96, v86, v78
	v_fmac_f32_e32 v96, v87, v79
	s_waitcnt vmcnt(2)
	s_delay_alu instid0(VALU_DEP_1) | instskip(SKIP_3) | instid1(VALU_DEP_1)
	v_fmac_f32_e32 v96, v88, v80
	ds_load_b128 v[77:80], v2 offset:272
	s_waitcnt lgkmcnt(1)
	v_fmac_f32_e32 v96, v89, v81
	v_fmac_f32_e32 v96, v90, v82
	s_delay_alu instid0(VALU_DEP_1) | instskip(SKIP_1) | instid1(VALU_DEP_1)
	v_fmac_f32_e32 v96, v91, v83
	s_waitcnt vmcnt(1)
	v_fmac_f32_e32 v96, v92, v84
	s_waitcnt lgkmcnt(0)
	s_delay_alu instid0(VALU_DEP_1) | instskip(NEXT) | instid1(VALU_DEP_1)
	v_fmac_f32_e32 v96, v93, v77
	v_fmac_f32_e32 v96, v94, v78
	s_delay_alu instid0(VALU_DEP_1) | instskip(SKIP_1) | instid1(VALU_DEP_1)
	v_fmac_f32_e32 v96, v95, v79
	s_waitcnt vmcnt(0)
	v_fmac_f32_e32 v96, v3, v80
	s_delay_alu instid0(VALU_DEP_1)
	v_sub_f32_e32 v2, v76, v96
	scratch_store_b32 off, v2, off offset:60
	v_cmpx_lt_u32_e32 14, v0
	s_cbranch_execz .LBB99_195
; %bb.194:
	scratch_load_b32 v2, off, off offset:56
	v_mov_b32_e32 v3, 0
	scratch_store_b32 off, v3, off offset:56
	s_waitcnt vmcnt(0)
	ds_store_b32 v1, v2
.LBB99_195:
	s_or_b32 exec_lo, exec_lo, s0
	s_waitcnt lgkmcnt(0)
	s_waitcnt_vscnt null, 0x0
	s_barrier
	buffer_gl0_inv
	s_clause 0x5
	scratch_load_b128 v[76:79], off, off offset:56
	scratch_load_b128 v[80:83], off, off offset:72
	;; [unrolled: 1-line block ×5, first 2 shown]
	scratch_load_b64 v[96:97], off, off offset:136
	v_mov_b32_e32 v2, 0
	ds_load_2addr_b32 v[98:99], v2 offset0:51 offset1:52
	ds_load_2addr_b32 v[100:101], v2 offset0:53 offset1:54
	;; [unrolled: 1-line block ×4, first 2 shown]
	s_mov_b32 s0, exec_lo
	s_waitcnt vmcnt(5) lgkmcnt(3)
	v_fma_f32 v3, v77, v98, 0
	s_delay_alu instid0(VALU_DEP_1) | instskip(SKIP_4) | instid1(VALU_DEP_1)
	v_fmac_f32_e32 v3, v78, v99
	ds_load_2addr_b32 v[77:78], v2 offset0:59 offset1:60
	s_waitcnt lgkmcnt(3)
	v_fmac_f32_e32 v3, v79, v100
	s_waitcnt vmcnt(4)
	v_fmac_f32_e32 v3, v80, v101
	ds_load_2addr_b32 v[79:80], v2 offset0:61 offset1:62
	s_waitcnt lgkmcnt(3)
	v_fmac_f32_e32 v3, v81, v102
	s_delay_alu instid0(VALU_DEP_1) | instskip(SKIP_1) | instid1(VALU_DEP_1)
	v_fmac_f32_e32 v3, v82, v103
	s_waitcnt lgkmcnt(2)
	v_fmac_f32_e32 v3, v83, v104
	s_waitcnt vmcnt(3)
	s_delay_alu instid0(VALU_DEP_1) | instskip(SKIP_4) | instid1(VALU_DEP_1)
	v_fmac_f32_e32 v3, v84, v105
	ds_load_2addr_b32 v[81:82], v2 offset0:63 offset1:64
	ds_load_2addr_b32 v[83:84], v2 offset0:65 offset1:66
	s_waitcnt lgkmcnt(3)
	v_fmac_f32_e32 v3, v85, v77
	v_fmac_f32_e32 v3, v86, v78
	ds_load_2addr_b32 v[77:78], v2 offset0:67 offset1:68
	s_waitcnt lgkmcnt(3)
	v_fmac_f32_e32 v3, v87, v79
	s_waitcnt vmcnt(2)
	s_delay_alu instid0(VALU_DEP_1)
	v_fmac_f32_e32 v3, v88, v80
	ds_load_2addr_b32 v[79:80], v2 offset0:69 offset1:70
	s_waitcnt lgkmcnt(3)
	v_fmac_f32_e32 v3, v89, v81
	ds_load_b32 v81, v2 offset:284
	v_fmac_f32_e32 v3, v90, v82
	s_waitcnt lgkmcnt(3)
	s_delay_alu instid0(VALU_DEP_1) | instskip(SKIP_1) | instid1(VALU_DEP_1)
	v_fmac_f32_e32 v3, v91, v83
	s_waitcnt vmcnt(1)
	v_fmac_f32_e32 v3, v92, v84
	s_waitcnt lgkmcnt(2)
	s_delay_alu instid0(VALU_DEP_1) | instskip(NEXT) | instid1(VALU_DEP_1)
	v_fmac_f32_e32 v3, v93, v77
	v_fmac_f32_e32 v3, v94, v78
	s_waitcnt lgkmcnt(1)
	s_delay_alu instid0(VALU_DEP_1) | instskip(SKIP_1) | instid1(VALU_DEP_1)
	v_fmac_f32_e32 v3, v95, v79
	s_waitcnt vmcnt(0)
	v_fmac_f32_e32 v3, v96, v80
	s_waitcnt lgkmcnt(0)
	s_delay_alu instid0(VALU_DEP_1) | instskip(NEXT) | instid1(VALU_DEP_1)
	v_fmac_f32_e32 v3, v97, v81
	v_sub_f32_e32 v3, v76, v3
	scratch_store_b32 off, v3, off offset:56
	v_cmpx_lt_u32_e32 13, v0
	s_cbranch_execz .LBB99_197
; %bb.196:
	scratch_load_b32 v3, off, off offset:52
	scratch_store_b32 off, v2, off offset:52
	s_waitcnt vmcnt(0)
	ds_store_b32 v1, v3
.LBB99_197:
	s_or_b32 exec_lo, exec_lo, s0
	s_waitcnt lgkmcnt(0)
	s_waitcnt_vscnt null, 0x0
	s_barrier
	buffer_gl0_inv
	s_clause 0x5
	scratch_load_b128 v[76:79], off, off offset:52
	scratch_load_b128 v[80:83], off, off offset:68
	;; [unrolled: 1-line block ×5, first 2 shown]
	scratch_load_b96 v[104:106], off, off offset:132
	ds_load_2addr_b64 v[96:99], v2 offset0:25 offset1:26
	ds_load_2addr_b64 v[100:103], v2 offset0:27 offset1:28
	s_mov_b32 s0, exec_lo
	s_waitcnt vmcnt(5) lgkmcnt(1)
	v_fma_f32 v96, v77, v96, 0
	s_delay_alu instid0(VALU_DEP_1) | instskip(NEXT) | instid1(VALU_DEP_1)
	v_fmac_f32_e32 v96, v78, v97
	v_fmac_f32_e32 v96, v79, v98
	s_waitcnt vmcnt(4)
	s_delay_alu instid0(VALU_DEP_1) | instskip(SKIP_3) | instid1(VALU_DEP_1)
	v_fmac_f32_e32 v96, v80, v99
	ds_load_2addr_b64 v[77:80], v2 offset0:29 offset1:30
	s_waitcnt lgkmcnt(1)
	v_fmac_f32_e32 v96, v81, v100
	v_fmac_f32_e32 v96, v82, v101
	s_delay_alu instid0(VALU_DEP_1) | instskip(SKIP_1) | instid1(VALU_DEP_1)
	v_fmac_f32_e32 v96, v83, v102
	s_waitcnt vmcnt(3)
	v_fmac_f32_e32 v96, v84, v103
	ds_load_2addr_b64 v[81:84], v2 offset0:31 offset1:32
	s_waitcnt lgkmcnt(1)
	v_fmac_f32_e32 v96, v85, v77
	s_delay_alu instid0(VALU_DEP_1) | instskip(NEXT) | instid1(VALU_DEP_1)
	v_fmac_f32_e32 v96, v86, v78
	v_fmac_f32_e32 v96, v87, v79
	s_waitcnt vmcnt(2)
	s_delay_alu instid0(VALU_DEP_1) | instskip(SKIP_4) | instid1(VALU_DEP_1)
	v_fmac_f32_e32 v96, v88, v80
	ds_load_2addr_b64 v[77:80], v2 offset0:33 offset1:34
	ds_load_b64 v[2:3], v2 offset:280
	s_waitcnt lgkmcnt(2)
	v_fmac_f32_e32 v96, v89, v81
	v_fmac_f32_e32 v96, v90, v82
	s_delay_alu instid0(VALU_DEP_1) | instskip(SKIP_1) | instid1(VALU_DEP_1)
	v_fmac_f32_e32 v96, v91, v83
	s_waitcnt vmcnt(1)
	v_fmac_f32_e32 v96, v92, v84
	s_waitcnt lgkmcnt(1)
	s_delay_alu instid0(VALU_DEP_1) | instskip(NEXT) | instid1(VALU_DEP_1)
	v_fmac_f32_e32 v96, v93, v77
	v_fmac_f32_e32 v96, v94, v78
	s_delay_alu instid0(VALU_DEP_1) | instskip(SKIP_1) | instid1(VALU_DEP_1)
	v_fmac_f32_e32 v96, v95, v79
	s_waitcnt vmcnt(0)
	v_fmac_f32_e32 v96, v104, v80
	s_waitcnt lgkmcnt(0)
	s_delay_alu instid0(VALU_DEP_1) | instskip(NEXT) | instid1(VALU_DEP_1)
	v_fmac_f32_e32 v96, v105, v2
	v_fmac_f32_e32 v96, v106, v3
	s_delay_alu instid0(VALU_DEP_1)
	v_sub_f32_e32 v2, v76, v96
	scratch_store_b32 off, v2, off offset:52
	v_cmpx_lt_u32_e32 12, v0
	s_cbranch_execz .LBB99_199
; %bb.198:
	scratch_load_b32 v2, off, off offset:48
	v_mov_b32_e32 v3, 0
	scratch_store_b32 off, v3, off offset:48
	s_waitcnt vmcnt(0)
	ds_store_b32 v1, v2
.LBB99_199:
	s_or_b32 exec_lo, exec_lo, s0
	s_waitcnt lgkmcnt(0)
	s_waitcnt_vscnt null, 0x0
	s_barrier
	buffer_gl0_inv
	s_clause 0x5
	scratch_load_b128 v[76:79], off, off offset:48
	scratch_load_b128 v[80:83], off, off offset:64
	;; [unrolled: 1-line block ×6, first 2 shown]
	v_mov_b32_e32 v2, 0
	ds_load_2addr_b32 v[100:101], v2 offset0:49 offset1:50
	ds_load_2addr_b32 v[102:103], v2 offset0:51 offset1:52
	;; [unrolled: 1-line block ×4, first 2 shown]
	s_mov_b32 s0, exec_lo
	s_waitcnt vmcnt(5) lgkmcnt(3)
	v_fma_f32 v3, v77, v100, 0
	s_delay_alu instid0(VALU_DEP_1) | instskip(SKIP_4) | instid1(VALU_DEP_1)
	v_fmac_f32_e32 v3, v78, v101
	ds_load_2addr_b32 v[77:78], v2 offset0:57 offset1:58
	s_waitcnt lgkmcnt(3)
	v_fmac_f32_e32 v3, v79, v102
	s_waitcnt vmcnt(4)
	v_fmac_f32_e32 v3, v80, v103
	ds_load_2addr_b32 v[79:80], v2 offset0:59 offset1:60
	s_waitcnt lgkmcnt(3)
	v_fmac_f32_e32 v3, v81, v104
	s_delay_alu instid0(VALU_DEP_1) | instskip(SKIP_1) | instid1(VALU_DEP_1)
	v_fmac_f32_e32 v3, v82, v105
	s_waitcnt lgkmcnt(2)
	v_fmac_f32_e32 v3, v83, v106
	s_waitcnt vmcnt(3)
	s_delay_alu instid0(VALU_DEP_1) | instskip(SKIP_4) | instid1(VALU_DEP_1)
	v_fmac_f32_e32 v3, v84, v107
	ds_load_2addr_b32 v[81:82], v2 offset0:61 offset1:62
	ds_load_2addr_b32 v[83:84], v2 offset0:63 offset1:64
	s_waitcnt lgkmcnt(3)
	v_fmac_f32_e32 v3, v85, v77
	v_fmac_f32_e32 v3, v86, v78
	ds_load_2addr_b32 v[77:78], v2 offset0:65 offset1:66
	s_waitcnt lgkmcnt(3)
	v_fmac_f32_e32 v3, v87, v79
	s_waitcnt vmcnt(2)
	s_delay_alu instid0(VALU_DEP_1) | instskip(SKIP_3) | instid1(VALU_DEP_1)
	v_fmac_f32_e32 v3, v88, v80
	ds_load_2addr_b32 v[79:80], v2 offset0:67 offset1:68
	s_waitcnt lgkmcnt(3)
	v_fmac_f32_e32 v3, v89, v81
	v_fmac_f32_e32 v3, v90, v82
	s_waitcnt lgkmcnt(2)
	s_delay_alu instid0(VALU_DEP_1)
	v_fmac_f32_e32 v3, v91, v83
	ds_load_2addr_b32 v[81:82], v2 offset0:69 offset1:70
	ds_load_b32 v83, v2 offset:284
	s_waitcnt vmcnt(1)
	v_fmac_f32_e32 v3, v92, v84
	s_waitcnt lgkmcnt(3)
	s_delay_alu instid0(VALU_DEP_1) | instskip(NEXT) | instid1(VALU_DEP_1)
	v_fmac_f32_e32 v3, v93, v77
	v_fmac_f32_e32 v3, v94, v78
	s_waitcnt lgkmcnt(2)
	s_delay_alu instid0(VALU_DEP_1) | instskip(SKIP_1) | instid1(VALU_DEP_1)
	v_fmac_f32_e32 v3, v95, v79
	s_waitcnt vmcnt(0)
	v_fmac_f32_e32 v3, v96, v80
	s_waitcnt lgkmcnt(1)
	s_delay_alu instid0(VALU_DEP_1) | instskip(NEXT) | instid1(VALU_DEP_1)
	v_fmac_f32_e32 v3, v97, v81
	v_fmac_f32_e32 v3, v98, v82
	s_waitcnt lgkmcnt(0)
	s_delay_alu instid0(VALU_DEP_1) | instskip(NEXT) | instid1(VALU_DEP_1)
	v_fmac_f32_e32 v3, v99, v83
	v_sub_f32_e32 v3, v76, v3
	scratch_store_b32 off, v3, off offset:48
	v_cmpx_lt_u32_e32 11, v0
	s_cbranch_execz .LBB99_201
; %bb.200:
	scratch_load_b32 v3, off, off offset:44
	scratch_store_b32 off, v2, off offset:44
	s_waitcnt vmcnt(0)
	ds_store_b32 v1, v3
.LBB99_201:
	s_or_b32 exec_lo, exec_lo, s0
	s_waitcnt lgkmcnt(0)
	s_waitcnt_vscnt null, 0x0
	s_barrier
	buffer_gl0_inv
	s_clause 0x6
	scratch_load_b128 v[76:79], off, off offset:44
	scratch_load_b128 v[80:83], off, off offset:60
	;; [unrolled: 1-line block ×6, first 2 shown]
	scratch_load_b32 v3, off, off offset:140
	ds_load_b128 v[100:103], v2 offset:192
	ds_load_b128 v[104:107], v2 offset:208
	s_mov_b32 s0, exec_lo
	s_waitcnt vmcnt(6) lgkmcnt(1)
	v_fma_f32 v100, v77, v100, 0
	s_delay_alu instid0(VALU_DEP_1) | instskip(NEXT) | instid1(VALU_DEP_1)
	v_fmac_f32_e32 v100, v78, v101
	v_fmac_f32_e32 v100, v79, v102
	s_waitcnt vmcnt(5)
	s_delay_alu instid0(VALU_DEP_1) | instskip(SKIP_3) | instid1(VALU_DEP_1)
	v_fmac_f32_e32 v100, v80, v103
	ds_load_b128 v[77:80], v2 offset:224
	s_waitcnt lgkmcnt(1)
	v_fmac_f32_e32 v100, v81, v104
	v_fmac_f32_e32 v100, v82, v105
	s_delay_alu instid0(VALU_DEP_1) | instskip(SKIP_1) | instid1(VALU_DEP_1)
	v_fmac_f32_e32 v100, v83, v106
	s_waitcnt vmcnt(4)
	v_fmac_f32_e32 v100, v84, v107
	ds_load_b128 v[81:84], v2 offset:240
	s_waitcnt lgkmcnt(1)
	v_fmac_f32_e32 v100, v85, v77
	s_delay_alu instid0(VALU_DEP_1) | instskip(NEXT) | instid1(VALU_DEP_1)
	v_fmac_f32_e32 v100, v86, v78
	v_fmac_f32_e32 v100, v87, v79
	s_waitcnt vmcnt(3)
	s_delay_alu instid0(VALU_DEP_1) | instskip(SKIP_3) | instid1(VALU_DEP_1)
	v_fmac_f32_e32 v100, v88, v80
	ds_load_b128 v[77:80], v2 offset:256
	s_waitcnt lgkmcnt(1)
	v_fmac_f32_e32 v100, v89, v81
	v_fmac_f32_e32 v100, v90, v82
	s_delay_alu instid0(VALU_DEP_1) | instskip(SKIP_1) | instid1(VALU_DEP_1)
	v_fmac_f32_e32 v100, v91, v83
	s_waitcnt vmcnt(2)
	v_fmac_f32_e32 v100, v92, v84
	ds_load_b128 v[81:84], v2 offset:272
	s_waitcnt lgkmcnt(1)
	v_fmac_f32_e32 v100, v93, v77
	s_delay_alu instid0(VALU_DEP_1) | instskip(NEXT) | instid1(VALU_DEP_1)
	v_fmac_f32_e32 v100, v94, v78
	v_fmac_f32_e32 v100, v95, v79
	s_waitcnt vmcnt(1)
	s_delay_alu instid0(VALU_DEP_1) | instskip(SKIP_1) | instid1(VALU_DEP_1)
	v_fmac_f32_e32 v100, v96, v80
	s_waitcnt lgkmcnt(0)
	v_fmac_f32_e32 v100, v97, v81
	s_delay_alu instid0(VALU_DEP_1) | instskip(NEXT) | instid1(VALU_DEP_1)
	v_fmac_f32_e32 v100, v98, v82
	v_fmac_f32_e32 v100, v99, v83
	s_waitcnt vmcnt(0)
	s_delay_alu instid0(VALU_DEP_1) | instskip(NEXT) | instid1(VALU_DEP_1)
	v_fmac_f32_e32 v100, v3, v84
	v_sub_f32_e32 v2, v76, v100
	scratch_store_b32 off, v2, off offset:44
	v_cmpx_lt_u32_e32 10, v0
	s_cbranch_execz .LBB99_203
; %bb.202:
	scratch_load_b32 v2, off, off offset:40
	v_mov_b32_e32 v3, 0
	scratch_store_b32 off, v3, off offset:40
	s_waitcnt vmcnt(0)
	ds_store_b32 v1, v2
.LBB99_203:
	s_or_b32 exec_lo, exec_lo, s0
	s_waitcnt lgkmcnt(0)
	s_waitcnt_vscnt null, 0x0
	s_barrier
	buffer_gl0_inv
	s_clause 0x6
	scratch_load_b128 v[76:79], off, off offset:40
	scratch_load_b128 v[80:83], off, off offset:56
	;; [unrolled: 1-line block ×6, first 2 shown]
	scratch_load_b64 v[100:101], off, off offset:136
	v_mov_b32_e32 v2, 0
	ds_load_2addr_b32 v[102:103], v2 offset0:47 offset1:48
	ds_load_2addr_b32 v[104:105], v2 offset0:49 offset1:50
	;; [unrolled: 1-line block ×4, first 2 shown]
	s_mov_b32 s0, exec_lo
	s_waitcnt vmcnt(6) lgkmcnt(3)
	v_fma_f32 v3, v77, v102, 0
	s_delay_alu instid0(VALU_DEP_1) | instskip(SKIP_4) | instid1(VALU_DEP_1)
	v_fmac_f32_e32 v3, v78, v103
	ds_load_2addr_b32 v[77:78], v2 offset0:55 offset1:56
	s_waitcnt lgkmcnt(3)
	v_fmac_f32_e32 v3, v79, v104
	s_waitcnt vmcnt(5)
	v_fmac_f32_e32 v3, v80, v105
	ds_load_2addr_b32 v[79:80], v2 offset0:57 offset1:58
	s_waitcnt lgkmcnt(3)
	v_fmac_f32_e32 v3, v81, v106
	s_delay_alu instid0(VALU_DEP_1) | instskip(SKIP_1) | instid1(VALU_DEP_1)
	v_fmac_f32_e32 v3, v82, v107
	s_waitcnt lgkmcnt(2)
	v_fmac_f32_e32 v3, v83, v108
	s_waitcnt vmcnt(4)
	s_delay_alu instid0(VALU_DEP_1) | instskip(SKIP_4) | instid1(VALU_DEP_1)
	v_fmac_f32_e32 v3, v84, v109
	ds_load_2addr_b32 v[81:82], v2 offset0:59 offset1:60
	ds_load_2addr_b32 v[83:84], v2 offset0:61 offset1:62
	s_waitcnt lgkmcnt(3)
	v_fmac_f32_e32 v3, v85, v77
	v_fmac_f32_e32 v3, v86, v78
	ds_load_2addr_b32 v[77:78], v2 offset0:63 offset1:64
	s_waitcnt lgkmcnt(3)
	v_fmac_f32_e32 v3, v87, v79
	s_waitcnt vmcnt(3)
	s_delay_alu instid0(VALU_DEP_1) | instskip(SKIP_3) | instid1(VALU_DEP_1)
	v_fmac_f32_e32 v3, v88, v80
	ds_load_2addr_b32 v[79:80], v2 offset0:65 offset1:66
	s_waitcnt lgkmcnt(3)
	v_fmac_f32_e32 v3, v89, v81
	v_fmac_f32_e32 v3, v90, v82
	s_waitcnt lgkmcnt(2)
	s_delay_alu instid0(VALU_DEP_1) | instskip(SKIP_1) | instid1(VALU_DEP_1)
	v_fmac_f32_e32 v3, v91, v83
	s_waitcnt vmcnt(2)
	v_fmac_f32_e32 v3, v92, v84
	ds_load_2addr_b32 v[81:82], v2 offset0:67 offset1:68
	ds_load_2addr_b32 v[83:84], v2 offset0:69 offset1:70
	s_waitcnt lgkmcnt(3)
	v_fmac_f32_e32 v3, v93, v77
	ds_load_b32 v77, v2 offset:284
	v_fmac_f32_e32 v3, v94, v78
	s_waitcnt lgkmcnt(3)
	s_delay_alu instid0(VALU_DEP_1) | instskip(SKIP_1) | instid1(VALU_DEP_1)
	v_fmac_f32_e32 v3, v95, v79
	s_waitcnt vmcnt(1)
	v_fmac_f32_e32 v3, v96, v80
	s_waitcnt lgkmcnt(2)
	s_delay_alu instid0(VALU_DEP_1) | instskip(NEXT) | instid1(VALU_DEP_1)
	v_fmac_f32_e32 v3, v97, v81
	v_fmac_f32_e32 v3, v98, v82
	s_waitcnt lgkmcnt(1)
	s_delay_alu instid0(VALU_DEP_1) | instskip(SKIP_1) | instid1(VALU_DEP_1)
	v_fmac_f32_e32 v3, v99, v83
	s_waitcnt vmcnt(0)
	v_fmac_f32_e32 v3, v100, v84
	s_waitcnt lgkmcnt(0)
	s_delay_alu instid0(VALU_DEP_1) | instskip(NEXT) | instid1(VALU_DEP_1)
	v_fmac_f32_e32 v3, v101, v77
	v_sub_f32_e32 v3, v76, v3
	scratch_store_b32 off, v3, off offset:40
	v_cmpx_lt_u32_e32 9, v0
	s_cbranch_execz .LBB99_205
; %bb.204:
	scratch_load_b32 v3, off, off offset:36
	scratch_store_b32 off, v2, off offset:36
	s_waitcnt vmcnt(0)
	ds_store_b32 v1, v3
.LBB99_205:
	s_or_b32 exec_lo, exec_lo, s0
	s_waitcnt lgkmcnt(0)
	s_waitcnt_vscnt null, 0x0
	s_barrier
	buffer_gl0_inv
	s_clause 0x6
	scratch_load_b128 v[76:79], off, off offset:36
	scratch_load_b128 v[80:83], off, off offset:52
	;; [unrolled: 1-line block ×6, first 2 shown]
	scratch_load_b96 v[108:110], off, off offset:132
	ds_load_2addr_b64 v[100:103], v2 offset0:23 offset1:24
	ds_load_2addr_b64 v[104:107], v2 offset0:25 offset1:26
	s_mov_b32 s0, exec_lo
	s_waitcnt vmcnt(6) lgkmcnt(1)
	v_fma_f32 v100, v77, v100, 0
	s_delay_alu instid0(VALU_DEP_1) | instskip(NEXT) | instid1(VALU_DEP_1)
	v_fmac_f32_e32 v100, v78, v101
	v_fmac_f32_e32 v100, v79, v102
	s_waitcnt vmcnt(5)
	s_delay_alu instid0(VALU_DEP_1) | instskip(SKIP_3) | instid1(VALU_DEP_1)
	v_fmac_f32_e32 v100, v80, v103
	ds_load_2addr_b64 v[77:80], v2 offset0:27 offset1:28
	s_waitcnt lgkmcnt(1)
	v_fmac_f32_e32 v100, v81, v104
	v_fmac_f32_e32 v100, v82, v105
	s_delay_alu instid0(VALU_DEP_1) | instskip(SKIP_1) | instid1(VALU_DEP_1)
	v_fmac_f32_e32 v100, v83, v106
	s_waitcnt vmcnt(4)
	v_fmac_f32_e32 v100, v84, v107
	ds_load_2addr_b64 v[81:84], v2 offset0:29 offset1:30
	s_waitcnt lgkmcnt(1)
	v_fmac_f32_e32 v100, v85, v77
	s_delay_alu instid0(VALU_DEP_1) | instskip(NEXT) | instid1(VALU_DEP_1)
	v_fmac_f32_e32 v100, v86, v78
	v_fmac_f32_e32 v100, v87, v79
	s_waitcnt vmcnt(3)
	s_delay_alu instid0(VALU_DEP_1) | instskip(SKIP_3) | instid1(VALU_DEP_1)
	v_fmac_f32_e32 v100, v88, v80
	ds_load_2addr_b64 v[77:80], v2 offset0:31 offset1:32
	s_waitcnt lgkmcnt(1)
	v_fmac_f32_e32 v100, v89, v81
	v_fmac_f32_e32 v100, v90, v82
	s_delay_alu instid0(VALU_DEP_1) | instskip(SKIP_1) | instid1(VALU_DEP_1)
	v_fmac_f32_e32 v100, v91, v83
	s_waitcnt vmcnt(2)
	v_fmac_f32_e32 v100, v92, v84
	ds_load_2addr_b64 v[81:84], v2 offset0:33 offset1:34
	ds_load_b64 v[2:3], v2 offset:280
	s_waitcnt lgkmcnt(2)
	v_fmac_f32_e32 v100, v93, v77
	s_delay_alu instid0(VALU_DEP_1) | instskip(NEXT) | instid1(VALU_DEP_1)
	v_fmac_f32_e32 v100, v94, v78
	v_fmac_f32_e32 v100, v95, v79
	s_waitcnt vmcnt(1)
	s_delay_alu instid0(VALU_DEP_1) | instskip(SKIP_1) | instid1(VALU_DEP_1)
	v_fmac_f32_e32 v100, v96, v80
	s_waitcnt lgkmcnt(1)
	v_fmac_f32_e32 v100, v97, v81
	s_delay_alu instid0(VALU_DEP_1) | instskip(NEXT) | instid1(VALU_DEP_1)
	v_fmac_f32_e32 v100, v98, v82
	v_fmac_f32_e32 v100, v99, v83
	s_waitcnt vmcnt(0)
	s_delay_alu instid0(VALU_DEP_1) | instskip(SKIP_1) | instid1(VALU_DEP_1)
	v_fmac_f32_e32 v100, v108, v84
	s_waitcnt lgkmcnt(0)
	v_fmac_f32_e32 v100, v109, v2
	s_delay_alu instid0(VALU_DEP_1) | instskip(NEXT) | instid1(VALU_DEP_1)
	v_fmac_f32_e32 v100, v110, v3
	v_sub_f32_e32 v2, v76, v100
	scratch_store_b32 off, v2, off offset:36
	v_cmpx_lt_u32_e32 8, v0
	s_cbranch_execz .LBB99_207
; %bb.206:
	scratch_load_b32 v2, off, off offset:32
	v_mov_b32_e32 v3, 0
	scratch_store_b32 off, v3, off offset:32
	s_waitcnt vmcnt(0)
	ds_store_b32 v1, v2
.LBB99_207:
	s_or_b32 exec_lo, exec_lo, s0
	s_waitcnt lgkmcnt(0)
	s_waitcnt_vscnt null, 0x0
	s_barrier
	buffer_gl0_inv
	s_clause 0x6
	scratch_load_b128 v[76:79], off, off offset:32
	scratch_load_b128 v[80:83], off, off offset:48
	;; [unrolled: 1-line block ×7, first 2 shown]
	v_mov_b32_e32 v2, 0
	ds_load_2addr_b32 v[104:105], v2 offset0:45 offset1:46
	ds_load_2addr_b32 v[106:107], v2 offset0:47 offset1:48
	;; [unrolled: 1-line block ×4, first 2 shown]
	s_mov_b32 s0, exec_lo
	s_waitcnt vmcnt(6) lgkmcnt(3)
	v_fma_f32 v3, v77, v104, 0
	s_delay_alu instid0(VALU_DEP_1) | instskip(SKIP_4) | instid1(VALU_DEP_1)
	v_fmac_f32_e32 v3, v78, v105
	ds_load_2addr_b32 v[77:78], v2 offset0:53 offset1:54
	s_waitcnt lgkmcnt(3)
	v_fmac_f32_e32 v3, v79, v106
	s_waitcnt vmcnt(5)
	v_fmac_f32_e32 v3, v80, v107
	ds_load_2addr_b32 v[79:80], v2 offset0:55 offset1:56
	s_waitcnt lgkmcnt(3)
	v_fmac_f32_e32 v3, v81, v108
	s_delay_alu instid0(VALU_DEP_1) | instskip(SKIP_1) | instid1(VALU_DEP_1)
	v_fmac_f32_e32 v3, v82, v109
	s_waitcnt lgkmcnt(2)
	v_fmac_f32_e32 v3, v83, v110
	s_waitcnt vmcnt(4)
	s_delay_alu instid0(VALU_DEP_1) | instskip(SKIP_4) | instid1(VALU_DEP_1)
	v_fmac_f32_e32 v3, v84, v111
	ds_load_2addr_b32 v[81:82], v2 offset0:57 offset1:58
	ds_load_2addr_b32 v[83:84], v2 offset0:59 offset1:60
	s_waitcnt lgkmcnt(3)
	v_fmac_f32_e32 v3, v85, v77
	v_fmac_f32_e32 v3, v86, v78
	ds_load_2addr_b32 v[77:78], v2 offset0:61 offset1:62
	s_waitcnt lgkmcnt(3)
	v_fmac_f32_e32 v3, v87, v79
	s_waitcnt vmcnt(3)
	s_delay_alu instid0(VALU_DEP_1) | instskip(SKIP_3) | instid1(VALU_DEP_1)
	v_fmac_f32_e32 v3, v88, v80
	ds_load_2addr_b32 v[79:80], v2 offset0:63 offset1:64
	s_waitcnt lgkmcnt(3)
	v_fmac_f32_e32 v3, v89, v81
	v_fmac_f32_e32 v3, v90, v82
	s_waitcnt lgkmcnt(2)
	s_delay_alu instid0(VALU_DEP_1) | instskip(SKIP_1) | instid1(VALU_DEP_1)
	v_fmac_f32_e32 v3, v91, v83
	s_waitcnt vmcnt(2)
	v_fmac_f32_e32 v3, v92, v84
	ds_load_2addr_b32 v[81:82], v2 offset0:65 offset1:66
	ds_load_2addr_b32 v[83:84], v2 offset0:67 offset1:68
	s_waitcnt lgkmcnt(3)
	v_fmac_f32_e32 v3, v93, v77
	s_delay_alu instid0(VALU_DEP_1)
	v_fmac_f32_e32 v3, v94, v78
	ds_load_2addr_b32 v[77:78], v2 offset0:69 offset1:70
	s_waitcnt lgkmcnt(3)
	v_fmac_f32_e32 v3, v95, v79
	ds_load_b32 v79, v2 offset:284
	s_waitcnt vmcnt(1)
	v_fmac_f32_e32 v3, v96, v80
	s_waitcnt lgkmcnt(3)
	s_delay_alu instid0(VALU_DEP_1) | instskip(NEXT) | instid1(VALU_DEP_1)
	v_fmac_f32_e32 v3, v97, v81
	v_fmac_f32_e32 v3, v98, v82
	s_waitcnt lgkmcnt(2)
	s_delay_alu instid0(VALU_DEP_1) | instskip(SKIP_1) | instid1(VALU_DEP_1)
	v_fmac_f32_e32 v3, v99, v83
	s_waitcnt vmcnt(0)
	v_fmac_f32_e32 v3, v100, v84
	s_waitcnt lgkmcnt(1)
	s_delay_alu instid0(VALU_DEP_1) | instskip(NEXT) | instid1(VALU_DEP_1)
	v_fmac_f32_e32 v3, v101, v77
	v_fmac_f32_e32 v3, v102, v78
	s_waitcnt lgkmcnt(0)
	s_delay_alu instid0(VALU_DEP_1) | instskip(NEXT) | instid1(VALU_DEP_1)
	v_fmac_f32_e32 v3, v103, v79
	v_sub_f32_e32 v3, v76, v3
	scratch_store_b32 off, v3, off offset:32
	v_cmpx_lt_u32_e32 7, v0
	s_cbranch_execz .LBB99_209
; %bb.208:
	scratch_load_b32 v3, off, off offset:28
	scratch_store_b32 off, v2, off offset:28
	s_waitcnt vmcnt(0)
	ds_store_b32 v1, v3
.LBB99_209:
	s_or_b32 exec_lo, exec_lo, s0
	s_waitcnt lgkmcnt(0)
	s_waitcnt_vscnt null, 0x0
	s_barrier
	buffer_gl0_inv
	s_clause 0x7
	scratch_load_b128 v[76:79], off, off offset:28
	scratch_load_b128 v[80:83], off, off offset:44
	;; [unrolled: 1-line block ×7, first 2 shown]
	scratch_load_b32 v3, off, off offset:140
	ds_load_b128 v[104:107], v2 offset:176
	ds_load_b128 v[108:111], v2 offset:192
	s_mov_b32 s0, exec_lo
	s_waitcnt vmcnt(7) lgkmcnt(1)
	v_fma_f32 v104, v77, v104, 0
	s_delay_alu instid0(VALU_DEP_1) | instskip(NEXT) | instid1(VALU_DEP_1)
	v_fmac_f32_e32 v104, v78, v105
	v_fmac_f32_e32 v104, v79, v106
	s_waitcnt vmcnt(6)
	s_delay_alu instid0(VALU_DEP_1) | instskip(SKIP_3) | instid1(VALU_DEP_1)
	v_fmac_f32_e32 v104, v80, v107
	ds_load_b128 v[77:80], v2 offset:208
	s_waitcnt lgkmcnt(1)
	v_fmac_f32_e32 v104, v81, v108
	v_fmac_f32_e32 v104, v82, v109
	s_delay_alu instid0(VALU_DEP_1) | instskip(SKIP_1) | instid1(VALU_DEP_1)
	v_fmac_f32_e32 v104, v83, v110
	s_waitcnt vmcnt(5)
	v_fmac_f32_e32 v104, v84, v111
	ds_load_b128 v[81:84], v2 offset:224
	s_waitcnt lgkmcnt(1)
	v_fmac_f32_e32 v104, v85, v77
	s_delay_alu instid0(VALU_DEP_1) | instskip(NEXT) | instid1(VALU_DEP_1)
	v_fmac_f32_e32 v104, v86, v78
	v_fmac_f32_e32 v104, v87, v79
	s_waitcnt vmcnt(4)
	s_delay_alu instid0(VALU_DEP_1) | instskip(SKIP_3) | instid1(VALU_DEP_1)
	v_fmac_f32_e32 v104, v88, v80
	ds_load_b128 v[77:80], v2 offset:240
	s_waitcnt lgkmcnt(1)
	v_fmac_f32_e32 v104, v89, v81
	v_fmac_f32_e32 v104, v90, v82
	s_delay_alu instid0(VALU_DEP_1) | instskip(SKIP_1) | instid1(VALU_DEP_1)
	v_fmac_f32_e32 v104, v91, v83
	s_waitcnt vmcnt(3)
	v_fmac_f32_e32 v104, v92, v84
	ds_load_b128 v[81:84], v2 offset:256
	s_waitcnt lgkmcnt(1)
	v_fmac_f32_e32 v104, v93, v77
	s_delay_alu instid0(VALU_DEP_1) | instskip(NEXT) | instid1(VALU_DEP_1)
	v_fmac_f32_e32 v104, v94, v78
	v_fmac_f32_e32 v104, v95, v79
	s_waitcnt vmcnt(2)
	s_delay_alu instid0(VALU_DEP_1) | instskip(SKIP_3) | instid1(VALU_DEP_1)
	v_fmac_f32_e32 v104, v96, v80
	ds_load_b128 v[77:80], v2 offset:272
	s_waitcnt lgkmcnt(1)
	v_fmac_f32_e32 v104, v97, v81
	v_fmac_f32_e32 v104, v98, v82
	s_delay_alu instid0(VALU_DEP_1) | instskip(SKIP_1) | instid1(VALU_DEP_1)
	v_fmac_f32_e32 v104, v99, v83
	s_waitcnt vmcnt(1)
	v_fmac_f32_e32 v104, v100, v84
	s_waitcnt lgkmcnt(0)
	s_delay_alu instid0(VALU_DEP_1) | instskip(NEXT) | instid1(VALU_DEP_1)
	v_fmac_f32_e32 v104, v101, v77
	v_fmac_f32_e32 v104, v102, v78
	s_delay_alu instid0(VALU_DEP_1) | instskip(SKIP_1) | instid1(VALU_DEP_1)
	v_fmac_f32_e32 v104, v103, v79
	s_waitcnt vmcnt(0)
	v_fmac_f32_e32 v104, v3, v80
	s_delay_alu instid0(VALU_DEP_1)
	v_sub_f32_e32 v2, v76, v104
	scratch_store_b32 off, v2, off offset:28
	v_cmpx_lt_u32_e32 6, v0
	s_cbranch_execz .LBB99_211
; %bb.210:
	scratch_load_b32 v2, off, off offset:24
	v_mov_b32_e32 v3, 0
	scratch_store_b32 off, v3, off offset:24
	s_waitcnt vmcnt(0)
	ds_store_b32 v1, v2
.LBB99_211:
	s_or_b32 exec_lo, exec_lo, s0
	s_waitcnt lgkmcnt(0)
	s_waitcnt_vscnt null, 0x0
	s_barrier
	buffer_gl0_inv
	s_clause 0x7
	scratch_load_b128 v[76:79], off, off offset:24
	scratch_load_b128 v[80:83], off, off offset:40
	;; [unrolled: 1-line block ×7, first 2 shown]
	scratch_load_b64 v[104:105], off, off offset:136
	v_mov_b32_e32 v2, 0
	ds_load_2addr_b32 v[106:107], v2 offset0:43 offset1:44
	ds_load_2addr_b32 v[108:109], v2 offset0:45 offset1:46
	;; [unrolled: 1-line block ×4, first 2 shown]
	s_mov_b32 s0, exec_lo
	s_waitcnt vmcnt(7) lgkmcnt(3)
	v_fma_f32 v3, v77, v106, 0
	s_delay_alu instid0(VALU_DEP_1) | instskip(SKIP_4) | instid1(VALU_DEP_1)
	v_fmac_f32_e32 v3, v78, v107
	ds_load_2addr_b32 v[77:78], v2 offset0:51 offset1:52
	s_waitcnt lgkmcnt(3)
	v_fmac_f32_e32 v3, v79, v108
	s_waitcnt vmcnt(6)
	v_fmac_f32_e32 v3, v80, v109
	ds_load_2addr_b32 v[79:80], v2 offset0:53 offset1:54
	s_waitcnt lgkmcnt(3)
	v_fmac_f32_e32 v3, v81, v110
	s_delay_alu instid0(VALU_DEP_1) | instskip(SKIP_1) | instid1(VALU_DEP_1)
	v_fmac_f32_e32 v3, v82, v111
	s_waitcnt lgkmcnt(2)
	v_fmac_f32_e32 v3, v83, v112
	s_waitcnt vmcnt(5)
	s_delay_alu instid0(VALU_DEP_1) | instskip(SKIP_4) | instid1(VALU_DEP_1)
	v_fmac_f32_e32 v3, v84, v113
	ds_load_2addr_b32 v[81:82], v2 offset0:55 offset1:56
	ds_load_2addr_b32 v[83:84], v2 offset0:57 offset1:58
	s_waitcnt lgkmcnt(3)
	v_fmac_f32_e32 v3, v85, v77
	v_fmac_f32_e32 v3, v86, v78
	ds_load_2addr_b32 v[77:78], v2 offset0:59 offset1:60
	s_waitcnt lgkmcnt(3)
	v_fmac_f32_e32 v3, v87, v79
	s_waitcnt vmcnt(4)
	s_delay_alu instid0(VALU_DEP_1) | instskip(SKIP_3) | instid1(VALU_DEP_1)
	v_fmac_f32_e32 v3, v88, v80
	ds_load_2addr_b32 v[79:80], v2 offset0:61 offset1:62
	s_waitcnt lgkmcnt(3)
	v_fmac_f32_e32 v3, v89, v81
	v_fmac_f32_e32 v3, v90, v82
	s_waitcnt lgkmcnt(2)
	s_delay_alu instid0(VALU_DEP_1) | instskip(SKIP_1) | instid1(VALU_DEP_1)
	v_fmac_f32_e32 v3, v91, v83
	s_waitcnt vmcnt(3)
	v_fmac_f32_e32 v3, v92, v84
	ds_load_2addr_b32 v[81:82], v2 offset0:63 offset1:64
	ds_load_2addr_b32 v[83:84], v2 offset0:65 offset1:66
	s_waitcnt lgkmcnt(3)
	v_fmac_f32_e32 v3, v93, v77
	s_delay_alu instid0(VALU_DEP_1) | instskip(SKIP_4) | instid1(VALU_DEP_1)
	v_fmac_f32_e32 v3, v94, v78
	ds_load_2addr_b32 v[77:78], v2 offset0:67 offset1:68
	s_waitcnt lgkmcnt(3)
	v_fmac_f32_e32 v3, v95, v79
	s_waitcnt vmcnt(2)
	v_fmac_f32_e32 v3, v96, v80
	ds_load_2addr_b32 v[79:80], v2 offset0:69 offset1:70
	s_waitcnt lgkmcnt(3)
	v_fmac_f32_e32 v3, v97, v81
	ds_load_b32 v81, v2 offset:284
	v_fmac_f32_e32 v3, v98, v82
	s_waitcnt lgkmcnt(3)
	s_delay_alu instid0(VALU_DEP_1) | instskip(SKIP_1) | instid1(VALU_DEP_1)
	v_fmac_f32_e32 v3, v99, v83
	s_waitcnt vmcnt(1)
	v_fmac_f32_e32 v3, v100, v84
	s_waitcnt lgkmcnt(2)
	s_delay_alu instid0(VALU_DEP_1) | instskip(NEXT) | instid1(VALU_DEP_1)
	v_fmac_f32_e32 v3, v101, v77
	v_fmac_f32_e32 v3, v102, v78
	s_waitcnt lgkmcnt(1)
	s_delay_alu instid0(VALU_DEP_1) | instskip(SKIP_1) | instid1(VALU_DEP_1)
	v_fmac_f32_e32 v3, v103, v79
	s_waitcnt vmcnt(0)
	v_fmac_f32_e32 v3, v104, v80
	s_waitcnt lgkmcnt(0)
	s_delay_alu instid0(VALU_DEP_1) | instskip(NEXT) | instid1(VALU_DEP_1)
	v_fmac_f32_e32 v3, v105, v81
	v_sub_f32_e32 v3, v76, v3
	scratch_store_b32 off, v3, off offset:24
	v_cmpx_lt_u32_e32 5, v0
	s_cbranch_execz .LBB99_213
; %bb.212:
	scratch_load_b32 v3, off, off offset:20
	scratch_store_b32 off, v2, off offset:20
	s_waitcnt vmcnt(0)
	ds_store_b32 v1, v3
.LBB99_213:
	s_or_b32 exec_lo, exec_lo, s0
	s_waitcnt lgkmcnt(0)
	s_waitcnt_vscnt null, 0x0
	s_barrier
	buffer_gl0_inv
	s_clause 0x7
	scratch_load_b128 v[76:79], off, off offset:20
	scratch_load_b128 v[80:83], off, off offset:36
	;; [unrolled: 1-line block ×7, first 2 shown]
	scratch_load_b96 v[112:114], off, off offset:132
	ds_load_2addr_b64 v[104:107], v2 offset0:21 offset1:22
	ds_load_2addr_b64 v[108:111], v2 offset0:23 offset1:24
	s_mov_b32 s0, exec_lo
	s_waitcnt vmcnt(7) lgkmcnt(1)
	v_fma_f32 v104, v77, v104, 0
	s_delay_alu instid0(VALU_DEP_1) | instskip(NEXT) | instid1(VALU_DEP_1)
	v_fmac_f32_e32 v104, v78, v105
	v_fmac_f32_e32 v104, v79, v106
	s_waitcnt vmcnt(6)
	s_delay_alu instid0(VALU_DEP_1) | instskip(SKIP_3) | instid1(VALU_DEP_1)
	v_fmac_f32_e32 v104, v80, v107
	ds_load_2addr_b64 v[77:80], v2 offset0:25 offset1:26
	s_waitcnt lgkmcnt(1)
	v_fmac_f32_e32 v104, v81, v108
	v_fmac_f32_e32 v104, v82, v109
	s_delay_alu instid0(VALU_DEP_1) | instskip(SKIP_1) | instid1(VALU_DEP_1)
	v_fmac_f32_e32 v104, v83, v110
	s_waitcnt vmcnt(5)
	v_fmac_f32_e32 v104, v84, v111
	ds_load_2addr_b64 v[81:84], v2 offset0:27 offset1:28
	s_waitcnt lgkmcnt(1)
	v_fmac_f32_e32 v104, v85, v77
	s_delay_alu instid0(VALU_DEP_1) | instskip(NEXT) | instid1(VALU_DEP_1)
	v_fmac_f32_e32 v104, v86, v78
	v_fmac_f32_e32 v104, v87, v79
	s_waitcnt vmcnt(4)
	s_delay_alu instid0(VALU_DEP_1) | instskip(SKIP_3) | instid1(VALU_DEP_1)
	v_fmac_f32_e32 v104, v88, v80
	ds_load_2addr_b64 v[77:80], v2 offset0:29 offset1:30
	s_waitcnt lgkmcnt(1)
	v_fmac_f32_e32 v104, v89, v81
	v_fmac_f32_e32 v104, v90, v82
	s_delay_alu instid0(VALU_DEP_1) | instskip(SKIP_1) | instid1(VALU_DEP_1)
	v_fmac_f32_e32 v104, v91, v83
	s_waitcnt vmcnt(3)
	v_fmac_f32_e32 v104, v92, v84
	ds_load_2addr_b64 v[81:84], v2 offset0:31 offset1:32
	s_waitcnt lgkmcnt(1)
	v_fmac_f32_e32 v104, v93, v77
	s_delay_alu instid0(VALU_DEP_1) | instskip(NEXT) | instid1(VALU_DEP_1)
	v_fmac_f32_e32 v104, v94, v78
	v_fmac_f32_e32 v104, v95, v79
	s_waitcnt vmcnt(2)
	s_delay_alu instid0(VALU_DEP_1) | instskip(SKIP_4) | instid1(VALU_DEP_1)
	v_fmac_f32_e32 v104, v96, v80
	ds_load_2addr_b64 v[77:80], v2 offset0:33 offset1:34
	ds_load_b64 v[2:3], v2 offset:280
	s_waitcnt lgkmcnt(2)
	v_fmac_f32_e32 v104, v97, v81
	v_fmac_f32_e32 v104, v98, v82
	s_delay_alu instid0(VALU_DEP_1) | instskip(SKIP_1) | instid1(VALU_DEP_1)
	v_fmac_f32_e32 v104, v99, v83
	s_waitcnt vmcnt(1)
	v_fmac_f32_e32 v104, v100, v84
	s_waitcnt lgkmcnt(1)
	s_delay_alu instid0(VALU_DEP_1) | instskip(NEXT) | instid1(VALU_DEP_1)
	v_fmac_f32_e32 v104, v101, v77
	v_fmac_f32_e32 v104, v102, v78
	s_delay_alu instid0(VALU_DEP_1) | instskip(SKIP_1) | instid1(VALU_DEP_1)
	v_fmac_f32_e32 v104, v103, v79
	s_waitcnt vmcnt(0)
	v_fmac_f32_e32 v104, v112, v80
	s_waitcnt lgkmcnt(0)
	s_delay_alu instid0(VALU_DEP_1) | instskip(NEXT) | instid1(VALU_DEP_1)
	v_fmac_f32_e32 v104, v113, v2
	v_fmac_f32_e32 v104, v114, v3
	s_delay_alu instid0(VALU_DEP_1)
	v_sub_f32_e32 v2, v76, v104
	scratch_store_b32 off, v2, off offset:20
	v_cmpx_lt_u32_e32 4, v0
	s_cbranch_execz .LBB99_215
; %bb.214:
	scratch_load_b32 v2, off, off offset:16
	v_mov_b32_e32 v3, 0
	scratch_store_b32 off, v3, off offset:16
	s_waitcnt vmcnt(0)
	ds_store_b32 v1, v2
.LBB99_215:
	s_or_b32 exec_lo, exec_lo, s0
	s_waitcnt lgkmcnt(0)
	s_waitcnt_vscnt null, 0x0
	s_barrier
	buffer_gl0_inv
	s_clause 0x7
	scratch_load_b128 v[76:79], off, off offset:16
	scratch_load_b128 v[80:83], off, off offset:32
	scratch_load_b128 v[84:87], off, off offset:48
	scratch_load_b128 v[88:91], off, off offset:64
	scratch_load_b128 v[92:95], off, off offset:80
	scratch_load_b128 v[96:99], off, off offset:96
	scratch_load_b128 v[100:103], off, off offset:112
	scratch_load_b128 v[104:107], off, off offset:128
	v_mov_b32_e32 v2, 0
	ds_load_2addr_b32 v[108:109], v2 offset0:41 offset1:42
	ds_load_2addr_b32 v[110:111], v2 offset0:43 offset1:44
	;; [unrolled: 1-line block ×4, first 2 shown]
	s_mov_b32 s0, exec_lo
	s_waitcnt vmcnt(7) lgkmcnt(3)
	v_fma_f32 v3, v77, v108, 0
	s_delay_alu instid0(VALU_DEP_1) | instskip(SKIP_4) | instid1(VALU_DEP_1)
	v_fmac_f32_e32 v3, v78, v109
	ds_load_2addr_b32 v[77:78], v2 offset0:49 offset1:50
	s_waitcnt lgkmcnt(3)
	v_fmac_f32_e32 v3, v79, v110
	s_waitcnt vmcnt(6)
	v_fmac_f32_e32 v3, v80, v111
	ds_load_2addr_b32 v[79:80], v2 offset0:51 offset1:52
	s_waitcnt lgkmcnt(3)
	v_fmac_f32_e32 v3, v81, v112
	s_delay_alu instid0(VALU_DEP_1) | instskip(SKIP_1) | instid1(VALU_DEP_1)
	v_fmac_f32_e32 v3, v82, v113
	s_waitcnt lgkmcnt(2)
	v_fmac_f32_e32 v3, v83, v114
	s_waitcnt vmcnt(5)
	s_delay_alu instid0(VALU_DEP_1) | instskip(SKIP_4) | instid1(VALU_DEP_1)
	v_fmac_f32_e32 v3, v84, v115
	ds_load_2addr_b32 v[81:82], v2 offset0:53 offset1:54
	ds_load_2addr_b32 v[83:84], v2 offset0:55 offset1:56
	s_waitcnt lgkmcnt(3)
	v_fmac_f32_e32 v3, v85, v77
	v_fmac_f32_e32 v3, v86, v78
	ds_load_2addr_b32 v[77:78], v2 offset0:57 offset1:58
	s_waitcnt lgkmcnt(3)
	v_fmac_f32_e32 v3, v87, v79
	s_waitcnt vmcnt(4)
	s_delay_alu instid0(VALU_DEP_1) | instskip(SKIP_3) | instid1(VALU_DEP_1)
	v_fmac_f32_e32 v3, v88, v80
	ds_load_2addr_b32 v[79:80], v2 offset0:59 offset1:60
	s_waitcnt lgkmcnt(3)
	v_fmac_f32_e32 v3, v89, v81
	v_fmac_f32_e32 v3, v90, v82
	s_waitcnt lgkmcnt(2)
	s_delay_alu instid0(VALU_DEP_1) | instskip(SKIP_1) | instid1(VALU_DEP_1)
	v_fmac_f32_e32 v3, v91, v83
	s_waitcnt vmcnt(3)
	v_fmac_f32_e32 v3, v92, v84
	ds_load_2addr_b32 v[81:82], v2 offset0:61 offset1:62
	ds_load_2addr_b32 v[83:84], v2 offset0:63 offset1:64
	s_waitcnt lgkmcnt(3)
	v_fmac_f32_e32 v3, v93, v77
	s_delay_alu instid0(VALU_DEP_1) | instskip(SKIP_4) | instid1(VALU_DEP_1)
	v_fmac_f32_e32 v3, v94, v78
	ds_load_2addr_b32 v[77:78], v2 offset0:65 offset1:66
	s_waitcnt lgkmcnt(3)
	v_fmac_f32_e32 v3, v95, v79
	s_waitcnt vmcnt(2)
	v_fmac_f32_e32 v3, v96, v80
	ds_load_2addr_b32 v[79:80], v2 offset0:67 offset1:68
	s_waitcnt lgkmcnt(3)
	v_fmac_f32_e32 v3, v97, v81
	s_delay_alu instid0(VALU_DEP_1) | instskip(SKIP_1) | instid1(VALU_DEP_1)
	v_fmac_f32_e32 v3, v98, v82
	s_waitcnt lgkmcnt(2)
	v_fmac_f32_e32 v3, v99, v83
	ds_load_2addr_b32 v[81:82], v2 offset0:69 offset1:70
	ds_load_b32 v83, v2 offset:284
	s_waitcnt vmcnt(1)
	v_fmac_f32_e32 v3, v100, v84
	s_waitcnt lgkmcnt(3)
	s_delay_alu instid0(VALU_DEP_1) | instskip(NEXT) | instid1(VALU_DEP_1)
	v_fmac_f32_e32 v3, v101, v77
	v_fmac_f32_e32 v3, v102, v78
	s_waitcnt lgkmcnt(2)
	s_delay_alu instid0(VALU_DEP_1) | instskip(SKIP_1) | instid1(VALU_DEP_1)
	v_fmac_f32_e32 v3, v103, v79
	s_waitcnt vmcnt(0)
	v_fmac_f32_e32 v3, v104, v80
	s_waitcnt lgkmcnt(1)
	s_delay_alu instid0(VALU_DEP_1) | instskip(NEXT) | instid1(VALU_DEP_1)
	v_fmac_f32_e32 v3, v105, v81
	v_fmac_f32_e32 v3, v106, v82
	s_waitcnt lgkmcnt(0)
	s_delay_alu instid0(VALU_DEP_1) | instskip(NEXT) | instid1(VALU_DEP_1)
	v_fmac_f32_e32 v3, v107, v83
	v_sub_f32_e32 v3, v76, v3
	scratch_store_b32 off, v3, off offset:16
	v_cmpx_lt_u32_e32 3, v0
	s_cbranch_execz .LBB99_217
; %bb.216:
	scratch_load_b32 v3, off, off offset:12
	scratch_store_b32 off, v2, off offset:12
	s_waitcnt vmcnt(0)
	ds_store_b32 v1, v3
.LBB99_217:
	s_or_b32 exec_lo, exec_lo, s0
	s_waitcnt lgkmcnt(0)
	s_waitcnt_vscnt null, 0x0
	s_barrier
	buffer_gl0_inv
	s_clause 0x8
	scratch_load_b128 v[76:79], off, off offset:12
	scratch_load_b128 v[80:83], off, off offset:28
	;; [unrolled: 1-line block ×8, first 2 shown]
	scratch_load_b32 v3, off, off offset:140
	ds_load_b128 v[108:111], v2 offset:160
	ds_load_b128 v[112:115], v2 offset:176
	s_mov_b32 s0, exec_lo
	s_waitcnt vmcnt(8) lgkmcnt(1)
	v_fma_f32 v108, v77, v108, 0
	s_delay_alu instid0(VALU_DEP_1) | instskip(NEXT) | instid1(VALU_DEP_1)
	v_fmac_f32_e32 v108, v78, v109
	v_fmac_f32_e32 v108, v79, v110
	s_waitcnt vmcnt(7)
	s_delay_alu instid0(VALU_DEP_1) | instskip(SKIP_3) | instid1(VALU_DEP_1)
	v_fmac_f32_e32 v108, v80, v111
	ds_load_b128 v[77:80], v2 offset:192
	s_waitcnt lgkmcnt(1)
	v_fmac_f32_e32 v108, v81, v112
	v_fmac_f32_e32 v108, v82, v113
	s_delay_alu instid0(VALU_DEP_1) | instskip(SKIP_1) | instid1(VALU_DEP_1)
	v_fmac_f32_e32 v108, v83, v114
	s_waitcnt vmcnt(6)
	v_fmac_f32_e32 v108, v84, v115
	ds_load_b128 v[81:84], v2 offset:208
	s_waitcnt lgkmcnt(1)
	v_fmac_f32_e32 v108, v85, v77
	s_delay_alu instid0(VALU_DEP_1) | instskip(NEXT) | instid1(VALU_DEP_1)
	v_fmac_f32_e32 v108, v86, v78
	v_fmac_f32_e32 v108, v87, v79
	s_waitcnt vmcnt(5)
	s_delay_alu instid0(VALU_DEP_1) | instskip(SKIP_3) | instid1(VALU_DEP_1)
	v_fmac_f32_e32 v108, v88, v80
	ds_load_b128 v[77:80], v2 offset:224
	s_waitcnt lgkmcnt(1)
	v_fmac_f32_e32 v108, v89, v81
	v_fmac_f32_e32 v108, v90, v82
	s_delay_alu instid0(VALU_DEP_1) | instskip(SKIP_1) | instid1(VALU_DEP_1)
	v_fmac_f32_e32 v108, v91, v83
	s_waitcnt vmcnt(4)
	v_fmac_f32_e32 v108, v92, v84
	ds_load_b128 v[81:84], v2 offset:240
	s_waitcnt lgkmcnt(1)
	v_fmac_f32_e32 v108, v93, v77
	s_delay_alu instid0(VALU_DEP_1) | instskip(NEXT) | instid1(VALU_DEP_1)
	v_fmac_f32_e32 v108, v94, v78
	v_fmac_f32_e32 v108, v95, v79
	s_waitcnt vmcnt(3)
	s_delay_alu instid0(VALU_DEP_1) | instskip(SKIP_3) | instid1(VALU_DEP_1)
	v_fmac_f32_e32 v108, v96, v80
	ds_load_b128 v[77:80], v2 offset:256
	s_waitcnt lgkmcnt(1)
	v_fmac_f32_e32 v108, v97, v81
	v_fmac_f32_e32 v108, v98, v82
	s_delay_alu instid0(VALU_DEP_1) | instskip(SKIP_1) | instid1(VALU_DEP_1)
	v_fmac_f32_e32 v108, v99, v83
	s_waitcnt vmcnt(2)
	v_fmac_f32_e32 v108, v100, v84
	ds_load_b128 v[81:84], v2 offset:272
	s_waitcnt lgkmcnt(1)
	v_fmac_f32_e32 v108, v101, v77
	s_delay_alu instid0(VALU_DEP_1) | instskip(NEXT) | instid1(VALU_DEP_1)
	v_fmac_f32_e32 v108, v102, v78
	v_fmac_f32_e32 v108, v103, v79
	s_waitcnt vmcnt(1)
	s_delay_alu instid0(VALU_DEP_1) | instskip(SKIP_1) | instid1(VALU_DEP_1)
	v_fmac_f32_e32 v108, v104, v80
	s_waitcnt lgkmcnt(0)
	v_fmac_f32_e32 v108, v105, v81
	s_delay_alu instid0(VALU_DEP_1) | instskip(NEXT) | instid1(VALU_DEP_1)
	v_fmac_f32_e32 v108, v106, v82
	v_fmac_f32_e32 v108, v107, v83
	s_waitcnt vmcnt(0)
	s_delay_alu instid0(VALU_DEP_1) | instskip(NEXT) | instid1(VALU_DEP_1)
	v_fmac_f32_e32 v108, v3, v84
	v_sub_f32_e32 v2, v76, v108
	scratch_store_b32 off, v2, off offset:12
	v_cmpx_lt_u32_e32 2, v0
	s_cbranch_execz .LBB99_219
; %bb.218:
	scratch_load_b32 v2, off, off offset:8
	v_mov_b32_e32 v3, 0
	scratch_store_b32 off, v3, off offset:8
	s_waitcnt vmcnt(0)
	ds_store_b32 v1, v2
.LBB99_219:
	s_or_b32 exec_lo, exec_lo, s0
	s_waitcnt lgkmcnt(0)
	s_waitcnt_vscnt null, 0x0
	s_barrier
	buffer_gl0_inv
	s_clause 0x8
	scratch_load_b128 v[76:79], off, off offset:8
	scratch_load_b128 v[80:83], off, off offset:24
	;; [unrolled: 1-line block ×8, first 2 shown]
	scratch_load_b64 v[108:109], off, off offset:136
	v_mov_b32_e32 v2, 0
	ds_load_2addr_b32 v[110:111], v2 offset0:39 offset1:40
	ds_load_2addr_b32 v[112:113], v2 offset0:41 offset1:42
	;; [unrolled: 1-line block ×4, first 2 shown]
	s_mov_b32 s0, exec_lo
	s_waitcnt vmcnt(8) lgkmcnt(3)
	v_fma_f32 v3, v77, v110, 0
	s_delay_alu instid0(VALU_DEP_1) | instskip(SKIP_4) | instid1(VALU_DEP_1)
	v_fmac_f32_e32 v3, v78, v111
	ds_load_2addr_b32 v[77:78], v2 offset0:47 offset1:48
	s_waitcnt lgkmcnt(3)
	v_fmac_f32_e32 v3, v79, v112
	s_waitcnt vmcnt(7)
	v_fmac_f32_e32 v3, v80, v113
	ds_load_2addr_b32 v[79:80], v2 offset0:49 offset1:50
	s_waitcnt lgkmcnt(3)
	v_fmac_f32_e32 v3, v81, v114
	s_delay_alu instid0(VALU_DEP_1) | instskip(SKIP_1) | instid1(VALU_DEP_1)
	v_fmac_f32_e32 v3, v82, v115
	s_waitcnt lgkmcnt(2)
	v_fmac_f32_e32 v3, v83, v116
	s_waitcnt vmcnt(6)
	s_delay_alu instid0(VALU_DEP_1) | instskip(SKIP_4) | instid1(VALU_DEP_1)
	v_fmac_f32_e32 v3, v84, v117
	ds_load_2addr_b32 v[81:82], v2 offset0:51 offset1:52
	ds_load_2addr_b32 v[83:84], v2 offset0:53 offset1:54
	s_waitcnt lgkmcnt(3)
	v_fmac_f32_e32 v3, v85, v77
	v_fmac_f32_e32 v3, v86, v78
	ds_load_2addr_b32 v[77:78], v2 offset0:55 offset1:56
	s_waitcnt lgkmcnt(3)
	v_fmac_f32_e32 v3, v87, v79
	s_waitcnt vmcnt(5)
	s_delay_alu instid0(VALU_DEP_1) | instskip(SKIP_3) | instid1(VALU_DEP_1)
	v_fmac_f32_e32 v3, v88, v80
	ds_load_2addr_b32 v[79:80], v2 offset0:57 offset1:58
	s_waitcnt lgkmcnt(3)
	v_fmac_f32_e32 v3, v89, v81
	v_fmac_f32_e32 v3, v90, v82
	s_waitcnt lgkmcnt(2)
	s_delay_alu instid0(VALU_DEP_1) | instskip(SKIP_1) | instid1(VALU_DEP_1)
	v_fmac_f32_e32 v3, v91, v83
	s_waitcnt vmcnt(4)
	v_fmac_f32_e32 v3, v92, v84
	ds_load_2addr_b32 v[81:82], v2 offset0:59 offset1:60
	ds_load_2addr_b32 v[83:84], v2 offset0:61 offset1:62
	s_waitcnt lgkmcnt(3)
	v_fmac_f32_e32 v3, v93, v77
	s_delay_alu instid0(VALU_DEP_1) | instskip(SKIP_4) | instid1(VALU_DEP_1)
	v_fmac_f32_e32 v3, v94, v78
	ds_load_2addr_b32 v[77:78], v2 offset0:63 offset1:64
	s_waitcnt lgkmcnt(3)
	v_fmac_f32_e32 v3, v95, v79
	s_waitcnt vmcnt(3)
	v_fmac_f32_e32 v3, v96, v80
	ds_load_2addr_b32 v[79:80], v2 offset0:65 offset1:66
	s_waitcnt lgkmcnt(3)
	v_fmac_f32_e32 v3, v97, v81
	s_delay_alu instid0(VALU_DEP_1) | instskip(SKIP_1) | instid1(VALU_DEP_1)
	v_fmac_f32_e32 v3, v98, v82
	s_waitcnt lgkmcnt(2)
	v_fmac_f32_e32 v3, v99, v83
	s_waitcnt vmcnt(2)
	s_delay_alu instid0(VALU_DEP_1)
	v_fmac_f32_e32 v3, v100, v84
	ds_load_2addr_b32 v[81:82], v2 offset0:67 offset1:68
	ds_load_2addr_b32 v[83:84], v2 offset0:69 offset1:70
	s_waitcnt lgkmcnt(3)
	v_fmac_f32_e32 v3, v101, v77
	ds_load_b32 v77, v2 offset:284
	v_fmac_f32_e32 v3, v102, v78
	s_waitcnt lgkmcnt(3)
	s_delay_alu instid0(VALU_DEP_1) | instskip(SKIP_1) | instid1(VALU_DEP_1)
	v_fmac_f32_e32 v3, v103, v79
	s_waitcnt vmcnt(1)
	v_fmac_f32_e32 v3, v104, v80
	s_waitcnt lgkmcnt(2)
	s_delay_alu instid0(VALU_DEP_1) | instskip(NEXT) | instid1(VALU_DEP_1)
	v_fmac_f32_e32 v3, v105, v81
	v_fmac_f32_e32 v3, v106, v82
	s_waitcnt lgkmcnt(1)
	s_delay_alu instid0(VALU_DEP_1) | instskip(SKIP_1) | instid1(VALU_DEP_1)
	v_fmac_f32_e32 v3, v107, v83
	s_waitcnt vmcnt(0)
	v_fmac_f32_e32 v3, v108, v84
	s_waitcnt lgkmcnt(0)
	s_delay_alu instid0(VALU_DEP_1) | instskip(NEXT) | instid1(VALU_DEP_1)
	v_fmac_f32_e32 v3, v109, v77
	v_sub_f32_e32 v3, v76, v3
	scratch_store_b32 off, v3, off offset:8
	v_cmpx_lt_u32_e32 1, v0
	s_cbranch_execz .LBB99_221
; %bb.220:
	scratch_load_b32 v3, off, off offset:4
	scratch_store_b32 off, v2, off offset:4
	s_waitcnt vmcnt(0)
	ds_store_b32 v1, v3
.LBB99_221:
	s_or_b32 exec_lo, exec_lo, s0
	s_waitcnt lgkmcnt(0)
	s_waitcnt_vscnt null, 0x0
	s_barrier
	buffer_gl0_inv
	s_clause 0x8
	scratch_load_b128 v[76:79], off, off offset:4
	scratch_load_b128 v[80:83], off, off offset:20
	scratch_load_b128 v[84:87], off, off offset:36
	scratch_load_b128 v[88:91], off, off offset:52
	scratch_load_b128 v[92:95], off, off offset:68
	scratch_load_b128 v[96:99], off, off offset:84
	scratch_load_b128 v[100:103], off, off offset:100
	scratch_load_b128 v[104:107], off, off offset:116
	scratch_load_b96 v[116:118], off, off offset:132
	ds_load_2addr_b64 v[108:111], v2 offset0:19 offset1:20
	ds_load_2addr_b64 v[112:115], v2 offset0:21 offset1:22
	s_mov_b32 s0, exec_lo
	s_waitcnt vmcnt(8) lgkmcnt(1)
	v_fma_f32 v108, v77, v108, 0
	s_delay_alu instid0(VALU_DEP_1) | instskip(NEXT) | instid1(VALU_DEP_1)
	v_fmac_f32_e32 v108, v78, v109
	v_fmac_f32_e32 v108, v79, v110
	s_waitcnt vmcnt(7)
	s_delay_alu instid0(VALU_DEP_1) | instskip(SKIP_3) | instid1(VALU_DEP_1)
	v_fmac_f32_e32 v108, v80, v111
	ds_load_2addr_b64 v[77:80], v2 offset0:23 offset1:24
	s_waitcnt lgkmcnt(1)
	v_fmac_f32_e32 v108, v81, v112
	v_fmac_f32_e32 v108, v82, v113
	s_delay_alu instid0(VALU_DEP_1) | instskip(SKIP_1) | instid1(VALU_DEP_1)
	v_fmac_f32_e32 v108, v83, v114
	s_waitcnt vmcnt(6)
	v_fmac_f32_e32 v108, v84, v115
	ds_load_2addr_b64 v[81:84], v2 offset0:25 offset1:26
	s_waitcnt lgkmcnt(1)
	v_fmac_f32_e32 v108, v85, v77
	s_delay_alu instid0(VALU_DEP_1) | instskip(NEXT) | instid1(VALU_DEP_1)
	v_fmac_f32_e32 v108, v86, v78
	v_fmac_f32_e32 v108, v87, v79
	s_waitcnt vmcnt(5)
	s_delay_alu instid0(VALU_DEP_1) | instskip(SKIP_3) | instid1(VALU_DEP_1)
	v_fmac_f32_e32 v108, v88, v80
	ds_load_2addr_b64 v[77:80], v2 offset0:27 offset1:28
	s_waitcnt lgkmcnt(1)
	v_fmac_f32_e32 v108, v89, v81
	v_fmac_f32_e32 v108, v90, v82
	s_delay_alu instid0(VALU_DEP_1) | instskip(SKIP_1) | instid1(VALU_DEP_1)
	v_fmac_f32_e32 v108, v91, v83
	s_waitcnt vmcnt(4)
	v_fmac_f32_e32 v108, v92, v84
	ds_load_2addr_b64 v[81:84], v2 offset0:29 offset1:30
	s_waitcnt lgkmcnt(1)
	v_fmac_f32_e32 v108, v93, v77
	s_delay_alu instid0(VALU_DEP_1) | instskip(NEXT) | instid1(VALU_DEP_1)
	v_fmac_f32_e32 v108, v94, v78
	v_fmac_f32_e32 v108, v95, v79
	s_waitcnt vmcnt(3)
	s_delay_alu instid0(VALU_DEP_1) | instskip(SKIP_3) | instid1(VALU_DEP_1)
	v_fmac_f32_e32 v108, v96, v80
	ds_load_2addr_b64 v[77:80], v2 offset0:31 offset1:32
	s_waitcnt lgkmcnt(1)
	v_fmac_f32_e32 v108, v97, v81
	v_fmac_f32_e32 v108, v98, v82
	s_delay_alu instid0(VALU_DEP_1) | instskip(SKIP_1) | instid1(VALU_DEP_1)
	v_fmac_f32_e32 v108, v99, v83
	s_waitcnt vmcnt(2)
	v_fmac_f32_e32 v108, v100, v84
	ds_load_2addr_b64 v[81:84], v2 offset0:33 offset1:34
	ds_load_b64 v[2:3], v2 offset:280
	s_waitcnt lgkmcnt(2)
	v_fmac_f32_e32 v108, v101, v77
	s_delay_alu instid0(VALU_DEP_1) | instskip(NEXT) | instid1(VALU_DEP_1)
	v_fmac_f32_e32 v108, v102, v78
	v_fmac_f32_e32 v108, v103, v79
	s_waitcnt vmcnt(1)
	s_delay_alu instid0(VALU_DEP_1) | instskip(SKIP_1) | instid1(VALU_DEP_1)
	v_fmac_f32_e32 v108, v104, v80
	s_waitcnt lgkmcnt(1)
	v_fmac_f32_e32 v108, v105, v81
	s_delay_alu instid0(VALU_DEP_1) | instskip(NEXT) | instid1(VALU_DEP_1)
	v_fmac_f32_e32 v108, v106, v82
	v_fmac_f32_e32 v108, v107, v83
	s_waitcnt vmcnt(0)
	s_delay_alu instid0(VALU_DEP_1) | instskip(SKIP_1) | instid1(VALU_DEP_1)
	v_fmac_f32_e32 v108, v116, v84
	s_waitcnt lgkmcnt(0)
	v_fmac_f32_e32 v108, v117, v2
	s_delay_alu instid0(VALU_DEP_1) | instskip(NEXT) | instid1(VALU_DEP_1)
	v_fmac_f32_e32 v108, v118, v3
	v_sub_f32_e32 v2, v76, v108
	scratch_store_b32 off, v2, off offset:4
	v_cmpx_ne_u32_e32 0, v0
	s_cbranch_execz .LBB99_223
; %bb.222:
	scratch_load_b32 v0, off, off
	v_mov_b32_e32 v2, 0
	scratch_store_b32 off, v2, off
	s_waitcnt vmcnt(0)
	ds_store_b32 v1, v0
.LBB99_223:
	s_or_b32 exec_lo, exec_lo, s0
	s_waitcnt lgkmcnt(0)
	s_waitcnt_vscnt null, 0x0
	s_barrier
	buffer_gl0_inv
	s_clause 0x8
	scratch_load_b128 v[76:79], off, off
	scratch_load_b128 v[80:83], off, off offset:16
	scratch_load_b128 v[84:87], off, off offset:32
	scratch_load_b128 v[88:91], off, off offset:48
	scratch_load_b128 v[92:95], off, off offset:64
	scratch_load_b128 v[96:99], off, off offset:80
	scratch_load_b128 v[100:103], off, off offset:96
	scratch_load_b128 v[104:107], off, off offset:112
	scratch_load_b128 v[0:3], off, off offset:128
	v_mov_b32_e32 v116, 0
	ds_load_2addr_b32 v[108:109], v116 offset0:37 offset1:38
	ds_load_2addr_b32 v[110:111], v116 offset0:39 offset1:40
	;; [unrolled: 1-line block ×4, first 2 shown]
	s_and_b32 vcc_lo, exec_lo, s12
	s_waitcnt vmcnt(8) lgkmcnt(3)
	v_fma_f32 v108, v77, v108, 0
	s_delay_alu instid0(VALU_DEP_1) | instskip(SKIP_4) | instid1(VALU_DEP_1)
	v_fmac_f32_e32 v108, v78, v109
	ds_load_2addr_b32 v[77:78], v116 offset0:45 offset1:46
	s_waitcnt lgkmcnt(3)
	v_fmac_f32_e32 v108, v79, v110
	s_waitcnt vmcnt(7)
	v_fmac_f32_e32 v108, v80, v111
	ds_load_2addr_b32 v[79:80], v116 offset0:47 offset1:48
	s_waitcnt lgkmcnt(3)
	v_fmac_f32_e32 v108, v81, v112
	s_delay_alu instid0(VALU_DEP_1) | instskip(SKIP_1) | instid1(VALU_DEP_1)
	v_fmac_f32_e32 v108, v82, v113
	s_waitcnt lgkmcnt(2)
	v_fmac_f32_e32 v108, v83, v114
	s_waitcnt vmcnt(6)
	s_delay_alu instid0(VALU_DEP_1) | instskip(SKIP_4) | instid1(VALU_DEP_1)
	v_fmac_f32_e32 v108, v84, v115
	ds_load_2addr_b32 v[81:82], v116 offset0:49 offset1:50
	ds_load_2addr_b32 v[83:84], v116 offset0:51 offset1:52
	s_waitcnt lgkmcnt(3)
	v_fmac_f32_e32 v108, v85, v77
	v_fmac_f32_e32 v108, v86, v78
	ds_load_2addr_b32 v[77:78], v116 offset0:53 offset1:54
	s_waitcnt lgkmcnt(3)
	v_fmac_f32_e32 v108, v87, v79
	s_waitcnt vmcnt(5)
	s_delay_alu instid0(VALU_DEP_1) | instskip(SKIP_3) | instid1(VALU_DEP_1)
	v_fmac_f32_e32 v108, v88, v80
	ds_load_2addr_b32 v[79:80], v116 offset0:55 offset1:56
	s_waitcnt lgkmcnt(3)
	v_fmac_f32_e32 v108, v89, v81
	v_fmac_f32_e32 v108, v90, v82
	s_waitcnt lgkmcnt(2)
	s_delay_alu instid0(VALU_DEP_1) | instskip(SKIP_1) | instid1(VALU_DEP_1)
	v_fmac_f32_e32 v108, v91, v83
	s_waitcnt vmcnt(4)
	v_fmac_f32_e32 v108, v92, v84
	ds_load_2addr_b32 v[81:82], v116 offset0:57 offset1:58
	ds_load_2addr_b32 v[83:84], v116 offset0:59 offset1:60
	s_waitcnt lgkmcnt(3)
	v_fmac_f32_e32 v108, v93, v77
	s_delay_alu instid0(VALU_DEP_1) | instskip(SKIP_4) | instid1(VALU_DEP_1)
	v_fmac_f32_e32 v108, v94, v78
	ds_load_2addr_b32 v[77:78], v116 offset0:61 offset1:62
	s_waitcnt lgkmcnt(3)
	v_fmac_f32_e32 v108, v95, v79
	s_waitcnt vmcnt(3)
	v_fmac_f32_e32 v108, v96, v80
	ds_load_2addr_b32 v[79:80], v116 offset0:63 offset1:64
	s_waitcnt lgkmcnt(3)
	v_fmac_f32_e32 v108, v97, v81
	s_delay_alu instid0(VALU_DEP_1) | instskip(SKIP_1) | instid1(VALU_DEP_1)
	v_fmac_f32_e32 v108, v98, v82
	s_waitcnt lgkmcnt(2)
	v_fmac_f32_e32 v108, v99, v83
	s_waitcnt vmcnt(2)
	s_delay_alu instid0(VALU_DEP_1) | instskip(SKIP_4) | instid1(VALU_DEP_1)
	v_fmac_f32_e32 v108, v100, v84
	ds_load_2addr_b32 v[81:82], v116 offset0:65 offset1:66
	ds_load_2addr_b32 v[83:84], v116 offset0:67 offset1:68
	s_waitcnt lgkmcnt(3)
	v_fmac_f32_e32 v108, v101, v77
	v_fmac_f32_e32 v108, v102, v78
	ds_load_2addr_b32 v[77:78], v116 offset0:69 offset1:70
	s_waitcnt lgkmcnt(3)
	v_fmac_f32_e32 v108, v103, v79
	ds_load_b32 v79, v116 offset:284
	s_waitcnt vmcnt(1)
	v_fmac_f32_e32 v108, v104, v80
	s_waitcnt lgkmcnt(3)
	s_delay_alu instid0(VALU_DEP_1) | instskip(NEXT) | instid1(VALU_DEP_1)
	v_fmac_f32_e32 v108, v105, v81
	v_fmac_f32_e32 v108, v106, v82
	s_waitcnt lgkmcnt(2)
	s_delay_alu instid0(VALU_DEP_1) | instskip(SKIP_1) | instid1(VALU_DEP_1)
	v_fmac_f32_e32 v108, v107, v83
	s_waitcnt vmcnt(0)
	v_fmac_f32_e32 v108, v0, v84
	s_waitcnt lgkmcnt(1)
	s_delay_alu instid0(VALU_DEP_1) | instskip(NEXT) | instid1(VALU_DEP_1)
	v_fmac_f32_e32 v108, v1, v77
	v_fmac_f32_e32 v108, v2, v78
	s_waitcnt lgkmcnt(0)
	s_delay_alu instid0(VALU_DEP_1) | instskip(NEXT) | instid1(VALU_DEP_1)
	v_fmac_f32_e32 v108, v3, v79
	v_sub_f32_e32 v0, v76, v108
	scratch_store_b32 off, v0, off
	s_cbranch_vccz .LBB99_295
; %bb.224:
	v_dual_mov_b32 v0, s2 :: v_dual_mov_b32 v1, s3
	s_mov_b32 s0, exec_lo
	flat_load_b32 v0, v[0:1] offset:136
	s_waitcnt vmcnt(0) lgkmcnt(0)
	v_cmpx_ne_u32_e32 35, v0
	s_cbranch_execz .LBB99_226
; %bb.225:
	v_lshl_add_u32 v0, v0, 2, 0
	scratch_load_b32 v1, v0, off offset:-4
	s_waitcnt vmcnt(0)
	scratch_store_b32 off, v1, off offset:136
	scratch_store_b32 v0, v2, off offset:-4
.LBB99_226:
	s_or_b32 exec_lo, exec_lo, s0
	v_dual_mov_b32 v0, s2 :: v_dual_mov_b32 v1, s3
	s_mov_b32 s0, exec_lo
	flat_load_b32 v0, v[0:1] offset:132
	s_waitcnt vmcnt(0) lgkmcnt(0)
	v_cmpx_ne_u32_e32 34, v0
	s_cbranch_execz .LBB99_228
; %bb.227:
	v_lshl_add_u32 v0, v0, 2, 0
	scratch_load_b32 v1, v0, off offset:-4
	scratch_load_b32 v2, off, off offset:132
	s_waitcnt vmcnt(1)
	scratch_store_b32 off, v1, off offset:132
	s_waitcnt vmcnt(0)
	scratch_store_b32 v0, v2, off offset:-4
.LBB99_228:
	s_or_b32 exec_lo, exec_lo, s0
	v_dual_mov_b32 v0, s2 :: v_dual_mov_b32 v1, s3
	s_mov_b32 s0, exec_lo
	flat_load_b32 v0, v[0:1] offset:128
	s_waitcnt vmcnt(0) lgkmcnt(0)
	v_cmpx_ne_u32_e32 33, v0
	s_cbranch_execz .LBB99_230
; %bb.229:
	v_lshl_add_u32 v0, v0, 2, 0
	scratch_load_b32 v1, v0, off offset:-4
	scratch_load_b32 v2, off, off offset:128
	s_waitcnt vmcnt(1)
	scratch_store_b32 off, v1, off offset:128
	s_waitcnt vmcnt(0)
	scratch_store_b32 v0, v2, off offset:-4
.LBB99_230:
	;; [unrolled: 16-line block ×33, first 2 shown]
	s_or_b32 exec_lo, exec_lo, s0
	v_dual_mov_b32 v0, s2 :: v_dual_mov_b32 v1, s3
	s_mov_b32 s0, exec_lo
	flat_load_b32 v1, v[0:1]
	scratch_load_b32 v0, off, off
	s_waitcnt vmcnt(1) lgkmcnt(0)
	v_cmpx_ne_u32_e32 1, v1
	s_cbranch_execz .LBB99_294
; %bb.293:
	v_lshl_add_u32 v1, v1, 2, 0
	scratch_load_b32 v2, v1, off offset:-4
	s_waitcnt vmcnt(0)
	scratch_store_b32 off, v2, off
	scratch_store_b32 v1, v0, off offset:-4
	scratch_load_b32 v0, off, off
.LBB99_294:
	s_or_b32 exec_lo, exec_lo, s0
.LBB99_295:
	s_clause 0x8
	scratch_load_b128 v[76:79], off, off offset:4
	scratch_load_b128 v[80:83], off, off offset:20
	;; [unrolled: 1-line block ×8, first 2 shown]
	scratch_load_b96 v[1:3], off, off offset:132
	s_waitcnt vmcnt(9)
	global_store_b32 v[4:5], v0, off
	s_waitcnt vmcnt(8)
	s_clause 0x3
	global_store_b32 v[6:7], v76, off
	global_store_b32 v[8:9], v77, off
	global_store_b32 v[10:11], v78, off
	global_store_b32 v[12:13], v79, off
	s_waitcnt vmcnt(7)
	s_clause 0x3
	global_store_b32 v[14:15], v80, off
	global_store_b32 v[16:17], v81, off
	global_store_b32 v[18:19], v82, off
	;; [unrolled: 6-line block ×9, first 2 shown]
	s_endpgm
	.section	.rodata,"a",@progbits
	.p2align	6, 0x0
	.amdhsa_kernel _ZN9rocsolver6v33100L18getri_kernel_smallILi36EfPKPfEEvT1_iilPiilS6_bb
		.amdhsa_group_segment_fixed_size 292
		.amdhsa_private_segment_fixed_size 160
		.amdhsa_kernarg_size 60
		.amdhsa_user_sgpr_count 15
		.amdhsa_user_sgpr_dispatch_ptr 0
		.amdhsa_user_sgpr_queue_ptr 0
		.amdhsa_user_sgpr_kernarg_segment_ptr 1
		.amdhsa_user_sgpr_dispatch_id 0
		.amdhsa_user_sgpr_private_segment_size 0
		.amdhsa_wavefront_size32 1
		.amdhsa_uses_dynamic_stack 0
		.amdhsa_enable_private_segment 1
		.amdhsa_system_sgpr_workgroup_id_x 1
		.amdhsa_system_sgpr_workgroup_id_y 0
		.amdhsa_system_sgpr_workgroup_id_z 0
		.amdhsa_system_sgpr_workgroup_info 0
		.amdhsa_system_vgpr_workitem_id 0
		.amdhsa_next_free_vgpr 119
		.amdhsa_next_free_sgpr 17
		.amdhsa_reserve_vcc 1
		.amdhsa_float_round_mode_32 0
		.amdhsa_float_round_mode_16_64 0
		.amdhsa_float_denorm_mode_32 3
		.amdhsa_float_denorm_mode_16_64 3
		.amdhsa_dx10_clamp 1
		.amdhsa_ieee_mode 1
		.amdhsa_fp16_overflow 0
		.amdhsa_workgroup_processor_mode 1
		.amdhsa_memory_ordered 1
		.amdhsa_forward_progress 0
		.amdhsa_shared_vgpr_count 0
		.amdhsa_exception_fp_ieee_invalid_op 0
		.amdhsa_exception_fp_denorm_src 0
		.amdhsa_exception_fp_ieee_div_zero 0
		.amdhsa_exception_fp_ieee_overflow 0
		.amdhsa_exception_fp_ieee_underflow 0
		.amdhsa_exception_fp_ieee_inexact 0
		.amdhsa_exception_int_div_zero 0
	.end_amdhsa_kernel
	.section	.text._ZN9rocsolver6v33100L18getri_kernel_smallILi36EfPKPfEEvT1_iilPiilS6_bb,"axG",@progbits,_ZN9rocsolver6v33100L18getri_kernel_smallILi36EfPKPfEEvT1_iilPiilS6_bb,comdat
.Lfunc_end99:
	.size	_ZN9rocsolver6v33100L18getri_kernel_smallILi36EfPKPfEEvT1_iilPiilS6_bb, .Lfunc_end99-_ZN9rocsolver6v33100L18getri_kernel_smallILi36EfPKPfEEvT1_iilPiilS6_bb
                                        ; -- End function
	.section	.AMDGPU.csdata,"",@progbits
; Kernel info:
; codeLenInByte = 23460
; NumSgprs: 19
; NumVgprs: 119
; ScratchSize: 160
; MemoryBound: 0
; FloatMode: 240
; IeeeMode: 1
; LDSByteSize: 292 bytes/workgroup (compile time only)
; SGPRBlocks: 2
; VGPRBlocks: 14
; NumSGPRsForWavesPerEU: 19
; NumVGPRsForWavesPerEU: 119
; Occupancy: 12
; WaveLimiterHint : 1
; COMPUTE_PGM_RSRC2:SCRATCH_EN: 1
; COMPUTE_PGM_RSRC2:USER_SGPR: 15
; COMPUTE_PGM_RSRC2:TRAP_HANDLER: 0
; COMPUTE_PGM_RSRC2:TGID_X_EN: 1
; COMPUTE_PGM_RSRC2:TGID_Y_EN: 0
; COMPUTE_PGM_RSRC2:TGID_Z_EN: 0
; COMPUTE_PGM_RSRC2:TIDIG_COMP_CNT: 0
	.section	.text._ZN9rocsolver6v33100L18getri_kernel_smallILi37EfPKPfEEvT1_iilPiilS6_bb,"axG",@progbits,_ZN9rocsolver6v33100L18getri_kernel_smallILi37EfPKPfEEvT1_iilPiilS6_bb,comdat
	.globl	_ZN9rocsolver6v33100L18getri_kernel_smallILi37EfPKPfEEvT1_iilPiilS6_bb ; -- Begin function _ZN9rocsolver6v33100L18getri_kernel_smallILi37EfPKPfEEvT1_iilPiilS6_bb
	.p2align	8
	.type	_ZN9rocsolver6v33100L18getri_kernel_smallILi37EfPKPfEEvT1_iilPiilS6_bb,@function
_ZN9rocsolver6v33100L18getri_kernel_smallILi37EfPKPfEEvT1_iilPiilS6_bb: ; @_ZN9rocsolver6v33100L18getri_kernel_smallILi37EfPKPfEEvT1_iilPiilS6_bb
; %bb.0:
	s_mov_b32 s2, exec_lo
	v_cmpx_gt_u32_e32 37, v0
	s_cbranch_execz .LBB100_156
; %bb.1:
	s_clause 0x1
	s_load_b32 s13, s[0:1], 0x38
	s_load_b64 s[2:3], s[0:1], 0x0
	s_mov_b32 s8, s15
	s_load_b128 s[4:7], s[0:1], 0x28
	s_waitcnt lgkmcnt(0)
	s_bitcmp1_b32 s13, 8
	s_cselect_b32 s12, -1, 0
	s_ashr_i32 s9, s15, 31
	s_delay_alu instid0(SALU_CYCLE_1) | instskip(NEXT) | instid1(SALU_CYCLE_1)
	s_lshl_b64 s[10:11], s[8:9], 3
	s_add_u32 s2, s2, s10
	s_addc_u32 s3, s3, s11
	s_load_b64 s[10:11], s[2:3], 0x0
	s_bfe_u32 s2, s13, 0x10008
	s_delay_alu instid0(SALU_CYCLE_1)
	s_cmp_eq_u32 s2, 0
                                        ; implicit-def: $sgpr2_sgpr3
	s_cbranch_scc1 .LBB100_3
; %bb.2:
	s_clause 0x1
	s_load_b32 s2, s[0:1], 0x20
	s_load_b64 s[14:15], s[0:1], 0x18
	s_mul_i32 s3, s8, s5
	s_mul_hi_u32 s5, s8, s4
	s_mul_i32 s16, s9, s4
	s_add_i32 s3, s5, s3
	s_mul_i32 s4, s8, s4
	s_add_i32 s5, s3, s16
	s_delay_alu instid0(SALU_CYCLE_1)
	s_lshl_b64 s[4:5], s[4:5], 2
	s_waitcnt lgkmcnt(0)
	s_ashr_i32 s3, s2, 31
	s_add_u32 s4, s14, s4
	s_addc_u32 s5, s15, s5
	s_lshl_b64 s[2:3], s[2:3], 2
	s_delay_alu instid0(SALU_CYCLE_1)
	s_add_u32 s2, s4, s2
	s_addc_u32 s3, s5, s3
.LBB100_3:
	s_load_b64 s[0:1], s[0:1], 0x8
	v_lshlrev_b32_e32 v1, 2, v0
	s_waitcnt lgkmcnt(0)
	v_add3_u32 v2, s1, s1, v0
	s_ashr_i32 s5, s0, 31
	s_mov_b32 s4, s0
	s_mov_b32 s14, s1
	s_lshl_b64 s[4:5], s[4:5], 2
	v_add_nc_u32_e32 v8, s1, v2
	v_ashrrev_i32_e32 v3, 31, v2
	s_add_u32 s4, s10, s4
	s_addc_u32 s5, s11, s5
	v_add_co_u32 v4, s0, s4, v1
	v_add_nc_u32_e32 v10, s1, v8
	s_ashr_i32 s15, s1, 31
	v_add_co_ci_u32_e64 v5, null, s5, 0, s0
	v_lshlrev_b64 v[2:3], 2, v[2:3]
	s_delay_alu instid0(VALU_DEP_3)
	v_add_nc_u32_e32 v12, s1, v10
	v_ashrrev_i32_e32 v9, 31, v8
	s_lshl_b64 s[10:11], s[14:15], 2
	v_ashrrev_i32_e32 v11, 31, v10
	v_add_co_u32 v6, vcc_lo, v4, s10
	v_add_nc_u32_e32 v14, s1, v12
	v_add_co_ci_u32_e32 v7, vcc_lo, s11, v5, vcc_lo
	v_lshlrev_b64 v[33:34], 2, v[8:9]
	v_add_co_u32 v8, vcc_lo, s4, v2
	s_delay_alu instid0(VALU_DEP_4) | instskip(SKIP_3) | instid1(VALU_DEP_4)
	v_add_nc_u32_e32 v16, s1, v14
	v_add_co_ci_u32_e32 v9, vcc_lo, s5, v3, vcc_lo
	v_lshlrev_b64 v[2:3], 2, v[10:11]
	v_ashrrev_i32_e32 v13, 31, v12
	v_add_nc_u32_e32 v18, s1, v16
	v_add_co_u32 v10, vcc_lo, s4, v33
	v_ashrrev_i32_e32 v15, 31, v14
	v_add_co_ci_u32_e32 v11, vcc_lo, s5, v34, vcc_lo
	s_delay_alu instid0(VALU_DEP_4) | instskip(SKIP_3) | instid1(VALU_DEP_4)
	v_add_nc_u32_e32 v20, s1, v18
	v_lshlrev_b64 v[33:34], 2, v[12:13]
	v_add_co_u32 v12, vcc_lo, s4, v2
	v_add_co_ci_u32_e32 v13, vcc_lo, s5, v3, vcc_lo
	v_add_nc_u32_e32 v22, s1, v20
	v_lshlrev_b64 v[2:3], 2, v[14:15]
	v_ashrrev_i32_e32 v17, 31, v16
	v_add_co_u32 v14, vcc_lo, s4, v33
	s_delay_alu instid0(VALU_DEP_4) | instskip(SKIP_3) | instid1(VALU_DEP_4)
	v_add_nc_u32_e32 v24, s1, v22
	v_ashrrev_i32_e32 v19, 31, v18
	v_add_co_ci_u32_e32 v15, vcc_lo, s5, v34, vcc_lo
	v_lshlrev_b64 v[33:34], 2, v[16:17]
	v_add_nc_u32_e32 v26, s1, v24
	v_add_co_u32 v16, vcc_lo, s4, v2
	v_add_co_ci_u32_e32 v17, vcc_lo, s5, v3, vcc_lo
	s_delay_alu instid0(VALU_DEP_3) | instskip(SKIP_3) | instid1(VALU_DEP_4)
	v_add_nc_u32_e32 v28, s1, v26
	v_ashrrev_i32_e32 v21, 31, v20
	v_lshlrev_b64 v[2:3], 2, v[18:19]
	v_add_co_u32 v18, vcc_lo, s4, v33
	v_add_nc_u32_e32 v30, s1, v28
	v_ashrrev_i32_e32 v23, 31, v22
	v_add_co_ci_u32_e32 v19, vcc_lo, s5, v34, vcc_lo
	v_lshlrev_b64 v[33:34], 2, v[20:21]
	s_delay_alu instid0(VALU_DEP_4) | instskip(SKIP_2) | instid1(VALU_DEP_3)
	v_add_nc_u32_e32 v32, s1, v30
	v_add_co_u32 v20, vcc_lo, s4, v2
	v_add_co_ci_u32_e32 v21, vcc_lo, s5, v3, vcc_lo
	v_add_nc_u32_e32 v35, s1, v32
	v_lshlrev_b64 v[2:3], 2, v[22:23]
	v_ashrrev_i32_e32 v25, 31, v24
	v_add_co_u32 v22, vcc_lo, s4, v33
	s_delay_alu instid0(VALU_DEP_4) | instskip(SKIP_3) | instid1(VALU_DEP_4)
	v_add_nc_u32_e32 v37, s1, v35
	v_ashrrev_i32_e32 v27, 31, v26
	v_add_co_ci_u32_e32 v23, vcc_lo, s5, v34, vcc_lo
	v_lshlrev_b64 v[33:34], 2, v[24:25]
	v_add_nc_u32_e32 v39, s1, v37
	v_add_co_u32 v24, vcc_lo, s4, v2
	v_add_co_ci_u32_e32 v25, vcc_lo, s5, v3, vcc_lo
	s_delay_alu instid0(VALU_DEP_3) | instskip(SKIP_3) | instid1(VALU_DEP_4)
	v_add_nc_u32_e32 v41, s1, v39
	v_ashrrev_i32_e32 v29, 31, v28
	v_lshlrev_b64 v[2:3], 2, v[26:27]
	v_add_co_u32 v26, vcc_lo, s4, v33
	v_add_nc_u32_e32 v43, s1, v41
	v_ashrrev_i32_e32 v31, 31, v30
	v_add_co_ci_u32_e32 v27, vcc_lo, s5, v34, vcc_lo
	v_lshlrev_b64 v[50:51], 2, v[28:29]
	s_delay_alu instid0(VALU_DEP_4) | instskip(SKIP_2) | instid1(VALU_DEP_3)
	v_add_nc_u32_e32 v45, s1, v43
	v_add_co_u32 v28, vcc_lo, s4, v2
	v_add_co_ci_u32_e32 v29, vcc_lo, s5, v3, vcc_lo
	v_add_nc_u32_e32 v47, s1, v45
	v_lshlrev_b64 v[2:3], 2, v[30:31]
	v_ashrrev_i32_e32 v33, 31, v32
	v_add_co_u32 v30, vcc_lo, s4, v50
	s_delay_alu instid0(VALU_DEP_4) | instskip(SKIP_3) | instid1(VALU_DEP_4)
	v_add_nc_u32_e32 v49, s1, v47
	v_ashrrev_i32_e32 v36, 31, v35
	v_add_co_ci_u32_e32 v31, vcc_lo, s5, v51, vcc_lo
	v_lshlrev_b64 v[50:51], 2, v[32:33]
	v_add_nc_u32_e32 v52, s1, v49
	v_add_co_u32 v32, vcc_lo, s4, v2
	v_add_co_ci_u32_e32 v33, vcc_lo, s5, v3, vcc_lo
	s_delay_alu instid0(VALU_DEP_3) | instskip(SKIP_3) | instid1(VALU_DEP_4)
	v_add_nc_u32_e32 v56, s1, v52
	v_lshlrev_b64 v[2:3], 2, v[35:36]
	v_ashrrev_i32_e32 v38, 31, v37
	v_add_co_u32 v34, vcc_lo, s4, v50
	v_add_nc_u32_e32 v58, s1, v56
	v_ashrrev_i32_e32 v40, 31, v39
	v_add_co_ci_u32_e32 v35, vcc_lo, s5, v51, vcc_lo
	v_lshlrev_b64 v[50:51], 2, v[37:38]
	s_delay_alu instid0(VALU_DEP_4) | instskip(SKIP_2) | instid1(VALU_DEP_3)
	v_add_nc_u32_e32 v60, s1, v58
	v_add_co_u32 v36, vcc_lo, s4, v2
	v_add_co_ci_u32_e32 v37, vcc_lo, s5, v3, vcc_lo
	v_add_nc_u32_e32 v62, s1, v60
	v_lshlrev_b64 v[2:3], 2, v[39:40]
	v_ashrrev_i32_e32 v42, 31, v41
	v_add_co_u32 v38, vcc_lo, s4, v50
	s_delay_alu instid0(VALU_DEP_4) | instskip(SKIP_3) | instid1(VALU_DEP_4)
	v_add_nc_u32_e32 v64, s1, v62
	v_ashrrev_i32_e32 v44, 31, v43
	v_add_co_ci_u32_e32 v39, vcc_lo, s5, v51, vcc_lo
	v_lshlrev_b64 v[50:51], 2, v[41:42]
	v_add_nc_u32_e32 v66, s1, v64
	v_add_co_u32 v40, vcc_lo, s4, v2
	v_ashrrev_i32_e32 v46, 31, v45
	v_add_co_ci_u32_e32 v41, vcc_lo, s5, v3, vcc_lo
	s_delay_alu instid0(VALU_DEP_4) | instskip(SKIP_3) | instid1(VALU_DEP_4)
	v_add_nc_u32_e32 v68, s1, v66
	v_lshlrev_b64 v[2:3], 2, v[43:44]
	v_add_co_u32 v42, vcc_lo, s4, v50
	v_lshlrev_b64 v[53:54], 2, v[45:46]
	v_add_nc_u32_e32 v70, s1, v68
	v_ashrrev_i32_e32 v48, 31, v47
	v_add_co_ci_u32_e32 v43, vcc_lo, s5, v51, vcc_lo
	v_add_co_u32 v44, vcc_lo, s4, v2
	s_delay_alu instid0(VALU_DEP_4) | instskip(SKIP_3) | instid1(VALU_DEP_4)
	v_add_nc_u32_e32 v72, s1, v70
	v_ashrrev_i32_e32 v50, 31, v49
	v_add_co_ci_u32_e32 v45, vcc_lo, s5, v3, vcc_lo
	v_lshlrev_b64 v[2:3], 2, v[47:48]
	v_add_nc_u32_e32 v74, s1, v72
	v_add_co_u32 v46, vcc_lo, s4, v53
	v_add_co_ci_u32_e32 v47, vcc_lo, s5, v54, vcc_lo
	s_delay_alu instid0(VALU_DEP_3) | instskip(SKIP_3) | instid1(VALU_DEP_4)
	v_add_nc_u32_e32 v76, s1, v74
	v_lshlrev_b64 v[54:55], 2, v[49:50]
	v_ashrrev_i32_e32 v53, 31, v52
	v_add_co_u32 v50, vcc_lo, s4, v2
	v_add_nc_u32_e32 v95, s1, v76
	v_add_co_ci_u32_e32 v51, vcc_lo, s5, v3, vcc_lo
	s_delay_alu instid0(VALU_DEP_4) | instskip(SKIP_1) | instid1(VALU_DEP_4)
	v_lshlrev_b64 v[2:3], 2, v[52:53]
	v_ashrrev_i32_e32 v57, 31, v56
	v_ashrrev_i32_e32 v96, 31, v95
	;; [unrolled: 1-line block ×6, first 2 shown]
	v_lshlrev_b64 v[48:49], 2, v[95:96]
	v_lshlrev_b64 v[58:59], 2, v[58:59]
	v_ashrrev_i32_e32 v67, 31, v66
	v_lshlrev_b64 v[62:63], 2, v[62:63]
	v_ashrrev_i32_e32 v69, 31, v68
	v_ashrrev_i32_e32 v71, 31, v70
	v_add_co_u32 v48, vcc_lo, s4, v48
	v_add_co_ci_u32_e32 v49, vcc_lo, s5, v49, vcc_lo
	v_add_co_u32 v52, vcc_lo, s4, v54
	v_add_co_ci_u32_e32 v53, vcc_lo, s5, v55, vcc_lo
	;; [unrolled: 2-line block ×3, first 2 shown]
	v_lshlrev_b64 v[2:3], 2, v[56:57]
	v_lshlrev_b64 v[66:67], 2, v[66:67]
	v_ashrrev_i32_e32 v73, 31, v72
	v_ashrrev_i32_e32 v75, 31, v74
	v_lshlrev_b64 v[103:104], 2, v[70:71]
	v_ashrrev_i32_e32 v77, 31, v76
	v_add_co_u32 v56, vcc_lo, s4, v2
	v_add_co_ci_u32_e32 v57, vcc_lo, s5, v3, vcc_lo
	v_lshlrev_b64 v[2:3], 2, v[60:61]
	v_add_co_u32 v58, vcc_lo, s4, v58
	v_add_co_ci_u32_e32 v59, vcc_lo, s5, v59, vcc_lo
	v_lshlrev_b64 v[70:71], 2, v[72:73]
	s_delay_alu instid0(VALU_DEP_4)
	v_add_co_u32 v60, vcc_lo, s4, v2
	v_add_co_ci_u32_e32 v61, vcc_lo, s5, v3, vcc_lo
	v_lshlrev_b64 v[2:3], 2, v[64:65]
	v_add_co_u32 v62, vcc_lo, s4, v62
	v_add_co_ci_u32_e32 v63, vcc_lo, s5, v63, vcc_lo
	global_load_b32 v78, v1, s[4:5]
	v_add_co_u32 v64, vcc_lo, s4, v2
	v_add_co_ci_u32_e32 v65, vcc_lo, s5, v3, vcc_lo
	v_lshlrev_b64 v[2:3], 2, v[68:69]
	v_add_co_u32 v66, vcc_lo, s4, v66
	v_add_co_ci_u32_e32 v67, vcc_lo, s5, v67, vcc_lo
	s_clause 0x7
	global_load_b32 v79, v[6:7], off
	global_load_b32 v80, v[8:9], off
	;; [unrolled: 1-line block ×8, first 2 shown]
	v_add_co_u32 v68, vcc_lo, s4, v2
	v_add_co_ci_u32_e32 v69, vcc_lo, s5, v3, vcc_lo
	v_lshlrev_b64 v[2:3], 2, v[74:75]
	v_add_co_u32 v70, vcc_lo, s4, v70
	v_lshlrev_b64 v[74:75], 2, v[76:77]
	v_add_co_ci_u32_e32 v71, vcc_lo, s5, v71, vcc_lo
	s_delay_alu instid0(VALU_DEP_4) | instskip(SKIP_1) | instid1(VALU_DEP_4)
	v_add_co_u32 v72, vcc_lo, s4, v2
	v_add_co_ci_u32_e32 v73, vcc_lo, s5, v3, vcc_lo
	v_add_co_u32 v74, vcc_lo, s4, v74
	v_add_co_ci_u32_e32 v75, vcc_lo, s5, v75, vcc_lo
	v_add_co_u32 v76, vcc_lo, s4, v103
	s_clause 0xf
	global_load_b32 v87, v[22:23], off
	global_load_b32 v88, v[24:25], off
	global_load_b32 v89, v[26:27], off
	global_load_b32 v90, v[28:29], off
	global_load_b32 v91, v[30:31], off
	global_load_b32 v92, v[32:33], off
	global_load_b32 v93, v[34:35], off
	global_load_b32 v94, v[36:37], off
	global_load_b32 v95, v[38:39], off
	global_load_b32 v96, v[40:41], off
	global_load_b32 v97, v[42:43], off
	global_load_b32 v98, v[44:45], off
	global_load_b32 v99, v[46:47], off
	global_load_b32 v100, v[50:51], off
	global_load_b32 v101, v[52:53], off
	global_load_b32 v102, v[54:55], off
	v_add_co_ci_u32_e32 v77, vcc_lo, s5, v104, vcc_lo
	s_clause 0xb
	global_load_b32 v107, v[70:71], off
	global_load_b32 v108, v[72:73], off
	;; [unrolled: 1-line block ×12, first 2 shown]
	s_mov_b32 s1, -1
	s_bitcmp0_b32 s13, 0
	s_waitcnt vmcnt(33)
	scratch_store_b128 off, v[78:81], off
	s_waitcnt vmcnt(29)
	scratch_store_b128 off, v[82:85], off offset:16
	s_waitcnt vmcnt(25)
	scratch_store_b128 off, v[86:89], off offset:32
	;; [unrolled: 2-line block ×8, first 2 shown]
	s_waitcnt vmcnt(0)
	scratch_store_b32 off, v2, off offset:144
	s_cbranch_scc1 .LBB100_154
; %bb.4:
	v_cmp_eq_u32_e64 s0, 0, v0
	s_delay_alu instid0(VALU_DEP_1)
	s_and_saveexec_b32 s1, s0
	s_cbranch_execz .LBB100_6
; %bb.5:
	v_mov_b32_e32 v2, 0
	ds_store_b32 v2, v2 offset:148
.LBB100_6:
	s_or_b32 exec_lo, exec_lo, s1
	s_waitcnt lgkmcnt(0)
	s_waitcnt_vscnt null, 0x0
	s_barrier
	buffer_gl0_inv
	scratch_load_b32 v2, v1, off
	s_mov_b32 s4, exec_lo
	s_waitcnt vmcnt(0)
	v_cmpx_eq_f32_e32 0, v2
	s_cbranch_execz .LBB100_10
; %bb.7:
	v_mov_b32_e32 v2, 0
	s_mov_b32 s5, 0
	ds_load_b32 v3, v2 offset:148
	s_waitcnt lgkmcnt(0)
	v_readfirstlane_b32 s1, v3
	v_add_nc_u32_e32 v3, 1, v0
	s_delay_alu instid0(VALU_DEP_2) | instskip(NEXT) | instid1(VALU_DEP_1)
	s_cmp_eq_u32 s1, 0
	v_cmp_gt_i32_e32 vcc_lo, s1, v3
	s_cselect_b32 s10, -1, 0
	s_delay_alu instid0(SALU_CYCLE_1) | instskip(NEXT) | instid1(SALU_CYCLE_1)
	s_or_b32 s10, s10, vcc_lo
	s_and_b32 exec_lo, exec_lo, s10
	s_cbranch_execz .LBB100_10
; %bb.8:
	v_mov_b32_e32 v78, s1
.LBB100_9:                              ; =>This Inner Loop Header: Depth=1
	ds_cmpstore_rtn_b32 v78, v2, v3, v78 offset:148
	s_waitcnt lgkmcnt(0)
	v_cmp_ne_u32_e32 vcc_lo, 0, v78
	v_cmp_le_i32_e64 s1, v78, v3
	s_delay_alu instid0(VALU_DEP_1) | instskip(NEXT) | instid1(SALU_CYCLE_1)
	s_and_b32 s1, vcc_lo, s1
	s_and_b32 s1, exec_lo, s1
	s_delay_alu instid0(SALU_CYCLE_1) | instskip(NEXT) | instid1(SALU_CYCLE_1)
	s_or_b32 s5, s1, s5
	s_and_not1_b32 exec_lo, exec_lo, s5
	s_cbranch_execnz .LBB100_9
.LBB100_10:
	s_or_b32 exec_lo, exec_lo, s4
	v_mov_b32_e32 v2, 0
	s_barrier
	buffer_gl0_inv
	ds_load_b32 v3, v2 offset:148
	s_and_saveexec_b32 s1, s0
	s_cbranch_execz .LBB100_12
; %bb.11:
	s_lshl_b64 s[4:5], s[8:9], 2
	s_delay_alu instid0(SALU_CYCLE_1)
	s_add_u32 s4, s6, s4
	s_addc_u32 s5, s7, s5
	s_waitcnt lgkmcnt(0)
	global_store_b32 v2, v3, s[4:5]
.LBB100_12:
	s_or_b32 exec_lo, exec_lo, s1
	s_waitcnt lgkmcnt(0)
	v_cmp_ne_u32_e32 vcc_lo, 0, v3
	s_mov_b32 s1, 0
	s_cbranch_vccnz .LBB100_154
; %bb.13:
	v_add_nc_u32_e32 v2, 0, v1
	scratch_load_b32 v3, v2, off
	s_waitcnt vmcnt(0)
	v_div_scale_f32 v78, null, v3, v3, 1.0
	v_div_scale_f32 v81, vcc_lo, 1.0, v3, 1.0
	s_delay_alu instid0(VALU_DEP_2) | instskip(SKIP_2) | instid1(VALU_DEP_1)
	v_rcp_f32_e32 v79, v78
	s_waitcnt_depctr 0xfff
	v_fma_f32 v80, -v78, v79, 1.0
	v_fmac_f32_e32 v79, v80, v79
	s_delay_alu instid0(VALU_DEP_1) | instskip(NEXT) | instid1(VALU_DEP_1)
	v_mul_f32_e32 v80, v81, v79
	v_fma_f32 v82, -v78, v80, v81
	s_delay_alu instid0(VALU_DEP_1) | instskip(NEXT) | instid1(VALU_DEP_1)
	v_fmac_f32_e32 v80, v82, v79
	v_fma_f32 v78, -v78, v80, v81
	s_delay_alu instid0(VALU_DEP_1) | instskip(NEXT) | instid1(VALU_DEP_1)
	v_div_fmas_f32 v78, v78, v79, v80
	v_div_fixup_f32 v3, v78, v3, 1.0
	scratch_store_b32 v2, v3, off
	scratch_load_b32 v78, off, off offset:4
	v_xor_b32_e32 v79, 0x80000000, v3
	v_add_nc_u32_e32 v3, 0xa0, v1
	s_waitcnt vmcnt(0)
	ds_store_2addr_b32 v1, v79, v78 offset1:40
	s_waitcnt lgkmcnt(0)
	s_waitcnt_vscnt null, 0x0
	s_barrier
	buffer_gl0_inv
	s_and_saveexec_b32 s1, s0
	s_cbranch_execz .LBB100_15
; %bb.14:
	scratch_load_b32 v78, v2, off
	ds_load_b32 v79, v3
	v_mov_b32_e32 v80, 0
	ds_load_b32 v80, v80 offset:4
	s_waitcnt vmcnt(0) lgkmcnt(1)
	v_fma_f32 v78, v78, v79, 0
	s_waitcnt lgkmcnt(0)
	s_delay_alu instid0(VALU_DEP_1)
	v_mul_f32_e32 v78, v78, v80
	scratch_store_b32 off, v78, off offset:4
.LBB100_15:
	s_or_b32 exec_lo, exec_lo, s1
	s_waitcnt_vscnt null, 0x0
	s_barrier
	buffer_gl0_inv
	scratch_load_b32 v78, off, off offset:8
	s_mov_b32 s1, exec_lo
	s_waitcnt vmcnt(0)
	ds_store_b32 v3, v78
	s_waitcnt lgkmcnt(0)
	s_barrier
	buffer_gl0_inv
	v_cmpx_gt_u32_e32 2, v0
	s_cbranch_execz .LBB100_17
; %bb.16:
	scratch_load_b32 v80, v2, off
	scratch_load_b32 v81, off, off offset:4
	ds_load_b32 v82, v3
	v_mov_b32_e32 v78, 0
	ds_load_2addr_b32 v[78:79], v78 offset0:2 offset1:41
	s_waitcnt vmcnt(1) lgkmcnt(1)
	v_fma_f32 v80, v80, v82, 0
	s_waitcnt vmcnt(0) lgkmcnt(0)
	s_delay_alu instid0(VALU_DEP_1) | instskip(NEXT) | instid1(VALU_DEP_1)
	v_fma_f32 v79, v81, v79, v80
	v_cndmask_b32_e64 v79, v80, v79, s0
	s_delay_alu instid0(VALU_DEP_1)
	v_mul_f32_e32 v78, v79, v78
	scratch_store_b32 off, v78, off offset:8
.LBB100_17:
	s_or_b32 exec_lo, exec_lo, s1
	s_waitcnt_vscnt null, 0x0
	s_barrier
	buffer_gl0_inv
	scratch_load_b32 v79, off, off offset:12
	v_add_nc_u32_e32 v78, -1, v0
	s_mov_b32 s0, exec_lo
	s_waitcnt vmcnt(0)
	ds_store_b32 v3, v79
	s_waitcnt lgkmcnt(0)
	s_barrier
	buffer_gl0_inv
	v_cmpx_gt_u32_e32 3, v0
	s_cbranch_execz .LBB100_21
; %bb.18:
	v_dual_mov_b32 v79, 0 :: v_dual_add_nc_u32 v80, -1, v0
	v_add_nc_u32_e32 v81, 0xa0, v1
	v_add_nc_u32_e32 v82, 0, v1
	s_mov_b32 s1, 0
.LBB100_19:                             ; =>This Inner Loop Header: Depth=1
	scratch_load_b32 v83, v82, off
	ds_load_b32 v84, v81
	v_add_nc_u32_e32 v80, 1, v80
	v_add_nc_u32_e32 v81, 4, v81
	v_add_nc_u32_e32 v82, 4, v82
	s_delay_alu instid0(VALU_DEP_3)
	v_cmp_lt_u32_e32 vcc_lo, 1, v80
	s_or_b32 s1, vcc_lo, s1
	s_waitcnt vmcnt(0) lgkmcnt(0)
	v_fmac_f32_e32 v79, v83, v84
	s_and_not1_b32 exec_lo, exec_lo, s1
	s_cbranch_execnz .LBB100_19
; %bb.20:
	s_or_b32 exec_lo, exec_lo, s1
	v_mov_b32_e32 v80, 0
	ds_load_b32 v80, v80 offset:12
	s_waitcnt lgkmcnt(0)
	v_mul_f32_e32 v79, v79, v80
	scratch_store_b32 off, v79, off offset:12
.LBB100_21:
	s_or_b32 exec_lo, exec_lo, s0
	s_waitcnt_vscnt null, 0x0
	s_barrier
	buffer_gl0_inv
	scratch_load_b32 v79, off, off offset:16
	s_mov_b32 s0, exec_lo
	s_waitcnt vmcnt(0)
	ds_store_b32 v3, v79
	s_waitcnt lgkmcnt(0)
	s_barrier
	buffer_gl0_inv
	v_cmpx_gt_u32_e32 4, v0
	s_cbranch_execz .LBB100_25
; %bb.22:
	v_dual_mov_b32 v79, 0 :: v_dual_add_nc_u32 v80, -1, v0
	v_add_nc_u32_e32 v81, 0xa0, v1
	v_add_nc_u32_e32 v82, 0, v1
	s_mov_b32 s1, 0
.LBB100_23:                             ; =>This Inner Loop Header: Depth=1
	scratch_load_b32 v83, v82, off
	ds_load_b32 v84, v81
	v_add_nc_u32_e32 v80, 1, v80
	v_add_nc_u32_e32 v81, 4, v81
	v_add_nc_u32_e32 v82, 4, v82
	s_delay_alu instid0(VALU_DEP_3)
	v_cmp_lt_u32_e32 vcc_lo, 2, v80
	s_or_b32 s1, vcc_lo, s1
	s_waitcnt vmcnt(0) lgkmcnt(0)
	v_fmac_f32_e32 v79, v83, v84
	s_and_not1_b32 exec_lo, exec_lo, s1
	s_cbranch_execnz .LBB100_23
; %bb.24:
	s_or_b32 exec_lo, exec_lo, s1
	v_mov_b32_e32 v80, 0
	ds_load_b32 v80, v80 offset:16
	s_waitcnt lgkmcnt(0)
	v_mul_f32_e32 v79, v79, v80
	scratch_store_b32 off, v79, off offset:16
.LBB100_25:
	s_or_b32 exec_lo, exec_lo, s0
	s_waitcnt_vscnt null, 0x0
	s_barrier
	buffer_gl0_inv
	scratch_load_b32 v79, off, off offset:20
	;; [unrolled: 39-line block ×21, first 2 shown]
	s_mov_b32 s0, exec_lo
	s_waitcnt vmcnt(0)
	ds_store_b32 v3, v79
	s_waitcnt lgkmcnt(0)
	s_barrier
	buffer_gl0_inv
	v_cmpx_gt_u32_e32 24, v0
	s_cbranch_execz .LBB100_105
; %bb.102:
	v_dual_mov_b32 v79, 0 :: v_dual_add_nc_u32 v80, -1, v0
	v_add_nc_u32_e32 v81, 0xa0, v1
	v_add_nc_u32_e32 v82, 0, v1
	s_mov_b32 s1, 0
.LBB100_103:                            ; =>This Inner Loop Header: Depth=1
	scratch_load_b32 v83, v82, off
	ds_load_b32 v84, v81
	v_add_nc_u32_e32 v80, 1, v80
	v_add_nc_u32_e32 v81, 4, v81
	v_add_nc_u32_e32 v82, 4, v82
	s_delay_alu instid0(VALU_DEP_3)
	v_cmp_lt_u32_e32 vcc_lo, 22, v80
	s_or_b32 s1, vcc_lo, s1
	s_waitcnt vmcnt(0) lgkmcnt(0)
	v_fmac_f32_e32 v79, v83, v84
	s_and_not1_b32 exec_lo, exec_lo, s1
	s_cbranch_execnz .LBB100_103
; %bb.104:
	s_or_b32 exec_lo, exec_lo, s1
	v_mov_b32_e32 v80, 0
	ds_load_b32 v80, v80 offset:96
	s_waitcnt lgkmcnt(0)
	v_mul_f32_e32 v79, v79, v80
	scratch_store_b32 off, v79, off offset:96
.LBB100_105:
	s_or_b32 exec_lo, exec_lo, s0
	s_waitcnt_vscnt null, 0x0
	s_barrier
	buffer_gl0_inv
	scratch_load_b32 v79, off, off offset:100
	s_mov_b32 s0, exec_lo
	s_waitcnt vmcnt(0)
	ds_store_b32 v3, v79
	s_waitcnt lgkmcnt(0)
	s_barrier
	buffer_gl0_inv
	v_cmpx_gt_u32_e32 25, v0
	s_cbranch_execz .LBB100_109
; %bb.106:
	v_dual_mov_b32 v79, 0 :: v_dual_add_nc_u32 v80, -1, v0
	v_add_nc_u32_e32 v81, 0xa0, v1
	v_add_nc_u32_e32 v82, 0, v1
	s_mov_b32 s1, 0
.LBB100_107:                            ; =>This Inner Loop Header: Depth=1
	scratch_load_b32 v83, v82, off
	ds_load_b32 v84, v81
	v_add_nc_u32_e32 v80, 1, v80
	v_add_nc_u32_e32 v81, 4, v81
	v_add_nc_u32_e32 v82, 4, v82
	s_delay_alu instid0(VALU_DEP_3)
	v_cmp_lt_u32_e32 vcc_lo, 23, v80
	s_or_b32 s1, vcc_lo, s1
	s_waitcnt vmcnt(0) lgkmcnt(0)
	v_fmac_f32_e32 v79, v83, v84
	s_and_not1_b32 exec_lo, exec_lo, s1
	s_cbranch_execnz .LBB100_107
; %bb.108:
	s_or_b32 exec_lo, exec_lo, s1
	v_mov_b32_e32 v80, 0
	ds_load_b32 v80, v80 offset:100
	s_waitcnt lgkmcnt(0)
	v_mul_f32_e32 v79, v79, v80
	scratch_store_b32 off, v79, off offset:100
.LBB100_109:
	s_or_b32 exec_lo, exec_lo, s0
	s_waitcnt_vscnt null, 0x0
	s_barrier
	buffer_gl0_inv
	scratch_load_b32 v79, off, off offset:104
	;; [unrolled: 39-line block ×11, first 2 shown]
	s_mov_b32 s0, exec_lo
	s_waitcnt vmcnt(0)
	ds_store_b32 v3, v79
	s_waitcnt lgkmcnt(0)
	s_barrier
	buffer_gl0_inv
	v_cmpx_gt_u32_e32 35, v0
	s_cbranch_execz .LBB100_149
; %bb.146:
	v_add_nc_u32_e32 v79, -1, v0
	v_add_nc_u32_e32 v80, 0xa0, v1
	v_add_nc_u32_e32 v81, 0, v1
	v_mov_b32_e32 v1, 0
	s_mov_b32 s1, 0
.LBB100_147:                            ; =>This Inner Loop Header: Depth=1
	scratch_load_b32 v82, v81, off
	ds_load_b32 v83, v80
	v_add_nc_u32_e32 v79, 1, v79
	v_add_nc_u32_e32 v80, 4, v80
	;; [unrolled: 1-line block ×3, first 2 shown]
	s_delay_alu instid0(VALU_DEP_3)
	v_cmp_lt_u32_e32 vcc_lo, 33, v79
	s_or_b32 s1, vcc_lo, s1
	s_waitcnt vmcnt(0) lgkmcnt(0)
	v_fmac_f32_e32 v1, v82, v83
	s_and_not1_b32 exec_lo, exec_lo, s1
	s_cbranch_execnz .LBB100_147
; %bb.148:
	s_or_b32 exec_lo, exec_lo, s1
	v_mov_b32_e32 v79, 0
	ds_load_b32 v79, v79 offset:140
	s_waitcnt lgkmcnt(0)
	v_mul_f32_e32 v1, v1, v79
	scratch_store_b32 off, v1, off offset:140
.LBB100_149:
	s_or_b32 exec_lo, exec_lo, s0
	s_waitcnt_vscnt null, 0x0
	s_barrier
	buffer_gl0_inv
	scratch_load_b32 v1, off, off offset:144
	s_mov_b32 s0, exec_lo
	s_waitcnt vmcnt(0)
	ds_store_b32 v3, v1
	s_waitcnt lgkmcnt(0)
	s_barrier
	buffer_gl0_inv
	v_cmpx_ne_u32_e32 36, v0
	s_cbranch_execz .LBB100_153
; %bb.150:
	v_mov_b32_e32 v1, 0
	s_mov_b32 s1, 0
.LBB100_151:                            ; =>This Inner Loop Header: Depth=1
	scratch_load_b32 v79, v2, off
	ds_load_b32 v80, v3
	v_add_nc_u32_e32 v78, 1, v78
	v_add_nc_u32_e32 v3, 4, v3
	s_waitcnt vmcnt(0) lgkmcnt(0)
	v_dual_fmac_f32 v1, v79, v80 :: v_dual_add_nc_u32 v2, 4, v2
	s_delay_alu instid0(VALU_DEP_3) | instskip(SKIP_1) | instid1(SALU_CYCLE_1)
	v_cmp_lt_u32_e32 vcc_lo, 34, v78
	s_or_b32 s1, vcc_lo, s1
	s_and_not1_b32 exec_lo, exec_lo, s1
	s_cbranch_execnz .LBB100_151
; %bb.152:
	s_or_b32 exec_lo, exec_lo, s1
	v_mov_b32_e32 v2, 0
	ds_load_b32 v2, v2 offset:144
	s_waitcnt lgkmcnt(0)
	v_mul_f32_e32 v1, v1, v2
	scratch_store_b32 off, v1, off offset:144
.LBB100_153:
	s_or_b32 exec_lo, exec_lo, s0
	s_mov_b32 s1, -1
	s_waitcnt_vscnt null, 0x0
	s_barrier
	buffer_gl0_inv
.LBB100_154:
	s_and_b32 vcc_lo, exec_lo, s1
	s_cbranch_vccz .LBB100_156
; %bb.155:
	s_lshl_b64 s[0:1], s[8:9], 2
	v_mov_b32_e32 v1, 0
	s_add_u32 s0, s6, s0
	s_addc_u32 s1, s7, s1
	global_load_b32 v1, v1, s[0:1]
	s_waitcnt vmcnt(0)
	v_cmp_ne_u32_e32 vcc_lo, 0, v1
	s_cbranch_vccz .LBB100_157
.LBB100_156:
	s_endpgm
.LBB100_157:
	v_lshl_add_u32 v1, v0, 2, 0xa0
	s_mov_b32 s0, exec_lo
	v_cmpx_eq_u32_e32 36, v0
	s_cbranch_execz .LBB100_159
; %bb.158:
	scratch_load_b32 v2, off, off offset:140
	v_mov_b32_e32 v3, 0
	scratch_store_b32 off, v3, off offset:140
	s_waitcnt vmcnt(0)
	ds_store_b32 v1, v2
.LBB100_159:
	s_or_b32 exec_lo, exec_lo, s0
	s_waitcnt lgkmcnt(0)
	s_waitcnt_vscnt null, 0x0
	s_barrier
	buffer_gl0_inv
	scratch_load_b64 v[78:79], off, off offset:140
	v_mov_b32_e32 v2, 0
	s_mov_b32 s0, exec_lo
	ds_load_b32 v3, v2 offset:304
	s_waitcnt vmcnt(0) lgkmcnt(0)
	v_fma_f32 v3, v79, v3, 0
	s_delay_alu instid0(VALU_DEP_1)
	v_sub_f32_e32 v3, v78, v3
	scratch_store_b32 off, v3, off offset:140
	v_cmpx_lt_u32_e32 34, v0
	s_cbranch_execz .LBB100_161
; %bb.160:
	scratch_load_b32 v3, off, off offset:136
	scratch_store_b32 off, v2, off offset:136
	s_waitcnt vmcnt(0)
	ds_store_b32 v1, v3
.LBB100_161:
	s_or_b32 exec_lo, exec_lo, s0
	s_waitcnt lgkmcnt(0)
	s_waitcnt_vscnt null, 0x0
	s_barrier
	buffer_gl0_inv
	scratch_load_b96 v[78:80], off, off offset:136
	ds_load_2addr_b32 v[2:3], v2 offset0:75 offset1:76
	s_mov_b32 s0, exec_lo
	s_waitcnt vmcnt(0) lgkmcnt(0)
	v_fma_f32 v2, v79, v2, 0
	s_delay_alu instid0(VALU_DEP_1) | instskip(NEXT) | instid1(VALU_DEP_1)
	v_fmac_f32_e32 v2, v80, v3
	v_sub_f32_e32 v2, v78, v2
	scratch_store_b32 off, v2, off offset:136
	v_cmpx_lt_u32_e32 33, v0
	s_cbranch_execz .LBB100_163
; %bb.162:
	scratch_load_b32 v2, off, off offset:132
	v_mov_b32_e32 v3, 0
	scratch_store_b32 off, v3, off offset:132
	s_waitcnt vmcnt(0)
	ds_store_b32 v1, v2
.LBB100_163:
	s_or_b32 exec_lo, exec_lo, s0
	s_waitcnt lgkmcnt(0)
	s_waitcnt_vscnt null, 0x0
	s_barrier
	buffer_gl0_inv
	scratch_load_b128 v[78:81], off, off offset:132
	v_mov_b32_e32 v2, 0
	ds_load_b64 v[82:83], v2 offset:296
	ds_load_b32 v3, v2 offset:304
	s_mov_b32 s0, exec_lo
	s_waitcnt vmcnt(0) lgkmcnt(1)
	v_fma_f32 v79, v79, v82, 0
	s_delay_alu instid0(VALU_DEP_1) | instskip(SKIP_1) | instid1(VALU_DEP_1)
	v_fmac_f32_e32 v79, v80, v83
	s_waitcnt lgkmcnt(0)
	v_fmac_f32_e32 v79, v81, v3
	s_delay_alu instid0(VALU_DEP_1)
	v_sub_f32_e32 v3, v78, v79
	scratch_store_b32 off, v3, off offset:132
	v_cmpx_lt_u32_e32 32, v0
	s_cbranch_execz .LBB100_165
; %bb.164:
	scratch_load_b32 v3, off, off offset:128
	scratch_store_b32 off, v2, off offset:128
	s_waitcnt vmcnt(0)
	ds_store_b32 v1, v3
.LBB100_165:
	s_or_b32 exec_lo, exec_lo, s0
	s_waitcnt lgkmcnt(0)
	s_waitcnt_vscnt null, 0x0
	s_barrier
	buffer_gl0_inv
	s_clause 0x1
	scratch_load_b128 v[78:81], off, off offset:128
	scratch_load_b32 v84, off, off offset:144
	ds_load_2addr_b32 v[82:83], v2 offset0:73 offset1:74
	ds_load_2addr_b32 v[2:3], v2 offset0:75 offset1:76
	s_mov_b32 s0, exec_lo
	s_waitcnt vmcnt(1) lgkmcnt(1)
	v_fma_f32 v79, v79, v82, 0
	s_delay_alu instid0(VALU_DEP_1) | instskip(SKIP_1) | instid1(VALU_DEP_1)
	v_fmac_f32_e32 v79, v80, v83
	s_waitcnt lgkmcnt(0)
	v_fmac_f32_e32 v79, v81, v2
	s_waitcnt vmcnt(0)
	s_delay_alu instid0(VALU_DEP_1) | instskip(NEXT) | instid1(VALU_DEP_1)
	v_fmac_f32_e32 v79, v84, v3
	v_sub_f32_e32 v2, v78, v79
	scratch_store_b32 off, v2, off offset:128
	v_cmpx_lt_u32_e32 31, v0
	s_cbranch_execz .LBB100_167
; %bb.166:
	scratch_load_b32 v2, off, off offset:124
	v_mov_b32_e32 v3, 0
	scratch_store_b32 off, v3, off offset:124
	s_waitcnt vmcnt(0)
	ds_store_b32 v1, v2
.LBB100_167:
	s_or_b32 exec_lo, exec_lo, s0
	s_waitcnt lgkmcnt(0)
	s_waitcnt_vscnt null, 0x0
	s_barrier
	buffer_gl0_inv
	s_clause 0x1
	scratch_load_b128 v[78:81], off, off offset:124
	scratch_load_b64 v[86:87], off, off offset:140
	v_mov_b32_e32 v2, 0
	ds_load_b128 v[82:85], v2 offset:288
	ds_load_b32 v3, v2 offset:304
	s_mov_b32 s0, exec_lo
	s_waitcnt vmcnt(1) lgkmcnt(1)
	v_fma_f32 v79, v79, v82, 0
	s_delay_alu instid0(VALU_DEP_1) | instskip(NEXT) | instid1(VALU_DEP_1)
	v_fmac_f32_e32 v79, v80, v83
	v_fmac_f32_e32 v79, v81, v84
	s_waitcnt vmcnt(0)
	s_delay_alu instid0(VALU_DEP_1) | instskip(SKIP_1) | instid1(VALU_DEP_1)
	v_fmac_f32_e32 v79, v86, v85
	s_waitcnt lgkmcnt(0)
	v_fmac_f32_e32 v79, v87, v3
	s_delay_alu instid0(VALU_DEP_1)
	v_sub_f32_e32 v3, v78, v79
	scratch_store_b32 off, v3, off offset:124
	v_cmpx_lt_u32_e32 30, v0
	s_cbranch_execz .LBB100_169
; %bb.168:
	scratch_load_b32 v3, off, off offset:120
	scratch_store_b32 off, v2, off offset:120
	s_waitcnt vmcnt(0)
	ds_store_b32 v1, v3
.LBB100_169:
	s_or_b32 exec_lo, exec_lo, s0
	s_waitcnt lgkmcnt(0)
	s_waitcnt_vscnt null, 0x0
	s_barrier
	buffer_gl0_inv
	s_clause 0x1
	scratch_load_b128 v[78:81], off, off offset:120
	scratch_load_b96 v[82:84], off, off offset:136
	ds_load_2addr_b32 v[85:86], v2 offset0:71 offset1:72
	ds_load_2addr_b32 v[87:88], v2 offset0:73 offset1:74
	;; [unrolled: 1-line block ×3, first 2 shown]
	s_mov_b32 s0, exec_lo
	s_waitcnt vmcnt(1) lgkmcnt(2)
	v_fma_f32 v79, v79, v85, 0
	s_delay_alu instid0(VALU_DEP_1) | instskip(SKIP_1) | instid1(VALU_DEP_1)
	v_fmac_f32_e32 v79, v80, v86
	s_waitcnt lgkmcnt(1)
	v_fmac_f32_e32 v79, v81, v87
	s_waitcnt vmcnt(0)
	s_delay_alu instid0(VALU_DEP_1) | instskip(SKIP_1) | instid1(VALU_DEP_1)
	v_fmac_f32_e32 v79, v82, v88
	s_waitcnt lgkmcnt(0)
	v_fmac_f32_e32 v79, v83, v2
	s_delay_alu instid0(VALU_DEP_1) | instskip(NEXT) | instid1(VALU_DEP_1)
	v_fmac_f32_e32 v79, v84, v3
	v_sub_f32_e32 v2, v78, v79
	scratch_store_b32 off, v2, off offset:120
	v_cmpx_lt_u32_e32 29, v0
	s_cbranch_execz .LBB100_171
; %bb.170:
	scratch_load_b32 v2, off, off offset:116
	v_mov_b32_e32 v3, 0
	scratch_store_b32 off, v3, off offset:116
	s_waitcnt vmcnt(0)
	ds_store_b32 v1, v2
.LBB100_171:
	s_or_b32 exec_lo, exec_lo, s0
	s_waitcnt lgkmcnt(0)
	s_waitcnt_vscnt null, 0x0
	s_barrier
	buffer_gl0_inv
	s_clause 0x1
	scratch_load_b128 v[78:81], off, off offset:116
	scratch_load_b128 v[82:85], off, off offset:132
	v_mov_b32_e32 v2, 0
	ds_load_2addr_b64 v[86:89], v2 offset0:35 offset1:36
	ds_load_b64 v[90:91], v2 offset:296
	s_mov_b32 s0, exec_lo
	s_waitcnt vmcnt(1) lgkmcnt(1)
	v_fma_f32 v3, v79, v86, 0
	s_delay_alu instid0(VALU_DEP_1) | instskip(SKIP_3) | instid1(VALU_DEP_1)
	v_fmac_f32_e32 v3, v80, v87
	ds_load_b32 v79, v2 offset:304
	v_fmac_f32_e32 v3, v81, v88
	s_waitcnt vmcnt(0)
	v_fmac_f32_e32 v3, v82, v89
	s_waitcnt lgkmcnt(1)
	s_delay_alu instid0(VALU_DEP_1) | instskip(NEXT) | instid1(VALU_DEP_1)
	v_fmac_f32_e32 v3, v83, v90
	v_fmac_f32_e32 v3, v84, v91
	s_waitcnt lgkmcnt(0)
	s_delay_alu instid0(VALU_DEP_1) | instskip(NEXT) | instid1(VALU_DEP_1)
	v_fmac_f32_e32 v3, v85, v79
	v_sub_f32_e32 v3, v78, v3
	scratch_store_b32 off, v3, off offset:116
	v_cmpx_lt_u32_e32 28, v0
	s_cbranch_execz .LBB100_173
; %bb.172:
	scratch_load_b32 v3, off, off offset:112
	scratch_store_b32 off, v2, off offset:112
	s_waitcnt vmcnt(0)
	ds_store_b32 v1, v3
.LBB100_173:
	s_or_b32 exec_lo, exec_lo, s0
	s_waitcnt lgkmcnt(0)
	s_waitcnt_vscnt null, 0x0
	s_barrier
	buffer_gl0_inv
	s_clause 0x2
	scratch_load_b128 v[78:81], off, off offset:112
	scratch_load_b128 v[82:85], off, off offset:128
	scratch_load_b32 v92, off, off offset:144
	ds_load_2addr_b32 v[86:87], v2 offset0:69 offset1:70
	ds_load_2addr_b32 v[88:89], v2 offset0:71 offset1:72
	;; [unrolled: 1-line block ×4, first 2 shown]
	s_mov_b32 s0, exec_lo
	s_waitcnt vmcnt(2) lgkmcnt(3)
	v_fma_f32 v79, v79, v86, 0
	s_delay_alu instid0(VALU_DEP_1) | instskip(SKIP_1) | instid1(VALU_DEP_1)
	v_fmac_f32_e32 v79, v80, v87
	s_waitcnt lgkmcnt(2)
	v_fmac_f32_e32 v79, v81, v88
	s_waitcnt vmcnt(1)
	s_delay_alu instid0(VALU_DEP_1) | instskip(SKIP_1) | instid1(VALU_DEP_1)
	v_fmac_f32_e32 v79, v82, v89
	s_waitcnt lgkmcnt(1)
	v_fmac_f32_e32 v79, v83, v90
	s_delay_alu instid0(VALU_DEP_1) | instskip(SKIP_1) | instid1(VALU_DEP_1)
	v_fmac_f32_e32 v79, v84, v91
	s_waitcnt lgkmcnt(0)
	v_fmac_f32_e32 v79, v85, v2
	s_waitcnt vmcnt(0)
	s_delay_alu instid0(VALU_DEP_1) | instskip(NEXT) | instid1(VALU_DEP_1)
	v_fmac_f32_e32 v79, v92, v3
	v_sub_f32_e32 v2, v78, v79
	scratch_store_b32 off, v2, off offset:112
	v_cmpx_lt_u32_e32 27, v0
	s_cbranch_execz .LBB100_175
; %bb.174:
	scratch_load_b32 v2, off, off offset:108
	v_mov_b32_e32 v3, 0
	scratch_store_b32 off, v3, off offset:108
	s_waitcnt vmcnt(0)
	ds_store_b32 v1, v2
.LBB100_175:
	s_or_b32 exec_lo, exec_lo, s0
	s_waitcnt lgkmcnt(0)
	s_waitcnt_vscnt null, 0x0
	s_barrier
	buffer_gl0_inv
	s_clause 0x2
	scratch_load_b128 v[78:81], off, off offset:108
	scratch_load_b128 v[82:85], off, off offset:124
	scratch_load_b64 v[94:95], off, off offset:140
	v_mov_b32_e32 v2, 0
	ds_load_b128 v[86:89], v2 offset:272
	ds_load_b128 v[90:93], v2 offset:288
	s_mov_b32 s0, exec_lo
	s_waitcnt vmcnt(2) lgkmcnt(1)
	v_fma_f32 v3, v79, v86, 0
	s_delay_alu instid0(VALU_DEP_1) | instskip(SKIP_3) | instid1(VALU_DEP_1)
	v_fmac_f32_e32 v3, v80, v87
	ds_load_b32 v79, v2 offset:304
	v_fmac_f32_e32 v3, v81, v88
	s_waitcnt vmcnt(1)
	v_fmac_f32_e32 v3, v82, v89
	s_waitcnt lgkmcnt(1)
	s_delay_alu instid0(VALU_DEP_1) | instskip(NEXT) | instid1(VALU_DEP_1)
	v_fmac_f32_e32 v3, v83, v90
	v_fmac_f32_e32 v3, v84, v91
	s_delay_alu instid0(VALU_DEP_1) | instskip(SKIP_1) | instid1(VALU_DEP_1)
	v_fmac_f32_e32 v3, v85, v92
	s_waitcnt vmcnt(0)
	v_fmac_f32_e32 v3, v94, v93
	s_waitcnt lgkmcnt(0)
	s_delay_alu instid0(VALU_DEP_1) | instskip(NEXT) | instid1(VALU_DEP_1)
	v_fmac_f32_e32 v3, v95, v79
	v_sub_f32_e32 v3, v78, v3
	scratch_store_b32 off, v3, off offset:108
	v_cmpx_lt_u32_e32 26, v0
	s_cbranch_execz .LBB100_177
; %bb.176:
	scratch_load_b32 v3, off, off offset:104
	scratch_store_b32 off, v2, off offset:104
	s_waitcnt vmcnt(0)
	ds_store_b32 v1, v3
.LBB100_177:
	s_or_b32 exec_lo, exec_lo, s0
	s_waitcnt lgkmcnt(0)
	s_waitcnt_vscnt null, 0x0
	s_barrier
	buffer_gl0_inv
	s_clause 0x2
	scratch_load_b128 v[78:81], off, off offset:104
	scratch_load_b128 v[82:85], off, off offset:120
	scratch_load_b96 v[86:88], off, off offset:136
	ds_load_2addr_b32 v[89:90], v2 offset0:67 offset1:68
	ds_load_2addr_b32 v[91:92], v2 offset0:69 offset1:70
	;; [unrolled: 1-line block ×5, first 2 shown]
	s_mov_b32 s0, exec_lo
	s_waitcnt vmcnt(2) lgkmcnt(4)
	v_fma_f32 v79, v79, v89, 0
	s_delay_alu instid0(VALU_DEP_1) | instskip(SKIP_1) | instid1(VALU_DEP_1)
	v_fmac_f32_e32 v79, v80, v90
	s_waitcnt lgkmcnt(3)
	v_fmac_f32_e32 v79, v81, v91
	s_waitcnt vmcnt(1)
	s_delay_alu instid0(VALU_DEP_1) | instskip(SKIP_1) | instid1(VALU_DEP_1)
	v_fmac_f32_e32 v79, v82, v92
	s_waitcnt lgkmcnt(2)
	v_fmac_f32_e32 v79, v83, v93
	s_delay_alu instid0(VALU_DEP_1) | instskip(SKIP_1) | instid1(VALU_DEP_1)
	v_fmac_f32_e32 v79, v84, v94
	s_waitcnt lgkmcnt(1)
	v_fmac_f32_e32 v79, v85, v95
	s_waitcnt vmcnt(0)
	s_delay_alu instid0(VALU_DEP_1) | instskip(SKIP_1) | instid1(VALU_DEP_1)
	v_fmac_f32_e32 v79, v86, v96
	s_waitcnt lgkmcnt(0)
	v_fmac_f32_e32 v79, v87, v2
	s_delay_alu instid0(VALU_DEP_1) | instskip(NEXT) | instid1(VALU_DEP_1)
	v_fmac_f32_e32 v79, v88, v3
	v_sub_f32_e32 v2, v78, v79
	scratch_store_b32 off, v2, off offset:104
	v_cmpx_lt_u32_e32 25, v0
	s_cbranch_execz .LBB100_179
; %bb.178:
	scratch_load_b32 v2, off, off offset:100
	v_mov_b32_e32 v3, 0
	scratch_store_b32 off, v3, off offset:100
	s_waitcnt vmcnt(0)
	ds_store_b32 v1, v2
.LBB100_179:
	s_or_b32 exec_lo, exec_lo, s0
	s_waitcnt lgkmcnt(0)
	s_waitcnt_vscnt null, 0x0
	s_barrier
	buffer_gl0_inv
	s_clause 0x2
	scratch_load_b128 v[78:81], off, off offset:100
	scratch_load_b128 v[82:85], off, off offset:116
	;; [unrolled: 1-line block ×3, first 2 shown]
	v_mov_b32_e32 v2, 0
	ds_load_2addr_b64 v[90:93], v2 offset0:33 offset1:34
	ds_load_2addr_b64 v[94:97], v2 offset0:35 offset1:36
	s_mov_b32 s0, exec_lo
	s_waitcnt vmcnt(2) lgkmcnt(1)
	v_fma_f32 v3, v79, v90, 0
	s_delay_alu instid0(VALU_DEP_1)
	v_fmac_f32_e32 v3, v80, v91
	ds_load_b64 v[79:80], v2 offset:296
	v_fmac_f32_e32 v3, v81, v92
	ds_load_b32 v81, v2 offset:304
	s_waitcnt vmcnt(1)
	v_fmac_f32_e32 v3, v82, v93
	s_waitcnt lgkmcnt(2)
	s_delay_alu instid0(VALU_DEP_1) | instskip(NEXT) | instid1(VALU_DEP_1)
	v_fmac_f32_e32 v3, v83, v94
	v_fmac_f32_e32 v3, v84, v95
	s_delay_alu instid0(VALU_DEP_1) | instskip(SKIP_1) | instid1(VALU_DEP_1)
	v_fmac_f32_e32 v3, v85, v96
	s_waitcnt vmcnt(0)
	v_fmac_f32_e32 v3, v86, v97
	s_waitcnt lgkmcnt(1)
	s_delay_alu instid0(VALU_DEP_1) | instskip(NEXT) | instid1(VALU_DEP_1)
	v_fmac_f32_e32 v3, v87, v79
	v_fmac_f32_e32 v3, v88, v80
	s_waitcnt lgkmcnt(0)
	s_delay_alu instid0(VALU_DEP_1) | instskip(NEXT) | instid1(VALU_DEP_1)
	v_fmac_f32_e32 v3, v89, v81
	v_sub_f32_e32 v3, v78, v3
	scratch_store_b32 off, v3, off offset:100
	v_cmpx_lt_u32_e32 24, v0
	s_cbranch_execz .LBB100_181
; %bb.180:
	scratch_load_b32 v3, off, off offset:96
	scratch_store_b32 off, v2, off offset:96
	s_waitcnt vmcnt(0)
	ds_store_b32 v1, v3
.LBB100_181:
	s_or_b32 exec_lo, exec_lo, s0
	s_waitcnt lgkmcnt(0)
	s_waitcnt_vscnt null, 0x0
	s_barrier
	buffer_gl0_inv
	s_clause 0x3
	scratch_load_b128 v[78:81], off, off offset:96
	scratch_load_b128 v[82:85], off, off offset:112
	scratch_load_b128 v[86:89], off, off offset:128
	scratch_load_b32 v98, off, off offset:144
	ds_load_2addr_b32 v[90:91], v2 offset0:65 offset1:66
	ds_load_2addr_b32 v[92:93], v2 offset0:67 offset1:68
	;; [unrolled: 1-line block ×4, first 2 shown]
	s_mov_b32 s0, exec_lo
	s_waitcnt vmcnt(3) lgkmcnt(3)
	v_fma_f32 v90, v79, v90, 0
	s_delay_alu instid0(VALU_DEP_1)
	v_fmac_f32_e32 v90, v80, v91
	ds_load_2addr_b32 v[79:80], v2 offset0:73 offset1:74
	ds_load_2addr_b32 v[2:3], v2 offset0:75 offset1:76
	s_waitcnt lgkmcnt(4)
	v_fmac_f32_e32 v90, v81, v92
	s_waitcnt vmcnt(2)
	s_delay_alu instid0(VALU_DEP_1) | instskip(SKIP_1) | instid1(VALU_DEP_1)
	v_fmac_f32_e32 v90, v82, v93
	s_waitcnt lgkmcnt(3)
	v_fmac_f32_e32 v90, v83, v94
	s_delay_alu instid0(VALU_DEP_1) | instskip(SKIP_1) | instid1(VALU_DEP_1)
	v_fmac_f32_e32 v90, v84, v95
	s_waitcnt lgkmcnt(2)
	v_fmac_f32_e32 v90, v85, v96
	s_waitcnt vmcnt(1)
	s_delay_alu instid0(VALU_DEP_1) | instskip(SKIP_1) | instid1(VALU_DEP_1)
	v_fmac_f32_e32 v90, v86, v97
	s_waitcnt lgkmcnt(1)
	v_fmac_f32_e32 v90, v87, v79
	s_delay_alu instid0(VALU_DEP_1) | instskip(SKIP_1) | instid1(VALU_DEP_1)
	v_fmac_f32_e32 v90, v88, v80
	s_waitcnt lgkmcnt(0)
	v_fmac_f32_e32 v90, v89, v2
	s_waitcnt vmcnt(0)
	s_delay_alu instid0(VALU_DEP_1) | instskip(NEXT) | instid1(VALU_DEP_1)
	v_fmac_f32_e32 v90, v98, v3
	v_sub_f32_e32 v2, v78, v90
	scratch_store_b32 off, v2, off offset:96
	v_cmpx_lt_u32_e32 23, v0
	s_cbranch_execz .LBB100_183
; %bb.182:
	scratch_load_b32 v2, off, off offset:92
	v_mov_b32_e32 v3, 0
	scratch_store_b32 off, v3, off offset:92
	s_waitcnt vmcnt(0)
	ds_store_b32 v1, v2
.LBB100_183:
	s_or_b32 exec_lo, exec_lo, s0
	s_waitcnt lgkmcnt(0)
	s_waitcnt_vscnt null, 0x0
	s_barrier
	buffer_gl0_inv
	s_clause 0x3
	scratch_load_b128 v[78:81], off, off offset:92
	scratch_load_b128 v[82:85], off, off offset:108
	;; [unrolled: 1-line block ×3, first 2 shown]
	scratch_load_b64 v[98:99], off, off offset:140
	v_mov_b32_e32 v2, 0
	ds_load_b128 v[90:93], v2 offset:256
	ds_load_b128 v[94:97], v2 offset:272
	s_mov_b32 s0, exec_lo
	s_waitcnt vmcnt(3) lgkmcnt(1)
	v_fma_f32 v3, v79, v90, 0
	s_delay_alu instid0(VALU_DEP_1) | instskip(NEXT) | instid1(VALU_DEP_1)
	v_fmac_f32_e32 v3, v80, v91
	v_fmac_f32_e32 v3, v81, v92
	s_waitcnt vmcnt(2)
	s_delay_alu instid0(VALU_DEP_1)
	v_fmac_f32_e32 v3, v82, v93
	ds_load_b128 v[79:82], v2 offset:288
	s_waitcnt lgkmcnt(1)
	v_fmac_f32_e32 v3, v83, v94
	ds_load_b32 v83, v2 offset:304
	v_fmac_f32_e32 v3, v84, v95
	s_delay_alu instid0(VALU_DEP_1) | instskip(SKIP_1) | instid1(VALU_DEP_1)
	v_fmac_f32_e32 v3, v85, v96
	s_waitcnt vmcnt(1)
	v_fmac_f32_e32 v3, v86, v97
	s_waitcnt lgkmcnt(1)
	s_delay_alu instid0(VALU_DEP_1) | instskip(NEXT) | instid1(VALU_DEP_1)
	v_fmac_f32_e32 v3, v87, v79
	v_fmac_f32_e32 v3, v88, v80
	s_delay_alu instid0(VALU_DEP_1) | instskip(SKIP_1) | instid1(VALU_DEP_1)
	v_fmac_f32_e32 v3, v89, v81
	s_waitcnt vmcnt(0)
	v_fmac_f32_e32 v3, v98, v82
	s_waitcnt lgkmcnt(0)
	s_delay_alu instid0(VALU_DEP_1) | instskip(NEXT) | instid1(VALU_DEP_1)
	v_fmac_f32_e32 v3, v99, v83
	v_sub_f32_e32 v3, v78, v3
	scratch_store_b32 off, v3, off offset:92
	v_cmpx_lt_u32_e32 22, v0
	s_cbranch_execz .LBB100_185
; %bb.184:
	scratch_load_b32 v3, off, off offset:88
	scratch_store_b32 off, v2, off offset:88
	s_waitcnt vmcnt(0)
	ds_store_b32 v1, v3
.LBB100_185:
	s_or_b32 exec_lo, exec_lo, s0
	s_waitcnt lgkmcnt(0)
	s_waitcnt_vscnt null, 0x0
	s_barrier
	buffer_gl0_inv
	s_clause 0x3
	scratch_load_b128 v[78:81], off, off offset:88
	scratch_load_b128 v[82:85], off, off offset:104
	;; [unrolled: 1-line block ×3, first 2 shown]
	scratch_load_b96 v[90:92], off, off offset:136
	ds_load_2addr_b32 v[93:94], v2 offset0:63 offset1:64
	ds_load_2addr_b32 v[95:96], v2 offset0:65 offset1:66
	;; [unrolled: 1-line block ×4, first 2 shown]
	s_mov_b32 s0, exec_lo
	s_waitcnt vmcnt(3) lgkmcnt(3)
	v_fma_f32 v93, v79, v93, 0
	s_delay_alu instid0(VALU_DEP_1) | instskip(SKIP_4) | instid1(VALU_DEP_1)
	v_fmac_f32_e32 v93, v80, v94
	ds_load_2addr_b32 v[79:80], v2 offset0:71 offset1:72
	s_waitcnt lgkmcnt(3)
	v_fmac_f32_e32 v93, v81, v95
	s_waitcnt vmcnt(2)
	v_fmac_f32_e32 v93, v82, v96
	ds_load_2addr_b32 v[81:82], v2 offset0:73 offset1:74
	ds_load_2addr_b32 v[2:3], v2 offset0:75 offset1:76
	s_waitcnt lgkmcnt(4)
	v_fmac_f32_e32 v93, v83, v97
	s_delay_alu instid0(VALU_DEP_1) | instskip(SKIP_1) | instid1(VALU_DEP_1)
	v_fmac_f32_e32 v93, v84, v98
	s_waitcnt lgkmcnt(3)
	v_fmac_f32_e32 v93, v85, v99
	s_waitcnt vmcnt(1)
	s_delay_alu instid0(VALU_DEP_1) | instskip(SKIP_1) | instid1(VALU_DEP_1)
	v_fmac_f32_e32 v93, v86, v100
	s_waitcnt lgkmcnt(2)
	v_fmac_f32_e32 v93, v87, v79
	s_delay_alu instid0(VALU_DEP_1) | instskip(SKIP_1) | instid1(VALU_DEP_1)
	v_fmac_f32_e32 v93, v88, v80
	s_waitcnt lgkmcnt(1)
	v_fmac_f32_e32 v93, v89, v81
	s_waitcnt vmcnt(0)
	s_delay_alu instid0(VALU_DEP_1) | instskip(SKIP_1) | instid1(VALU_DEP_1)
	v_fmac_f32_e32 v93, v90, v82
	s_waitcnt lgkmcnt(0)
	v_fmac_f32_e32 v93, v91, v2
	s_delay_alu instid0(VALU_DEP_1) | instskip(NEXT) | instid1(VALU_DEP_1)
	v_fmac_f32_e32 v93, v92, v3
	v_sub_f32_e32 v2, v78, v93
	scratch_store_b32 off, v2, off offset:88
	v_cmpx_lt_u32_e32 21, v0
	s_cbranch_execz .LBB100_187
; %bb.186:
	scratch_load_b32 v2, off, off offset:84
	v_mov_b32_e32 v3, 0
	scratch_store_b32 off, v3, off offset:84
	s_waitcnt vmcnt(0)
	ds_store_b32 v1, v2
.LBB100_187:
	s_or_b32 exec_lo, exec_lo, s0
	s_waitcnt lgkmcnt(0)
	s_waitcnt_vscnt null, 0x0
	s_barrier
	buffer_gl0_inv
	s_clause 0x3
	scratch_load_b128 v[78:81], off, off offset:84
	scratch_load_b128 v[82:85], off, off offset:100
	;; [unrolled: 1-line block ×4, first 2 shown]
	v_mov_b32_e32 v2, 0
	ds_load_2addr_b64 v[94:97], v2 offset0:31 offset1:32
	ds_load_2addr_b64 v[98:101], v2 offset0:33 offset1:34
	s_mov_b32 s0, exec_lo
	s_waitcnt vmcnt(3) lgkmcnt(1)
	v_fma_f32 v3, v79, v94, 0
	s_delay_alu instid0(VALU_DEP_1) | instskip(NEXT) | instid1(VALU_DEP_1)
	v_fmac_f32_e32 v3, v80, v95
	v_fmac_f32_e32 v3, v81, v96
	s_waitcnt vmcnt(2)
	s_delay_alu instid0(VALU_DEP_1) | instskip(SKIP_3) | instid1(VALU_DEP_1)
	v_fmac_f32_e32 v3, v82, v97
	ds_load_2addr_b64 v[79:82], v2 offset0:35 offset1:36
	s_waitcnt lgkmcnt(1)
	v_fmac_f32_e32 v3, v83, v98
	v_fmac_f32_e32 v3, v84, v99
	ds_load_b64 v[83:84], v2 offset:296
	v_fmac_f32_e32 v3, v85, v100
	s_waitcnt vmcnt(1)
	s_delay_alu instid0(VALU_DEP_1) | instskip(SKIP_1) | instid1(VALU_DEP_1)
	v_fmac_f32_e32 v3, v86, v101
	s_waitcnt lgkmcnt(1)
	v_fmac_f32_e32 v3, v87, v79
	ds_load_b32 v79, v2 offset:304
	v_fmac_f32_e32 v3, v88, v80
	s_delay_alu instid0(VALU_DEP_1) | instskip(SKIP_1) | instid1(VALU_DEP_1)
	v_fmac_f32_e32 v3, v89, v81
	s_waitcnt vmcnt(0)
	v_fmac_f32_e32 v3, v90, v82
	s_waitcnt lgkmcnt(1)
	s_delay_alu instid0(VALU_DEP_1) | instskip(NEXT) | instid1(VALU_DEP_1)
	v_fmac_f32_e32 v3, v91, v83
	v_fmac_f32_e32 v3, v92, v84
	s_waitcnt lgkmcnt(0)
	s_delay_alu instid0(VALU_DEP_1) | instskip(NEXT) | instid1(VALU_DEP_1)
	v_fmac_f32_e32 v3, v93, v79
	v_sub_f32_e32 v3, v78, v3
	scratch_store_b32 off, v3, off offset:84
	v_cmpx_lt_u32_e32 20, v0
	s_cbranch_execz .LBB100_189
; %bb.188:
	scratch_load_b32 v3, off, off offset:80
	scratch_store_b32 off, v2, off offset:80
	s_waitcnt vmcnt(0)
	ds_store_b32 v1, v3
.LBB100_189:
	s_or_b32 exec_lo, exec_lo, s0
	s_waitcnt lgkmcnt(0)
	s_waitcnt_vscnt null, 0x0
	s_barrier
	buffer_gl0_inv
	s_clause 0x4
	scratch_load_b128 v[78:81], off, off offset:80
	scratch_load_b128 v[82:85], off, off offset:96
	;; [unrolled: 1-line block ×4, first 2 shown]
	scratch_load_b32 v102, off, off offset:144
	ds_load_2addr_b32 v[94:95], v2 offset0:61 offset1:62
	ds_load_2addr_b32 v[96:97], v2 offset0:63 offset1:64
	;; [unrolled: 1-line block ×4, first 2 shown]
	s_mov_b32 s0, exec_lo
	s_waitcnt vmcnt(4) lgkmcnt(3)
	v_fma_f32 v94, v79, v94, 0
	s_delay_alu instid0(VALU_DEP_1) | instskip(SKIP_4) | instid1(VALU_DEP_1)
	v_fmac_f32_e32 v94, v80, v95
	ds_load_2addr_b32 v[79:80], v2 offset0:69 offset1:70
	s_waitcnt lgkmcnt(3)
	v_fmac_f32_e32 v94, v81, v96
	s_waitcnt vmcnt(3)
	v_fmac_f32_e32 v94, v82, v97
	ds_load_2addr_b32 v[81:82], v2 offset0:71 offset1:72
	s_waitcnt lgkmcnt(3)
	v_fmac_f32_e32 v94, v83, v98
	s_delay_alu instid0(VALU_DEP_1)
	v_fmac_f32_e32 v94, v84, v99
	ds_load_2addr_b32 v[83:84], v2 offset0:73 offset1:74
	ds_load_2addr_b32 v[2:3], v2 offset0:75 offset1:76
	s_waitcnt lgkmcnt(4)
	v_fmac_f32_e32 v94, v85, v100
	s_waitcnt vmcnt(2)
	s_delay_alu instid0(VALU_DEP_1) | instskip(SKIP_1) | instid1(VALU_DEP_1)
	v_fmac_f32_e32 v94, v86, v101
	s_waitcnt lgkmcnt(3)
	v_fmac_f32_e32 v94, v87, v79
	s_delay_alu instid0(VALU_DEP_1) | instskip(SKIP_1) | instid1(VALU_DEP_1)
	v_fmac_f32_e32 v94, v88, v80
	s_waitcnt lgkmcnt(2)
	v_fmac_f32_e32 v94, v89, v81
	s_waitcnt vmcnt(1)
	s_delay_alu instid0(VALU_DEP_1) | instskip(SKIP_1) | instid1(VALU_DEP_1)
	v_fmac_f32_e32 v94, v90, v82
	s_waitcnt lgkmcnt(1)
	v_fmac_f32_e32 v94, v91, v83
	s_delay_alu instid0(VALU_DEP_1) | instskip(SKIP_1) | instid1(VALU_DEP_1)
	v_fmac_f32_e32 v94, v92, v84
	s_waitcnt lgkmcnt(0)
	v_fmac_f32_e32 v94, v93, v2
	s_waitcnt vmcnt(0)
	s_delay_alu instid0(VALU_DEP_1) | instskip(NEXT) | instid1(VALU_DEP_1)
	v_fmac_f32_e32 v94, v102, v3
	v_sub_f32_e32 v2, v78, v94
	scratch_store_b32 off, v2, off offset:80
	v_cmpx_lt_u32_e32 19, v0
	s_cbranch_execz .LBB100_191
; %bb.190:
	scratch_load_b32 v2, off, off offset:76
	v_mov_b32_e32 v3, 0
	scratch_store_b32 off, v3, off offset:76
	s_waitcnt vmcnt(0)
	ds_store_b32 v1, v2
.LBB100_191:
	s_or_b32 exec_lo, exec_lo, s0
	s_waitcnt lgkmcnt(0)
	s_waitcnt_vscnt null, 0x0
	s_barrier
	buffer_gl0_inv
	s_clause 0x4
	scratch_load_b128 v[78:81], off, off offset:76
	scratch_load_b128 v[82:85], off, off offset:92
	;; [unrolled: 1-line block ×4, first 2 shown]
	scratch_load_b64 v[102:103], off, off offset:140
	v_mov_b32_e32 v2, 0
	ds_load_b128 v[94:97], v2 offset:240
	ds_load_b128 v[98:101], v2 offset:256
	s_mov_b32 s0, exec_lo
	s_waitcnt vmcnt(4) lgkmcnt(1)
	v_fma_f32 v3, v79, v94, 0
	s_delay_alu instid0(VALU_DEP_1) | instskip(NEXT) | instid1(VALU_DEP_1)
	v_fmac_f32_e32 v3, v80, v95
	v_fmac_f32_e32 v3, v81, v96
	s_waitcnt vmcnt(3)
	s_delay_alu instid0(VALU_DEP_1) | instskip(SKIP_3) | instid1(VALU_DEP_1)
	v_fmac_f32_e32 v3, v82, v97
	ds_load_b128 v[79:82], v2 offset:272
	s_waitcnt lgkmcnt(1)
	v_fmac_f32_e32 v3, v83, v98
	v_fmac_f32_e32 v3, v84, v99
	s_delay_alu instid0(VALU_DEP_1) | instskip(SKIP_1) | instid1(VALU_DEP_1)
	v_fmac_f32_e32 v3, v85, v100
	s_waitcnt vmcnt(2)
	v_fmac_f32_e32 v3, v86, v101
	ds_load_b128 v[83:86], v2 offset:288
	s_waitcnt lgkmcnt(1)
	v_fmac_f32_e32 v3, v87, v79
	ds_load_b32 v79, v2 offset:304
	v_fmac_f32_e32 v3, v88, v80
	s_delay_alu instid0(VALU_DEP_1) | instskip(SKIP_1) | instid1(VALU_DEP_1)
	v_fmac_f32_e32 v3, v89, v81
	s_waitcnt vmcnt(1)
	v_fmac_f32_e32 v3, v90, v82
	s_waitcnt lgkmcnt(1)
	s_delay_alu instid0(VALU_DEP_1) | instskip(NEXT) | instid1(VALU_DEP_1)
	v_fmac_f32_e32 v3, v91, v83
	v_fmac_f32_e32 v3, v92, v84
	s_delay_alu instid0(VALU_DEP_1) | instskip(SKIP_1) | instid1(VALU_DEP_1)
	v_fmac_f32_e32 v3, v93, v85
	s_waitcnt vmcnt(0)
	v_fmac_f32_e32 v3, v102, v86
	s_waitcnt lgkmcnt(0)
	s_delay_alu instid0(VALU_DEP_1) | instskip(NEXT) | instid1(VALU_DEP_1)
	v_fmac_f32_e32 v3, v103, v79
	v_sub_f32_e32 v3, v78, v3
	scratch_store_b32 off, v3, off offset:76
	v_cmpx_lt_u32_e32 18, v0
	s_cbranch_execz .LBB100_193
; %bb.192:
	scratch_load_b32 v3, off, off offset:72
	scratch_store_b32 off, v2, off offset:72
	s_waitcnt vmcnt(0)
	ds_store_b32 v1, v3
.LBB100_193:
	s_or_b32 exec_lo, exec_lo, s0
	s_waitcnt lgkmcnt(0)
	s_waitcnt_vscnt null, 0x0
	s_barrier
	buffer_gl0_inv
	s_clause 0x4
	scratch_load_b128 v[78:81], off, off offset:72
	scratch_load_b128 v[82:85], off, off offset:88
	;; [unrolled: 1-line block ×4, first 2 shown]
	scratch_load_b96 v[94:96], off, off offset:136
	ds_load_2addr_b32 v[97:98], v2 offset0:59 offset1:60
	ds_load_2addr_b32 v[99:100], v2 offset0:61 offset1:62
	;; [unrolled: 1-line block ×4, first 2 shown]
	s_mov_b32 s0, exec_lo
	s_waitcnt vmcnt(4) lgkmcnt(3)
	v_fma_f32 v97, v79, v97, 0
	s_delay_alu instid0(VALU_DEP_1) | instskip(SKIP_4) | instid1(VALU_DEP_1)
	v_fmac_f32_e32 v97, v80, v98
	ds_load_2addr_b32 v[79:80], v2 offset0:67 offset1:68
	s_waitcnt lgkmcnt(3)
	v_fmac_f32_e32 v97, v81, v99
	s_waitcnt vmcnt(3)
	v_fmac_f32_e32 v97, v82, v100
	ds_load_2addr_b32 v[81:82], v2 offset0:69 offset1:70
	s_waitcnt lgkmcnt(3)
	v_fmac_f32_e32 v97, v83, v101
	s_delay_alu instid0(VALU_DEP_1) | instskip(SKIP_1) | instid1(VALU_DEP_1)
	v_fmac_f32_e32 v97, v84, v102
	s_waitcnt lgkmcnt(2)
	v_fmac_f32_e32 v97, v85, v103
	s_waitcnt vmcnt(2)
	s_delay_alu instid0(VALU_DEP_1)
	v_fmac_f32_e32 v97, v86, v104
	ds_load_2addr_b32 v[83:84], v2 offset0:71 offset1:72
	ds_load_2addr_b32 v[85:86], v2 offset0:73 offset1:74
	;; [unrolled: 1-line block ×3, first 2 shown]
	s_waitcnt lgkmcnt(4)
	v_fmac_f32_e32 v97, v87, v79
	s_delay_alu instid0(VALU_DEP_1) | instskip(SKIP_1) | instid1(VALU_DEP_1)
	v_fmac_f32_e32 v97, v88, v80
	s_waitcnt lgkmcnt(3)
	v_fmac_f32_e32 v97, v89, v81
	s_waitcnt vmcnt(1)
	s_delay_alu instid0(VALU_DEP_1) | instskip(SKIP_1) | instid1(VALU_DEP_1)
	v_fmac_f32_e32 v97, v90, v82
	s_waitcnt lgkmcnt(2)
	v_fmac_f32_e32 v97, v91, v83
	s_delay_alu instid0(VALU_DEP_1) | instskip(SKIP_1) | instid1(VALU_DEP_1)
	v_fmac_f32_e32 v97, v92, v84
	s_waitcnt lgkmcnt(1)
	v_fmac_f32_e32 v97, v93, v85
	s_waitcnt vmcnt(0)
	s_delay_alu instid0(VALU_DEP_1) | instskip(SKIP_1) | instid1(VALU_DEP_1)
	v_fmac_f32_e32 v97, v94, v86
	s_waitcnt lgkmcnt(0)
	v_fmac_f32_e32 v97, v95, v2
	s_delay_alu instid0(VALU_DEP_1) | instskip(NEXT) | instid1(VALU_DEP_1)
	v_fmac_f32_e32 v97, v96, v3
	v_sub_f32_e32 v2, v78, v97
	scratch_store_b32 off, v2, off offset:72
	v_cmpx_lt_u32_e32 17, v0
	s_cbranch_execz .LBB100_195
; %bb.194:
	scratch_load_b32 v2, off, off offset:68
	v_mov_b32_e32 v3, 0
	scratch_store_b32 off, v3, off offset:68
	s_waitcnt vmcnt(0)
	ds_store_b32 v1, v2
.LBB100_195:
	s_or_b32 exec_lo, exec_lo, s0
	s_waitcnt lgkmcnt(0)
	s_waitcnt_vscnt null, 0x0
	s_barrier
	buffer_gl0_inv
	s_clause 0x4
	scratch_load_b128 v[78:81], off, off offset:68
	scratch_load_b128 v[82:85], off, off offset:84
	;; [unrolled: 1-line block ×5, first 2 shown]
	v_mov_b32_e32 v2, 0
	ds_load_2addr_b64 v[98:101], v2 offset0:29 offset1:30
	ds_load_2addr_b64 v[102:105], v2 offset0:31 offset1:32
	s_mov_b32 s0, exec_lo
	s_waitcnt vmcnt(4) lgkmcnt(1)
	v_fma_f32 v3, v79, v98, 0
	s_delay_alu instid0(VALU_DEP_1) | instskip(NEXT) | instid1(VALU_DEP_1)
	v_fmac_f32_e32 v3, v80, v99
	v_fmac_f32_e32 v3, v81, v100
	s_waitcnt vmcnt(3)
	s_delay_alu instid0(VALU_DEP_1) | instskip(SKIP_3) | instid1(VALU_DEP_1)
	v_fmac_f32_e32 v3, v82, v101
	ds_load_2addr_b64 v[79:82], v2 offset0:33 offset1:34
	s_waitcnt lgkmcnt(1)
	v_fmac_f32_e32 v3, v83, v102
	v_fmac_f32_e32 v3, v84, v103
	s_delay_alu instid0(VALU_DEP_1) | instskip(SKIP_1) | instid1(VALU_DEP_1)
	v_fmac_f32_e32 v3, v85, v104
	s_waitcnt vmcnt(2)
	v_fmac_f32_e32 v3, v86, v105
	ds_load_2addr_b64 v[83:86], v2 offset0:35 offset1:36
	s_waitcnt lgkmcnt(1)
	v_fmac_f32_e32 v3, v87, v79
	s_delay_alu instid0(VALU_DEP_1)
	v_fmac_f32_e32 v3, v88, v80
	ds_load_b64 v[79:80], v2 offset:296
	v_fmac_f32_e32 v3, v89, v81
	ds_load_b32 v81, v2 offset:304
	s_waitcnt vmcnt(1)
	v_fmac_f32_e32 v3, v90, v82
	s_waitcnt lgkmcnt(2)
	s_delay_alu instid0(VALU_DEP_1) | instskip(NEXT) | instid1(VALU_DEP_1)
	v_fmac_f32_e32 v3, v91, v83
	v_fmac_f32_e32 v3, v92, v84
	s_delay_alu instid0(VALU_DEP_1) | instskip(SKIP_1) | instid1(VALU_DEP_1)
	v_fmac_f32_e32 v3, v93, v85
	s_waitcnt vmcnt(0)
	v_fmac_f32_e32 v3, v94, v86
	s_waitcnt lgkmcnt(1)
	s_delay_alu instid0(VALU_DEP_1) | instskip(NEXT) | instid1(VALU_DEP_1)
	v_fmac_f32_e32 v3, v95, v79
	v_fmac_f32_e32 v3, v96, v80
	s_waitcnt lgkmcnt(0)
	s_delay_alu instid0(VALU_DEP_1) | instskip(NEXT) | instid1(VALU_DEP_1)
	v_fmac_f32_e32 v3, v97, v81
	v_sub_f32_e32 v3, v78, v3
	scratch_store_b32 off, v3, off offset:68
	v_cmpx_lt_u32_e32 16, v0
	s_cbranch_execz .LBB100_197
; %bb.196:
	scratch_load_b32 v3, off, off offset:64
	scratch_store_b32 off, v2, off offset:64
	s_waitcnt vmcnt(0)
	ds_store_b32 v1, v3
.LBB100_197:
	s_or_b32 exec_lo, exec_lo, s0
	s_waitcnt lgkmcnt(0)
	s_waitcnt_vscnt null, 0x0
	s_barrier
	buffer_gl0_inv
	s_clause 0x5
	scratch_load_b128 v[78:81], off, off offset:64
	scratch_load_b128 v[82:85], off, off offset:80
	scratch_load_b128 v[86:89], off, off offset:96
	scratch_load_b128 v[90:93], off, off offset:112
	scratch_load_b128 v[94:97], off, off offset:128
	scratch_load_b32 v106, off, off offset:144
	ds_load_2addr_b32 v[98:99], v2 offset0:57 offset1:58
	ds_load_2addr_b32 v[100:101], v2 offset0:59 offset1:60
	;; [unrolled: 1-line block ×4, first 2 shown]
	s_mov_b32 s0, exec_lo
	s_waitcnt vmcnt(5) lgkmcnt(3)
	v_fma_f32 v98, v79, v98, 0
	s_delay_alu instid0(VALU_DEP_1) | instskip(SKIP_4) | instid1(VALU_DEP_1)
	v_fmac_f32_e32 v98, v80, v99
	ds_load_2addr_b32 v[79:80], v2 offset0:65 offset1:66
	s_waitcnt lgkmcnt(3)
	v_fmac_f32_e32 v98, v81, v100
	s_waitcnt vmcnt(4)
	v_fmac_f32_e32 v98, v82, v101
	ds_load_2addr_b32 v[81:82], v2 offset0:67 offset1:68
	s_waitcnt lgkmcnt(3)
	v_fmac_f32_e32 v98, v83, v102
	s_delay_alu instid0(VALU_DEP_1) | instskip(SKIP_1) | instid1(VALU_DEP_1)
	v_fmac_f32_e32 v98, v84, v103
	s_waitcnt lgkmcnt(2)
	v_fmac_f32_e32 v98, v85, v104
	s_waitcnt vmcnt(3)
	s_delay_alu instid0(VALU_DEP_1) | instskip(SKIP_4) | instid1(VALU_DEP_1)
	v_fmac_f32_e32 v98, v86, v105
	ds_load_2addr_b32 v[83:84], v2 offset0:69 offset1:70
	ds_load_2addr_b32 v[85:86], v2 offset0:71 offset1:72
	s_waitcnt lgkmcnt(3)
	v_fmac_f32_e32 v98, v87, v79
	v_fmac_f32_e32 v98, v88, v80
	ds_load_2addr_b32 v[79:80], v2 offset0:73 offset1:74
	ds_load_2addr_b32 v[2:3], v2 offset0:75 offset1:76
	s_waitcnt lgkmcnt(4)
	v_fmac_f32_e32 v98, v89, v81
	s_waitcnt vmcnt(2)
	s_delay_alu instid0(VALU_DEP_1) | instskip(SKIP_1) | instid1(VALU_DEP_1)
	v_fmac_f32_e32 v98, v90, v82
	s_waitcnt lgkmcnt(3)
	v_fmac_f32_e32 v98, v91, v83
	s_delay_alu instid0(VALU_DEP_1) | instskip(SKIP_1) | instid1(VALU_DEP_1)
	v_fmac_f32_e32 v98, v92, v84
	s_waitcnt lgkmcnt(2)
	v_fmac_f32_e32 v98, v93, v85
	s_waitcnt vmcnt(1)
	s_delay_alu instid0(VALU_DEP_1) | instskip(SKIP_1) | instid1(VALU_DEP_1)
	v_fmac_f32_e32 v98, v94, v86
	s_waitcnt lgkmcnt(1)
	v_fmac_f32_e32 v98, v95, v79
	s_delay_alu instid0(VALU_DEP_1) | instskip(SKIP_1) | instid1(VALU_DEP_1)
	v_fmac_f32_e32 v98, v96, v80
	s_waitcnt lgkmcnt(0)
	v_fmac_f32_e32 v98, v97, v2
	s_waitcnt vmcnt(0)
	s_delay_alu instid0(VALU_DEP_1) | instskip(NEXT) | instid1(VALU_DEP_1)
	v_fmac_f32_e32 v98, v106, v3
	v_sub_f32_e32 v2, v78, v98
	scratch_store_b32 off, v2, off offset:64
	v_cmpx_lt_u32_e32 15, v0
	s_cbranch_execz .LBB100_199
; %bb.198:
	scratch_load_b32 v2, off, off offset:60
	v_mov_b32_e32 v3, 0
	scratch_store_b32 off, v3, off offset:60
	s_waitcnt vmcnt(0)
	ds_store_b32 v1, v2
.LBB100_199:
	s_or_b32 exec_lo, exec_lo, s0
	s_waitcnt lgkmcnt(0)
	s_waitcnt_vscnt null, 0x0
	s_barrier
	buffer_gl0_inv
	s_clause 0x5
	scratch_load_b128 v[78:81], off, off offset:60
	scratch_load_b128 v[82:85], off, off offset:76
	;; [unrolled: 1-line block ×5, first 2 shown]
	scratch_load_b64 v[106:107], off, off offset:140
	v_mov_b32_e32 v2, 0
	ds_load_b128 v[98:101], v2 offset:224
	ds_load_b128 v[102:105], v2 offset:240
	s_mov_b32 s0, exec_lo
	s_waitcnt vmcnt(5) lgkmcnt(1)
	v_fma_f32 v3, v79, v98, 0
	s_delay_alu instid0(VALU_DEP_1) | instskip(NEXT) | instid1(VALU_DEP_1)
	v_fmac_f32_e32 v3, v80, v99
	v_fmac_f32_e32 v3, v81, v100
	s_waitcnt vmcnt(4)
	s_delay_alu instid0(VALU_DEP_1) | instskip(SKIP_3) | instid1(VALU_DEP_1)
	v_fmac_f32_e32 v3, v82, v101
	ds_load_b128 v[79:82], v2 offset:256
	s_waitcnt lgkmcnt(1)
	v_fmac_f32_e32 v3, v83, v102
	v_fmac_f32_e32 v3, v84, v103
	s_delay_alu instid0(VALU_DEP_1) | instskip(SKIP_1) | instid1(VALU_DEP_1)
	v_fmac_f32_e32 v3, v85, v104
	s_waitcnt vmcnt(3)
	v_fmac_f32_e32 v3, v86, v105
	ds_load_b128 v[83:86], v2 offset:272
	s_waitcnt lgkmcnt(1)
	v_fmac_f32_e32 v3, v87, v79
	s_delay_alu instid0(VALU_DEP_1) | instskip(NEXT) | instid1(VALU_DEP_1)
	v_fmac_f32_e32 v3, v88, v80
	v_fmac_f32_e32 v3, v89, v81
	s_waitcnt vmcnt(2)
	s_delay_alu instid0(VALU_DEP_1)
	v_fmac_f32_e32 v3, v90, v82
	ds_load_b128 v[79:82], v2 offset:288
	s_waitcnt lgkmcnt(1)
	v_fmac_f32_e32 v3, v91, v83
	ds_load_b32 v83, v2 offset:304
	v_fmac_f32_e32 v3, v92, v84
	s_delay_alu instid0(VALU_DEP_1) | instskip(SKIP_1) | instid1(VALU_DEP_1)
	v_fmac_f32_e32 v3, v93, v85
	s_waitcnt vmcnt(1)
	v_fmac_f32_e32 v3, v94, v86
	s_waitcnt lgkmcnt(1)
	s_delay_alu instid0(VALU_DEP_1) | instskip(NEXT) | instid1(VALU_DEP_1)
	v_fmac_f32_e32 v3, v95, v79
	v_fmac_f32_e32 v3, v96, v80
	s_delay_alu instid0(VALU_DEP_1) | instskip(SKIP_1) | instid1(VALU_DEP_1)
	v_fmac_f32_e32 v3, v97, v81
	s_waitcnt vmcnt(0)
	v_fmac_f32_e32 v3, v106, v82
	s_waitcnt lgkmcnt(0)
	s_delay_alu instid0(VALU_DEP_1) | instskip(NEXT) | instid1(VALU_DEP_1)
	v_fmac_f32_e32 v3, v107, v83
	v_sub_f32_e32 v3, v78, v3
	scratch_store_b32 off, v3, off offset:60
	v_cmpx_lt_u32_e32 14, v0
	s_cbranch_execz .LBB100_201
; %bb.200:
	scratch_load_b32 v3, off, off offset:56
	scratch_store_b32 off, v2, off offset:56
	s_waitcnt vmcnt(0)
	ds_store_b32 v1, v3
.LBB100_201:
	s_or_b32 exec_lo, exec_lo, s0
	s_waitcnt lgkmcnt(0)
	s_waitcnt_vscnt null, 0x0
	s_barrier
	buffer_gl0_inv
	s_clause 0x5
	scratch_load_b128 v[78:81], off, off offset:56
	scratch_load_b128 v[82:85], off, off offset:72
	;; [unrolled: 1-line block ×5, first 2 shown]
	scratch_load_b96 v[98:100], off, off offset:136
	ds_load_2addr_b32 v[101:102], v2 offset0:55 offset1:56
	ds_load_2addr_b32 v[103:104], v2 offset0:57 offset1:58
	;; [unrolled: 1-line block ×4, first 2 shown]
	s_mov_b32 s0, exec_lo
	s_waitcnt vmcnt(5) lgkmcnt(3)
	v_fma_f32 v101, v79, v101, 0
	s_delay_alu instid0(VALU_DEP_1) | instskip(SKIP_4) | instid1(VALU_DEP_1)
	v_fmac_f32_e32 v101, v80, v102
	ds_load_2addr_b32 v[79:80], v2 offset0:63 offset1:64
	s_waitcnt lgkmcnt(3)
	v_fmac_f32_e32 v101, v81, v103
	s_waitcnt vmcnt(4)
	v_fmac_f32_e32 v101, v82, v104
	ds_load_2addr_b32 v[81:82], v2 offset0:65 offset1:66
	s_waitcnt lgkmcnt(3)
	v_fmac_f32_e32 v101, v83, v105
	s_delay_alu instid0(VALU_DEP_1) | instskip(SKIP_1) | instid1(VALU_DEP_1)
	v_fmac_f32_e32 v101, v84, v106
	s_waitcnt lgkmcnt(2)
	v_fmac_f32_e32 v101, v85, v107
	s_waitcnt vmcnt(3)
	s_delay_alu instid0(VALU_DEP_1) | instskip(SKIP_4) | instid1(VALU_DEP_1)
	v_fmac_f32_e32 v101, v86, v108
	ds_load_2addr_b32 v[83:84], v2 offset0:67 offset1:68
	ds_load_2addr_b32 v[85:86], v2 offset0:69 offset1:70
	s_waitcnt lgkmcnt(3)
	v_fmac_f32_e32 v101, v87, v79
	v_fmac_f32_e32 v101, v88, v80
	ds_load_2addr_b32 v[79:80], v2 offset0:71 offset1:72
	s_waitcnt lgkmcnt(3)
	v_fmac_f32_e32 v101, v89, v81
	s_waitcnt vmcnt(2)
	s_delay_alu instid0(VALU_DEP_1) | instskip(SKIP_4) | instid1(VALU_DEP_1)
	v_fmac_f32_e32 v101, v90, v82
	ds_load_2addr_b32 v[81:82], v2 offset0:73 offset1:74
	ds_load_2addr_b32 v[2:3], v2 offset0:75 offset1:76
	s_waitcnt lgkmcnt(4)
	v_fmac_f32_e32 v101, v91, v83
	v_fmac_f32_e32 v101, v92, v84
	s_waitcnt lgkmcnt(3)
	s_delay_alu instid0(VALU_DEP_1) | instskip(SKIP_1) | instid1(VALU_DEP_1)
	v_fmac_f32_e32 v101, v93, v85
	s_waitcnt vmcnt(1)
	v_fmac_f32_e32 v101, v94, v86
	s_waitcnt lgkmcnt(2)
	s_delay_alu instid0(VALU_DEP_1) | instskip(NEXT) | instid1(VALU_DEP_1)
	v_fmac_f32_e32 v101, v95, v79
	v_fmac_f32_e32 v101, v96, v80
	s_waitcnt lgkmcnt(1)
	s_delay_alu instid0(VALU_DEP_1) | instskip(SKIP_1) | instid1(VALU_DEP_1)
	v_fmac_f32_e32 v101, v97, v81
	s_waitcnt vmcnt(0)
	v_fmac_f32_e32 v101, v98, v82
	s_waitcnt lgkmcnt(0)
	s_delay_alu instid0(VALU_DEP_1) | instskip(NEXT) | instid1(VALU_DEP_1)
	v_fmac_f32_e32 v101, v99, v2
	v_fmac_f32_e32 v101, v100, v3
	s_delay_alu instid0(VALU_DEP_1)
	v_sub_f32_e32 v2, v78, v101
	scratch_store_b32 off, v2, off offset:56
	v_cmpx_lt_u32_e32 13, v0
	s_cbranch_execz .LBB100_203
; %bb.202:
	scratch_load_b32 v2, off, off offset:52
	v_mov_b32_e32 v3, 0
	scratch_store_b32 off, v3, off offset:52
	s_waitcnt vmcnt(0)
	ds_store_b32 v1, v2
.LBB100_203:
	s_or_b32 exec_lo, exec_lo, s0
	s_waitcnt lgkmcnt(0)
	s_waitcnt_vscnt null, 0x0
	s_barrier
	buffer_gl0_inv
	s_clause 0x5
	scratch_load_b128 v[78:81], off, off offset:52
	scratch_load_b128 v[82:85], off, off offset:68
	;; [unrolled: 1-line block ×6, first 2 shown]
	v_mov_b32_e32 v2, 0
	ds_load_2addr_b64 v[102:105], v2 offset0:27 offset1:28
	ds_load_2addr_b64 v[106:109], v2 offset0:29 offset1:30
	s_mov_b32 s0, exec_lo
	s_waitcnt vmcnt(5) lgkmcnt(1)
	v_fma_f32 v3, v79, v102, 0
	s_delay_alu instid0(VALU_DEP_1) | instskip(NEXT) | instid1(VALU_DEP_1)
	v_fmac_f32_e32 v3, v80, v103
	v_fmac_f32_e32 v3, v81, v104
	s_waitcnt vmcnt(4)
	s_delay_alu instid0(VALU_DEP_1) | instskip(SKIP_3) | instid1(VALU_DEP_1)
	v_fmac_f32_e32 v3, v82, v105
	ds_load_2addr_b64 v[79:82], v2 offset0:31 offset1:32
	s_waitcnt lgkmcnt(1)
	v_fmac_f32_e32 v3, v83, v106
	v_fmac_f32_e32 v3, v84, v107
	s_delay_alu instid0(VALU_DEP_1) | instskip(SKIP_1) | instid1(VALU_DEP_1)
	v_fmac_f32_e32 v3, v85, v108
	s_waitcnt vmcnt(3)
	v_fmac_f32_e32 v3, v86, v109
	ds_load_2addr_b64 v[83:86], v2 offset0:33 offset1:34
	s_waitcnt lgkmcnt(1)
	v_fmac_f32_e32 v3, v87, v79
	s_delay_alu instid0(VALU_DEP_1) | instskip(NEXT) | instid1(VALU_DEP_1)
	v_fmac_f32_e32 v3, v88, v80
	v_fmac_f32_e32 v3, v89, v81
	s_waitcnt vmcnt(2)
	s_delay_alu instid0(VALU_DEP_1) | instskip(SKIP_3) | instid1(VALU_DEP_1)
	v_fmac_f32_e32 v3, v90, v82
	ds_load_2addr_b64 v[79:82], v2 offset0:35 offset1:36
	s_waitcnt lgkmcnt(1)
	v_fmac_f32_e32 v3, v91, v83
	v_fmac_f32_e32 v3, v92, v84
	ds_load_b64 v[83:84], v2 offset:296
	v_fmac_f32_e32 v3, v93, v85
	s_waitcnt vmcnt(1)
	s_delay_alu instid0(VALU_DEP_1) | instskip(SKIP_1) | instid1(VALU_DEP_1)
	v_fmac_f32_e32 v3, v94, v86
	s_waitcnt lgkmcnt(1)
	v_fmac_f32_e32 v3, v95, v79
	ds_load_b32 v79, v2 offset:304
	v_fmac_f32_e32 v3, v96, v80
	s_delay_alu instid0(VALU_DEP_1) | instskip(SKIP_1) | instid1(VALU_DEP_1)
	v_fmac_f32_e32 v3, v97, v81
	s_waitcnt vmcnt(0)
	v_fmac_f32_e32 v3, v98, v82
	s_waitcnt lgkmcnt(1)
	s_delay_alu instid0(VALU_DEP_1) | instskip(NEXT) | instid1(VALU_DEP_1)
	v_fmac_f32_e32 v3, v99, v83
	v_fmac_f32_e32 v3, v100, v84
	s_waitcnt lgkmcnt(0)
	s_delay_alu instid0(VALU_DEP_1) | instskip(NEXT) | instid1(VALU_DEP_1)
	v_fmac_f32_e32 v3, v101, v79
	v_sub_f32_e32 v3, v78, v3
	scratch_store_b32 off, v3, off offset:52
	v_cmpx_lt_u32_e32 12, v0
	s_cbranch_execz .LBB100_205
; %bb.204:
	scratch_load_b32 v3, off, off offset:48
	scratch_store_b32 off, v2, off offset:48
	s_waitcnt vmcnt(0)
	ds_store_b32 v1, v3
.LBB100_205:
	s_or_b32 exec_lo, exec_lo, s0
	s_waitcnt lgkmcnt(0)
	s_waitcnt_vscnt null, 0x0
	s_barrier
	buffer_gl0_inv
	s_clause 0x6
	scratch_load_b128 v[78:81], off, off offset:48
	scratch_load_b128 v[82:85], off, off offset:64
	;; [unrolled: 1-line block ×6, first 2 shown]
	scratch_load_b32 v110, off, off offset:144
	ds_load_2addr_b32 v[102:103], v2 offset0:53 offset1:54
	ds_load_2addr_b32 v[104:105], v2 offset0:55 offset1:56
	;; [unrolled: 1-line block ×4, first 2 shown]
	s_mov_b32 s0, exec_lo
	s_waitcnt vmcnt(6) lgkmcnt(3)
	v_fma_f32 v102, v79, v102, 0
	s_delay_alu instid0(VALU_DEP_1) | instskip(SKIP_4) | instid1(VALU_DEP_1)
	v_fmac_f32_e32 v102, v80, v103
	ds_load_2addr_b32 v[79:80], v2 offset0:61 offset1:62
	s_waitcnt lgkmcnt(3)
	v_fmac_f32_e32 v102, v81, v104
	s_waitcnt vmcnt(5)
	v_fmac_f32_e32 v102, v82, v105
	ds_load_2addr_b32 v[81:82], v2 offset0:63 offset1:64
	s_waitcnt lgkmcnt(3)
	v_fmac_f32_e32 v102, v83, v106
	s_delay_alu instid0(VALU_DEP_1) | instskip(SKIP_1) | instid1(VALU_DEP_1)
	v_fmac_f32_e32 v102, v84, v107
	s_waitcnt lgkmcnt(2)
	v_fmac_f32_e32 v102, v85, v108
	s_waitcnt vmcnt(4)
	s_delay_alu instid0(VALU_DEP_1) | instskip(SKIP_4) | instid1(VALU_DEP_1)
	v_fmac_f32_e32 v102, v86, v109
	ds_load_2addr_b32 v[83:84], v2 offset0:65 offset1:66
	ds_load_2addr_b32 v[85:86], v2 offset0:67 offset1:68
	s_waitcnt lgkmcnt(3)
	v_fmac_f32_e32 v102, v87, v79
	v_fmac_f32_e32 v102, v88, v80
	ds_load_2addr_b32 v[79:80], v2 offset0:69 offset1:70
	s_waitcnt lgkmcnt(3)
	v_fmac_f32_e32 v102, v89, v81
	s_waitcnt vmcnt(3)
	s_delay_alu instid0(VALU_DEP_1) | instskip(SKIP_3) | instid1(VALU_DEP_1)
	v_fmac_f32_e32 v102, v90, v82
	ds_load_2addr_b32 v[81:82], v2 offset0:71 offset1:72
	s_waitcnt lgkmcnt(3)
	v_fmac_f32_e32 v102, v91, v83
	v_fmac_f32_e32 v102, v92, v84
	ds_load_2addr_b32 v[83:84], v2 offset0:73 offset1:74
	ds_load_2addr_b32 v[2:3], v2 offset0:75 offset1:76
	s_waitcnt lgkmcnt(4)
	v_fmac_f32_e32 v102, v93, v85
	s_waitcnt vmcnt(2)
	s_delay_alu instid0(VALU_DEP_1) | instskip(SKIP_1) | instid1(VALU_DEP_1)
	v_fmac_f32_e32 v102, v94, v86
	s_waitcnt lgkmcnt(3)
	v_fmac_f32_e32 v102, v95, v79
	s_delay_alu instid0(VALU_DEP_1) | instskip(SKIP_1) | instid1(VALU_DEP_1)
	v_fmac_f32_e32 v102, v96, v80
	s_waitcnt lgkmcnt(2)
	v_fmac_f32_e32 v102, v97, v81
	s_waitcnt vmcnt(1)
	s_delay_alu instid0(VALU_DEP_1) | instskip(SKIP_1) | instid1(VALU_DEP_1)
	v_fmac_f32_e32 v102, v98, v82
	s_waitcnt lgkmcnt(1)
	v_fmac_f32_e32 v102, v99, v83
	s_delay_alu instid0(VALU_DEP_1) | instskip(SKIP_1) | instid1(VALU_DEP_1)
	v_fmac_f32_e32 v102, v100, v84
	s_waitcnt lgkmcnt(0)
	v_fmac_f32_e32 v102, v101, v2
	s_waitcnt vmcnt(0)
	s_delay_alu instid0(VALU_DEP_1) | instskip(NEXT) | instid1(VALU_DEP_1)
	v_fmac_f32_e32 v102, v110, v3
	v_sub_f32_e32 v2, v78, v102
	scratch_store_b32 off, v2, off offset:48
	v_cmpx_lt_u32_e32 11, v0
	s_cbranch_execz .LBB100_207
; %bb.206:
	scratch_load_b32 v2, off, off offset:44
	v_mov_b32_e32 v3, 0
	scratch_store_b32 off, v3, off offset:44
	s_waitcnt vmcnt(0)
	ds_store_b32 v1, v2
.LBB100_207:
	s_or_b32 exec_lo, exec_lo, s0
	s_waitcnt lgkmcnt(0)
	s_waitcnt_vscnt null, 0x0
	s_barrier
	buffer_gl0_inv
	s_clause 0x6
	scratch_load_b128 v[78:81], off, off offset:44
	scratch_load_b128 v[82:85], off, off offset:60
	scratch_load_b128 v[86:89], off, off offset:76
	scratch_load_b128 v[90:93], off, off offset:92
	scratch_load_b128 v[94:97], off, off offset:108
	scratch_load_b128 v[98:101], off, off offset:124
	scratch_load_b64 v[110:111], off, off offset:140
	v_mov_b32_e32 v2, 0
	ds_load_b128 v[102:105], v2 offset:208
	ds_load_b128 v[106:109], v2 offset:224
	s_mov_b32 s0, exec_lo
	s_waitcnt vmcnt(6) lgkmcnt(1)
	v_fma_f32 v3, v79, v102, 0
	s_delay_alu instid0(VALU_DEP_1) | instskip(NEXT) | instid1(VALU_DEP_1)
	v_fmac_f32_e32 v3, v80, v103
	v_fmac_f32_e32 v3, v81, v104
	s_waitcnt vmcnt(5)
	s_delay_alu instid0(VALU_DEP_1) | instskip(SKIP_3) | instid1(VALU_DEP_1)
	v_fmac_f32_e32 v3, v82, v105
	ds_load_b128 v[79:82], v2 offset:240
	s_waitcnt lgkmcnt(1)
	v_fmac_f32_e32 v3, v83, v106
	v_fmac_f32_e32 v3, v84, v107
	s_delay_alu instid0(VALU_DEP_1) | instskip(SKIP_1) | instid1(VALU_DEP_1)
	v_fmac_f32_e32 v3, v85, v108
	s_waitcnt vmcnt(4)
	v_fmac_f32_e32 v3, v86, v109
	ds_load_b128 v[83:86], v2 offset:256
	s_waitcnt lgkmcnt(1)
	v_fmac_f32_e32 v3, v87, v79
	s_delay_alu instid0(VALU_DEP_1) | instskip(NEXT) | instid1(VALU_DEP_1)
	v_fmac_f32_e32 v3, v88, v80
	v_fmac_f32_e32 v3, v89, v81
	s_waitcnt vmcnt(3)
	s_delay_alu instid0(VALU_DEP_1) | instskip(SKIP_3) | instid1(VALU_DEP_1)
	v_fmac_f32_e32 v3, v90, v82
	ds_load_b128 v[79:82], v2 offset:272
	s_waitcnt lgkmcnt(1)
	v_fmac_f32_e32 v3, v91, v83
	v_fmac_f32_e32 v3, v92, v84
	s_delay_alu instid0(VALU_DEP_1) | instskip(SKIP_1) | instid1(VALU_DEP_1)
	v_fmac_f32_e32 v3, v93, v85
	s_waitcnt vmcnt(2)
	v_fmac_f32_e32 v3, v94, v86
	ds_load_b128 v[83:86], v2 offset:288
	s_waitcnt lgkmcnt(1)
	v_fmac_f32_e32 v3, v95, v79
	ds_load_b32 v79, v2 offset:304
	v_fmac_f32_e32 v3, v96, v80
	s_delay_alu instid0(VALU_DEP_1) | instskip(SKIP_1) | instid1(VALU_DEP_1)
	v_fmac_f32_e32 v3, v97, v81
	s_waitcnt vmcnt(1)
	v_fmac_f32_e32 v3, v98, v82
	s_waitcnt lgkmcnt(1)
	s_delay_alu instid0(VALU_DEP_1) | instskip(NEXT) | instid1(VALU_DEP_1)
	v_fmac_f32_e32 v3, v99, v83
	v_fmac_f32_e32 v3, v100, v84
	s_delay_alu instid0(VALU_DEP_1) | instskip(SKIP_1) | instid1(VALU_DEP_1)
	v_fmac_f32_e32 v3, v101, v85
	s_waitcnt vmcnt(0)
	v_fmac_f32_e32 v3, v110, v86
	s_waitcnt lgkmcnt(0)
	s_delay_alu instid0(VALU_DEP_1) | instskip(NEXT) | instid1(VALU_DEP_1)
	v_fmac_f32_e32 v3, v111, v79
	v_sub_f32_e32 v3, v78, v3
	scratch_store_b32 off, v3, off offset:44
	v_cmpx_lt_u32_e32 10, v0
	s_cbranch_execz .LBB100_209
; %bb.208:
	scratch_load_b32 v3, off, off offset:40
	scratch_store_b32 off, v2, off offset:40
	s_waitcnt vmcnt(0)
	ds_store_b32 v1, v3
.LBB100_209:
	s_or_b32 exec_lo, exec_lo, s0
	s_waitcnt lgkmcnt(0)
	s_waitcnt_vscnt null, 0x0
	s_barrier
	buffer_gl0_inv
	s_clause 0x6
	scratch_load_b128 v[78:81], off, off offset:40
	scratch_load_b128 v[82:85], off, off offset:56
	;; [unrolled: 1-line block ×6, first 2 shown]
	scratch_load_b96 v[102:104], off, off offset:136
	ds_load_2addr_b32 v[105:106], v2 offset0:51 offset1:52
	ds_load_2addr_b32 v[107:108], v2 offset0:53 offset1:54
	;; [unrolled: 1-line block ×4, first 2 shown]
	s_mov_b32 s0, exec_lo
	s_waitcnt vmcnt(6) lgkmcnt(3)
	v_fma_f32 v105, v79, v105, 0
	s_delay_alu instid0(VALU_DEP_1) | instskip(SKIP_4) | instid1(VALU_DEP_1)
	v_fmac_f32_e32 v105, v80, v106
	ds_load_2addr_b32 v[79:80], v2 offset0:59 offset1:60
	s_waitcnt lgkmcnt(3)
	v_fmac_f32_e32 v105, v81, v107
	s_waitcnt vmcnt(5)
	v_fmac_f32_e32 v105, v82, v108
	ds_load_2addr_b32 v[81:82], v2 offset0:61 offset1:62
	s_waitcnt lgkmcnt(3)
	v_fmac_f32_e32 v105, v83, v109
	s_delay_alu instid0(VALU_DEP_1) | instskip(SKIP_1) | instid1(VALU_DEP_1)
	v_fmac_f32_e32 v105, v84, v110
	s_waitcnt lgkmcnt(2)
	v_fmac_f32_e32 v105, v85, v111
	s_waitcnt vmcnt(4)
	s_delay_alu instid0(VALU_DEP_1) | instskip(SKIP_4) | instid1(VALU_DEP_1)
	v_fmac_f32_e32 v105, v86, v112
	ds_load_2addr_b32 v[83:84], v2 offset0:63 offset1:64
	ds_load_2addr_b32 v[85:86], v2 offset0:65 offset1:66
	s_waitcnt lgkmcnt(3)
	v_fmac_f32_e32 v105, v87, v79
	v_fmac_f32_e32 v105, v88, v80
	ds_load_2addr_b32 v[79:80], v2 offset0:67 offset1:68
	s_waitcnt lgkmcnt(3)
	v_fmac_f32_e32 v105, v89, v81
	s_waitcnt vmcnt(3)
	s_delay_alu instid0(VALU_DEP_1) | instskip(SKIP_3) | instid1(VALU_DEP_1)
	v_fmac_f32_e32 v105, v90, v82
	ds_load_2addr_b32 v[81:82], v2 offset0:69 offset1:70
	s_waitcnt lgkmcnt(3)
	v_fmac_f32_e32 v105, v91, v83
	v_fmac_f32_e32 v105, v92, v84
	s_waitcnt lgkmcnt(2)
	s_delay_alu instid0(VALU_DEP_1) | instskip(SKIP_1) | instid1(VALU_DEP_1)
	v_fmac_f32_e32 v105, v93, v85
	s_waitcnt vmcnt(2)
	v_fmac_f32_e32 v105, v94, v86
	ds_load_2addr_b32 v[83:84], v2 offset0:71 offset1:72
	ds_load_2addr_b32 v[85:86], v2 offset0:73 offset1:74
	;; [unrolled: 1-line block ×3, first 2 shown]
	s_waitcnt lgkmcnt(4)
	v_fmac_f32_e32 v105, v95, v79
	s_delay_alu instid0(VALU_DEP_1) | instskip(SKIP_1) | instid1(VALU_DEP_1)
	v_fmac_f32_e32 v105, v96, v80
	s_waitcnt lgkmcnt(3)
	v_fmac_f32_e32 v105, v97, v81
	s_waitcnt vmcnt(1)
	s_delay_alu instid0(VALU_DEP_1) | instskip(SKIP_1) | instid1(VALU_DEP_1)
	v_fmac_f32_e32 v105, v98, v82
	s_waitcnt lgkmcnt(2)
	v_fmac_f32_e32 v105, v99, v83
	s_delay_alu instid0(VALU_DEP_1) | instskip(SKIP_1) | instid1(VALU_DEP_1)
	v_fmac_f32_e32 v105, v100, v84
	s_waitcnt lgkmcnt(1)
	v_fmac_f32_e32 v105, v101, v85
	s_waitcnt vmcnt(0)
	s_delay_alu instid0(VALU_DEP_1) | instskip(SKIP_1) | instid1(VALU_DEP_1)
	v_fmac_f32_e32 v105, v102, v86
	s_waitcnt lgkmcnt(0)
	v_fmac_f32_e32 v105, v103, v2
	s_delay_alu instid0(VALU_DEP_1) | instskip(NEXT) | instid1(VALU_DEP_1)
	v_fmac_f32_e32 v105, v104, v3
	v_sub_f32_e32 v2, v78, v105
	scratch_store_b32 off, v2, off offset:40
	v_cmpx_lt_u32_e32 9, v0
	s_cbranch_execz .LBB100_211
; %bb.210:
	scratch_load_b32 v2, off, off offset:36
	v_mov_b32_e32 v3, 0
	scratch_store_b32 off, v3, off offset:36
	s_waitcnt vmcnt(0)
	ds_store_b32 v1, v2
.LBB100_211:
	s_or_b32 exec_lo, exec_lo, s0
	s_waitcnt lgkmcnt(0)
	s_waitcnt_vscnt null, 0x0
	s_barrier
	buffer_gl0_inv
	s_clause 0x6
	scratch_load_b128 v[78:81], off, off offset:36
	scratch_load_b128 v[82:85], off, off offset:52
	;; [unrolled: 1-line block ×7, first 2 shown]
	v_mov_b32_e32 v2, 0
	ds_load_2addr_b64 v[106:109], v2 offset0:25 offset1:26
	ds_load_2addr_b64 v[110:113], v2 offset0:27 offset1:28
	s_mov_b32 s0, exec_lo
	s_waitcnt vmcnt(6) lgkmcnt(1)
	v_fma_f32 v3, v79, v106, 0
	s_delay_alu instid0(VALU_DEP_1) | instskip(NEXT) | instid1(VALU_DEP_1)
	v_fmac_f32_e32 v3, v80, v107
	v_fmac_f32_e32 v3, v81, v108
	s_waitcnt vmcnt(5)
	s_delay_alu instid0(VALU_DEP_1) | instskip(SKIP_3) | instid1(VALU_DEP_1)
	v_fmac_f32_e32 v3, v82, v109
	ds_load_2addr_b64 v[79:82], v2 offset0:29 offset1:30
	s_waitcnt lgkmcnt(1)
	v_fmac_f32_e32 v3, v83, v110
	v_fmac_f32_e32 v3, v84, v111
	s_delay_alu instid0(VALU_DEP_1) | instskip(SKIP_1) | instid1(VALU_DEP_1)
	v_fmac_f32_e32 v3, v85, v112
	s_waitcnt vmcnt(4)
	v_fmac_f32_e32 v3, v86, v113
	ds_load_2addr_b64 v[83:86], v2 offset0:31 offset1:32
	s_waitcnt lgkmcnt(1)
	v_fmac_f32_e32 v3, v87, v79
	s_delay_alu instid0(VALU_DEP_1) | instskip(NEXT) | instid1(VALU_DEP_1)
	v_fmac_f32_e32 v3, v88, v80
	v_fmac_f32_e32 v3, v89, v81
	s_waitcnt vmcnt(3)
	s_delay_alu instid0(VALU_DEP_1) | instskip(SKIP_3) | instid1(VALU_DEP_1)
	v_fmac_f32_e32 v3, v90, v82
	ds_load_2addr_b64 v[79:82], v2 offset0:33 offset1:34
	s_waitcnt lgkmcnt(1)
	v_fmac_f32_e32 v3, v91, v83
	v_fmac_f32_e32 v3, v92, v84
	s_delay_alu instid0(VALU_DEP_1) | instskip(SKIP_1) | instid1(VALU_DEP_1)
	v_fmac_f32_e32 v3, v93, v85
	s_waitcnt vmcnt(2)
	v_fmac_f32_e32 v3, v94, v86
	ds_load_2addr_b64 v[83:86], v2 offset0:35 offset1:36
	s_waitcnt lgkmcnt(1)
	v_fmac_f32_e32 v3, v95, v79
	s_delay_alu instid0(VALU_DEP_1)
	v_fmac_f32_e32 v3, v96, v80
	ds_load_b64 v[79:80], v2 offset:296
	v_fmac_f32_e32 v3, v97, v81
	ds_load_b32 v81, v2 offset:304
	s_waitcnt vmcnt(1)
	v_fmac_f32_e32 v3, v98, v82
	s_waitcnt lgkmcnt(2)
	s_delay_alu instid0(VALU_DEP_1) | instskip(NEXT) | instid1(VALU_DEP_1)
	v_fmac_f32_e32 v3, v99, v83
	v_fmac_f32_e32 v3, v100, v84
	s_delay_alu instid0(VALU_DEP_1) | instskip(SKIP_1) | instid1(VALU_DEP_1)
	v_fmac_f32_e32 v3, v101, v85
	s_waitcnt vmcnt(0)
	v_fmac_f32_e32 v3, v102, v86
	s_waitcnt lgkmcnt(1)
	s_delay_alu instid0(VALU_DEP_1) | instskip(NEXT) | instid1(VALU_DEP_1)
	v_fmac_f32_e32 v3, v103, v79
	v_fmac_f32_e32 v3, v104, v80
	s_waitcnt lgkmcnt(0)
	s_delay_alu instid0(VALU_DEP_1) | instskip(NEXT) | instid1(VALU_DEP_1)
	v_fmac_f32_e32 v3, v105, v81
	v_sub_f32_e32 v3, v78, v3
	scratch_store_b32 off, v3, off offset:36
	v_cmpx_lt_u32_e32 8, v0
	s_cbranch_execz .LBB100_213
; %bb.212:
	scratch_load_b32 v3, off, off offset:32
	scratch_store_b32 off, v2, off offset:32
	s_waitcnt vmcnt(0)
	ds_store_b32 v1, v3
.LBB100_213:
	s_or_b32 exec_lo, exec_lo, s0
	s_waitcnt lgkmcnt(0)
	s_waitcnt_vscnt null, 0x0
	s_barrier
	buffer_gl0_inv
	s_clause 0x7
	scratch_load_b128 v[78:81], off, off offset:32
	scratch_load_b128 v[82:85], off, off offset:48
	;; [unrolled: 1-line block ×7, first 2 shown]
	scratch_load_b32 v114, off, off offset:144
	ds_load_2addr_b32 v[106:107], v2 offset0:49 offset1:50
	ds_load_2addr_b32 v[108:109], v2 offset0:51 offset1:52
	ds_load_2addr_b32 v[110:111], v2 offset0:53 offset1:54
	ds_load_2addr_b32 v[112:113], v2 offset0:55 offset1:56
	s_mov_b32 s0, exec_lo
	s_waitcnt vmcnt(7) lgkmcnt(3)
	v_fma_f32 v106, v79, v106, 0
	s_delay_alu instid0(VALU_DEP_1) | instskip(SKIP_4) | instid1(VALU_DEP_1)
	v_fmac_f32_e32 v106, v80, v107
	ds_load_2addr_b32 v[79:80], v2 offset0:57 offset1:58
	s_waitcnt lgkmcnt(3)
	v_fmac_f32_e32 v106, v81, v108
	s_waitcnt vmcnt(6)
	v_fmac_f32_e32 v106, v82, v109
	ds_load_2addr_b32 v[81:82], v2 offset0:59 offset1:60
	s_waitcnt lgkmcnt(3)
	v_fmac_f32_e32 v106, v83, v110
	s_delay_alu instid0(VALU_DEP_1) | instskip(SKIP_1) | instid1(VALU_DEP_1)
	v_fmac_f32_e32 v106, v84, v111
	s_waitcnt lgkmcnt(2)
	v_fmac_f32_e32 v106, v85, v112
	s_waitcnt vmcnt(5)
	s_delay_alu instid0(VALU_DEP_1) | instskip(SKIP_4) | instid1(VALU_DEP_1)
	v_fmac_f32_e32 v106, v86, v113
	ds_load_2addr_b32 v[83:84], v2 offset0:61 offset1:62
	ds_load_2addr_b32 v[85:86], v2 offset0:63 offset1:64
	s_waitcnt lgkmcnt(3)
	v_fmac_f32_e32 v106, v87, v79
	v_fmac_f32_e32 v106, v88, v80
	ds_load_2addr_b32 v[79:80], v2 offset0:65 offset1:66
	s_waitcnt lgkmcnt(3)
	v_fmac_f32_e32 v106, v89, v81
	s_waitcnt vmcnt(4)
	s_delay_alu instid0(VALU_DEP_1) | instskip(SKIP_3) | instid1(VALU_DEP_1)
	v_fmac_f32_e32 v106, v90, v82
	ds_load_2addr_b32 v[81:82], v2 offset0:67 offset1:68
	s_waitcnt lgkmcnt(3)
	v_fmac_f32_e32 v106, v91, v83
	v_fmac_f32_e32 v106, v92, v84
	s_waitcnt lgkmcnt(2)
	s_delay_alu instid0(VALU_DEP_1) | instskip(SKIP_1) | instid1(VALU_DEP_1)
	v_fmac_f32_e32 v106, v93, v85
	s_waitcnt vmcnt(3)
	v_fmac_f32_e32 v106, v94, v86
	ds_load_2addr_b32 v[83:84], v2 offset0:69 offset1:70
	ds_load_2addr_b32 v[85:86], v2 offset0:71 offset1:72
	s_waitcnt lgkmcnt(3)
	v_fmac_f32_e32 v106, v95, v79
	s_delay_alu instid0(VALU_DEP_1)
	v_fmac_f32_e32 v106, v96, v80
	ds_load_2addr_b32 v[79:80], v2 offset0:73 offset1:74
	ds_load_2addr_b32 v[2:3], v2 offset0:75 offset1:76
	s_waitcnt lgkmcnt(4)
	v_fmac_f32_e32 v106, v97, v81
	s_waitcnt vmcnt(2)
	s_delay_alu instid0(VALU_DEP_1) | instskip(SKIP_1) | instid1(VALU_DEP_1)
	v_fmac_f32_e32 v106, v98, v82
	s_waitcnt lgkmcnt(3)
	v_fmac_f32_e32 v106, v99, v83
	s_delay_alu instid0(VALU_DEP_1) | instskip(SKIP_1) | instid1(VALU_DEP_1)
	v_fmac_f32_e32 v106, v100, v84
	s_waitcnt lgkmcnt(2)
	v_fmac_f32_e32 v106, v101, v85
	s_waitcnt vmcnt(1)
	s_delay_alu instid0(VALU_DEP_1) | instskip(SKIP_1) | instid1(VALU_DEP_1)
	v_fmac_f32_e32 v106, v102, v86
	s_waitcnt lgkmcnt(1)
	v_fmac_f32_e32 v106, v103, v79
	s_delay_alu instid0(VALU_DEP_1) | instskip(SKIP_1) | instid1(VALU_DEP_1)
	v_fmac_f32_e32 v106, v104, v80
	s_waitcnt lgkmcnt(0)
	v_fmac_f32_e32 v106, v105, v2
	s_waitcnt vmcnt(0)
	s_delay_alu instid0(VALU_DEP_1) | instskip(NEXT) | instid1(VALU_DEP_1)
	v_fmac_f32_e32 v106, v114, v3
	v_sub_f32_e32 v2, v78, v106
	scratch_store_b32 off, v2, off offset:32
	v_cmpx_lt_u32_e32 7, v0
	s_cbranch_execz .LBB100_215
; %bb.214:
	scratch_load_b32 v2, off, off offset:28
	v_mov_b32_e32 v3, 0
	scratch_store_b32 off, v3, off offset:28
	s_waitcnt vmcnt(0)
	ds_store_b32 v1, v2
.LBB100_215:
	s_or_b32 exec_lo, exec_lo, s0
	s_waitcnt lgkmcnt(0)
	s_waitcnt_vscnt null, 0x0
	s_barrier
	buffer_gl0_inv
	s_clause 0x7
	scratch_load_b128 v[78:81], off, off offset:28
	scratch_load_b128 v[82:85], off, off offset:44
	;; [unrolled: 1-line block ×7, first 2 shown]
	scratch_load_b64 v[114:115], off, off offset:140
	v_mov_b32_e32 v2, 0
	ds_load_b128 v[106:109], v2 offset:192
	ds_load_b128 v[110:113], v2 offset:208
	s_mov_b32 s0, exec_lo
	s_waitcnt vmcnt(7) lgkmcnt(1)
	v_fma_f32 v3, v79, v106, 0
	s_delay_alu instid0(VALU_DEP_1) | instskip(NEXT) | instid1(VALU_DEP_1)
	v_fmac_f32_e32 v3, v80, v107
	v_fmac_f32_e32 v3, v81, v108
	s_waitcnt vmcnt(6)
	s_delay_alu instid0(VALU_DEP_1) | instskip(SKIP_3) | instid1(VALU_DEP_1)
	v_fmac_f32_e32 v3, v82, v109
	ds_load_b128 v[79:82], v2 offset:224
	s_waitcnt lgkmcnt(1)
	v_fmac_f32_e32 v3, v83, v110
	v_fmac_f32_e32 v3, v84, v111
	s_delay_alu instid0(VALU_DEP_1) | instskip(SKIP_1) | instid1(VALU_DEP_1)
	v_fmac_f32_e32 v3, v85, v112
	s_waitcnt vmcnt(5)
	v_fmac_f32_e32 v3, v86, v113
	ds_load_b128 v[83:86], v2 offset:240
	s_waitcnt lgkmcnt(1)
	v_fmac_f32_e32 v3, v87, v79
	s_delay_alu instid0(VALU_DEP_1) | instskip(NEXT) | instid1(VALU_DEP_1)
	v_fmac_f32_e32 v3, v88, v80
	v_fmac_f32_e32 v3, v89, v81
	s_waitcnt vmcnt(4)
	s_delay_alu instid0(VALU_DEP_1) | instskip(SKIP_3) | instid1(VALU_DEP_1)
	v_fmac_f32_e32 v3, v90, v82
	ds_load_b128 v[79:82], v2 offset:256
	s_waitcnt lgkmcnt(1)
	v_fmac_f32_e32 v3, v91, v83
	v_fmac_f32_e32 v3, v92, v84
	s_delay_alu instid0(VALU_DEP_1) | instskip(SKIP_1) | instid1(VALU_DEP_1)
	v_fmac_f32_e32 v3, v93, v85
	s_waitcnt vmcnt(3)
	v_fmac_f32_e32 v3, v94, v86
	ds_load_b128 v[83:86], v2 offset:272
	s_waitcnt lgkmcnt(1)
	v_fmac_f32_e32 v3, v95, v79
	s_delay_alu instid0(VALU_DEP_1) | instskip(NEXT) | instid1(VALU_DEP_1)
	v_fmac_f32_e32 v3, v96, v80
	v_fmac_f32_e32 v3, v97, v81
	s_waitcnt vmcnt(2)
	s_delay_alu instid0(VALU_DEP_1)
	v_fmac_f32_e32 v3, v98, v82
	ds_load_b128 v[79:82], v2 offset:288
	s_waitcnt lgkmcnt(1)
	v_fmac_f32_e32 v3, v99, v83
	ds_load_b32 v83, v2 offset:304
	v_fmac_f32_e32 v3, v100, v84
	s_delay_alu instid0(VALU_DEP_1) | instskip(SKIP_1) | instid1(VALU_DEP_1)
	v_fmac_f32_e32 v3, v101, v85
	s_waitcnt vmcnt(1)
	v_fmac_f32_e32 v3, v102, v86
	s_waitcnt lgkmcnt(1)
	s_delay_alu instid0(VALU_DEP_1) | instskip(NEXT) | instid1(VALU_DEP_1)
	v_fmac_f32_e32 v3, v103, v79
	v_fmac_f32_e32 v3, v104, v80
	s_delay_alu instid0(VALU_DEP_1) | instskip(SKIP_1) | instid1(VALU_DEP_1)
	v_fmac_f32_e32 v3, v105, v81
	s_waitcnt vmcnt(0)
	v_fmac_f32_e32 v3, v114, v82
	s_waitcnt lgkmcnt(0)
	s_delay_alu instid0(VALU_DEP_1) | instskip(NEXT) | instid1(VALU_DEP_1)
	v_fmac_f32_e32 v3, v115, v83
	v_sub_f32_e32 v3, v78, v3
	scratch_store_b32 off, v3, off offset:28
	v_cmpx_lt_u32_e32 6, v0
	s_cbranch_execz .LBB100_217
; %bb.216:
	scratch_load_b32 v3, off, off offset:24
	scratch_store_b32 off, v2, off offset:24
	s_waitcnt vmcnt(0)
	ds_store_b32 v1, v3
.LBB100_217:
	s_or_b32 exec_lo, exec_lo, s0
	s_waitcnt lgkmcnt(0)
	s_waitcnt_vscnt null, 0x0
	s_barrier
	buffer_gl0_inv
	s_clause 0x7
	scratch_load_b128 v[78:81], off, off offset:24
	scratch_load_b128 v[82:85], off, off offset:40
	;; [unrolled: 1-line block ×7, first 2 shown]
	scratch_load_b96 v[106:108], off, off offset:136
	ds_load_2addr_b32 v[109:110], v2 offset0:47 offset1:48
	ds_load_2addr_b32 v[111:112], v2 offset0:49 offset1:50
	;; [unrolled: 1-line block ×4, first 2 shown]
	s_mov_b32 s0, exec_lo
	s_waitcnt vmcnt(7) lgkmcnt(3)
	v_fma_f32 v109, v79, v109, 0
	s_delay_alu instid0(VALU_DEP_1) | instskip(SKIP_4) | instid1(VALU_DEP_1)
	v_fmac_f32_e32 v109, v80, v110
	ds_load_2addr_b32 v[79:80], v2 offset0:55 offset1:56
	s_waitcnt lgkmcnt(3)
	v_fmac_f32_e32 v109, v81, v111
	s_waitcnt vmcnt(6)
	v_fmac_f32_e32 v109, v82, v112
	ds_load_2addr_b32 v[81:82], v2 offset0:57 offset1:58
	s_waitcnt lgkmcnt(3)
	v_fmac_f32_e32 v109, v83, v113
	s_delay_alu instid0(VALU_DEP_1) | instskip(SKIP_1) | instid1(VALU_DEP_1)
	v_fmac_f32_e32 v109, v84, v114
	s_waitcnt lgkmcnt(2)
	v_fmac_f32_e32 v109, v85, v115
	s_waitcnt vmcnt(5)
	s_delay_alu instid0(VALU_DEP_1) | instskip(SKIP_4) | instid1(VALU_DEP_1)
	v_fmac_f32_e32 v109, v86, v116
	ds_load_2addr_b32 v[83:84], v2 offset0:59 offset1:60
	ds_load_2addr_b32 v[85:86], v2 offset0:61 offset1:62
	s_waitcnt lgkmcnt(3)
	v_fmac_f32_e32 v109, v87, v79
	v_fmac_f32_e32 v109, v88, v80
	ds_load_2addr_b32 v[79:80], v2 offset0:63 offset1:64
	s_waitcnt lgkmcnt(3)
	v_fmac_f32_e32 v109, v89, v81
	s_waitcnt vmcnt(4)
	s_delay_alu instid0(VALU_DEP_1) | instskip(SKIP_3) | instid1(VALU_DEP_1)
	v_fmac_f32_e32 v109, v90, v82
	ds_load_2addr_b32 v[81:82], v2 offset0:65 offset1:66
	s_waitcnt lgkmcnt(3)
	v_fmac_f32_e32 v109, v91, v83
	v_fmac_f32_e32 v109, v92, v84
	s_waitcnt lgkmcnt(2)
	s_delay_alu instid0(VALU_DEP_1) | instskip(SKIP_1) | instid1(VALU_DEP_1)
	v_fmac_f32_e32 v109, v93, v85
	s_waitcnt vmcnt(3)
	v_fmac_f32_e32 v109, v94, v86
	ds_load_2addr_b32 v[83:84], v2 offset0:67 offset1:68
	ds_load_2addr_b32 v[85:86], v2 offset0:69 offset1:70
	s_waitcnt lgkmcnt(3)
	v_fmac_f32_e32 v109, v95, v79
	s_delay_alu instid0(VALU_DEP_1) | instskip(SKIP_4) | instid1(VALU_DEP_1)
	v_fmac_f32_e32 v109, v96, v80
	ds_load_2addr_b32 v[79:80], v2 offset0:71 offset1:72
	s_waitcnt lgkmcnt(3)
	v_fmac_f32_e32 v109, v97, v81
	s_waitcnt vmcnt(2)
	v_fmac_f32_e32 v109, v98, v82
	ds_load_2addr_b32 v[81:82], v2 offset0:73 offset1:74
	ds_load_2addr_b32 v[2:3], v2 offset0:75 offset1:76
	s_waitcnt lgkmcnt(4)
	v_fmac_f32_e32 v109, v99, v83
	s_delay_alu instid0(VALU_DEP_1) | instskip(SKIP_1) | instid1(VALU_DEP_1)
	v_fmac_f32_e32 v109, v100, v84
	s_waitcnt lgkmcnt(3)
	v_fmac_f32_e32 v109, v101, v85
	s_waitcnt vmcnt(1)
	s_delay_alu instid0(VALU_DEP_1) | instskip(SKIP_1) | instid1(VALU_DEP_1)
	v_fmac_f32_e32 v109, v102, v86
	s_waitcnt lgkmcnt(2)
	v_fmac_f32_e32 v109, v103, v79
	s_delay_alu instid0(VALU_DEP_1) | instskip(SKIP_1) | instid1(VALU_DEP_1)
	v_fmac_f32_e32 v109, v104, v80
	s_waitcnt lgkmcnt(1)
	v_fmac_f32_e32 v109, v105, v81
	s_waitcnt vmcnt(0)
	s_delay_alu instid0(VALU_DEP_1) | instskip(SKIP_1) | instid1(VALU_DEP_1)
	v_fmac_f32_e32 v109, v106, v82
	s_waitcnt lgkmcnt(0)
	v_fmac_f32_e32 v109, v107, v2
	s_delay_alu instid0(VALU_DEP_1) | instskip(NEXT) | instid1(VALU_DEP_1)
	v_fmac_f32_e32 v109, v108, v3
	v_sub_f32_e32 v2, v78, v109
	scratch_store_b32 off, v2, off offset:24
	v_cmpx_lt_u32_e32 5, v0
	s_cbranch_execz .LBB100_219
; %bb.218:
	scratch_load_b32 v2, off, off offset:20
	v_mov_b32_e32 v3, 0
	scratch_store_b32 off, v3, off offset:20
	s_waitcnt vmcnt(0)
	ds_store_b32 v1, v2
.LBB100_219:
	s_or_b32 exec_lo, exec_lo, s0
	s_waitcnt lgkmcnt(0)
	s_waitcnt_vscnt null, 0x0
	s_barrier
	buffer_gl0_inv
	s_clause 0x7
	scratch_load_b128 v[78:81], off, off offset:20
	scratch_load_b128 v[82:85], off, off offset:36
	;; [unrolled: 1-line block ×8, first 2 shown]
	v_mov_b32_e32 v2, 0
	ds_load_2addr_b64 v[110:113], v2 offset0:23 offset1:24
	ds_load_2addr_b64 v[114:117], v2 offset0:25 offset1:26
	s_mov_b32 s0, exec_lo
	s_waitcnt vmcnt(7) lgkmcnt(1)
	v_fma_f32 v3, v79, v110, 0
	s_delay_alu instid0(VALU_DEP_1) | instskip(NEXT) | instid1(VALU_DEP_1)
	v_fmac_f32_e32 v3, v80, v111
	v_fmac_f32_e32 v3, v81, v112
	s_waitcnt vmcnt(6)
	s_delay_alu instid0(VALU_DEP_1) | instskip(SKIP_3) | instid1(VALU_DEP_1)
	v_fmac_f32_e32 v3, v82, v113
	ds_load_2addr_b64 v[79:82], v2 offset0:27 offset1:28
	s_waitcnt lgkmcnt(1)
	v_fmac_f32_e32 v3, v83, v114
	v_fmac_f32_e32 v3, v84, v115
	s_delay_alu instid0(VALU_DEP_1) | instskip(SKIP_1) | instid1(VALU_DEP_1)
	v_fmac_f32_e32 v3, v85, v116
	s_waitcnt vmcnt(5)
	v_fmac_f32_e32 v3, v86, v117
	ds_load_2addr_b64 v[83:86], v2 offset0:29 offset1:30
	s_waitcnt lgkmcnt(1)
	v_fmac_f32_e32 v3, v87, v79
	s_delay_alu instid0(VALU_DEP_1) | instskip(NEXT) | instid1(VALU_DEP_1)
	v_fmac_f32_e32 v3, v88, v80
	v_fmac_f32_e32 v3, v89, v81
	s_waitcnt vmcnt(4)
	s_delay_alu instid0(VALU_DEP_1) | instskip(SKIP_3) | instid1(VALU_DEP_1)
	v_fmac_f32_e32 v3, v90, v82
	ds_load_2addr_b64 v[79:82], v2 offset0:31 offset1:32
	s_waitcnt lgkmcnt(1)
	v_fmac_f32_e32 v3, v91, v83
	v_fmac_f32_e32 v3, v92, v84
	s_delay_alu instid0(VALU_DEP_1) | instskip(SKIP_1) | instid1(VALU_DEP_1)
	v_fmac_f32_e32 v3, v93, v85
	s_waitcnt vmcnt(3)
	v_fmac_f32_e32 v3, v94, v86
	ds_load_2addr_b64 v[83:86], v2 offset0:33 offset1:34
	s_waitcnt lgkmcnt(1)
	v_fmac_f32_e32 v3, v95, v79
	s_delay_alu instid0(VALU_DEP_1) | instskip(NEXT) | instid1(VALU_DEP_1)
	v_fmac_f32_e32 v3, v96, v80
	v_fmac_f32_e32 v3, v97, v81
	s_waitcnt vmcnt(2)
	s_delay_alu instid0(VALU_DEP_1) | instskip(SKIP_3) | instid1(VALU_DEP_1)
	v_fmac_f32_e32 v3, v98, v82
	ds_load_2addr_b64 v[79:82], v2 offset0:35 offset1:36
	s_waitcnt lgkmcnt(1)
	v_fmac_f32_e32 v3, v99, v83
	v_fmac_f32_e32 v3, v100, v84
	ds_load_b64 v[83:84], v2 offset:296
	v_fmac_f32_e32 v3, v101, v85
	s_waitcnt vmcnt(1)
	s_delay_alu instid0(VALU_DEP_1) | instskip(SKIP_1) | instid1(VALU_DEP_1)
	v_fmac_f32_e32 v3, v102, v86
	s_waitcnt lgkmcnt(1)
	v_fmac_f32_e32 v3, v103, v79
	ds_load_b32 v79, v2 offset:304
	v_fmac_f32_e32 v3, v104, v80
	s_delay_alu instid0(VALU_DEP_1) | instskip(SKIP_1) | instid1(VALU_DEP_1)
	v_fmac_f32_e32 v3, v105, v81
	s_waitcnt vmcnt(0)
	v_fmac_f32_e32 v3, v106, v82
	s_waitcnt lgkmcnt(1)
	s_delay_alu instid0(VALU_DEP_1) | instskip(NEXT) | instid1(VALU_DEP_1)
	v_fmac_f32_e32 v3, v107, v83
	v_fmac_f32_e32 v3, v108, v84
	s_waitcnt lgkmcnt(0)
	s_delay_alu instid0(VALU_DEP_1) | instskip(NEXT) | instid1(VALU_DEP_1)
	v_fmac_f32_e32 v3, v109, v79
	v_sub_f32_e32 v3, v78, v3
	scratch_store_b32 off, v3, off offset:20
	v_cmpx_lt_u32_e32 4, v0
	s_cbranch_execz .LBB100_221
; %bb.220:
	scratch_load_b32 v3, off, off offset:16
	scratch_store_b32 off, v2, off offset:16
	s_waitcnt vmcnt(0)
	ds_store_b32 v1, v3
.LBB100_221:
	s_or_b32 exec_lo, exec_lo, s0
	s_waitcnt lgkmcnt(0)
	s_waitcnt_vscnt null, 0x0
	s_barrier
	buffer_gl0_inv
	s_clause 0x8
	scratch_load_b128 v[78:81], off, off offset:16
	scratch_load_b128 v[82:85], off, off offset:32
	;; [unrolled: 1-line block ×8, first 2 shown]
	scratch_load_b32 v118, off, off offset:144
	ds_load_2addr_b32 v[110:111], v2 offset0:45 offset1:46
	ds_load_2addr_b32 v[112:113], v2 offset0:47 offset1:48
	;; [unrolled: 1-line block ×4, first 2 shown]
	s_mov_b32 s0, exec_lo
	s_waitcnt vmcnt(8) lgkmcnt(3)
	v_fma_f32 v110, v79, v110, 0
	s_delay_alu instid0(VALU_DEP_1) | instskip(SKIP_4) | instid1(VALU_DEP_1)
	v_fmac_f32_e32 v110, v80, v111
	ds_load_2addr_b32 v[79:80], v2 offset0:53 offset1:54
	s_waitcnt lgkmcnt(3)
	v_fmac_f32_e32 v110, v81, v112
	s_waitcnt vmcnt(7)
	v_fmac_f32_e32 v110, v82, v113
	ds_load_2addr_b32 v[81:82], v2 offset0:55 offset1:56
	s_waitcnt lgkmcnt(3)
	v_fmac_f32_e32 v110, v83, v114
	s_delay_alu instid0(VALU_DEP_1) | instskip(SKIP_1) | instid1(VALU_DEP_1)
	v_fmac_f32_e32 v110, v84, v115
	s_waitcnt lgkmcnt(2)
	v_fmac_f32_e32 v110, v85, v116
	s_waitcnt vmcnt(6)
	s_delay_alu instid0(VALU_DEP_1) | instskip(SKIP_4) | instid1(VALU_DEP_1)
	v_fmac_f32_e32 v110, v86, v117
	ds_load_2addr_b32 v[83:84], v2 offset0:57 offset1:58
	ds_load_2addr_b32 v[85:86], v2 offset0:59 offset1:60
	s_waitcnt lgkmcnt(3)
	v_fmac_f32_e32 v110, v87, v79
	v_fmac_f32_e32 v110, v88, v80
	ds_load_2addr_b32 v[79:80], v2 offset0:61 offset1:62
	s_waitcnt lgkmcnt(3)
	v_fmac_f32_e32 v110, v89, v81
	s_waitcnt vmcnt(5)
	s_delay_alu instid0(VALU_DEP_1) | instskip(SKIP_3) | instid1(VALU_DEP_1)
	v_fmac_f32_e32 v110, v90, v82
	ds_load_2addr_b32 v[81:82], v2 offset0:63 offset1:64
	s_waitcnt lgkmcnt(3)
	v_fmac_f32_e32 v110, v91, v83
	v_fmac_f32_e32 v110, v92, v84
	s_waitcnt lgkmcnt(2)
	s_delay_alu instid0(VALU_DEP_1) | instskip(SKIP_1) | instid1(VALU_DEP_1)
	v_fmac_f32_e32 v110, v93, v85
	s_waitcnt vmcnt(4)
	v_fmac_f32_e32 v110, v94, v86
	ds_load_2addr_b32 v[83:84], v2 offset0:65 offset1:66
	ds_load_2addr_b32 v[85:86], v2 offset0:67 offset1:68
	s_waitcnt lgkmcnt(3)
	v_fmac_f32_e32 v110, v95, v79
	s_delay_alu instid0(VALU_DEP_1) | instskip(SKIP_4) | instid1(VALU_DEP_1)
	v_fmac_f32_e32 v110, v96, v80
	ds_load_2addr_b32 v[79:80], v2 offset0:69 offset1:70
	s_waitcnt lgkmcnt(3)
	v_fmac_f32_e32 v110, v97, v81
	s_waitcnt vmcnt(3)
	v_fmac_f32_e32 v110, v98, v82
	ds_load_2addr_b32 v[81:82], v2 offset0:71 offset1:72
	s_waitcnt lgkmcnt(3)
	v_fmac_f32_e32 v110, v99, v83
	s_delay_alu instid0(VALU_DEP_1)
	v_fmac_f32_e32 v110, v100, v84
	ds_load_2addr_b32 v[83:84], v2 offset0:73 offset1:74
	ds_load_2addr_b32 v[2:3], v2 offset0:75 offset1:76
	s_waitcnt lgkmcnt(4)
	v_fmac_f32_e32 v110, v101, v85
	s_waitcnt vmcnt(2)
	s_delay_alu instid0(VALU_DEP_1) | instskip(SKIP_1) | instid1(VALU_DEP_1)
	v_fmac_f32_e32 v110, v102, v86
	s_waitcnt lgkmcnt(3)
	v_fmac_f32_e32 v110, v103, v79
	s_delay_alu instid0(VALU_DEP_1) | instskip(SKIP_1) | instid1(VALU_DEP_1)
	v_fmac_f32_e32 v110, v104, v80
	s_waitcnt lgkmcnt(2)
	v_fmac_f32_e32 v110, v105, v81
	s_waitcnt vmcnt(1)
	s_delay_alu instid0(VALU_DEP_1) | instskip(SKIP_1) | instid1(VALU_DEP_1)
	v_fmac_f32_e32 v110, v106, v82
	s_waitcnt lgkmcnt(1)
	v_fmac_f32_e32 v110, v107, v83
	s_delay_alu instid0(VALU_DEP_1) | instskip(SKIP_1) | instid1(VALU_DEP_1)
	v_fmac_f32_e32 v110, v108, v84
	s_waitcnt lgkmcnt(0)
	v_fmac_f32_e32 v110, v109, v2
	s_waitcnt vmcnt(0)
	s_delay_alu instid0(VALU_DEP_1) | instskip(NEXT) | instid1(VALU_DEP_1)
	v_fmac_f32_e32 v110, v118, v3
	v_sub_f32_e32 v2, v78, v110
	scratch_store_b32 off, v2, off offset:16
	v_cmpx_lt_u32_e32 3, v0
	s_cbranch_execz .LBB100_223
; %bb.222:
	scratch_load_b32 v2, off, off offset:12
	v_mov_b32_e32 v3, 0
	scratch_store_b32 off, v3, off offset:12
	s_waitcnt vmcnt(0)
	ds_store_b32 v1, v2
.LBB100_223:
	s_or_b32 exec_lo, exec_lo, s0
	s_waitcnt lgkmcnt(0)
	s_waitcnt_vscnt null, 0x0
	s_barrier
	buffer_gl0_inv
	s_clause 0x8
	scratch_load_b128 v[78:81], off, off offset:12
	scratch_load_b128 v[82:85], off, off offset:28
	;; [unrolled: 1-line block ×8, first 2 shown]
	scratch_load_b64 v[118:119], off, off offset:140
	v_mov_b32_e32 v2, 0
	ds_load_b128 v[110:113], v2 offset:176
	ds_load_b128 v[114:117], v2 offset:192
	s_mov_b32 s0, exec_lo
	s_waitcnt vmcnt(8) lgkmcnt(1)
	v_fma_f32 v3, v79, v110, 0
	s_delay_alu instid0(VALU_DEP_1) | instskip(NEXT) | instid1(VALU_DEP_1)
	v_fmac_f32_e32 v3, v80, v111
	v_fmac_f32_e32 v3, v81, v112
	s_waitcnt vmcnt(7)
	s_delay_alu instid0(VALU_DEP_1) | instskip(SKIP_3) | instid1(VALU_DEP_1)
	v_fmac_f32_e32 v3, v82, v113
	ds_load_b128 v[79:82], v2 offset:208
	s_waitcnt lgkmcnt(1)
	v_fmac_f32_e32 v3, v83, v114
	v_fmac_f32_e32 v3, v84, v115
	s_delay_alu instid0(VALU_DEP_1) | instskip(SKIP_1) | instid1(VALU_DEP_1)
	v_fmac_f32_e32 v3, v85, v116
	s_waitcnt vmcnt(6)
	v_fmac_f32_e32 v3, v86, v117
	ds_load_b128 v[83:86], v2 offset:224
	s_waitcnt lgkmcnt(1)
	v_fmac_f32_e32 v3, v87, v79
	s_delay_alu instid0(VALU_DEP_1) | instskip(NEXT) | instid1(VALU_DEP_1)
	v_fmac_f32_e32 v3, v88, v80
	v_fmac_f32_e32 v3, v89, v81
	s_waitcnt vmcnt(5)
	s_delay_alu instid0(VALU_DEP_1) | instskip(SKIP_3) | instid1(VALU_DEP_1)
	v_fmac_f32_e32 v3, v90, v82
	ds_load_b128 v[79:82], v2 offset:240
	s_waitcnt lgkmcnt(1)
	v_fmac_f32_e32 v3, v91, v83
	v_fmac_f32_e32 v3, v92, v84
	s_delay_alu instid0(VALU_DEP_1) | instskip(SKIP_1) | instid1(VALU_DEP_1)
	v_fmac_f32_e32 v3, v93, v85
	s_waitcnt vmcnt(4)
	v_fmac_f32_e32 v3, v94, v86
	ds_load_b128 v[83:86], v2 offset:256
	s_waitcnt lgkmcnt(1)
	v_fmac_f32_e32 v3, v95, v79
	;; [unrolled: 17-line block ×3, first 2 shown]
	ds_load_b32 v79, v2 offset:304
	v_fmac_f32_e32 v3, v104, v80
	s_delay_alu instid0(VALU_DEP_1) | instskip(SKIP_1) | instid1(VALU_DEP_1)
	v_fmac_f32_e32 v3, v105, v81
	s_waitcnt vmcnt(1)
	v_fmac_f32_e32 v3, v106, v82
	s_waitcnt lgkmcnt(1)
	s_delay_alu instid0(VALU_DEP_1) | instskip(NEXT) | instid1(VALU_DEP_1)
	v_fmac_f32_e32 v3, v107, v83
	v_fmac_f32_e32 v3, v108, v84
	s_delay_alu instid0(VALU_DEP_1) | instskip(SKIP_1) | instid1(VALU_DEP_1)
	v_fmac_f32_e32 v3, v109, v85
	s_waitcnt vmcnt(0)
	v_fmac_f32_e32 v3, v118, v86
	s_waitcnt lgkmcnt(0)
	s_delay_alu instid0(VALU_DEP_1) | instskip(NEXT) | instid1(VALU_DEP_1)
	v_fmac_f32_e32 v3, v119, v79
	v_sub_f32_e32 v3, v78, v3
	scratch_store_b32 off, v3, off offset:12
	v_cmpx_lt_u32_e32 2, v0
	s_cbranch_execz .LBB100_225
; %bb.224:
	scratch_load_b32 v3, off, off offset:8
	scratch_store_b32 off, v2, off offset:8
	s_waitcnt vmcnt(0)
	ds_store_b32 v1, v3
.LBB100_225:
	s_or_b32 exec_lo, exec_lo, s0
	s_waitcnt lgkmcnt(0)
	s_waitcnt_vscnt null, 0x0
	s_barrier
	buffer_gl0_inv
	s_clause 0x8
	scratch_load_b128 v[78:81], off, off offset:8
	scratch_load_b128 v[82:85], off, off offset:24
	;; [unrolled: 1-line block ×8, first 2 shown]
	scratch_load_b96 v[110:112], off, off offset:136
	ds_load_2addr_b32 v[113:114], v2 offset0:43 offset1:44
	ds_load_2addr_b32 v[115:116], v2 offset0:45 offset1:46
	;; [unrolled: 1-line block ×3, first 2 shown]
	s_mov_b32 s0, exec_lo
	s_waitcnt vmcnt(8) lgkmcnt(2)
	v_fma_f32 v113, v79, v113, 0
	s_delay_alu instid0(VALU_DEP_1) | instskip(SKIP_4) | instid1(VALU_DEP_1)
	v_fmac_f32_e32 v113, v80, v114
	ds_load_2addr_b32 v[79:80], v2 offset0:49 offset1:50
	s_waitcnt lgkmcnt(2)
	v_fmac_f32_e32 v113, v81, v115
	s_waitcnt vmcnt(7)
	v_fmac_f32_e32 v113, v82, v116
	ds_load_2addr_b32 v[81:82], v2 offset0:51 offset1:52
	s_waitcnt lgkmcnt(2)
	v_fmac_f32_e32 v113, v83, v117
	s_delay_alu instid0(VALU_DEP_1) | instskip(SKIP_4) | instid1(VALU_DEP_1)
	v_fmac_f32_e32 v113, v84, v118
	ds_load_2addr_b32 v[83:84], v2 offset0:53 offset1:54
	s_waitcnt lgkmcnt(2)
	v_fmac_f32_e32 v113, v85, v79
	s_waitcnt vmcnt(6)
	v_fmac_f32_e32 v113, v86, v80
	ds_load_2addr_b32 v[79:80], v2 offset0:55 offset1:56
	s_waitcnt lgkmcnt(2)
	v_fmac_f32_e32 v113, v87, v81
	;; [unrolled: 10-line block ×6, first 2 shown]
	s_delay_alu instid0(VALU_DEP_1)
	v_fmac_f32_e32 v113, v104, v80
	ds_load_2addr_b32 v[79:80], v2 offset0:73 offset1:74
	ds_load_2addr_b32 v[2:3], v2 offset0:75 offset1:76
	s_waitcnt lgkmcnt(3)
	v_fmac_f32_e32 v113, v105, v81
	s_waitcnt vmcnt(1)
	s_delay_alu instid0(VALU_DEP_1) | instskip(SKIP_1) | instid1(VALU_DEP_1)
	v_fmac_f32_e32 v113, v106, v82
	s_waitcnt lgkmcnt(2)
	v_fmac_f32_e32 v113, v107, v83
	s_delay_alu instid0(VALU_DEP_1) | instskip(SKIP_1) | instid1(VALU_DEP_1)
	v_fmac_f32_e32 v113, v108, v84
	s_waitcnt lgkmcnt(1)
	v_fmac_f32_e32 v113, v109, v79
	s_waitcnt vmcnt(0)
	s_delay_alu instid0(VALU_DEP_1) | instskip(SKIP_1) | instid1(VALU_DEP_1)
	v_fmac_f32_e32 v113, v110, v80
	s_waitcnt lgkmcnt(0)
	v_fmac_f32_e32 v113, v111, v2
	s_delay_alu instid0(VALU_DEP_1) | instskip(NEXT) | instid1(VALU_DEP_1)
	v_fmac_f32_e32 v113, v112, v3
	v_sub_f32_e32 v2, v78, v113
	scratch_store_b32 off, v2, off offset:8
	v_cmpx_lt_u32_e32 1, v0
	s_cbranch_execz .LBB100_227
; %bb.226:
	scratch_load_b32 v2, off, off offset:4
	v_mov_b32_e32 v3, 0
	scratch_store_b32 off, v3, off offset:4
	s_waitcnt vmcnt(0)
	ds_store_b32 v1, v2
.LBB100_227:
	s_or_b32 exec_lo, exec_lo, s0
	s_waitcnt lgkmcnt(0)
	s_waitcnt_vscnt null, 0x0
	s_barrier
	buffer_gl0_inv
	s_clause 0x8
	scratch_load_b128 v[79:82], off, off offset:4
	scratch_load_b128 v[83:86], off, off offset:20
	;; [unrolled: 1-line block ×9, first 2 shown]
	v_mov_b32_e32 v78, 0
	ds_load_2addr_b64 v[115:118], v78 offset0:21 offset1:22
	ds_load_2addr_b64 v[119:122], v78 offset0:23 offset1:24
	s_mov_b32 s0, exec_lo
	s_waitcnt vmcnt(8) lgkmcnt(1)
	v_fma_f32 v115, v80, v115, 0
	s_delay_alu instid0(VALU_DEP_1) | instskip(SKIP_3) | instid1(VALU_DEP_1)
	v_fmac_f32_e32 v115, v81, v116
	ds_load_b64 v[2:3], v78 offset:296
	v_fmac_f32_e32 v115, v82, v117
	s_waitcnt vmcnt(7)
	v_fmac_f32_e32 v115, v83, v118
	ds_load_2addr_b64 v[80:83], v78 offset0:25 offset1:26
	s_waitcnt lgkmcnt(2)
	v_fmac_f32_e32 v115, v84, v119
	s_delay_alu instid0(VALU_DEP_1) | instskip(NEXT) | instid1(VALU_DEP_1)
	v_fmac_f32_e32 v115, v85, v120
	v_fmac_f32_e32 v115, v86, v121
	s_waitcnt vmcnt(6)
	s_delay_alu instid0(VALU_DEP_1) | instskip(SKIP_3) | instid1(VALU_DEP_1)
	v_fmac_f32_e32 v115, v87, v122
	ds_load_2addr_b64 v[84:87], v78 offset0:27 offset1:28
	s_waitcnt lgkmcnt(1)
	v_fmac_f32_e32 v115, v88, v80
	v_fmac_f32_e32 v115, v89, v81
	s_delay_alu instid0(VALU_DEP_1) | instskip(SKIP_1) | instid1(VALU_DEP_1)
	v_fmac_f32_e32 v115, v90, v82
	s_waitcnt vmcnt(5)
	v_fmac_f32_e32 v115, v91, v83
	ds_load_2addr_b64 v[80:83], v78 offset0:29 offset1:30
	s_waitcnt lgkmcnt(1)
	v_fmac_f32_e32 v115, v92, v84
	s_delay_alu instid0(VALU_DEP_1) | instskip(NEXT) | instid1(VALU_DEP_1)
	v_fmac_f32_e32 v115, v93, v85
	v_fmac_f32_e32 v115, v94, v86
	s_waitcnt vmcnt(4)
	s_delay_alu instid0(VALU_DEP_1) | instskip(SKIP_3) | instid1(VALU_DEP_1)
	v_fmac_f32_e32 v115, v95, v87
	ds_load_2addr_b64 v[84:87], v78 offset0:31 offset1:32
	s_waitcnt lgkmcnt(1)
	v_fmac_f32_e32 v115, v96, v80
	v_fmac_f32_e32 v115, v97, v81
	s_delay_alu instid0(VALU_DEP_1) | instskip(SKIP_1) | instid1(VALU_DEP_1)
	v_fmac_f32_e32 v115, v98, v82
	s_waitcnt vmcnt(3)
	v_fmac_f32_e32 v115, v99, v83
	ds_load_2addr_b64 v[80:83], v78 offset0:33 offset1:34
	s_waitcnt lgkmcnt(1)
	v_fmac_f32_e32 v115, v100, v84
	s_delay_alu instid0(VALU_DEP_1) | instskip(NEXT) | instid1(VALU_DEP_1)
	v_fmac_f32_e32 v115, v101, v85
	v_fmac_f32_e32 v115, v102, v86
	s_waitcnt vmcnt(2)
	s_delay_alu instid0(VALU_DEP_1)
	v_fmac_f32_e32 v115, v103, v87
	ds_load_2addr_b64 v[84:87], v78 offset0:35 offset1:36
	s_waitcnt lgkmcnt(1)
	v_fmac_f32_e32 v115, v104, v80
	ds_load_b32 v80, v78 offset:304
	v_fmac_f32_e32 v115, v105, v81
	s_delay_alu instid0(VALU_DEP_1) | instskip(SKIP_1) | instid1(VALU_DEP_1)
	v_fmac_f32_e32 v115, v106, v82
	s_waitcnt vmcnt(1)
	v_fmac_f32_e32 v115, v107, v83
	s_waitcnt lgkmcnt(1)
	s_delay_alu instid0(VALU_DEP_1) | instskip(NEXT) | instid1(VALU_DEP_1)
	v_fmac_f32_e32 v115, v108, v84
	v_fmac_f32_e32 v115, v109, v85
	s_delay_alu instid0(VALU_DEP_1) | instskip(SKIP_1) | instid1(VALU_DEP_1)
	v_fmac_f32_e32 v115, v110, v86
	s_waitcnt vmcnt(0)
	v_fmac_f32_e32 v115, v111, v87
	s_delay_alu instid0(VALU_DEP_1) | instskip(NEXT) | instid1(VALU_DEP_1)
	v_fmac_f32_e32 v115, v112, v2
	v_fmac_f32_e32 v115, v113, v3
	s_waitcnt lgkmcnt(0)
	s_delay_alu instid0(VALU_DEP_1) | instskip(NEXT) | instid1(VALU_DEP_1)
	v_fmac_f32_e32 v115, v114, v80
	v_sub_f32_e32 v2, v79, v115
	scratch_store_b32 off, v2, off offset:4
	v_cmpx_ne_u32_e32 0, v0
	s_cbranch_execz .LBB100_229
; %bb.228:
	scratch_load_b32 v0, off, off
	scratch_store_b32 off, v78, off
	s_waitcnt vmcnt(0)
	ds_store_b32 v1, v0
.LBB100_229:
	s_or_b32 exec_lo, exec_lo, s0
	s_waitcnt lgkmcnt(0)
	s_waitcnt_vscnt null, 0x0
	s_barrier
	buffer_gl0_inv
	s_clause 0x9
	scratch_load_b128 v[79:82], off, off
	scratch_load_b128 v[83:86], off, off offset:16
	scratch_load_b128 v[87:90], off, off offset:32
	;; [unrolled: 1-line block ×8, first 2 shown]
	scratch_load_b32 v119, off, off offset:144
	ds_load_2addr_b32 v[111:112], v78 offset0:41 offset1:42
	ds_load_2addr_b32 v[113:114], v78 offset0:43 offset1:44
	;; [unrolled: 1-line block ×4, first 2 shown]
	s_and_b32 vcc_lo, exec_lo, s12
	s_waitcnt vmcnt(9) lgkmcnt(3)
	v_fma_f32 v111, v80, v111, 0
	s_delay_alu instid0(VALU_DEP_1) | instskip(SKIP_4) | instid1(VALU_DEP_1)
	v_fmac_f32_e32 v111, v81, v112
	ds_load_2addr_b32 v[80:81], v78 offset0:49 offset1:50
	s_waitcnt lgkmcnt(3)
	v_fmac_f32_e32 v111, v82, v113
	s_waitcnt vmcnt(8)
	v_fmac_f32_e32 v111, v83, v114
	ds_load_2addr_b32 v[82:83], v78 offset0:51 offset1:52
	s_waitcnt lgkmcnt(3)
	v_fmac_f32_e32 v111, v84, v115
	s_delay_alu instid0(VALU_DEP_1) | instskip(SKIP_1) | instid1(VALU_DEP_1)
	v_fmac_f32_e32 v111, v85, v116
	s_waitcnt lgkmcnt(2)
	v_fmac_f32_e32 v111, v86, v117
	s_waitcnt vmcnt(7)
	s_delay_alu instid0(VALU_DEP_1) | instskip(SKIP_4) | instid1(VALU_DEP_1)
	v_fmac_f32_e32 v111, v87, v118
	ds_load_2addr_b32 v[84:85], v78 offset0:53 offset1:54
	ds_load_2addr_b32 v[86:87], v78 offset0:55 offset1:56
	s_waitcnt lgkmcnt(3)
	v_fmac_f32_e32 v111, v88, v80
	v_fmac_f32_e32 v111, v89, v81
	ds_load_2addr_b32 v[80:81], v78 offset0:57 offset1:58
	s_waitcnt lgkmcnt(3)
	v_fmac_f32_e32 v111, v90, v82
	s_waitcnt vmcnt(6)
	s_delay_alu instid0(VALU_DEP_1) | instskip(SKIP_3) | instid1(VALU_DEP_1)
	v_fmac_f32_e32 v111, v91, v83
	ds_load_2addr_b32 v[82:83], v78 offset0:59 offset1:60
	s_waitcnt lgkmcnt(3)
	v_fmac_f32_e32 v111, v92, v84
	v_fmac_f32_e32 v111, v93, v85
	s_waitcnt lgkmcnt(2)
	s_delay_alu instid0(VALU_DEP_1) | instskip(SKIP_1) | instid1(VALU_DEP_1)
	v_fmac_f32_e32 v111, v94, v86
	s_waitcnt vmcnt(5)
	v_fmac_f32_e32 v111, v95, v87
	ds_load_2addr_b32 v[84:85], v78 offset0:61 offset1:62
	ds_load_2addr_b32 v[86:87], v78 offset0:63 offset1:64
	s_waitcnt lgkmcnt(3)
	v_fmac_f32_e32 v111, v96, v80
	s_delay_alu instid0(VALU_DEP_1) | instskip(SKIP_4) | instid1(VALU_DEP_1)
	v_fmac_f32_e32 v111, v97, v81
	ds_load_2addr_b32 v[80:81], v78 offset0:65 offset1:66
	s_waitcnt lgkmcnt(3)
	v_fmac_f32_e32 v111, v98, v82
	s_waitcnt vmcnt(4)
	v_fmac_f32_e32 v111, v99, v83
	ds_load_2addr_b32 v[82:83], v78 offset0:67 offset1:68
	s_waitcnt lgkmcnt(3)
	v_fmac_f32_e32 v111, v100, v84
	s_delay_alu instid0(VALU_DEP_1) | instskip(SKIP_1) | instid1(VALU_DEP_1)
	v_fmac_f32_e32 v111, v101, v85
	s_waitcnt lgkmcnt(2)
	v_fmac_f32_e32 v111, v102, v86
	s_waitcnt vmcnt(3)
	s_delay_alu instid0(VALU_DEP_1) | instskip(SKIP_4) | instid1(VALU_DEP_1)
	v_fmac_f32_e32 v111, v103, v87
	ds_load_2addr_b32 v[84:85], v78 offset0:69 offset1:70
	ds_load_2addr_b32 v[86:87], v78 offset0:71 offset1:72
	s_waitcnt lgkmcnt(3)
	v_fmac_f32_e32 v111, v104, v80
	v_fmac_f32_e32 v111, v105, v81
	ds_load_2addr_b32 v[80:81], v78 offset0:73 offset1:74
	s_waitcnt lgkmcnt(3)
	v_fmac_f32_e32 v111, v106, v82
	s_waitcnt vmcnt(2)
	s_delay_alu instid0(VALU_DEP_1) | instskip(SKIP_3) | instid1(VALU_DEP_1)
	v_fmac_f32_e32 v111, v107, v83
	ds_load_2addr_b32 v[82:83], v78 offset0:75 offset1:76
	s_waitcnt lgkmcnt(3)
	v_fmac_f32_e32 v111, v108, v84
	v_fmac_f32_e32 v111, v109, v85
	s_waitcnt lgkmcnt(2)
	s_delay_alu instid0(VALU_DEP_1) | instskip(SKIP_1) | instid1(VALU_DEP_1)
	v_fmac_f32_e32 v111, v110, v86
	s_waitcnt vmcnt(1)
	v_fmac_f32_e32 v111, v0, v87
	s_waitcnt lgkmcnt(1)
	s_delay_alu instid0(VALU_DEP_1) | instskip(NEXT) | instid1(VALU_DEP_1)
	v_fmac_f32_e32 v111, v1, v80
	v_fmac_f32_e32 v111, v2, v81
	s_waitcnt lgkmcnt(0)
	s_delay_alu instid0(VALU_DEP_1) | instskip(SKIP_1) | instid1(VALU_DEP_1)
	v_fmac_f32_e32 v111, v3, v82
	s_waitcnt vmcnt(0)
	v_fmac_f32_e32 v111, v119, v83
	s_delay_alu instid0(VALU_DEP_1)
	v_sub_f32_e32 v0, v79, v111
	scratch_store_b32 off, v0, off
	s_cbranch_vccz .LBB100_303
; %bb.230:
	v_dual_mov_b32 v0, s2 :: v_dual_mov_b32 v1, s3
	s_mov_b32 s0, exec_lo
	flat_load_b32 v0, v[0:1] offset:140
	s_waitcnt vmcnt(0) lgkmcnt(0)
	v_cmpx_ne_u32_e32 36, v0
	s_cbranch_execz .LBB100_232
; %bb.231:
	v_lshl_add_u32 v0, v0, 2, 0
	scratch_load_b32 v1, v0, off offset:-4
	s_waitcnt vmcnt(0)
	scratch_store_b32 off, v1, off offset:140
	scratch_store_b32 v0, v3, off offset:-4
.LBB100_232:
	s_or_b32 exec_lo, exec_lo, s0
	v_dual_mov_b32 v0, s2 :: v_dual_mov_b32 v1, s3
	s_mov_b32 s0, exec_lo
	flat_load_b32 v0, v[0:1] offset:136
	s_waitcnt vmcnt(0) lgkmcnt(0)
	v_cmpx_ne_u32_e32 35, v0
	s_cbranch_execz .LBB100_234
; %bb.233:
	v_lshl_add_u32 v0, v0, 2, 0
	scratch_load_b32 v1, v0, off offset:-4
	scratch_load_b32 v2, off, off offset:136
	s_waitcnt vmcnt(1)
	scratch_store_b32 off, v1, off offset:136
	s_waitcnt vmcnt(0)
	scratch_store_b32 v0, v2, off offset:-4
.LBB100_234:
	s_or_b32 exec_lo, exec_lo, s0
	v_dual_mov_b32 v0, s2 :: v_dual_mov_b32 v1, s3
	s_mov_b32 s0, exec_lo
	flat_load_b32 v0, v[0:1] offset:132
	s_waitcnt vmcnt(0) lgkmcnt(0)
	v_cmpx_ne_u32_e32 34, v0
	s_cbranch_execz .LBB100_236
; %bb.235:
	v_lshl_add_u32 v0, v0, 2, 0
	scratch_load_b32 v1, v0, off offset:-4
	scratch_load_b32 v2, off, off offset:132
	s_waitcnt vmcnt(1)
	scratch_store_b32 off, v1, off offset:132
	s_waitcnt vmcnt(0)
	scratch_store_b32 v0, v2, off offset:-4
.LBB100_236:
	;; [unrolled: 16-line block ×34, first 2 shown]
	s_or_b32 exec_lo, exec_lo, s0
	v_dual_mov_b32 v0, s2 :: v_dual_mov_b32 v1, s3
	s_mov_b32 s0, exec_lo
	flat_load_b32 v1, v[0:1]
	scratch_load_b32 v0, off, off
	s_waitcnt vmcnt(1) lgkmcnt(0)
	v_cmpx_ne_u32_e32 1, v1
	s_cbranch_execz .LBB100_302
; %bb.301:
	v_lshl_add_u32 v1, v1, 2, 0
	scratch_load_b32 v2, v1, off offset:-4
	s_waitcnt vmcnt(0)
	scratch_store_b32 off, v2, off
	scratch_store_b32 v1, v0, off offset:-4
	scratch_load_b32 v0, off, off
.LBB100_302:
	s_or_b32 exec_lo, exec_lo, s0
.LBB100_303:
	s_clause 0x8
	scratch_load_b128 v[78:81], off, off offset:4
	scratch_load_b128 v[82:85], off, off offset:20
	scratch_load_b128 v[86:89], off, off offset:36
	scratch_load_b128 v[90:93], off, off offset:52
	scratch_load_b128 v[94:97], off, off offset:68
	scratch_load_b128 v[98:101], off, off offset:84
	scratch_load_b128 v[102:105], off, off offset:100
	scratch_load_b128 v[106:109], off, off offset:116
	scratch_load_b128 v[110:113], off, off offset:132
	s_waitcnt vmcnt(9)
	global_store_b32 v[4:5], v0, off
	s_waitcnt vmcnt(8)
	s_clause 0x3
	global_store_b32 v[6:7], v78, off
	global_store_b32 v[8:9], v79, off
	global_store_b32 v[10:11], v80, off
	global_store_b32 v[12:13], v81, off
	s_waitcnt vmcnt(7)
	s_clause 0x3
	global_store_b32 v[14:15], v82, off
	global_store_b32 v[16:17], v83, off
	global_store_b32 v[18:19], v84, off
	;; [unrolled: 6-line block ×9, first 2 shown]
	global_store_b32 v[48:49], v113, off
	s_endpgm
	.section	.rodata,"a",@progbits
	.p2align	6, 0x0
	.amdhsa_kernel _ZN9rocsolver6v33100L18getri_kernel_smallILi37EfPKPfEEvT1_iilPiilS6_bb
		.amdhsa_group_segment_fixed_size 308
		.amdhsa_private_segment_fixed_size 160
		.amdhsa_kernarg_size 60
		.amdhsa_user_sgpr_count 15
		.amdhsa_user_sgpr_dispatch_ptr 0
		.amdhsa_user_sgpr_queue_ptr 0
		.amdhsa_user_sgpr_kernarg_segment_ptr 1
		.amdhsa_user_sgpr_dispatch_id 0
		.amdhsa_user_sgpr_private_segment_size 0
		.amdhsa_wavefront_size32 1
		.amdhsa_uses_dynamic_stack 0
		.amdhsa_enable_private_segment 1
		.amdhsa_system_sgpr_workgroup_id_x 1
		.amdhsa_system_sgpr_workgroup_id_y 0
		.amdhsa_system_sgpr_workgroup_id_z 0
		.amdhsa_system_sgpr_workgroup_info 0
		.amdhsa_system_vgpr_workitem_id 0
		.amdhsa_next_free_vgpr 123
		.amdhsa_next_free_sgpr 17
		.amdhsa_reserve_vcc 1
		.amdhsa_float_round_mode_32 0
		.amdhsa_float_round_mode_16_64 0
		.amdhsa_float_denorm_mode_32 3
		.amdhsa_float_denorm_mode_16_64 3
		.amdhsa_dx10_clamp 1
		.amdhsa_ieee_mode 1
		.amdhsa_fp16_overflow 0
		.amdhsa_workgroup_processor_mode 1
		.amdhsa_memory_ordered 1
		.amdhsa_forward_progress 0
		.amdhsa_shared_vgpr_count 0
		.amdhsa_exception_fp_ieee_invalid_op 0
		.amdhsa_exception_fp_denorm_src 0
		.amdhsa_exception_fp_ieee_div_zero 0
		.amdhsa_exception_fp_ieee_overflow 0
		.amdhsa_exception_fp_ieee_underflow 0
		.amdhsa_exception_fp_ieee_inexact 0
		.amdhsa_exception_int_div_zero 0
	.end_amdhsa_kernel
	.section	.text._ZN9rocsolver6v33100L18getri_kernel_smallILi37EfPKPfEEvT1_iilPiilS6_bb,"axG",@progbits,_ZN9rocsolver6v33100L18getri_kernel_smallILi37EfPKPfEEvT1_iilPiilS6_bb,comdat
.Lfunc_end100:
	.size	_ZN9rocsolver6v33100L18getri_kernel_smallILi37EfPKPfEEvT1_iilPiilS6_bb, .Lfunc_end100-_ZN9rocsolver6v33100L18getri_kernel_smallILi37EfPKPfEEvT1_iilPiilS6_bb
                                        ; -- End function
	.section	.AMDGPU.csdata,"",@progbits
; Kernel info:
; codeLenInByte = 24372
; NumSgprs: 19
; NumVgprs: 123
; ScratchSize: 160
; MemoryBound: 0
; FloatMode: 240
; IeeeMode: 1
; LDSByteSize: 308 bytes/workgroup (compile time only)
; SGPRBlocks: 2
; VGPRBlocks: 15
; NumSGPRsForWavesPerEU: 19
; NumVGPRsForWavesPerEU: 123
; Occupancy: 10
; WaveLimiterHint : 1
; COMPUTE_PGM_RSRC2:SCRATCH_EN: 1
; COMPUTE_PGM_RSRC2:USER_SGPR: 15
; COMPUTE_PGM_RSRC2:TRAP_HANDLER: 0
; COMPUTE_PGM_RSRC2:TGID_X_EN: 1
; COMPUTE_PGM_RSRC2:TGID_Y_EN: 0
; COMPUTE_PGM_RSRC2:TGID_Z_EN: 0
; COMPUTE_PGM_RSRC2:TIDIG_COMP_CNT: 0
	.section	.text._ZN9rocsolver6v33100L18getri_kernel_smallILi38EfPKPfEEvT1_iilPiilS6_bb,"axG",@progbits,_ZN9rocsolver6v33100L18getri_kernel_smallILi38EfPKPfEEvT1_iilPiilS6_bb,comdat
	.globl	_ZN9rocsolver6v33100L18getri_kernel_smallILi38EfPKPfEEvT1_iilPiilS6_bb ; -- Begin function _ZN9rocsolver6v33100L18getri_kernel_smallILi38EfPKPfEEvT1_iilPiilS6_bb
	.p2align	8
	.type	_ZN9rocsolver6v33100L18getri_kernel_smallILi38EfPKPfEEvT1_iilPiilS6_bb,@function
_ZN9rocsolver6v33100L18getri_kernel_smallILi38EfPKPfEEvT1_iilPiilS6_bb: ; @_ZN9rocsolver6v33100L18getri_kernel_smallILi38EfPKPfEEvT1_iilPiilS6_bb
; %bb.0:
	s_mov_b32 s2, exec_lo
	v_cmpx_gt_u32_e32 38, v0
	s_cbranch_execz .LBB101_160
; %bb.1:
	s_clause 0x1
	s_load_b32 s13, s[0:1], 0x38
	s_load_b64 s[2:3], s[0:1], 0x0
	s_mov_b32 s8, s15
	s_load_b128 s[4:7], s[0:1], 0x28
	s_waitcnt lgkmcnt(0)
	s_bitcmp1_b32 s13, 8
	s_cselect_b32 s12, -1, 0
	s_ashr_i32 s9, s15, 31
	s_delay_alu instid0(SALU_CYCLE_1) | instskip(NEXT) | instid1(SALU_CYCLE_1)
	s_lshl_b64 s[10:11], s[8:9], 3
	s_add_u32 s2, s2, s10
	s_addc_u32 s3, s3, s11
	s_load_b64 s[10:11], s[2:3], 0x0
	s_bfe_u32 s2, s13, 0x10008
	s_delay_alu instid0(SALU_CYCLE_1)
	s_cmp_eq_u32 s2, 0
                                        ; implicit-def: $sgpr2_sgpr3
	s_cbranch_scc1 .LBB101_3
; %bb.2:
	s_clause 0x1
	s_load_b32 s2, s[0:1], 0x20
	s_load_b64 s[14:15], s[0:1], 0x18
	s_mul_i32 s3, s8, s5
	s_mul_hi_u32 s5, s8, s4
	s_mul_i32 s16, s9, s4
	s_add_i32 s3, s5, s3
	s_mul_i32 s4, s8, s4
	s_add_i32 s5, s3, s16
	s_delay_alu instid0(SALU_CYCLE_1)
	s_lshl_b64 s[4:5], s[4:5], 2
	s_waitcnt lgkmcnt(0)
	s_ashr_i32 s3, s2, 31
	s_add_u32 s4, s14, s4
	s_addc_u32 s5, s15, s5
	s_lshl_b64 s[2:3], s[2:3], 2
	s_delay_alu instid0(SALU_CYCLE_1)
	s_add_u32 s2, s4, s2
	s_addc_u32 s3, s5, s3
.LBB101_3:
	s_load_b64 s[0:1], s[0:1], 0x8
	v_lshlrev_b32_e32 v81, 2, v0
	s_waitcnt lgkmcnt(0)
	v_add3_u32 v2, s1, s1, v0
	s_ashr_i32 s5, s0, 31
	s_mov_b32 s4, s0
	s_mov_b32 s14, s1
	s_lshl_b64 s[4:5], s[4:5], 2
	v_add_nc_u32_e32 v9, s1, v2
	v_ashrrev_i32_e32 v3, 31, v2
	s_add_u32 s4, s10, s4
	s_addc_u32 s5, s11, s5
	v_add_co_u32 v5, s0, s4, v81
	v_add_nc_u32_e32 v11, s1, v9
	s_ashr_i32 s15, s1, 31
	v_add_co_ci_u32_e64 v6, null, s5, 0, s0
	v_lshlrev_b64 v[2:3], 2, v[2:3]
	s_delay_alu instid0(VALU_DEP_3)
	v_add_nc_u32_e32 v15, s1, v11
	v_ashrrev_i32_e32 v10, 31, v9
	s_lshl_b64 s[10:11], s[14:15], 2
	v_ashrrev_i32_e32 v12, 31, v11
	v_add_co_u32 v7, vcc_lo, v5, s10
	v_add_nc_u32_e32 v17, s1, v15
	v_add_co_ci_u32_e32 v8, vcc_lo, s11, v6, vcc_lo
	v_lshlrev_b64 v[13:14], 2, v[9:10]
	v_add_co_u32 v9, vcc_lo, s4, v2
	s_delay_alu instid0(VALU_DEP_4) | instskip(SKIP_3) | instid1(VALU_DEP_4)
	v_add_nc_u32_e32 v19, s1, v17
	v_add_co_ci_u32_e32 v10, vcc_lo, s5, v3, vcc_lo
	v_lshlrev_b64 v[2:3], 2, v[11:12]
	v_ashrrev_i32_e32 v16, 31, v15
	v_add_nc_u32_e32 v21, s1, v19
	v_add_co_u32 v11, vcc_lo, s4, v13
	v_ashrrev_i32_e32 v18, 31, v17
	v_add_co_ci_u32_e32 v12, vcc_lo, s5, v14, vcc_lo
	s_delay_alu instid0(VALU_DEP_4) | instskip(SKIP_3) | instid1(VALU_DEP_4)
	v_add_nc_u32_e32 v23, s1, v21
	v_lshlrev_b64 v[15:16], 2, v[15:16]
	v_add_co_u32 v13, vcc_lo, s4, v2
	v_add_co_ci_u32_e32 v14, vcc_lo, s5, v3, vcc_lo
	v_add_nc_u32_e32 v25, s1, v23
	v_lshlrev_b64 v[2:3], 2, v[17:18]
	v_ashrrev_i32_e32 v20, 31, v19
	v_add_co_u32 v15, vcc_lo, s4, v15
	s_delay_alu instid0(VALU_DEP_4) | instskip(SKIP_3) | instid1(VALU_DEP_4)
	v_add_nc_u32_e32 v27, s1, v25
	v_ashrrev_i32_e32 v22, 31, v21
	v_add_co_ci_u32_e32 v16, vcc_lo, s5, v16, vcc_lo
	v_lshlrev_b64 v[19:20], 2, v[19:20]
	v_add_nc_u32_e32 v29, s1, v27
	v_add_co_u32 v17, vcc_lo, s4, v2
	v_add_co_ci_u32_e32 v18, vcc_lo, s5, v3, vcc_lo
	s_delay_alu instid0(VALU_DEP_3) | instskip(SKIP_3) | instid1(VALU_DEP_4)
	v_add_nc_u32_e32 v31, s1, v29
	v_lshlrev_b64 v[2:3], 2, v[21:22]
	v_ashrrev_i32_e32 v24, 31, v23
	v_add_co_u32 v19, vcc_lo, s4, v19
	v_add_nc_u32_e32 v33, s1, v31
	v_ashrrev_i32_e32 v26, 31, v25
	v_add_co_ci_u32_e32 v20, vcc_lo, s5, v20, vcc_lo
	v_lshlrev_b64 v[23:24], 2, v[23:24]
	s_delay_alu instid0(VALU_DEP_4) | instskip(SKIP_3) | instid1(VALU_DEP_4)
	v_add_nc_u32_e32 v35, s1, v33
	v_add_co_u32 v21, vcc_lo, s4, v2
	v_ashrrev_i32_e32 v28, 31, v27
	v_add_co_ci_u32_e32 v22, vcc_lo, s5, v3, vcc_lo
	v_add_nc_u32_e32 v37, s1, v35
	v_lshlrev_b64 v[2:3], 2, v[25:26]
	v_ashrrev_i32_e32 v30, 31, v29
	v_add_co_u32 v23, vcc_lo, s4, v23
	s_delay_alu instid0(VALU_DEP_4) | instskip(SKIP_3) | instid1(VALU_DEP_4)
	v_add_nc_u32_e32 v39, s1, v37
	v_lshlrev_b64 v[27:28], 2, v[27:28]
	v_ashrrev_i32_e32 v32, 31, v31
	v_add_co_ci_u32_e32 v24, vcc_lo, s5, v24, vcc_lo
	v_add_nc_u32_e32 v41, s1, v39
	v_add_co_u32 v25, vcc_lo, s4, v2
	v_lshlrev_b64 v[29:30], 2, v[29:30]
	v_ashrrev_i32_e32 v34, 31, v33
	s_delay_alu instid0(VALU_DEP_4) | instskip(SKIP_2) | instid1(VALU_DEP_3)
	v_add_nc_u32_e32 v43, s1, v41
	v_add_co_ci_u32_e32 v26, vcc_lo, s5, v3, vcc_lo
	v_add_co_u32 v27, vcc_lo, s4, v27
	v_add_nc_u32_e32 v45, s1, v43
	v_lshlrev_b64 v[31:32], 2, v[31:32]
	v_ashrrev_i32_e32 v36, 31, v35
	v_add_co_ci_u32_e32 v28, vcc_lo, s5, v28, vcc_lo
	s_delay_alu instid0(VALU_DEP_4) | instskip(SKIP_3) | instid1(VALU_DEP_4)
	v_add_nc_u32_e32 v47, s1, v45
	v_add_co_u32 v29, vcc_lo, s4, v29
	v_lshlrev_b64 v[33:34], 2, v[33:34]
	v_ashrrev_i32_e32 v38, 31, v37
	v_add_nc_u32_e32 v49, s1, v47
	v_add_co_ci_u32_e32 v30, vcc_lo, s5, v30, vcc_lo
	v_add_co_u32 v31, vcc_lo, s4, v31
	s_delay_alu instid0(VALU_DEP_3) | instskip(SKIP_3) | instid1(VALU_DEP_4)
	v_add_nc_u32_e32 v51, s1, v49
	v_lshlrev_b64 v[35:36], 2, v[35:36]
	v_ashrrev_i32_e32 v40, 31, v39
	v_add_co_ci_u32_e32 v32, vcc_lo, s5, v32, vcc_lo
	v_add_nc_u32_e32 v53, s1, v51
	v_add_co_u32 v33, vcc_lo, s4, v33
	v_lshlrev_b64 v[37:38], 2, v[37:38]
	v_ashrrev_i32_e32 v42, 31, v41
	s_delay_alu instid0(VALU_DEP_4) | instskip(SKIP_2) | instid1(VALU_DEP_3)
	v_add_nc_u32_e32 v55, s1, v53
	v_add_co_ci_u32_e32 v34, vcc_lo, s5, v34, vcc_lo
	v_add_co_u32 v35, vcc_lo, s4, v35
	v_add_nc_u32_e32 v57, s1, v55
	v_lshlrev_b64 v[39:40], 2, v[39:40]
	v_ashrrev_i32_e32 v44, 31, v43
	v_add_co_ci_u32_e32 v36, vcc_lo, s5, v36, vcc_lo
	s_delay_alu instid0(VALU_DEP_4) | instskip(SKIP_3) | instid1(VALU_DEP_4)
	v_add_nc_u32_e32 v59, s1, v57
	v_add_co_u32 v37, vcc_lo, s4, v37
	v_lshlrev_b64 v[41:42], 2, v[41:42]
	v_ashrrev_i32_e32 v46, 31, v45
	v_add_nc_u32_e32 v61, s1, v59
	v_add_co_ci_u32_e32 v38, vcc_lo, s5, v38, vcc_lo
	v_add_co_u32 v39, vcc_lo, s4, v39
	v_lshlrev_b64 v[43:44], 2, v[43:44]
	v_ashrrev_i32_e32 v48, 31, v47
	v_add_nc_u32_e32 v63, s1, v61
	v_add_co_ci_u32_e32 v40, vcc_lo, s5, v40, vcc_lo
	v_add_co_u32 v41, vcc_lo, s4, v41
	v_lshlrev_b64 v[45:46], 2, v[45:46]
	v_ashrrev_i32_e32 v50, 31, v49
	v_add_co_ci_u32_e32 v42, vcc_lo, s5, v42, vcc_lo
	v_add_co_u32 v43, vcc_lo, s4, v43
	v_lshlrev_b64 v[47:48], 2, v[47:48]
	v_add_nc_u32_e32 v65, s1, v63
	v_ashrrev_i32_e32 v52, 31, v51
	v_add_co_ci_u32_e32 v44, vcc_lo, s5, v44, vcc_lo
	v_add_co_u32 v45, vcc_lo, s4, v45
	v_lshlrev_b64 v[49:50], 2, v[49:50]
	v_ashrrev_i32_e32 v54, 31, v53
	v_add_co_ci_u32_e32 v46, vcc_lo, s5, v46, vcc_lo
	v_add_nc_u32_e32 v67, s1, v65
	v_add_co_u32 v47, vcc_lo, s4, v47
	v_lshlrev_b64 v[51:52], 2, v[51:52]
	v_ashrrev_i32_e32 v56, 31, v55
	v_add_co_ci_u32_e32 v48, vcc_lo, s5, v48, vcc_lo
	v_add_co_u32 v49, vcc_lo, s4, v49
	v_lshlrev_b64 v[53:54], 2, v[53:54]
	v_ashrrev_i32_e32 v58, 31, v57
	v_add_nc_u32_e32 v69, s1, v67
	v_add_co_ci_u32_e32 v50, vcc_lo, s5, v50, vcc_lo
	v_add_co_u32 v51, vcc_lo, s4, v51
	v_lshlrev_b64 v[55:56], 2, v[55:56]
	v_ashrrev_i32_e32 v60, 31, v59
	v_add_co_ci_u32_e32 v52, vcc_lo, s5, v52, vcc_lo
	v_add_co_u32 v53, vcc_lo, s4, v53
	v_lshlrev_b64 v[57:58], 2, v[57:58]
	v_add_nc_u32_e32 v71, s1, v69
	v_ashrrev_i32_e32 v62, 31, v61
	v_add_co_ci_u32_e32 v54, vcc_lo, s5, v54, vcc_lo
	v_add_co_u32 v55, vcc_lo, s4, v55
	v_lshlrev_b64 v[59:60], 2, v[59:60]
	v_ashrrev_i32_e32 v64, 31, v63
	v_add_co_ci_u32_e32 v56, vcc_lo, s5, v56, vcc_lo
	v_add_nc_u32_e32 v73, s1, v71
	v_add_co_u32 v57, vcc_lo, s4, v57
	v_lshlrev_b64 v[61:62], 2, v[61:62]
	v_ashrrev_i32_e32 v66, 31, v65
	;; [unrolled: 23-line block ×3, first 2 shown]
	v_add_co_ci_u32_e32 v68, vcc_lo, s5, v68, vcc_lo
	v_add_co_u32 v69, vcc_lo, s4, v69
	v_lshlrev_b64 v[73:74], 2, v[73:74]
	v_ashrrev_i32_e32 v78, 31, v77
	v_ashrrev_i32_e32 v80, 31, v79
	v_add_co_ci_u32_e32 v70, vcc_lo, s5, v70, vcc_lo
	v_add_co_u32 v71, vcc_lo, s4, v71
	v_lshlrev_b64 v[75:76], 2, v[75:76]
	v_add_co_ci_u32_e32 v72, vcc_lo, s5, v72, vcc_lo
	v_add_co_u32 v73, vcc_lo, s4, v73
	v_lshlrev_b64 v[87:88], 2, v[77:78]
	v_lshlrev_b64 v[77:78], 2, v[79:80]
	v_add_co_ci_u32_e32 v74, vcc_lo, s5, v74, vcc_lo
	v_add_co_u32 v75, vcc_lo, s4, v75
	v_add_co_ci_u32_e32 v76, vcc_lo, s5, v76, vcc_lo
	s_delay_alu instid0(VALU_DEP_4)
	v_add_co_u32 v77, vcc_lo, s4, v77
	v_add_co_ci_u32_e32 v78, vcc_lo, s5, v78, vcc_lo
	v_add_co_u32 v79, vcc_lo, s4, v87
	s_clause 0x8
	global_load_b32 v1, v81, s[4:5]
	global_load_b32 v2, v[7:8], off
	global_load_b32 v3, v[9:10], off
	;; [unrolled: 1-line block ×8, first 2 shown]
	v_add_co_ci_u32_e32 v80, vcc_lo, s5, v88, vcc_lo
	s_clause 0x1c
	global_load_b32 v87, v[23:24], off
	global_load_b32 v88, v[25:26], off
	;; [unrolled: 1-line block ×29, first 2 shown]
	s_mov_b32 s1, -1
	s_bitcmp0_b32 s13, 0
	s_waitcnt vmcnt(34)
	scratch_store_b128 off, v[1:4], off
	s_waitcnt vmcnt(30)
	scratch_store_b128 off, v[82:85], off offset:16
	s_waitcnt vmcnt(26)
	scratch_store_b128 off, v[86:89], off offset:32
	;; [unrolled: 2-line block ×8, first 2 shown]
	s_waitcnt vmcnt(0)
	scratch_store_b64 off, v[114:115], off offset:144
	s_cbranch_scc1 .LBB101_158
; %bb.4:
	v_cmp_eq_u32_e64 s0, 0, v0
	s_delay_alu instid0(VALU_DEP_1)
	s_and_saveexec_b32 s1, s0
	s_cbranch_execz .LBB101_6
; %bb.5:
	v_mov_b32_e32 v1, 0
	ds_store_b32 v1, v1 offset:152
.LBB101_6:
	s_or_b32 exec_lo, exec_lo, s1
	s_waitcnt lgkmcnt(0)
	s_waitcnt_vscnt null, 0x0
	s_barrier
	buffer_gl0_inv
	scratch_load_b32 v1, v81, off
	s_mov_b32 s4, exec_lo
	s_waitcnt vmcnt(0)
	v_cmpx_eq_f32_e32 0, v1
	s_cbranch_execz .LBB101_10
; %bb.7:
	v_mov_b32_e32 v1, 0
	s_mov_b32 s5, 0
	ds_load_b32 v2, v1 offset:152
	s_waitcnt lgkmcnt(0)
	v_readfirstlane_b32 s1, v2
	v_add_nc_u32_e32 v2, 1, v0
	s_delay_alu instid0(VALU_DEP_2) | instskip(NEXT) | instid1(VALU_DEP_1)
	s_cmp_eq_u32 s1, 0
	v_cmp_gt_i32_e32 vcc_lo, s1, v2
	s_cselect_b32 s10, -1, 0
	s_delay_alu instid0(SALU_CYCLE_1) | instskip(NEXT) | instid1(SALU_CYCLE_1)
	s_or_b32 s10, s10, vcc_lo
	s_and_b32 exec_lo, exec_lo, s10
	s_cbranch_execz .LBB101_10
; %bb.8:
	v_mov_b32_e32 v3, s1
.LBB101_9:                              ; =>This Inner Loop Header: Depth=1
	ds_cmpstore_rtn_b32 v3, v1, v2, v3 offset:152
	s_waitcnt lgkmcnt(0)
	v_cmp_ne_u32_e32 vcc_lo, 0, v3
	v_cmp_le_i32_e64 s1, v3, v2
	s_delay_alu instid0(VALU_DEP_1) | instskip(NEXT) | instid1(SALU_CYCLE_1)
	s_and_b32 s1, vcc_lo, s1
	s_and_b32 s1, exec_lo, s1
	s_delay_alu instid0(SALU_CYCLE_1) | instskip(NEXT) | instid1(SALU_CYCLE_1)
	s_or_b32 s5, s1, s5
	s_and_not1_b32 exec_lo, exec_lo, s5
	s_cbranch_execnz .LBB101_9
.LBB101_10:
	s_or_b32 exec_lo, exec_lo, s4
	v_mov_b32_e32 v1, 0
	s_barrier
	buffer_gl0_inv
	ds_load_b32 v2, v1 offset:152
	s_and_saveexec_b32 s1, s0
	s_cbranch_execz .LBB101_12
; %bb.11:
	s_lshl_b64 s[4:5], s[8:9], 2
	s_delay_alu instid0(SALU_CYCLE_1)
	s_add_u32 s4, s6, s4
	s_addc_u32 s5, s7, s5
	s_waitcnt lgkmcnt(0)
	global_store_b32 v1, v2, s[4:5]
.LBB101_12:
	s_or_b32 exec_lo, exec_lo, s1
	s_waitcnt lgkmcnt(0)
	v_cmp_ne_u32_e32 vcc_lo, 0, v2
	s_mov_b32 s1, 0
	s_cbranch_vccnz .LBB101_158
; %bb.13:
	v_add_nc_u32_e32 v1, 0, v81
	scratch_load_b32 v2, v1, off
	s_waitcnt vmcnt(0)
	v_div_scale_f32 v3, null, v2, v2, 1.0
	v_div_scale_f32 v83, vcc_lo, 1.0, v2, 1.0
	s_delay_alu instid0(VALU_DEP_2) | instskip(SKIP_2) | instid1(VALU_DEP_1)
	v_rcp_f32_e32 v4, v3
	s_waitcnt_depctr 0xfff
	v_fma_f32 v82, -v3, v4, 1.0
	v_fmac_f32_e32 v4, v82, v4
	s_delay_alu instid0(VALU_DEP_1) | instskip(NEXT) | instid1(VALU_DEP_1)
	v_mul_f32_e32 v82, v83, v4
	v_fma_f32 v84, -v3, v82, v83
	s_delay_alu instid0(VALU_DEP_1) | instskip(NEXT) | instid1(VALU_DEP_1)
	v_fmac_f32_e32 v82, v84, v4
	v_fma_f32 v3, -v3, v82, v83
	s_delay_alu instid0(VALU_DEP_1) | instskip(NEXT) | instid1(VALU_DEP_1)
	v_div_fmas_f32 v3, v3, v4, v82
	v_div_fixup_f32 v2, v3, v2, 1.0
	scratch_store_b32 v1, v2, off
	scratch_load_b32 v3, off, off offset:4
	v_xor_b32_e32 v4, 0x80000000, v2
	v_add_nc_u32_e32 v2, 0xa0, v81
	s_waitcnt vmcnt(0)
	ds_store_2addr_b32 v81, v4, v3 offset1:40
	s_waitcnt lgkmcnt(0)
	s_waitcnt_vscnt null, 0x0
	s_barrier
	buffer_gl0_inv
	s_and_saveexec_b32 s1, s0
	s_cbranch_execz .LBB101_15
; %bb.14:
	scratch_load_b32 v3, v1, off
	ds_load_b32 v4, v2
	v_mov_b32_e32 v82, 0
	ds_load_b32 v82, v82 offset:4
	s_waitcnt vmcnt(0) lgkmcnt(1)
	v_fma_f32 v3, v3, v4, 0
	s_waitcnt lgkmcnt(0)
	s_delay_alu instid0(VALU_DEP_1)
	v_mul_f32_e32 v3, v3, v82
	scratch_store_b32 off, v3, off offset:4
.LBB101_15:
	s_or_b32 exec_lo, exec_lo, s1
	s_waitcnt_vscnt null, 0x0
	s_barrier
	buffer_gl0_inv
	scratch_load_b32 v3, off, off offset:8
	s_mov_b32 s1, exec_lo
	s_waitcnt vmcnt(0)
	ds_store_b32 v2, v3
	s_waitcnt lgkmcnt(0)
	s_barrier
	buffer_gl0_inv
	v_cmpx_gt_u32_e32 2, v0
	s_cbranch_execz .LBB101_17
; %bb.16:
	scratch_load_b32 v82, v1, off
	scratch_load_b32 v83, off, off offset:4
	ds_load_b32 v84, v2
	v_mov_b32_e32 v3, 0
	ds_load_2addr_b32 v[3:4], v3 offset0:2 offset1:41
	s_waitcnt vmcnt(1) lgkmcnt(1)
	v_fma_f32 v82, v82, v84, 0
	s_waitcnt vmcnt(0) lgkmcnt(0)
	s_delay_alu instid0(VALU_DEP_1) | instskip(NEXT) | instid1(VALU_DEP_1)
	v_fma_f32 v4, v83, v4, v82
	v_cndmask_b32_e64 v4, v82, v4, s0
	s_delay_alu instid0(VALU_DEP_1)
	v_mul_f32_e32 v3, v4, v3
	scratch_store_b32 off, v3, off offset:8
.LBB101_17:
	s_or_b32 exec_lo, exec_lo, s1
	s_waitcnt_vscnt null, 0x0
	s_barrier
	buffer_gl0_inv
	scratch_load_b32 v4, off, off offset:12
	v_add_nc_u32_e32 v3, -1, v0
	s_mov_b32 s0, exec_lo
	s_waitcnt vmcnt(0)
	ds_store_b32 v2, v4
	s_waitcnt lgkmcnt(0)
	s_barrier
	buffer_gl0_inv
	v_cmpx_gt_u32_e32 3, v0
	s_cbranch_execz .LBB101_21
; %bb.18:
	v_add_nc_u32_e32 v82, -1, v0
	v_dual_mov_b32 v4, 0 :: v_dual_add_nc_u32 v83, 0xa0, v81
	v_add_nc_u32_e32 v84, 0, v81
	s_mov_b32 s1, 0
.LBB101_19:                             ; =>This Inner Loop Header: Depth=1
	scratch_load_b32 v85, v84, off
	ds_load_b32 v86, v83
	v_add_nc_u32_e32 v82, 1, v82
	v_add_nc_u32_e32 v83, 4, v83
	v_add_nc_u32_e32 v84, 4, v84
	s_delay_alu instid0(VALU_DEP_3)
	v_cmp_lt_u32_e32 vcc_lo, 1, v82
	s_or_b32 s1, vcc_lo, s1
	s_waitcnt vmcnt(0) lgkmcnt(0)
	v_fmac_f32_e32 v4, v85, v86
	s_and_not1_b32 exec_lo, exec_lo, s1
	s_cbranch_execnz .LBB101_19
; %bb.20:
	s_or_b32 exec_lo, exec_lo, s1
	v_mov_b32_e32 v82, 0
	ds_load_b32 v82, v82 offset:12
	s_waitcnt lgkmcnt(0)
	v_mul_f32_e32 v4, v4, v82
	scratch_store_b32 off, v4, off offset:12
.LBB101_21:
	s_or_b32 exec_lo, exec_lo, s0
	s_waitcnt_vscnt null, 0x0
	s_barrier
	buffer_gl0_inv
	scratch_load_b32 v4, off, off offset:16
	s_mov_b32 s0, exec_lo
	s_waitcnt vmcnt(0)
	ds_store_b32 v2, v4
	s_waitcnt lgkmcnt(0)
	s_barrier
	buffer_gl0_inv
	v_cmpx_gt_u32_e32 4, v0
	s_cbranch_execz .LBB101_25
; %bb.22:
	v_add_nc_u32_e32 v82, -1, v0
	v_dual_mov_b32 v4, 0 :: v_dual_add_nc_u32 v83, 0xa0, v81
	v_add_nc_u32_e32 v84, 0, v81
	s_mov_b32 s1, 0
.LBB101_23:                             ; =>This Inner Loop Header: Depth=1
	scratch_load_b32 v85, v84, off
	ds_load_b32 v86, v83
	v_add_nc_u32_e32 v82, 1, v82
	v_add_nc_u32_e32 v83, 4, v83
	v_add_nc_u32_e32 v84, 4, v84
	s_delay_alu instid0(VALU_DEP_3)
	v_cmp_lt_u32_e32 vcc_lo, 2, v82
	s_or_b32 s1, vcc_lo, s1
	s_waitcnt vmcnt(0) lgkmcnt(0)
	v_fmac_f32_e32 v4, v85, v86
	s_and_not1_b32 exec_lo, exec_lo, s1
	s_cbranch_execnz .LBB101_23
; %bb.24:
	s_or_b32 exec_lo, exec_lo, s1
	v_mov_b32_e32 v82, 0
	ds_load_b32 v82, v82 offset:16
	s_waitcnt lgkmcnt(0)
	v_mul_f32_e32 v4, v4, v82
	scratch_store_b32 off, v4, off offset:16
.LBB101_25:
	s_or_b32 exec_lo, exec_lo, s0
	s_waitcnt_vscnt null, 0x0
	s_barrier
	buffer_gl0_inv
	scratch_load_b32 v4, off, off offset:20
	;; [unrolled: 39-line block ×21, first 2 shown]
	s_mov_b32 s0, exec_lo
	s_waitcnt vmcnt(0)
	ds_store_b32 v2, v4
	s_waitcnt lgkmcnt(0)
	s_barrier
	buffer_gl0_inv
	v_cmpx_gt_u32_e32 24, v0
	s_cbranch_execz .LBB101_105
; %bb.102:
	v_add_nc_u32_e32 v82, -1, v0
	v_dual_mov_b32 v4, 0 :: v_dual_add_nc_u32 v83, 0xa0, v81
	v_add_nc_u32_e32 v84, 0, v81
	s_mov_b32 s1, 0
.LBB101_103:                            ; =>This Inner Loop Header: Depth=1
	scratch_load_b32 v85, v84, off
	ds_load_b32 v86, v83
	v_add_nc_u32_e32 v82, 1, v82
	v_add_nc_u32_e32 v83, 4, v83
	v_add_nc_u32_e32 v84, 4, v84
	s_delay_alu instid0(VALU_DEP_3)
	v_cmp_lt_u32_e32 vcc_lo, 22, v82
	s_or_b32 s1, vcc_lo, s1
	s_waitcnt vmcnt(0) lgkmcnt(0)
	v_fmac_f32_e32 v4, v85, v86
	s_and_not1_b32 exec_lo, exec_lo, s1
	s_cbranch_execnz .LBB101_103
; %bb.104:
	s_or_b32 exec_lo, exec_lo, s1
	v_mov_b32_e32 v82, 0
	ds_load_b32 v82, v82 offset:96
	s_waitcnt lgkmcnt(0)
	v_mul_f32_e32 v4, v4, v82
	scratch_store_b32 off, v4, off offset:96
.LBB101_105:
	s_or_b32 exec_lo, exec_lo, s0
	s_waitcnt_vscnt null, 0x0
	s_barrier
	buffer_gl0_inv
	scratch_load_b32 v4, off, off offset:100
	s_mov_b32 s0, exec_lo
	s_waitcnt vmcnt(0)
	ds_store_b32 v2, v4
	s_waitcnt lgkmcnt(0)
	s_barrier
	buffer_gl0_inv
	v_cmpx_gt_u32_e32 25, v0
	s_cbranch_execz .LBB101_109
; %bb.106:
	v_add_nc_u32_e32 v82, -1, v0
	v_dual_mov_b32 v4, 0 :: v_dual_add_nc_u32 v83, 0xa0, v81
	v_add_nc_u32_e32 v84, 0, v81
	s_mov_b32 s1, 0
.LBB101_107:                            ; =>This Inner Loop Header: Depth=1
	scratch_load_b32 v85, v84, off
	ds_load_b32 v86, v83
	v_add_nc_u32_e32 v82, 1, v82
	v_add_nc_u32_e32 v83, 4, v83
	v_add_nc_u32_e32 v84, 4, v84
	s_delay_alu instid0(VALU_DEP_3)
	v_cmp_lt_u32_e32 vcc_lo, 23, v82
	s_or_b32 s1, vcc_lo, s1
	s_waitcnt vmcnt(0) lgkmcnt(0)
	v_fmac_f32_e32 v4, v85, v86
	s_and_not1_b32 exec_lo, exec_lo, s1
	s_cbranch_execnz .LBB101_107
; %bb.108:
	s_or_b32 exec_lo, exec_lo, s1
	v_mov_b32_e32 v82, 0
	ds_load_b32 v82, v82 offset:100
	s_waitcnt lgkmcnt(0)
	v_mul_f32_e32 v4, v4, v82
	scratch_store_b32 off, v4, off offset:100
.LBB101_109:
	s_or_b32 exec_lo, exec_lo, s0
	s_waitcnt_vscnt null, 0x0
	s_barrier
	buffer_gl0_inv
	scratch_load_b32 v4, off, off offset:104
	;; [unrolled: 39-line block ×13, first 2 shown]
	s_mov_b32 s0, exec_lo
	s_waitcnt vmcnt(0)
	ds_store_b32 v2, v4
	s_waitcnt lgkmcnt(0)
	s_barrier
	buffer_gl0_inv
	v_cmpx_ne_u32_e32 37, v0
	s_cbranch_execz .LBB101_157
; %bb.154:
	v_mov_b32_e32 v4, 0
	s_mov_b32 s1, 0
.LBB101_155:                            ; =>This Inner Loop Header: Depth=1
	scratch_load_b32 v81, v1, off
	ds_load_b32 v82, v2
	v_add_nc_u32_e32 v3, 1, v3
	v_add_nc_u32_e32 v2, 4, v2
	s_waitcnt vmcnt(0) lgkmcnt(0)
	v_dual_fmac_f32 v4, v81, v82 :: v_dual_add_nc_u32 v1, 4, v1
	s_delay_alu instid0(VALU_DEP_3) | instskip(SKIP_1) | instid1(SALU_CYCLE_1)
	v_cmp_lt_u32_e32 vcc_lo, 35, v3
	s_or_b32 s1, vcc_lo, s1
	s_and_not1_b32 exec_lo, exec_lo, s1
	s_cbranch_execnz .LBB101_155
; %bb.156:
	s_or_b32 exec_lo, exec_lo, s1
	v_mov_b32_e32 v1, 0
	ds_load_b32 v1, v1 offset:148
	s_waitcnt lgkmcnt(0)
	v_mul_f32_e32 v1, v4, v1
	scratch_store_b32 off, v1, off offset:148
.LBB101_157:
	s_or_b32 exec_lo, exec_lo, s0
	s_mov_b32 s1, -1
	s_waitcnt_vscnt null, 0x0
	s_barrier
	buffer_gl0_inv
.LBB101_158:
	s_and_b32 vcc_lo, exec_lo, s1
	s_cbranch_vccz .LBB101_160
; %bb.159:
	s_lshl_b64 s[0:1], s[8:9], 2
	v_mov_b32_e32 v1, 0
	s_add_u32 s0, s6, s0
	s_addc_u32 s1, s7, s1
	global_load_b32 v1, v1, s[0:1]
	s_waitcnt vmcnt(0)
	v_cmp_ne_u32_e32 vcc_lo, 0, v1
	s_cbranch_vccz .LBB101_161
.LBB101_160:
	s_endpgm
.LBB101_161:
	v_lshl_add_u32 v1, v0, 2, 0xa0
	s_mov_b32 s0, exec_lo
	v_cmpx_eq_u32_e32 37, v0
	s_cbranch_execz .LBB101_163
; %bb.162:
	scratch_load_b32 v2, off, off offset:144
	v_mov_b32_e32 v3, 0
	scratch_store_b32 off, v3, off offset:144
	s_waitcnt vmcnt(0)
	ds_store_b32 v1, v2
.LBB101_163:
	s_or_b32 exec_lo, exec_lo, s0
	s_waitcnt lgkmcnt(0)
	s_waitcnt_vscnt null, 0x0
	s_barrier
	buffer_gl0_inv
	scratch_load_b64 v[3:4], off, off offset:144
	v_mov_b32_e32 v2, 0
	s_mov_b32 s0, exec_lo
	ds_load_b32 v81, v2 offset:308
	s_waitcnt vmcnt(0) lgkmcnt(0)
	v_fma_f32 v4, v4, v81, 0
	s_delay_alu instid0(VALU_DEP_1)
	v_sub_f32_e32 v3, v3, v4
	scratch_store_b32 off, v3, off offset:144
	v_cmpx_lt_u32_e32 35, v0
	s_cbranch_execz .LBB101_165
; %bb.164:
	scratch_load_b32 v3, off, off offset:140
	scratch_store_b32 off, v2, off offset:140
	s_waitcnt vmcnt(0)
	ds_store_b32 v1, v3
.LBB101_165:
	s_or_b32 exec_lo, exec_lo, s0
	s_waitcnt lgkmcnt(0)
	s_waitcnt_vscnt null, 0x0
	s_barrier
	buffer_gl0_inv
	scratch_load_b96 v[81:83], off, off offset:140
	ds_load_b64 v[2:3], v2 offset:304
	s_mov_b32 s0, exec_lo
	s_waitcnt vmcnt(0) lgkmcnt(0)
	v_fma_f32 v2, v82, v2, 0
	s_delay_alu instid0(VALU_DEP_1) | instskip(NEXT) | instid1(VALU_DEP_1)
	v_fmac_f32_e32 v2, v83, v3
	v_sub_f32_e32 v2, v81, v2
	scratch_store_b32 off, v2, off offset:140
	v_cmpx_lt_u32_e32 34, v0
	s_cbranch_execz .LBB101_167
; %bb.166:
	scratch_load_b32 v2, off, off offset:136
	v_mov_b32_e32 v3, 0
	scratch_store_b32 off, v3, off offset:136
	s_waitcnt vmcnt(0)
	ds_store_b32 v1, v2
.LBB101_167:
	s_or_b32 exec_lo, exec_lo, s0
	s_waitcnt lgkmcnt(0)
	s_waitcnt_vscnt null, 0x0
	s_barrier
	buffer_gl0_inv
	scratch_load_b128 v[81:84], off, off offset:136
	v_mov_b32_e32 v2, 0
	ds_load_2addr_b32 v[3:4], v2 offset0:75 offset1:76
	ds_load_b32 v85, v2 offset:308
	s_mov_b32 s0, exec_lo
	s_waitcnt vmcnt(0) lgkmcnt(1)
	v_fma_f32 v3, v82, v3, 0
	s_delay_alu instid0(VALU_DEP_1) | instskip(SKIP_1) | instid1(VALU_DEP_1)
	v_fmac_f32_e32 v3, v83, v4
	s_waitcnt lgkmcnt(0)
	v_fmac_f32_e32 v3, v84, v85
	s_delay_alu instid0(VALU_DEP_1)
	v_sub_f32_e32 v3, v81, v3
	scratch_store_b32 off, v3, off offset:136
	v_cmpx_lt_u32_e32 33, v0
	s_cbranch_execz .LBB101_169
; %bb.168:
	scratch_load_b32 v3, off, off offset:132
	scratch_store_b32 off, v2, off offset:132
	s_waitcnt vmcnt(0)
	ds_store_b32 v1, v3
.LBB101_169:
	s_or_b32 exec_lo, exec_lo, s0
	s_waitcnt lgkmcnt(0)
	s_waitcnt_vscnt null, 0x0
	s_barrier
	buffer_gl0_inv
	s_clause 0x1
	scratch_load_b128 v[81:84], off, off offset:132
	scratch_load_b32 v3, off, off offset:148
	ds_load_2addr_b64 v[85:88], v2 offset0:37 offset1:38
	s_mov_b32 s0, exec_lo
	s_waitcnt vmcnt(1) lgkmcnt(0)
	v_fma_f32 v2, v82, v85, 0
	s_delay_alu instid0(VALU_DEP_1) | instskip(NEXT) | instid1(VALU_DEP_1)
	v_fmac_f32_e32 v2, v83, v86
	v_fmac_f32_e32 v2, v84, v87
	s_waitcnt vmcnt(0)
	s_delay_alu instid0(VALU_DEP_1) | instskip(NEXT) | instid1(VALU_DEP_1)
	v_fmac_f32_e32 v2, v3, v88
	v_sub_f32_e32 v2, v81, v2
	scratch_store_b32 off, v2, off offset:132
	v_cmpx_lt_u32_e32 32, v0
	s_cbranch_execz .LBB101_171
; %bb.170:
	scratch_load_b32 v2, off, off offset:128
	v_mov_b32_e32 v3, 0
	scratch_store_b32 off, v3, off offset:128
	s_waitcnt vmcnt(0)
	ds_store_b32 v1, v2
.LBB101_171:
	s_or_b32 exec_lo, exec_lo, s0
	s_waitcnt lgkmcnt(0)
	s_waitcnt_vscnt null, 0x0
	s_barrier
	buffer_gl0_inv
	s_clause 0x1
	scratch_load_b128 v[81:84], off, off offset:128
	scratch_load_b64 v[3:4], off, off offset:144
	v_mov_b32_e32 v2, 0
	ds_load_2addr_b32 v[85:86], v2 offset0:73 offset1:74
	ds_load_2addr_b32 v[87:88], v2 offset0:75 offset1:76
	ds_load_b32 v89, v2 offset:308
	s_mov_b32 s0, exec_lo
	s_waitcnt vmcnt(1) lgkmcnt(2)
	v_fma_f32 v82, v82, v85, 0
	s_delay_alu instid0(VALU_DEP_1) | instskip(SKIP_1) | instid1(VALU_DEP_1)
	v_fmac_f32_e32 v82, v83, v86
	s_waitcnt lgkmcnt(1)
	v_fmac_f32_e32 v82, v84, v87
	s_waitcnt vmcnt(0)
	s_delay_alu instid0(VALU_DEP_1) | instskip(SKIP_1) | instid1(VALU_DEP_1)
	v_fmac_f32_e32 v82, v3, v88
	s_waitcnt lgkmcnt(0)
	v_fmac_f32_e32 v82, v4, v89
	s_delay_alu instid0(VALU_DEP_1)
	v_sub_f32_e32 v3, v81, v82
	scratch_store_b32 off, v3, off offset:128
	v_cmpx_lt_u32_e32 31, v0
	s_cbranch_execz .LBB101_173
; %bb.172:
	scratch_load_b32 v3, off, off offset:124
	scratch_store_b32 off, v2, off offset:124
	s_waitcnt vmcnt(0)
	ds_store_b32 v1, v3
.LBB101_173:
	s_or_b32 exec_lo, exec_lo, s0
	s_waitcnt lgkmcnt(0)
	s_waitcnt_vscnt null, 0x0
	s_barrier
	buffer_gl0_inv
	s_clause 0x1
	scratch_load_b128 v[81:84], off, off offset:124
	scratch_load_b96 v[89:91], off, off offset:140
	ds_load_b128 v[85:88], v2 offset:288
	ds_load_b64 v[2:3], v2 offset:304
	s_mov_b32 s0, exec_lo
	s_waitcnt vmcnt(1) lgkmcnt(1)
	v_fma_f32 v4, v82, v85, 0
	s_delay_alu instid0(VALU_DEP_1) | instskip(NEXT) | instid1(VALU_DEP_1)
	v_fmac_f32_e32 v4, v83, v86
	v_fmac_f32_e32 v4, v84, v87
	s_waitcnt vmcnt(0)
	s_delay_alu instid0(VALU_DEP_1) | instskip(SKIP_1) | instid1(VALU_DEP_1)
	v_fmac_f32_e32 v4, v89, v88
	s_waitcnt lgkmcnt(0)
	v_fmac_f32_e32 v4, v90, v2
	s_delay_alu instid0(VALU_DEP_1) | instskip(NEXT) | instid1(VALU_DEP_1)
	v_fmac_f32_e32 v4, v91, v3
	v_sub_f32_e32 v2, v81, v4
	scratch_store_b32 off, v2, off offset:124
	v_cmpx_lt_u32_e32 30, v0
	s_cbranch_execz .LBB101_175
; %bb.174:
	scratch_load_b32 v2, off, off offset:120
	v_mov_b32_e32 v3, 0
	scratch_store_b32 off, v3, off offset:120
	s_waitcnt vmcnt(0)
	ds_store_b32 v1, v2
.LBB101_175:
	s_or_b32 exec_lo, exec_lo, s0
	s_waitcnt lgkmcnt(0)
	s_waitcnt_vscnt null, 0x0
	s_barrier
	buffer_gl0_inv
	s_clause 0x1
	scratch_load_b128 v[81:84], off, off offset:120
	scratch_load_b128 v[85:88], off, off offset:136
	v_mov_b32_e32 v2, 0
	ds_load_2addr_b32 v[3:4], v2 offset0:71 offset1:72
	ds_load_2addr_b32 v[89:90], v2 offset0:73 offset1:74
	ds_load_2addr_b32 v[91:92], v2 offset0:75 offset1:76
	ds_load_b32 v93, v2 offset:308
	s_mov_b32 s0, exec_lo
	s_waitcnt vmcnt(1) lgkmcnt(3)
	v_fma_f32 v3, v82, v3, 0
	s_delay_alu instid0(VALU_DEP_1) | instskip(SKIP_1) | instid1(VALU_DEP_1)
	v_fmac_f32_e32 v3, v83, v4
	s_waitcnt lgkmcnt(2)
	v_fmac_f32_e32 v3, v84, v89
	s_waitcnt vmcnt(0)
	s_delay_alu instid0(VALU_DEP_1) | instskip(SKIP_1) | instid1(VALU_DEP_1)
	v_fmac_f32_e32 v3, v85, v90
	s_waitcnt lgkmcnt(1)
	v_fmac_f32_e32 v3, v86, v91
	s_delay_alu instid0(VALU_DEP_1) | instskip(SKIP_1) | instid1(VALU_DEP_1)
	v_fmac_f32_e32 v3, v87, v92
	s_waitcnt lgkmcnt(0)
	v_fmac_f32_e32 v3, v88, v93
	s_delay_alu instid0(VALU_DEP_1)
	v_sub_f32_e32 v3, v81, v3
	scratch_store_b32 off, v3, off offset:120
	v_cmpx_lt_u32_e32 29, v0
	s_cbranch_execz .LBB101_177
; %bb.176:
	scratch_load_b32 v3, off, off offset:116
	scratch_store_b32 off, v2, off offset:116
	s_waitcnt vmcnt(0)
	ds_store_b32 v1, v3
.LBB101_177:
	s_or_b32 exec_lo, exec_lo, s0
	s_waitcnt lgkmcnt(0)
	s_waitcnt_vscnt null, 0x0
	s_barrier
	buffer_gl0_inv
	s_clause 0x2
	scratch_load_b128 v[81:84], off, off offset:116
	scratch_load_b128 v[85:88], off, off offset:132
	scratch_load_b32 v3, off, off offset:148
	ds_load_2addr_b64 v[89:92], v2 offset0:35 offset1:36
	ds_load_2addr_b64 v[93:96], v2 offset0:37 offset1:38
	s_mov_b32 s0, exec_lo
	s_waitcnt vmcnt(2) lgkmcnt(1)
	v_fma_f32 v2, v82, v89, 0
	s_delay_alu instid0(VALU_DEP_1) | instskip(NEXT) | instid1(VALU_DEP_1)
	v_fmac_f32_e32 v2, v83, v90
	v_fmac_f32_e32 v2, v84, v91
	s_waitcnt vmcnt(1)
	s_delay_alu instid0(VALU_DEP_1) | instskip(SKIP_1) | instid1(VALU_DEP_1)
	v_fmac_f32_e32 v2, v85, v92
	s_waitcnt lgkmcnt(0)
	v_fmac_f32_e32 v2, v86, v93
	s_delay_alu instid0(VALU_DEP_1) | instskip(NEXT) | instid1(VALU_DEP_1)
	v_fmac_f32_e32 v2, v87, v94
	v_fmac_f32_e32 v2, v88, v95
	s_waitcnt vmcnt(0)
	s_delay_alu instid0(VALU_DEP_1) | instskip(NEXT) | instid1(VALU_DEP_1)
	v_fmac_f32_e32 v2, v3, v96
	v_sub_f32_e32 v2, v81, v2
	scratch_store_b32 off, v2, off offset:116
	v_cmpx_lt_u32_e32 28, v0
	s_cbranch_execz .LBB101_179
; %bb.178:
	scratch_load_b32 v2, off, off offset:112
	v_mov_b32_e32 v3, 0
	scratch_store_b32 off, v3, off offset:112
	s_waitcnt vmcnt(0)
	ds_store_b32 v1, v2
.LBB101_179:
	s_or_b32 exec_lo, exec_lo, s0
	s_waitcnt lgkmcnt(0)
	s_waitcnt_vscnt null, 0x0
	s_barrier
	buffer_gl0_inv
	s_clause 0x2
	scratch_load_b128 v[81:84], off, off offset:112
	scratch_load_b128 v[85:88], off, off offset:128
	scratch_load_b64 v[3:4], off, off offset:144
	v_mov_b32_e32 v2, 0
	ds_load_2addr_b32 v[89:90], v2 offset0:69 offset1:70
	ds_load_2addr_b32 v[91:92], v2 offset0:71 offset1:72
	;; [unrolled: 1-line block ×4, first 2 shown]
	s_mov_b32 s0, exec_lo
	s_waitcnt vmcnt(2) lgkmcnt(3)
	v_fma_f32 v82, v82, v89, 0
	s_delay_alu instid0(VALU_DEP_1) | instskip(SKIP_4) | instid1(VALU_DEP_1)
	v_fmac_f32_e32 v82, v83, v90
	ds_load_b32 v83, v2 offset:308
	s_waitcnt lgkmcnt(3)
	v_fmac_f32_e32 v82, v84, v91
	s_waitcnt vmcnt(1)
	v_fmac_f32_e32 v82, v85, v92
	s_waitcnt lgkmcnt(2)
	s_delay_alu instid0(VALU_DEP_1) | instskip(NEXT) | instid1(VALU_DEP_1)
	v_fmac_f32_e32 v82, v86, v93
	v_fmac_f32_e32 v82, v87, v94
	s_waitcnt lgkmcnt(1)
	s_delay_alu instid0(VALU_DEP_1) | instskip(SKIP_1) | instid1(VALU_DEP_1)
	v_fmac_f32_e32 v82, v88, v95
	s_waitcnt vmcnt(0)
	v_fmac_f32_e32 v82, v3, v96
	s_waitcnt lgkmcnt(0)
	s_delay_alu instid0(VALU_DEP_1) | instskip(NEXT) | instid1(VALU_DEP_1)
	v_fmac_f32_e32 v82, v4, v83
	v_sub_f32_e32 v3, v81, v82
	scratch_store_b32 off, v3, off offset:112
	v_cmpx_lt_u32_e32 27, v0
	s_cbranch_execz .LBB101_181
; %bb.180:
	scratch_load_b32 v3, off, off offset:108
	scratch_store_b32 off, v2, off offset:108
	s_waitcnt vmcnt(0)
	ds_store_b32 v1, v3
.LBB101_181:
	s_or_b32 exec_lo, exec_lo, s0
	s_waitcnt lgkmcnt(0)
	s_waitcnt_vscnt null, 0x0
	s_barrier
	buffer_gl0_inv
	s_clause 0x2
	scratch_load_b128 v[81:84], off, off offset:108
	scratch_load_b128 v[85:88], off, off offset:124
	scratch_load_b96 v[97:99], off, off offset:140
	ds_load_b128 v[89:92], v2 offset:272
	ds_load_b128 v[93:96], v2 offset:288
	ds_load_b64 v[2:3], v2 offset:304
	s_mov_b32 s0, exec_lo
	s_waitcnt vmcnt(2) lgkmcnt(2)
	v_fma_f32 v4, v82, v89, 0
	s_delay_alu instid0(VALU_DEP_1) | instskip(NEXT) | instid1(VALU_DEP_1)
	v_fmac_f32_e32 v4, v83, v90
	v_fmac_f32_e32 v4, v84, v91
	s_waitcnt vmcnt(1)
	s_delay_alu instid0(VALU_DEP_1) | instskip(SKIP_1) | instid1(VALU_DEP_1)
	v_fmac_f32_e32 v4, v85, v92
	s_waitcnt lgkmcnt(1)
	v_fmac_f32_e32 v4, v86, v93
	s_delay_alu instid0(VALU_DEP_1) | instskip(NEXT) | instid1(VALU_DEP_1)
	v_fmac_f32_e32 v4, v87, v94
	v_fmac_f32_e32 v4, v88, v95
	s_waitcnt vmcnt(0)
	s_delay_alu instid0(VALU_DEP_1) | instskip(SKIP_1) | instid1(VALU_DEP_1)
	v_fmac_f32_e32 v4, v97, v96
	s_waitcnt lgkmcnt(0)
	v_fmac_f32_e32 v4, v98, v2
	s_delay_alu instid0(VALU_DEP_1) | instskip(NEXT) | instid1(VALU_DEP_1)
	v_fmac_f32_e32 v4, v99, v3
	v_sub_f32_e32 v2, v81, v4
	scratch_store_b32 off, v2, off offset:108
	v_cmpx_lt_u32_e32 26, v0
	s_cbranch_execz .LBB101_183
; %bb.182:
	scratch_load_b32 v2, off, off offset:104
	v_mov_b32_e32 v3, 0
	scratch_store_b32 off, v3, off offset:104
	s_waitcnt vmcnt(0)
	ds_store_b32 v1, v2
.LBB101_183:
	s_or_b32 exec_lo, exec_lo, s0
	s_waitcnt lgkmcnt(0)
	s_waitcnt_vscnt null, 0x0
	s_barrier
	buffer_gl0_inv
	s_clause 0x2
	scratch_load_b128 v[81:84], off, off offset:104
	scratch_load_b128 v[85:88], off, off offset:120
	;; [unrolled: 1-line block ×3, first 2 shown]
	v_mov_b32_e32 v2, 0
	ds_load_2addr_b32 v[3:4], v2 offset0:67 offset1:68
	ds_load_2addr_b32 v[93:94], v2 offset0:69 offset1:70
	;; [unrolled: 1-line block ×4, first 2 shown]
	s_mov_b32 s0, exec_lo
	s_waitcnt vmcnt(2) lgkmcnt(3)
	v_fma_f32 v82, v82, v3, 0
	s_delay_alu instid0(VALU_DEP_1)
	v_fmac_f32_e32 v82, v83, v4
	ds_load_2addr_b32 v[3:4], v2 offset0:75 offset1:76
	ds_load_b32 v83, v2 offset:308
	s_waitcnt lgkmcnt(4)
	v_fmac_f32_e32 v82, v84, v93
	s_waitcnt vmcnt(1)
	s_delay_alu instid0(VALU_DEP_1) | instskip(SKIP_1) | instid1(VALU_DEP_1)
	v_fmac_f32_e32 v82, v85, v94
	s_waitcnt lgkmcnt(3)
	v_fmac_f32_e32 v82, v86, v95
	s_delay_alu instid0(VALU_DEP_1) | instskip(SKIP_1) | instid1(VALU_DEP_1)
	v_fmac_f32_e32 v82, v87, v96
	s_waitcnt lgkmcnt(2)
	v_fmac_f32_e32 v82, v88, v97
	s_waitcnt vmcnt(0)
	s_delay_alu instid0(VALU_DEP_1) | instskip(SKIP_1) | instid1(VALU_DEP_1)
	v_fmac_f32_e32 v82, v89, v98
	s_waitcnt lgkmcnt(1)
	v_fmac_f32_e32 v82, v90, v3
	s_delay_alu instid0(VALU_DEP_1) | instskip(SKIP_1) | instid1(VALU_DEP_1)
	v_fmac_f32_e32 v82, v91, v4
	s_waitcnt lgkmcnt(0)
	v_fmac_f32_e32 v82, v92, v83
	s_delay_alu instid0(VALU_DEP_1)
	v_sub_f32_e32 v3, v81, v82
	scratch_store_b32 off, v3, off offset:104
	v_cmpx_lt_u32_e32 25, v0
	s_cbranch_execz .LBB101_185
; %bb.184:
	scratch_load_b32 v3, off, off offset:100
	scratch_store_b32 off, v2, off offset:100
	s_waitcnt vmcnt(0)
	ds_store_b32 v1, v3
.LBB101_185:
	s_or_b32 exec_lo, exec_lo, s0
	s_waitcnt lgkmcnt(0)
	s_waitcnt_vscnt null, 0x0
	s_barrier
	buffer_gl0_inv
	s_clause 0x3
	scratch_load_b128 v[81:84], off, off offset:100
	scratch_load_b128 v[85:88], off, off offset:116
	;; [unrolled: 1-line block ×3, first 2 shown]
	scratch_load_b32 v3, off, off offset:148
	ds_load_2addr_b64 v[93:96], v2 offset0:33 offset1:34
	ds_load_2addr_b64 v[97:100], v2 offset0:35 offset1:36
	s_mov_b32 s0, exec_lo
	s_waitcnt vmcnt(3) lgkmcnt(1)
	v_fma_f32 v4, v82, v93, 0
	s_delay_alu instid0(VALU_DEP_1) | instskip(NEXT) | instid1(VALU_DEP_1)
	v_fmac_f32_e32 v4, v83, v94
	v_fmac_f32_e32 v4, v84, v95
	s_waitcnt vmcnt(2)
	s_delay_alu instid0(VALU_DEP_1) | instskip(SKIP_3) | instid1(VALU_DEP_1)
	v_fmac_f32_e32 v4, v85, v96
	ds_load_2addr_b64 v[82:85], v2 offset0:37 offset1:38
	s_waitcnt lgkmcnt(1)
	v_fmac_f32_e32 v4, v86, v97
	v_fmac_f32_e32 v4, v87, v98
	s_delay_alu instid0(VALU_DEP_1) | instskip(SKIP_1) | instid1(VALU_DEP_1)
	v_fmac_f32_e32 v4, v88, v99
	s_waitcnt vmcnt(1)
	v_fmac_f32_e32 v4, v89, v100
	s_waitcnt lgkmcnt(0)
	s_delay_alu instid0(VALU_DEP_1) | instskip(NEXT) | instid1(VALU_DEP_1)
	v_fmac_f32_e32 v4, v90, v82
	v_fmac_f32_e32 v4, v91, v83
	s_delay_alu instid0(VALU_DEP_1) | instskip(SKIP_1) | instid1(VALU_DEP_1)
	v_fmac_f32_e32 v4, v92, v84
	s_waitcnt vmcnt(0)
	v_fmac_f32_e32 v4, v3, v85
	s_delay_alu instid0(VALU_DEP_1)
	v_sub_f32_e32 v2, v81, v4
	scratch_store_b32 off, v2, off offset:100
	v_cmpx_lt_u32_e32 24, v0
	s_cbranch_execz .LBB101_187
; %bb.186:
	scratch_load_b32 v2, off, off offset:96
	v_mov_b32_e32 v3, 0
	scratch_store_b32 off, v3, off offset:96
	s_waitcnt vmcnt(0)
	ds_store_b32 v1, v2
.LBB101_187:
	s_or_b32 exec_lo, exec_lo, s0
	s_waitcnt lgkmcnt(0)
	s_waitcnt_vscnt null, 0x0
	s_barrier
	buffer_gl0_inv
	s_clause 0x3
	scratch_load_b128 v[81:84], off, off offset:96
	scratch_load_b128 v[85:88], off, off offset:112
	;; [unrolled: 1-line block ×3, first 2 shown]
	scratch_load_b64 v[3:4], off, off offset:144
	v_mov_b32_e32 v2, 0
	ds_load_2addr_b32 v[93:94], v2 offset0:65 offset1:66
	ds_load_2addr_b32 v[95:96], v2 offset0:67 offset1:68
	;; [unrolled: 1-line block ×4, first 2 shown]
	s_mov_b32 s0, exec_lo
	s_waitcnt vmcnt(3) lgkmcnt(3)
	v_fma_f32 v93, v82, v93, 0
	s_delay_alu instid0(VALU_DEP_1) | instskip(SKIP_4) | instid1(VALU_DEP_1)
	v_fmac_f32_e32 v93, v83, v94
	ds_load_2addr_b32 v[82:83], v2 offset0:73 offset1:74
	s_waitcnt lgkmcnt(3)
	v_fmac_f32_e32 v93, v84, v95
	s_waitcnt vmcnt(2)
	v_fmac_f32_e32 v93, v85, v96
	ds_load_2addr_b32 v[84:85], v2 offset0:75 offset1:76
	s_waitcnt lgkmcnt(3)
	v_fmac_f32_e32 v93, v86, v97
	ds_load_b32 v86, v2 offset:308
	v_fmac_f32_e32 v93, v87, v98
	s_waitcnt lgkmcnt(3)
	s_delay_alu instid0(VALU_DEP_1) | instskip(SKIP_1) | instid1(VALU_DEP_1)
	v_fmac_f32_e32 v93, v88, v99
	s_waitcnt vmcnt(1)
	v_fmac_f32_e32 v93, v89, v100
	s_waitcnt lgkmcnt(2)
	s_delay_alu instid0(VALU_DEP_1) | instskip(NEXT) | instid1(VALU_DEP_1)
	v_fmac_f32_e32 v93, v90, v82
	v_fmac_f32_e32 v93, v91, v83
	s_waitcnt lgkmcnt(1)
	s_delay_alu instid0(VALU_DEP_1) | instskip(SKIP_1) | instid1(VALU_DEP_1)
	v_fmac_f32_e32 v93, v92, v84
	s_waitcnt vmcnt(0)
	v_fmac_f32_e32 v93, v3, v85
	s_waitcnt lgkmcnt(0)
	s_delay_alu instid0(VALU_DEP_1) | instskip(NEXT) | instid1(VALU_DEP_1)
	v_fmac_f32_e32 v93, v4, v86
	v_sub_f32_e32 v3, v81, v93
	scratch_store_b32 off, v3, off offset:96
	v_cmpx_lt_u32_e32 23, v0
	s_cbranch_execz .LBB101_189
; %bb.188:
	scratch_load_b32 v3, off, off offset:92
	scratch_store_b32 off, v2, off offset:92
	s_waitcnt vmcnt(0)
	ds_store_b32 v1, v3
.LBB101_189:
	s_or_b32 exec_lo, exec_lo, s0
	s_waitcnt lgkmcnt(0)
	s_waitcnt_vscnt null, 0x0
	s_barrier
	buffer_gl0_inv
	s_clause 0x3
	scratch_load_b128 v[81:84], off, off offset:92
	scratch_load_b128 v[85:88], off, off offset:108
	scratch_load_b128 v[89:92], off, off offset:124
	scratch_load_b96 v[101:103], off, off offset:140
	ds_load_b128 v[93:96], v2 offset:256
	ds_load_b128 v[97:100], v2 offset:272
	s_mov_b32 s0, exec_lo
	s_waitcnt vmcnt(3) lgkmcnt(1)
	v_fma_f32 v4, v82, v93, 0
	s_delay_alu instid0(VALU_DEP_1) | instskip(NEXT) | instid1(VALU_DEP_1)
	v_fmac_f32_e32 v4, v83, v94
	v_fmac_f32_e32 v4, v84, v95
	s_waitcnt vmcnt(2)
	s_delay_alu instid0(VALU_DEP_1) | instskip(SKIP_4) | instid1(VALU_DEP_1)
	v_fmac_f32_e32 v4, v85, v96
	ds_load_b128 v[82:85], v2 offset:288
	ds_load_b64 v[2:3], v2 offset:304
	s_waitcnt lgkmcnt(2)
	v_fmac_f32_e32 v4, v86, v97
	v_fmac_f32_e32 v4, v87, v98
	s_delay_alu instid0(VALU_DEP_1) | instskip(SKIP_1) | instid1(VALU_DEP_1)
	v_fmac_f32_e32 v4, v88, v99
	s_waitcnt vmcnt(1)
	v_fmac_f32_e32 v4, v89, v100
	s_waitcnt lgkmcnt(1)
	s_delay_alu instid0(VALU_DEP_1) | instskip(NEXT) | instid1(VALU_DEP_1)
	v_fmac_f32_e32 v4, v90, v82
	v_fmac_f32_e32 v4, v91, v83
	s_delay_alu instid0(VALU_DEP_1) | instskip(SKIP_1) | instid1(VALU_DEP_1)
	v_fmac_f32_e32 v4, v92, v84
	s_waitcnt vmcnt(0)
	v_fmac_f32_e32 v4, v101, v85
	s_waitcnt lgkmcnt(0)
	s_delay_alu instid0(VALU_DEP_1) | instskip(NEXT) | instid1(VALU_DEP_1)
	v_fmac_f32_e32 v4, v102, v2
	v_fmac_f32_e32 v4, v103, v3
	s_delay_alu instid0(VALU_DEP_1)
	v_sub_f32_e32 v2, v81, v4
	scratch_store_b32 off, v2, off offset:92
	v_cmpx_lt_u32_e32 22, v0
	s_cbranch_execz .LBB101_191
; %bb.190:
	scratch_load_b32 v2, off, off offset:88
	v_mov_b32_e32 v3, 0
	scratch_store_b32 off, v3, off offset:88
	s_waitcnt vmcnt(0)
	ds_store_b32 v1, v2
.LBB101_191:
	s_or_b32 exec_lo, exec_lo, s0
	s_waitcnt lgkmcnt(0)
	s_waitcnt_vscnt null, 0x0
	s_barrier
	buffer_gl0_inv
	s_clause 0x3
	scratch_load_b128 v[81:84], off, off offset:88
	scratch_load_b128 v[85:88], off, off offset:104
	;; [unrolled: 1-line block ×4, first 2 shown]
	v_mov_b32_e32 v2, 0
	ds_load_2addr_b32 v[3:4], v2 offset0:63 offset1:64
	ds_load_2addr_b32 v[97:98], v2 offset0:65 offset1:66
	;; [unrolled: 1-line block ×4, first 2 shown]
	s_mov_b32 s0, exec_lo
	s_waitcnt vmcnt(3) lgkmcnt(3)
	v_fma_f32 v103, v82, v3, 0
	s_delay_alu instid0(VALU_DEP_1)
	v_fmac_f32_e32 v103, v83, v4
	ds_load_2addr_b32 v[3:4], v2 offset0:71 offset1:72
	ds_load_2addr_b32 v[82:83], v2 offset0:73 offset1:74
	s_waitcnt lgkmcnt(4)
	v_fmac_f32_e32 v103, v84, v97
	s_waitcnt vmcnt(2)
	s_delay_alu instid0(VALU_DEP_1) | instskip(SKIP_1) | instid1(VALU_DEP_1)
	v_fmac_f32_e32 v103, v85, v98
	s_waitcnt lgkmcnt(3)
	v_fmac_f32_e32 v103, v86, v99
	ds_load_2addr_b32 v[84:85], v2 offset0:75 offset1:76
	ds_load_b32 v86, v2 offset:308
	v_fmac_f32_e32 v103, v87, v100
	s_waitcnt lgkmcnt(4)
	s_delay_alu instid0(VALU_DEP_1) | instskip(SKIP_1) | instid1(VALU_DEP_1)
	v_fmac_f32_e32 v103, v88, v101
	s_waitcnt vmcnt(1)
	v_fmac_f32_e32 v103, v89, v102
	s_waitcnt lgkmcnt(3)
	s_delay_alu instid0(VALU_DEP_1) | instskip(NEXT) | instid1(VALU_DEP_1)
	v_fmac_f32_e32 v103, v90, v3
	v_fmac_f32_e32 v103, v91, v4
	s_waitcnt lgkmcnt(2)
	s_delay_alu instid0(VALU_DEP_1) | instskip(SKIP_1) | instid1(VALU_DEP_1)
	v_fmac_f32_e32 v103, v92, v82
	s_waitcnt vmcnt(0)
	v_fmac_f32_e32 v103, v93, v83
	s_waitcnt lgkmcnt(1)
	s_delay_alu instid0(VALU_DEP_1) | instskip(NEXT) | instid1(VALU_DEP_1)
	v_fmac_f32_e32 v103, v94, v84
	v_fmac_f32_e32 v103, v95, v85
	s_waitcnt lgkmcnt(0)
	s_delay_alu instid0(VALU_DEP_1) | instskip(NEXT) | instid1(VALU_DEP_1)
	v_fmac_f32_e32 v103, v96, v86
	v_sub_f32_e32 v3, v81, v103
	scratch_store_b32 off, v3, off offset:88
	v_cmpx_lt_u32_e32 21, v0
	s_cbranch_execz .LBB101_193
; %bb.192:
	scratch_load_b32 v3, off, off offset:84
	scratch_store_b32 off, v2, off offset:84
	s_waitcnt vmcnt(0)
	ds_store_b32 v1, v3
.LBB101_193:
	s_or_b32 exec_lo, exec_lo, s0
	s_waitcnt lgkmcnt(0)
	s_waitcnt_vscnt null, 0x0
	s_barrier
	buffer_gl0_inv
	s_clause 0x4
	scratch_load_b128 v[81:84], off, off offset:84
	scratch_load_b128 v[85:88], off, off offset:100
	;; [unrolled: 1-line block ×4, first 2 shown]
	scratch_load_b32 v3, off, off offset:148
	ds_load_2addr_b64 v[97:100], v2 offset0:31 offset1:32
	ds_load_2addr_b64 v[101:104], v2 offset0:33 offset1:34
	s_mov_b32 s0, exec_lo
	s_waitcnt vmcnt(4) lgkmcnt(1)
	v_fma_f32 v4, v82, v97, 0
	s_delay_alu instid0(VALU_DEP_1) | instskip(NEXT) | instid1(VALU_DEP_1)
	v_fmac_f32_e32 v4, v83, v98
	v_fmac_f32_e32 v4, v84, v99
	s_waitcnt vmcnt(3)
	s_delay_alu instid0(VALU_DEP_1) | instskip(SKIP_3) | instid1(VALU_DEP_1)
	v_fmac_f32_e32 v4, v85, v100
	ds_load_2addr_b64 v[82:85], v2 offset0:35 offset1:36
	s_waitcnt lgkmcnt(1)
	v_fmac_f32_e32 v4, v86, v101
	v_fmac_f32_e32 v4, v87, v102
	s_delay_alu instid0(VALU_DEP_1) | instskip(SKIP_1) | instid1(VALU_DEP_1)
	v_fmac_f32_e32 v4, v88, v103
	s_waitcnt vmcnt(2)
	v_fmac_f32_e32 v4, v89, v104
	ds_load_2addr_b64 v[86:89], v2 offset0:37 offset1:38
	s_waitcnt lgkmcnt(1)
	v_fmac_f32_e32 v4, v90, v82
	s_delay_alu instid0(VALU_DEP_1) | instskip(NEXT) | instid1(VALU_DEP_1)
	v_fmac_f32_e32 v4, v91, v83
	v_fmac_f32_e32 v4, v92, v84
	s_waitcnt vmcnt(1)
	s_delay_alu instid0(VALU_DEP_1) | instskip(SKIP_1) | instid1(VALU_DEP_1)
	v_fmac_f32_e32 v4, v93, v85
	s_waitcnt lgkmcnt(0)
	v_fmac_f32_e32 v4, v94, v86
	s_delay_alu instid0(VALU_DEP_1) | instskip(NEXT) | instid1(VALU_DEP_1)
	v_fmac_f32_e32 v4, v95, v87
	v_fmac_f32_e32 v4, v96, v88
	s_waitcnt vmcnt(0)
	s_delay_alu instid0(VALU_DEP_1) | instskip(NEXT) | instid1(VALU_DEP_1)
	v_fmac_f32_e32 v4, v3, v89
	v_sub_f32_e32 v2, v81, v4
	scratch_store_b32 off, v2, off offset:84
	v_cmpx_lt_u32_e32 20, v0
	s_cbranch_execz .LBB101_195
; %bb.194:
	scratch_load_b32 v2, off, off offset:80
	v_mov_b32_e32 v3, 0
	scratch_store_b32 off, v3, off offset:80
	s_waitcnt vmcnt(0)
	ds_store_b32 v1, v2
.LBB101_195:
	s_or_b32 exec_lo, exec_lo, s0
	s_waitcnt lgkmcnt(0)
	s_waitcnt_vscnt null, 0x0
	s_barrier
	buffer_gl0_inv
	s_clause 0x4
	scratch_load_b128 v[81:84], off, off offset:80
	scratch_load_b128 v[85:88], off, off offset:96
	;; [unrolled: 1-line block ×4, first 2 shown]
	scratch_load_b64 v[3:4], off, off offset:144
	v_mov_b32_e32 v2, 0
	ds_load_2addr_b32 v[97:98], v2 offset0:61 offset1:62
	ds_load_2addr_b32 v[99:100], v2 offset0:63 offset1:64
	;; [unrolled: 1-line block ×4, first 2 shown]
	s_mov_b32 s0, exec_lo
	s_waitcnt vmcnt(4) lgkmcnt(3)
	v_fma_f32 v97, v82, v97, 0
	s_delay_alu instid0(VALU_DEP_1) | instskip(SKIP_4) | instid1(VALU_DEP_1)
	v_fmac_f32_e32 v97, v83, v98
	ds_load_2addr_b32 v[82:83], v2 offset0:69 offset1:70
	s_waitcnt lgkmcnt(3)
	v_fmac_f32_e32 v97, v84, v99
	s_waitcnt vmcnt(3)
	v_fmac_f32_e32 v97, v85, v100
	ds_load_2addr_b32 v[84:85], v2 offset0:71 offset1:72
	s_waitcnt lgkmcnt(3)
	v_fmac_f32_e32 v97, v86, v101
	s_delay_alu instid0(VALU_DEP_1) | instskip(SKIP_1) | instid1(VALU_DEP_1)
	v_fmac_f32_e32 v97, v87, v102
	s_waitcnt lgkmcnt(2)
	v_fmac_f32_e32 v97, v88, v103
	s_waitcnt vmcnt(2)
	s_delay_alu instid0(VALU_DEP_1)
	v_fmac_f32_e32 v97, v89, v104
	ds_load_2addr_b32 v[86:87], v2 offset0:73 offset1:74
	ds_load_2addr_b32 v[88:89], v2 offset0:75 offset1:76
	s_waitcnt lgkmcnt(3)
	v_fmac_f32_e32 v97, v90, v82
	ds_load_b32 v82, v2 offset:308
	v_fmac_f32_e32 v97, v91, v83
	s_waitcnt lgkmcnt(3)
	s_delay_alu instid0(VALU_DEP_1) | instskip(SKIP_1) | instid1(VALU_DEP_1)
	v_fmac_f32_e32 v97, v92, v84
	s_waitcnt vmcnt(1)
	v_fmac_f32_e32 v97, v93, v85
	s_waitcnt lgkmcnt(2)
	s_delay_alu instid0(VALU_DEP_1) | instskip(NEXT) | instid1(VALU_DEP_1)
	v_fmac_f32_e32 v97, v94, v86
	v_fmac_f32_e32 v97, v95, v87
	s_waitcnt lgkmcnt(1)
	s_delay_alu instid0(VALU_DEP_1) | instskip(SKIP_1) | instid1(VALU_DEP_1)
	v_fmac_f32_e32 v97, v96, v88
	s_waitcnt vmcnt(0)
	v_fmac_f32_e32 v97, v3, v89
	s_waitcnt lgkmcnt(0)
	s_delay_alu instid0(VALU_DEP_1) | instskip(NEXT) | instid1(VALU_DEP_1)
	v_fmac_f32_e32 v97, v4, v82
	v_sub_f32_e32 v3, v81, v97
	scratch_store_b32 off, v3, off offset:80
	v_cmpx_lt_u32_e32 19, v0
	s_cbranch_execz .LBB101_197
; %bb.196:
	scratch_load_b32 v3, off, off offset:76
	scratch_store_b32 off, v2, off offset:76
	s_waitcnt vmcnt(0)
	ds_store_b32 v1, v3
.LBB101_197:
	s_or_b32 exec_lo, exec_lo, s0
	s_waitcnt lgkmcnt(0)
	s_waitcnt_vscnt null, 0x0
	s_barrier
	buffer_gl0_inv
	s_clause 0x4
	scratch_load_b128 v[81:84], off, off offset:76
	scratch_load_b128 v[85:88], off, off offset:92
	;; [unrolled: 1-line block ×4, first 2 shown]
	scratch_load_b96 v[105:107], off, off offset:140
	ds_load_b128 v[97:100], v2 offset:240
	ds_load_b128 v[101:104], v2 offset:256
	s_mov_b32 s0, exec_lo
	s_waitcnt vmcnt(4) lgkmcnt(1)
	v_fma_f32 v4, v82, v97, 0
	s_delay_alu instid0(VALU_DEP_1) | instskip(NEXT) | instid1(VALU_DEP_1)
	v_fmac_f32_e32 v4, v83, v98
	v_fmac_f32_e32 v4, v84, v99
	s_waitcnt vmcnt(3)
	s_delay_alu instid0(VALU_DEP_1) | instskip(SKIP_3) | instid1(VALU_DEP_1)
	v_fmac_f32_e32 v4, v85, v100
	ds_load_b128 v[82:85], v2 offset:272
	s_waitcnt lgkmcnt(1)
	v_fmac_f32_e32 v4, v86, v101
	v_fmac_f32_e32 v4, v87, v102
	s_delay_alu instid0(VALU_DEP_1) | instskip(SKIP_1) | instid1(VALU_DEP_1)
	v_fmac_f32_e32 v4, v88, v103
	s_waitcnt vmcnt(2)
	v_fmac_f32_e32 v4, v89, v104
	ds_load_b128 v[86:89], v2 offset:288
	ds_load_b64 v[2:3], v2 offset:304
	s_waitcnt lgkmcnt(2)
	v_fmac_f32_e32 v4, v90, v82
	s_delay_alu instid0(VALU_DEP_1) | instskip(NEXT) | instid1(VALU_DEP_1)
	v_fmac_f32_e32 v4, v91, v83
	v_fmac_f32_e32 v4, v92, v84
	s_waitcnt vmcnt(1)
	s_delay_alu instid0(VALU_DEP_1) | instskip(SKIP_1) | instid1(VALU_DEP_1)
	v_fmac_f32_e32 v4, v93, v85
	s_waitcnt lgkmcnt(1)
	v_fmac_f32_e32 v4, v94, v86
	s_delay_alu instid0(VALU_DEP_1) | instskip(NEXT) | instid1(VALU_DEP_1)
	v_fmac_f32_e32 v4, v95, v87
	v_fmac_f32_e32 v4, v96, v88
	s_waitcnt vmcnt(0)
	s_delay_alu instid0(VALU_DEP_1) | instskip(SKIP_1) | instid1(VALU_DEP_1)
	v_fmac_f32_e32 v4, v105, v89
	s_waitcnt lgkmcnt(0)
	v_fmac_f32_e32 v4, v106, v2
	s_delay_alu instid0(VALU_DEP_1) | instskip(NEXT) | instid1(VALU_DEP_1)
	v_fmac_f32_e32 v4, v107, v3
	v_sub_f32_e32 v2, v81, v4
	scratch_store_b32 off, v2, off offset:76
	v_cmpx_lt_u32_e32 18, v0
	s_cbranch_execz .LBB101_199
; %bb.198:
	scratch_load_b32 v2, off, off offset:72
	v_mov_b32_e32 v3, 0
	scratch_store_b32 off, v3, off offset:72
	s_waitcnt vmcnt(0)
	ds_store_b32 v1, v2
.LBB101_199:
	s_or_b32 exec_lo, exec_lo, s0
	s_waitcnt lgkmcnt(0)
	s_waitcnt_vscnt null, 0x0
	s_barrier
	buffer_gl0_inv
	s_clause 0x4
	scratch_load_b128 v[81:84], off, off offset:72
	scratch_load_b128 v[85:88], off, off offset:88
	;; [unrolled: 1-line block ×5, first 2 shown]
	v_mov_b32_e32 v2, 0
	ds_load_2addr_b32 v[3:4], v2 offset0:59 offset1:60
	ds_load_2addr_b32 v[101:102], v2 offset0:61 offset1:62
	ds_load_2addr_b32 v[103:104], v2 offset0:63 offset1:64
	ds_load_2addr_b32 v[105:106], v2 offset0:65 offset1:66
	s_mov_b32 s0, exec_lo
	s_waitcnt vmcnt(4) lgkmcnt(3)
	v_fma_f32 v107, v82, v3, 0
	s_delay_alu instid0(VALU_DEP_1)
	v_fmac_f32_e32 v107, v83, v4
	ds_load_2addr_b32 v[3:4], v2 offset0:67 offset1:68
	ds_load_2addr_b32 v[82:83], v2 offset0:69 offset1:70
	s_waitcnt lgkmcnt(4)
	v_fmac_f32_e32 v107, v84, v101
	s_waitcnt vmcnt(3)
	s_delay_alu instid0(VALU_DEP_1) | instskip(SKIP_1) | instid1(VALU_DEP_1)
	v_fmac_f32_e32 v107, v85, v102
	s_waitcnt lgkmcnt(3)
	v_fmac_f32_e32 v107, v86, v103
	s_delay_alu instid0(VALU_DEP_1)
	v_fmac_f32_e32 v107, v87, v104
	ds_load_2addr_b32 v[84:85], v2 offset0:71 offset1:72
	ds_load_2addr_b32 v[86:87], v2 offset0:73 offset1:74
	s_waitcnt lgkmcnt(4)
	v_fmac_f32_e32 v107, v88, v105
	s_waitcnt vmcnt(2)
	s_delay_alu instid0(VALU_DEP_1) | instskip(SKIP_1) | instid1(VALU_DEP_1)
	v_fmac_f32_e32 v107, v89, v106
	s_waitcnt lgkmcnt(3)
	v_fmac_f32_e32 v107, v90, v3
	s_delay_alu instid0(VALU_DEP_1)
	v_fmac_f32_e32 v107, v91, v4
	ds_load_2addr_b32 v[3:4], v2 offset0:75 offset1:76
	s_waitcnt lgkmcnt(3)
	v_fmac_f32_e32 v107, v92, v82
	ds_load_b32 v82, v2 offset:308
	s_waitcnt vmcnt(1)
	v_fmac_f32_e32 v107, v93, v83
	s_waitcnt lgkmcnt(3)
	s_delay_alu instid0(VALU_DEP_1) | instskip(NEXT) | instid1(VALU_DEP_1)
	v_fmac_f32_e32 v107, v94, v84
	v_fmac_f32_e32 v107, v95, v85
	s_waitcnt lgkmcnt(2)
	s_delay_alu instid0(VALU_DEP_1) | instskip(SKIP_1) | instid1(VALU_DEP_1)
	v_fmac_f32_e32 v107, v96, v86
	s_waitcnt vmcnt(0)
	v_fmac_f32_e32 v107, v97, v87
	s_waitcnt lgkmcnt(1)
	s_delay_alu instid0(VALU_DEP_1) | instskip(NEXT) | instid1(VALU_DEP_1)
	v_fmac_f32_e32 v107, v98, v3
	v_fmac_f32_e32 v107, v99, v4
	s_waitcnt lgkmcnt(0)
	s_delay_alu instid0(VALU_DEP_1) | instskip(NEXT) | instid1(VALU_DEP_1)
	v_fmac_f32_e32 v107, v100, v82
	v_sub_f32_e32 v3, v81, v107
	scratch_store_b32 off, v3, off offset:72
	v_cmpx_lt_u32_e32 17, v0
	s_cbranch_execz .LBB101_201
; %bb.200:
	scratch_load_b32 v3, off, off offset:68
	scratch_store_b32 off, v2, off offset:68
	s_waitcnt vmcnt(0)
	ds_store_b32 v1, v3
.LBB101_201:
	s_or_b32 exec_lo, exec_lo, s0
	s_waitcnt lgkmcnt(0)
	s_waitcnt_vscnt null, 0x0
	s_barrier
	buffer_gl0_inv
	s_clause 0x5
	scratch_load_b128 v[81:84], off, off offset:68
	scratch_load_b128 v[85:88], off, off offset:84
	;; [unrolled: 1-line block ×5, first 2 shown]
	scratch_load_b32 v3, off, off offset:148
	ds_load_2addr_b64 v[101:104], v2 offset0:29 offset1:30
	ds_load_2addr_b64 v[105:108], v2 offset0:31 offset1:32
	s_mov_b32 s0, exec_lo
	s_waitcnt vmcnt(5) lgkmcnt(1)
	v_fma_f32 v4, v82, v101, 0
	s_delay_alu instid0(VALU_DEP_1) | instskip(NEXT) | instid1(VALU_DEP_1)
	v_fmac_f32_e32 v4, v83, v102
	v_fmac_f32_e32 v4, v84, v103
	s_waitcnt vmcnt(4)
	s_delay_alu instid0(VALU_DEP_1) | instskip(SKIP_3) | instid1(VALU_DEP_1)
	v_fmac_f32_e32 v4, v85, v104
	ds_load_2addr_b64 v[82:85], v2 offset0:33 offset1:34
	s_waitcnt lgkmcnt(1)
	v_fmac_f32_e32 v4, v86, v105
	v_fmac_f32_e32 v4, v87, v106
	s_delay_alu instid0(VALU_DEP_1) | instskip(SKIP_1) | instid1(VALU_DEP_1)
	v_fmac_f32_e32 v4, v88, v107
	s_waitcnt vmcnt(3)
	v_fmac_f32_e32 v4, v89, v108
	ds_load_2addr_b64 v[86:89], v2 offset0:35 offset1:36
	s_waitcnt lgkmcnt(1)
	v_fmac_f32_e32 v4, v90, v82
	s_delay_alu instid0(VALU_DEP_1) | instskip(NEXT) | instid1(VALU_DEP_1)
	v_fmac_f32_e32 v4, v91, v83
	v_fmac_f32_e32 v4, v92, v84
	s_waitcnt vmcnt(2)
	s_delay_alu instid0(VALU_DEP_1) | instskip(SKIP_3) | instid1(VALU_DEP_1)
	v_fmac_f32_e32 v4, v93, v85
	ds_load_2addr_b64 v[82:85], v2 offset0:37 offset1:38
	s_waitcnt lgkmcnt(1)
	v_fmac_f32_e32 v4, v94, v86
	v_fmac_f32_e32 v4, v95, v87
	s_delay_alu instid0(VALU_DEP_1) | instskip(SKIP_1) | instid1(VALU_DEP_1)
	v_fmac_f32_e32 v4, v96, v88
	s_waitcnt vmcnt(1)
	v_fmac_f32_e32 v4, v97, v89
	s_waitcnt lgkmcnt(0)
	s_delay_alu instid0(VALU_DEP_1) | instskip(NEXT) | instid1(VALU_DEP_1)
	v_fmac_f32_e32 v4, v98, v82
	v_fmac_f32_e32 v4, v99, v83
	s_delay_alu instid0(VALU_DEP_1) | instskip(SKIP_1) | instid1(VALU_DEP_1)
	v_fmac_f32_e32 v4, v100, v84
	s_waitcnt vmcnt(0)
	v_fmac_f32_e32 v4, v3, v85
	s_delay_alu instid0(VALU_DEP_1)
	v_sub_f32_e32 v2, v81, v4
	scratch_store_b32 off, v2, off offset:68
	v_cmpx_lt_u32_e32 16, v0
	s_cbranch_execz .LBB101_203
; %bb.202:
	scratch_load_b32 v2, off, off offset:64
	v_mov_b32_e32 v3, 0
	scratch_store_b32 off, v3, off offset:64
	s_waitcnt vmcnt(0)
	ds_store_b32 v1, v2
.LBB101_203:
	s_or_b32 exec_lo, exec_lo, s0
	s_waitcnt lgkmcnt(0)
	s_waitcnt_vscnt null, 0x0
	s_barrier
	buffer_gl0_inv
	s_clause 0x5
	scratch_load_b128 v[81:84], off, off offset:64
	scratch_load_b128 v[85:88], off, off offset:80
	;; [unrolled: 1-line block ×5, first 2 shown]
	scratch_load_b64 v[3:4], off, off offset:144
	v_mov_b32_e32 v2, 0
	ds_load_2addr_b32 v[101:102], v2 offset0:57 offset1:58
	ds_load_2addr_b32 v[103:104], v2 offset0:59 offset1:60
	;; [unrolled: 1-line block ×4, first 2 shown]
	s_mov_b32 s0, exec_lo
	s_waitcnt vmcnt(5) lgkmcnt(3)
	v_fma_f32 v101, v82, v101, 0
	s_delay_alu instid0(VALU_DEP_1) | instskip(SKIP_4) | instid1(VALU_DEP_1)
	v_fmac_f32_e32 v101, v83, v102
	ds_load_2addr_b32 v[82:83], v2 offset0:65 offset1:66
	s_waitcnt lgkmcnt(3)
	v_fmac_f32_e32 v101, v84, v103
	s_waitcnt vmcnt(4)
	v_fmac_f32_e32 v101, v85, v104
	ds_load_2addr_b32 v[84:85], v2 offset0:67 offset1:68
	s_waitcnt lgkmcnt(3)
	v_fmac_f32_e32 v101, v86, v105
	s_delay_alu instid0(VALU_DEP_1) | instskip(SKIP_1) | instid1(VALU_DEP_1)
	v_fmac_f32_e32 v101, v87, v106
	s_waitcnt lgkmcnt(2)
	v_fmac_f32_e32 v101, v88, v107
	s_waitcnt vmcnt(3)
	s_delay_alu instid0(VALU_DEP_1) | instskip(SKIP_4) | instid1(VALU_DEP_1)
	v_fmac_f32_e32 v101, v89, v108
	ds_load_2addr_b32 v[86:87], v2 offset0:69 offset1:70
	ds_load_2addr_b32 v[88:89], v2 offset0:71 offset1:72
	s_waitcnt lgkmcnt(3)
	v_fmac_f32_e32 v101, v90, v82
	v_fmac_f32_e32 v101, v91, v83
	ds_load_2addr_b32 v[82:83], v2 offset0:73 offset1:74
	s_waitcnt lgkmcnt(3)
	v_fmac_f32_e32 v101, v92, v84
	s_waitcnt vmcnt(2)
	s_delay_alu instid0(VALU_DEP_1)
	v_fmac_f32_e32 v101, v93, v85
	ds_load_2addr_b32 v[84:85], v2 offset0:75 offset1:76
	s_waitcnt lgkmcnt(3)
	v_fmac_f32_e32 v101, v94, v86
	ds_load_b32 v86, v2 offset:308
	v_fmac_f32_e32 v101, v95, v87
	s_waitcnt lgkmcnt(3)
	s_delay_alu instid0(VALU_DEP_1) | instskip(SKIP_1) | instid1(VALU_DEP_1)
	v_fmac_f32_e32 v101, v96, v88
	s_waitcnt vmcnt(1)
	v_fmac_f32_e32 v101, v97, v89
	s_waitcnt lgkmcnt(2)
	s_delay_alu instid0(VALU_DEP_1) | instskip(NEXT) | instid1(VALU_DEP_1)
	v_fmac_f32_e32 v101, v98, v82
	v_fmac_f32_e32 v101, v99, v83
	s_waitcnt lgkmcnt(1)
	s_delay_alu instid0(VALU_DEP_1) | instskip(SKIP_1) | instid1(VALU_DEP_1)
	v_fmac_f32_e32 v101, v100, v84
	s_waitcnt vmcnt(0)
	v_fmac_f32_e32 v101, v3, v85
	s_waitcnt lgkmcnt(0)
	s_delay_alu instid0(VALU_DEP_1) | instskip(NEXT) | instid1(VALU_DEP_1)
	v_fmac_f32_e32 v101, v4, v86
	v_sub_f32_e32 v3, v81, v101
	scratch_store_b32 off, v3, off offset:64
	v_cmpx_lt_u32_e32 15, v0
	s_cbranch_execz .LBB101_205
; %bb.204:
	scratch_load_b32 v3, off, off offset:60
	scratch_store_b32 off, v2, off offset:60
	s_waitcnt vmcnt(0)
	ds_store_b32 v1, v3
.LBB101_205:
	s_or_b32 exec_lo, exec_lo, s0
	s_waitcnt lgkmcnt(0)
	s_waitcnt_vscnt null, 0x0
	s_barrier
	buffer_gl0_inv
	s_clause 0x5
	scratch_load_b128 v[81:84], off, off offset:60
	scratch_load_b128 v[85:88], off, off offset:76
	scratch_load_b128 v[89:92], off, off offset:92
	scratch_load_b128 v[93:96], off, off offset:108
	scratch_load_b128 v[97:100], off, off offset:124
	scratch_load_b96 v[109:111], off, off offset:140
	ds_load_b128 v[101:104], v2 offset:224
	ds_load_b128 v[105:108], v2 offset:240
	s_mov_b32 s0, exec_lo
	s_waitcnt vmcnt(5) lgkmcnt(1)
	v_fma_f32 v4, v82, v101, 0
	s_delay_alu instid0(VALU_DEP_1) | instskip(NEXT) | instid1(VALU_DEP_1)
	v_fmac_f32_e32 v4, v83, v102
	v_fmac_f32_e32 v4, v84, v103
	s_waitcnt vmcnt(4)
	s_delay_alu instid0(VALU_DEP_1) | instskip(SKIP_3) | instid1(VALU_DEP_1)
	v_fmac_f32_e32 v4, v85, v104
	ds_load_b128 v[82:85], v2 offset:256
	s_waitcnt lgkmcnt(1)
	v_fmac_f32_e32 v4, v86, v105
	v_fmac_f32_e32 v4, v87, v106
	s_delay_alu instid0(VALU_DEP_1) | instskip(SKIP_1) | instid1(VALU_DEP_1)
	v_fmac_f32_e32 v4, v88, v107
	s_waitcnt vmcnt(3)
	v_fmac_f32_e32 v4, v89, v108
	ds_load_b128 v[86:89], v2 offset:272
	s_waitcnt lgkmcnt(1)
	v_fmac_f32_e32 v4, v90, v82
	s_delay_alu instid0(VALU_DEP_1) | instskip(NEXT) | instid1(VALU_DEP_1)
	v_fmac_f32_e32 v4, v91, v83
	v_fmac_f32_e32 v4, v92, v84
	s_waitcnt vmcnt(2)
	s_delay_alu instid0(VALU_DEP_1) | instskip(SKIP_4) | instid1(VALU_DEP_1)
	v_fmac_f32_e32 v4, v93, v85
	ds_load_b128 v[82:85], v2 offset:288
	ds_load_b64 v[2:3], v2 offset:304
	s_waitcnt lgkmcnt(2)
	v_fmac_f32_e32 v4, v94, v86
	v_fmac_f32_e32 v4, v95, v87
	s_delay_alu instid0(VALU_DEP_1) | instskip(SKIP_1) | instid1(VALU_DEP_1)
	v_fmac_f32_e32 v4, v96, v88
	s_waitcnt vmcnt(1)
	v_fmac_f32_e32 v4, v97, v89
	s_waitcnt lgkmcnt(1)
	s_delay_alu instid0(VALU_DEP_1) | instskip(NEXT) | instid1(VALU_DEP_1)
	v_fmac_f32_e32 v4, v98, v82
	v_fmac_f32_e32 v4, v99, v83
	s_delay_alu instid0(VALU_DEP_1) | instskip(SKIP_1) | instid1(VALU_DEP_1)
	v_fmac_f32_e32 v4, v100, v84
	s_waitcnt vmcnt(0)
	v_fmac_f32_e32 v4, v109, v85
	s_waitcnt lgkmcnt(0)
	s_delay_alu instid0(VALU_DEP_1) | instskip(NEXT) | instid1(VALU_DEP_1)
	v_fmac_f32_e32 v4, v110, v2
	v_fmac_f32_e32 v4, v111, v3
	s_delay_alu instid0(VALU_DEP_1)
	v_sub_f32_e32 v2, v81, v4
	scratch_store_b32 off, v2, off offset:60
	v_cmpx_lt_u32_e32 14, v0
	s_cbranch_execz .LBB101_207
; %bb.206:
	scratch_load_b32 v2, off, off offset:56
	v_mov_b32_e32 v3, 0
	scratch_store_b32 off, v3, off offset:56
	s_waitcnt vmcnt(0)
	ds_store_b32 v1, v2
.LBB101_207:
	s_or_b32 exec_lo, exec_lo, s0
	s_waitcnt lgkmcnt(0)
	s_waitcnt_vscnt null, 0x0
	s_barrier
	buffer_gl0_inv
	s_clause 0x5
	scratch_load_b128 v[81:84], off, off offset:56
	scratch_load_b128 v[85:88], off, off offset:72
	;; [unrolled: 1-line block ×6, first 2 shown]
	v_mov_b32_e32 v2, 0
	ds_load_2addr_b32 v[3:4], v2 offset0:55 offset1:56
	ds_load_2addr_b32 v[105:106], v2 offset0:57 offset1:58
	;; [unrolled: 1-line block ×4, first 2 shown]
	s_mov_b32 s0, exec_lo
	s_waitcnt vmcnt(5) lgkmcnt(3)
	v_fma_f32 v111, v82, v3, 0
	s_delay_alu instid0(VALU_DEP_1)
	v_fmac_f32_e32 v111, v83, v4
	ds_load_2addr_b32 v[3:4], v2 offset0:63 offset1:64
	ds_load_2addr_b32 v[82:83], v2 offset0:65 offset1:66
	s_waitcnt lgkmcnt(4)
	v_fmac_f32_e32 v111, v84, v105
	s_waitcnt vmcnt(4)
	s_delay_alu instid0(VALU_DEP_1) | instskip(SKIP_1) | instid1(VALU_DEP_1)
	v_fmac_f32_e32 v111, v85, v106
	s_waitcnt lgkmcnt(3)
	v_fmac_f32_e32 v111, v86, v107
	s_delay_alu instid0(VALU_DEP_1)
	v_fmac_f32_e32 v111, v87, v108
	ds_load_2addr_b32 v[84:85], v2 offset0:67 offset1:68
	ds_load_2addr_b32 v[86:87], v2 offset0:69 offset1:70
	s_waitcnt lgkmcnt(4)
	v_fmac_f32_e32 v111, v88, v109
	s_waitcnt vmcnt(3)
	s_delay_alu instid0(VALU_DEP_1) | instskip(SKIP_1) | instid1(VALU_DEP_1)
	v_fmac_f32_e32 v111, v89, v110
	s_waitcnt lgkmcnt(3)
	v_fmac_f32_e32 v111, v90, v3
	s_delay_alu instid0(VALU_DEP_1) | instskip(SKIP_4) | instid1(VALU_DEP_1)
	v_fmac_f32_e32 v111, v91, v4
	ds_load_2addr_b32 v[3:4], v2 offset0:71 offset1:72
	s_waitcnt lgkmcnt(3)
	v_fmac_f32_e32 v111, v92, v82
	s_waitcnt vmcnt(2)
	v_fmac_f32_e32 v111, v93, v83
	ds_load_2addr_b32 v[82:83], v2 offset0:73 offset1:74
	s_waitcnt lgkmcnt(3)
	v_fmac_f32_e32 v111, v94, v84
	s_delay_alu instid0(VALU_DEP_1) | instskip(SKIP_1) | instid1(VALU_DEP_1)
	v_fmac_f32_e32 v111, v95, v85
	s_waitcnt lgkmcnt(2)
	v_fmac_f32_e32 v111, v96, v86
	ds_load_2addr_b32 v[84:85], v2 offset0:75 offset1:76
	ds_load_b32 v86, v2 offset:308
	s_waitcnt vmcnt(1)
	v_fmac_f32_e32 v111, v97, v87
	s_waitcnt lgkmcnt(3)
	s_delay_alu instid0(VALU_DEP_1) | instskip(NEXT) | instid1(VALU_DEP_1)
	v_fmac_f32_e32 v111, v98, v3
	v_fmac_f32_e32 v111, v99, v4
	s_waitcnt lgkmcnt(2)
	s_delay_alu instid0(VALU_DEP_1) | instskip(SKIP_1) | instid1(VALU_DEP_1)
	v_fmac_f32_e32 v111, v100, v82
	s_waitcnt vmcnt(0)
	v_fmac_f32_e32 v111, v101, v83
	s_waitcnt lgkmcnt(1)
	s_delay_alu instid0(VALU_DEP_1) | instskip(NEXT) | instid1(VALU_DEP_1)
	v_fmac_f32_e32 v111, v102, v84
	v_fmac_f32_e32 v111, v103, v85
	s_waitcnt lgkmcnt(0)
	s_delay_alu instid0(VALU_DEP_1) | instskip(NEXT) | instid1(VALU_DEP_1)
	v_fmac_f32_e32 v111, v104, v86
	v_sub_f32_e32 v3, v81, v111
	scratch_store_b32 off, v3, off offset:56
	v_cmpx_lt_u32_e32 13, v0
	s_cbranch_execz .LBB101_209
; %bb.208:
	scratch_load_b32 v3, off, off offset:52
	scratch_store_b32 off, v2, off offset:52
	s_waitcnt vmcnt(0)
	ds_store_b32 v1, v3
.LBB101_209:
	s_or_b32 exec_lo, exec_lo, s0
	s_waitcnt lgkmcnt(0)
	s_waitcnt_vscnt null, 0x0
	s_barrier
	buffer_gl0_inv
	s_clause 0x6
	scratch_load_b128 v[81:84], off, off offset:52
	scratch_load_b128 v[85:88], off, off offset:68
	;; [unrolled: 1-line block ×6, first 2 shown]
	scratch_load_b32 v3, off, off offset:148
	ds_load_2addr_b64 v[105:108], v2 offset0:27 offset1:28
	ds_load_2addr_b64 v[109:112], v2 offset0:29 offset1:30
	s_mov_b32 s0, exec_lo
	s_waitcnt vmcnt(6) lgkmcnt(1)
	v_fma_f32 v4, v82, v105, 0
	s_delay_alu instid0(VALU_DEP_1) | instskip(NEXT) | instid1(VALU_DEP_1)
	v_fmac_f32_e32 v4, v83, v106
	v_fmac_f32_e32 v4, v84, v107
	s_waitcnt vmcnt(5)
	s_delay_alu instid0(VALU_DEP_1) | instskip(SKIP_3) | instid1(VALU_DEP_1)
	v_fmac_f32_e32 v4, v85, v108
	ds_load_2addr_b64 v[82:85], v2 offset0:31 offset1:32
	s_waitcnt lgkmcnt(1)
	v_fmac_f32_e32 v4, v86, v109
	v_fmac_f32_e32 v4, v87, v110
	s_delay_alu instid0(VALU_DEP_1) | instskip(SKIP_1) | instid1(VALU_DEP_1)
	v_fmac_f32_e32 v4, v88, v111
	s_waitcnt vmcnt(4)
	v_fmac_f32_e32 v4, v89, v112
	ds_load_2addr_b64 v[86:89], v2 offset0:33 offset1:34
	s_waitcnt lgkmcnt(1)
	v_fmac_f32_e32 v4, v90, v82
	s_delay_alu instid0(VALU_DEP_1) | instskip(NEXT) | instid1(VALU_DEP_1)
	v_fmac_f32_e32 v4, v91, v83
	v_fmac_f32_e32 v4, v92, v84
	s_waitcnt vmcnt(3)
	s_delay_alu instid0(VALU_DEP_1) | instskip(SKIP_3) | instid1(VALU_DEP_1)
	v_fmac_f32_e32 v4, v93, v85
	ds_load_2addr_b64 v[82:85], v2 offset0:35 offset1:36
	s_waitcnt lgkmcnt(1)
	v_fmac_f32_e32 v4, v94, v86
	v_fmac_f32_e32 v4, v95, v87
	s_delay_alu instid0(VALU_DEP_1) | instskip(SKIP_1) | instid1(VALU_DEP_1)
	v_fmac_f32_e32 v4, v96, v88
	s_waitcnt vmcnt(2)
	v_fmac_f32_e32 v4, v97, v89
	ds_load_2addr_b64 v[86:89], v2 offset0:37 offset1:38
	s_waitcnt lgkmcnt(1)
	v_fmac_f32_e32 v4, v98, v82
	s_delay_alu instid0(VALU_DEP_1) | instskip(NEXT) | instid1(VALU_DEP_1)
	v_fmac_f32_e32 v4, v99, v83
	v_fmac_f32_e32 v4, v100, v84
	s_waitcnt vmcnt(1)
	s_delay_alu instid0(VALU_DEP_1) | instskip(SKIP_1) | instid1(VALU_DEP_1)
	v_fmac_f32_e32 v4, v101, v85
	s_waitcnt lgkmcnt(0)
	v_fmac_f32_e32 v4, v102, v86
	s_delay_alu instid0(VALU_DEP_1) | instskip(NEXT) | instid1(VALU_DEP_1)
	v_fmac_f32_e32 v4, v103, v87
	v_fmac_f32_e32 v4, v104, v88
	s_waitcnt vmcnt(0)
	s_delay_alu instid0(VALU_DEP_1) | instskip(NEXT) | instid1(VALU_DEP_1)
	v_fmac_f32_e32 v4, v3, v89
	v_sub_f32_e32 v2, v81, v4
	scratch_store_b32 off, v2, off offset:52
	v_cmpx_lt_u32_e32 12, v0
	s_cbranch_execz .LBB101_211
; %bb.210:
	scratch_load_b32 v2, off, off offset:48
	v_mov_b32_e32 v3, 0
	scratch_store_b32 off, v3, off offset:48
	s_waitcnt vmcnt(0)
	ds_store_b32 v1, v2
.LBB101_211:
	s_or_b32 exec_lo, exec_lo, s0
	s_waitcnt lgkmcnt(0)
	s_waitcnt_vscnt null, 0x0
	s_barrier
	buffer_gl0_inv
	s_clause 0x6
	scratch_load_b128 v[81:84], off, off offset:48
	scratch_load_b128 v[85:88], off, off offset:64
	;; [unrolled: 1-line block ×6, first 2 shown]
	scratch_load_b64 v[3:4], off, off offset:144
	v_mov_b32_e32 v2, 0
	ds_load_2addr_b32 v[105:106], v2 offset0:53 offset1:54
	ds_load_2addr_b32 v[107:108], v2 offset0:55 offset1:56
	;; [unrolled: 1-line block ×4, first 2 shown]
	s_mov_b32 s0, exec_lo
	s_waitcnt vmcnt(6) lgkmcnt(3)
	v_fma_f32 v105, v82, v105, 0
	s_delay_alu instid0(VALU_DEP_1) | instskip(SKIP_4) | instid1(VALU_DEP_1)
	v_fmac_f32_e32 v105, v83, v106
	ds_load_2addr_b32 v[82:83], v2 offset0:61 offset1:62
	s_waitcnt lgkmcnt(3)
	v_fmac_f32_e32 v105, v84, v107
	s_waitcnt vmcnt(5)
	v_fmac_f32_e32 v105, v85, v108
	ds_load_2addr_b32 v[84:85], v2 offset0:63 offset1:64
	s_waitcnt lgkmcnt(3)
	v_fmac_f32_e32 v105, v86, v109
	s_delay_alu instid0(VALU_DEP_1) | instskip(SKIP_1) | instid1(VALU_DEP_1)
	v_fmac_f32_e32 v105, v87, v110
	s_waitcnt lgkmcnt(2)
	v_fmac_f32_e32 v105, v88, v111
	s_waitcnt vmcnt(4)
	s_delay_alu instid0(VALU_DEP_1) | instskip(SKIP_4) | instid1(VALU_DEP_1)
	v_fmac_f32_e32 v105, v89, v112
	ds_load_2addr_b32 v[86:87], v2 offset0:65 offset1:66
	ds_load_2addr_b32 v[88:89], v2 offset0:67 offset1:68
	s_waitcnt lgkmcnt(3)
	v_fmac_f32_e32 v105, v90, v82
	v_fmac_f32_e32 v105, v91, v83
	ds_load_2addr_b32 v[82:83], v2 offset0:69 offset1:70
	s_waitcnt lgkmcnt(3)
	v_fmac_f32_e32 v105, v92, v84
	s_waitcnt vmcnt(3)
	s_delay_alu instid0(VALU_DEP_1) | instskip(SKIP_3) | instid1(VALU_DEP_1)
	v_fmac_f32_e32 v105, v93, v85
	ds_load_2addr_b32 v[84:85], v2 offset0:71 offset1:72
	s_waitcnt lgkmcnt(3)
	v_fmac_f32_e32 v105, v94, v86
	v_fmac_f32_e32 v105, v95, v87
	s_waitcnt lgkmcnt(2)
	s_delay_alu instid0(VALU_DEP_1) | instskip(SKIP_1) | instid1(VALU_DEP_1)
	v_fmac_f32_e32 v105, v96, v88
	s_waitcnt vmcnt(2)
	v_fmac_f32_e32 v105, v97, v89
	ds_load_2addr_b32 v[86:87], v2 offset0:73 offset1:74
	ds_load_2addr_b32 v[88:89], v2 offset0:75 offset1:76
	s_waitcnt lgkmcnt(3)
	v_fmac_f32_e32 v105, v98, v82
	ds_load_b32 v82, v2 offset:308
	v_fmac_f32_e32 v105, v99, v83
	s_waitcnt lgkmcnt(3)
	s_delay_alu instid0(VALU_DEP_1) | instskip(SKIP_1) | instid1(VALU_DEP_1)
	v_fmac_f32_e32 v105, v100, v84
	s_waitcnt vmcnt(1)
	v_fmac_f32_e32 v105, v101, v85
	s_waitcnt lgkmcnt(2)
	s_delay_alu instid0(VALU_DEP_1) | instskip(NEXT) | instid1(VALU_DEP_1)
	v_fmac_f32_e32 v105, v102, v86
	v_fmac_f32_e32 v105, v103, v87
	s_waitcnt lgkmcnt(1)
	s_delay_alu instid0(VALU_DEP_1) | instskip(SKIP_1) | instid1(VALU_DEP_1)
	v_fmac_f32_e32 v105, v104, v88
	s_waitcnt vmcnt(0)
	v_fmac_f32_e32 v105, v3, v89
	s_waitcnt lgkmcnt(0)
	s_delay_alu instid0(VALU_DEP_1) | instskip(NEXT) | instid1(VALU_DEP_1)
	v_fmac_f32_e32 v105, v4, v82
	v_sub_f32_e32 v3, v81, v105
	scratch_store_b32 off, v3, off offset:48
	v_cmpx_lt_u32_e32 11, v0
	s_cbranch_execz .LBB101_213
; %bb.212:
	scratch_load_b32 v3, off, off offset:44
	scratch_store_b32 off, v2, off offset:44
	s_waitcnt vmcnt(0)
	ds_store_b32 v1, v3
.LBB101_213:
	s_or_b32 exec_lo, exec_lo, s0
	s_waitcnt lgkmcnt(0)
	s_waitcnt_vscnt null, 0x0
	s_barrier
	buffer_gl0_inv
	s_clause 0x6
	scratch_load_b128 v[81:84], off, off offset:44
	scratch_load_b128 v[85:88], off, off offset:60
	;; [unrolled: 1-line block ×6, first 2 shown]
	scratch_load_b96 v[113:115], off, off offset:140
	ds_load_b128 v[105:108], v2 offset:208
	ds_load_b128 v[109:112], v2 offset:224
	s_mov_b32 s0, exec_lo
	s_waitcnt vmcnt(6) lgkmcnt(1)
	v_fma_f32 v4, v82, v105, 0
	s_delay_alu instid0(VALU_DEP_1) | instskip(NEXT) | instid1(VALU_DEP_1)
	v_fmac_f32_e32 v4, v83, v106
	v_fmac_f32_e32 v4, v84, v107
	s_waitcnt vmcnt(5)
	s_delay_alu instid0(VALU_DEP_1) | instskip(SKIP_3) | instid1(VALU_DEP_1)
	v_fmac_f32_e32 v4, v85, v108
	ds_load_b128 v[82:85], v2 offset:240
	s_waitcnt lgkmcnt(1)
	v_fmac_f32_e32 v4, v86, v109
	v_fmac_f32_e32 v4, v87, v110
	s_delay_alu instid0(VALU_DEP_1) | instskip(SKIP_1) | instid1(VALU_DEP_1)
	v_fmac_f32_e32 v4, v88, v111
	s_waitcnt vmcnt(4)
	v_fmac_f32_e32 v4, v89, v112
	ds_load_b128 v[86:89], v2 offset:256
	s_waitcnt lgkmcnt(1)
	v_fmac_f32_e32 v4, v90, v82
	s_delay_alu instid0(VALU_DEP_1) | instskip(NEXT) | instid1(VALU_DEP_1)
	v_fmac_f32_e32 v4, v91, v83
	v_fmac_f32_e32 v4, v92, v84
	s_waitcnt vmcnt(3)
	s_delay_alu instid0(VALU_DEP_1) | instskip(SKIP_3) | instid1(VALU_DEP_1)
	v_fmac_f32_e32 v4, v93, v85
	ds_load_b128 v[82:85], v2 offset:272
	s_waitcnt lgkmcnt(1)
	v_fmac_f32_e32 v4, v94, v86
	v_fmac_f32_e32 v4, v95, v87
	s_delay_alu instid0(VALU_DEP_1) | instskip(SKIP_1) | instid1(VALU_DEP_1)
	v_fmac_f32_e32 v4, v96, v88
	s_waitcnt vmcnt(2)
	v_fmac_f32_e32 v4, v97, v89
	ds_load_b128 v[86:89], v2 offset:288
	ds_load_b64 v[2:3], v2 offset:304
	s_waitcnt lgkmcnt(2)
	v_fmac_f32_e32 v4, v98, v82
	s_delay_alu instid0(VALU_DEP_1) | instskip(NEXT) | instid1(VALU_DEP_1)
	v_fmac_f32_e32 v4, v99, v83
	v_fmac_f32_e32 v4, v100, v84
	s_waitcnt vmcnt(1)
	s_delay_alu instid0(VALU_DEP_1) | instskip(SKIP_1) | instid1(VALU_DEP_1)
	v_fmac_f32_e32 v4, v101, v85
	s_waitcnt lgkmcnt(1)
	v_fmac_f32_e32 v4, v102, v86
	s_delay_alu instid0(VALU_DEP_1) | instskip(NEXT) | instid1(VALU_DEP_1)
	v_fmac_f32_e32 v4, v103, v87
	v_fmac_f32_e32 v4, v104, v88
	s_waitcnt vmcnt(0)
	s_delay_alu instid0(VALU_DEP_1) | instskip(SKIP_1) | instid1(VALU_DEP_1)
	v_fmac_f32_e32 v4, v113, v89
	s_waitcnt lgkmcnt(0)
	v_fmac_f32_e32 v4, v114, v2
	s_delay_alu instid0(VALU_DEP_1) | instskip(NEXT) | instid1(VALU_DEP_1)
	v_fmac_f32_e32 v4, v115, v3
	v_sub_f32_e32 v2, v81, v4
	scratch_store_b32 off, v2, off offset:44
	v_cmpx_lt_u32_e32 10, v0
	s_cbranch_execz .LBB101_215
; %bb.214:
	scratch_load_b32 v2, off, off offset:40
	v_mov_b32_e32 v3, 0
	scratch_store_b32 off, v3, off offset:40
	s_waitcnt vmcnt(0)
	ds_store_b32 v1, v2
.LBB101_215:
	s_or_b32 exec_lo, exec_lo, s0
	s_waitcnt lgkmcnt(0)
	s_waitcnt_vscnt null, 0x0
	s_barrier
	buffer_gl0_inv
	s_clause 0x6
	scratch_load_b128 v[81:84], off, off offset:40
	scratch_load_b128 v[85:88], off, off offset:56
	;; [unrolled: 1-line block ×7, first 2 shown]
	v_mov_b32_e32 v2, 0
	ds_load_2addr_b32 v[3:4], v2 offset0:51 offset1:52
	ds_load_2addr_b32 v[109:110], v2 offset0:53 offset1:54
	;; [unrolled: 1-line block ×4, first 2 shown]
	s_mov_b32 s0, exec_lo
	s_waitcnt vmcnt(6) lgkmcnt(3)
	v_fma_f32 v115, v82, v3, 0
	s_delay_alu instid0(VALU_DEP_1)
	v_fmac_f32_e32 v115, v83, v4
	ds_load_2addr_b32 v[3:4], v2 offset0:59 offset1:60
	ds_load_2addr_b32 v[82:83], v2 offset0:61 offset1:62
	s_waitcnt lgkmcnt(4)
	v_fmac_f32_e32 v115, v84, v109
	s_waitcnt vmcnt(5)
	s_delay_alu instid0(VALU_DEP_1) | instskip(SKIP_1) | instid1(VALU_DEP_1)
	v_fmac_f32_e32 v115, v85, v110
	s_waitcnt lgkmcnt(3)
	v_fmac_f32_e32 v115, v86, v111
	s_delay_alu instid0(VALU_DEP_1)
	v_fmac_f32_e32 v115, v87, v112
	ds_load_2addr_b32 v[84:85], v2 offset0:63 offset1:64
	ds_load_2addr_b32 v[86:87], v2 offset0:65 offset1:66
	s_waitcnt lgkmcnt(4)
	v_fmac_f32_e32 v115, v88, v113
	s_waitcnt vmcnt(4)
	s_delay_alu instid0(VALU_DEP_1) | instskip(SKIP_1) | instid1(VALU_DEP_1)
	v_fmac_f32_e32 v115, v89, v114
	s_waitcnt lgkmcnt(3)
	v_fmac_f32_e32 v115, v90, v3
	s_delay_alu instid0(VALU_DEP_1) | instskip(SKIP_4) | instid1(VALU_DEP_1)
	v_fmac_f32_e32 v115, v91, v4
	ds_load_2addr_b32 v[3:4], v2 offset0:67 offset1:68
	s_waitcnt lgkmcnt(3)
	v_fmac_f32_e32 v115, v92, v82
	s_waitcnt vmcnt(3)
	v_fmac_f32_e32 v115, v93, v83
	ds_load_2addr_b32 v[82:83], v2 offset0:69 offset1:70
	s_waitcnt lgkmcnt(3)
	v_fmac_f32_e32 v115, v94, v84
	s_delay_alu instid0(VALU_DEP_1) | instskip(SKIP_1) | instid1(VALU_DEP_1)
	v_fmac_f32_e32 v115, v95, v85
	s_waitcnt lgkmcnt(2)
	v_fmac_f32_e32 v115, v96, v86
	s_waitcnt vmcnt(2)
	s_delay_alu instid0(VALU_DEP_1) | instskip(SKIP_4) | instid1(VALU_DEP_1)
	v_fmac_f32_e32 v115, v97, v87
	ds_load_2addr_b32 v[84:85], v2 offset0:71 offset1:72
	ds_load_2addr_b32 v[86:87], v2 offset0:73 offset1:74
	s_waitcnt lgkmcnt(3)
	v_fmac_f32_e32 v115, v98, v3
	v_fmac_f32_e32 v115, v99, v4
	ds_load_2addr_b32 v[3:4], v2 offset0:75 offset1:76
	s_waitcnt lgkmcnt(3)
	v_fmac_f32_e32 v115, v100, v82
	ds_load_b32 v82, v2 offset:308
	s_waitcnt vmcnt(1)
	v_fmac_f32_e32 v115, v101, v83
	s_waitcnt lgkmcnt(3)
	s_delay_alu instid0(VALU_DEP_1) | instskip(NEXT) | instid1(VALU_DEP_1)
	v_fmac_f32_e32 v115, v102, v84
	v_fmac_f32_e32 v115, v103, v85
	s_waitcnt lgkmcnt(2)
	s_delay_alu instid0(VALU_DEP_1) | instskip(SKIP_1) | instid1(VALU_DEP_1)
	v_fmac_f32_e32 v115, v104, v86
	s_waitcnt vmcnt(0)
	v_fmac_f32_e32 v115, v105, v87
	s_waitcnt lgkmcnt(1)
	s_delay_alu instid0(VALU_DEP_1) | instskip(NEXT) | instid1(VALU_DEP_1)
	v_fmac_f32_e32 v115, v106, v3
	v_fmac_f32_e32 v115, v107, v4
	s_waitcnt lgkmcnt(0)
	s_delay_alu instid0(VALU_DEP_1) | instskip(NEXT) | instid1(VALU_DEP_1)
	v_fmac_f32_e32 v115, v108, v82
	v_sub_f32_e32 v3, v81, v115
	scratch_store_b32 off, v3, off offset:40
	v_cmpx_lt_u32_e32 9, v0
	s_cbranch_execz .LBB101_217
; %bb.216:
	scratch_load_b32 v3, off, off offset:36
	scratch_store_b32 off, v2, off offset:36
	s_waitcnt vmcnt(0)
	ds_store_b32 v1, v3
.LBB101_217:
	s_or_b32 exec_lo, exec_lo, s0
	s_waitcnt lgkmcnt(0)
	s_waitcnt_vscnt null, 0x0
	s_barrier
	buffer_gl0_inv
	s_clause 0x7
	scratch_load_b128 v[81:84], off, off offset:36
	scratch_load_b128 v[85:88], off, off offset:52
	;; [unrolled: 1-line block ×7, first 2 shown]
	scratch_load_b32 v3, off, off offset:148
	ds_load_2addr_b64 v[109:112], v2 offset0:25 offset1:26
	ds_load_2addr_b64 v[113:116], v2 offset0:27 offset1:28
	s_mov_b32 s0, exec_lo
	s_waitcnt vmcnt(7) lgkmcnt(1)
	v_fma_f32 v4, v82, v109, 0
	s_delay_alu instid0(VALU_DEP_1) | instskip(NEXT) | instid1(VALU_DEP_1)
	v_fmac_f32_e32 v4, v83, v110
	v_fmac_f32_e32 v4, v84, v111
	s_waitcnt vmcnt(6)
	s_delay_alu instid0(VALU_DEP_1) | instskip(SKIP_3) | instid1(VALU_DEP_1)
	v_fmac_f32_e32 v4, v85, v112
	ds_load_2addr_b64 v[82:85], v2 offset0:29 offset1:30
	s_waitcnt lgkmcnt(1)
	v_fmac_f32_e32 v4, v86, v113
	v_fmac_f32_e32 v4, v87, v114
	s_delay_alu instid0(VALU_DEP_1) | instskip(SKIP_1) | instid1(VALU_DEP_1)
	v_fmac_f32_e32 v4, v88, v115
	s_waitcnt vmcnt(5)
	v_fmac_f32_e32 v4, v89, v116
	ds_load_2addr_b64 v[86:89], v2 offset0:31 offset1:32
	s_waitcnt lgkmcnt(1)
	v_fmac_f32_e32 v4, v90, v82
	s_delay_alu instid0(VALU_DEP_1) | instskip(NEXT) | instid1(VALU_DEP_1)
	v_fmac_f32_e32 v4, v91, v83
	v_fmac_f32_e32 v4, v92, v84
	s_waitcnt vmcnt(4)
	s_delay_alu instid0(VALU_DEP_1) | instskip(SKIP_3) | instid1(VALU_DEP_1)
	v_fmac_f32_e32 v4, v93, v85
	ds_load_2addr_b64 v[82:85], v2 offset0:33 offset1:34
	s_waitcnt lgkmcnt(1)
	v_fmac_f32_e32 v4, v94, v86
	v_fmac_f32_e32 v4, v95, v87
	s_delay_alu instid0(VALU_DEP_1) | instskip(SKIP_1) | instid1(VALU_DEP_1)
	v_fmac_f32_e32 v4, v96, v88
	s_waitcnt vmcnt(3)
	v_fmac_f32_e32 v4, v97, v89
	ds_load_2addr_b64 v[86:89], v2 offset0:35 offset1:36
	s_waitcnt lgkmcnt(1)
	v_fmac_f32_e32 v4, v98, v82
	s_delay_alu instid0(VALU_DEP_1) | instskip(NEXT) | instid1(VALU_DEP_1)
	v_fmac_f32_e32 v4, v99, v83
	v_fmac_f32_e32 v4, v100, v84
	s_waitcnt vmcnt(2)
	s_delay_alu instid0(VALU_DEP_1) | instskip(SKIP_3) | instid1(VALU_DEP_1)
	v_fmac_f32_e32 v4, v101, v85
	ds_load_2addr_b64 v[82:85], v2 offset0:37 offset1:38
	s_waitcnt lgkmcnt(1)
	v_fmac_f32_e32 v4, v102, v86
	v_fmac_f32_e32 v4, v103, v87
	s_delay_alu instid0(VALU_DEP_1) | instskip(SKIP_1) | instid1(VALU_DEP_1)
	v_fmac_f32_e32 v4, v104, v88
	s_waitcnt vmcnt(1)
	v_fmac_f32_e32 v4, v105, v89
	s_waitcnt lgkmcnt(0)
	s_delay_alu instid0(VALU_DEP_1) | instskip(NEXT) | instid1(VALU_DEP_1)
	v_fmac_f32_e32 v4, v106, v82
	v_fmac_f32_e32 v4, v107, v83
	s_delay_alu instid0(VALU_DEP_1) | instskip(SKIP_1) | instid1(VALU_DEP_1)
	v_fmac_f32_e32 v4, v108, v84
	s_waitcnt vmcnt(0)
	v_fmac_f32_e32 v4, v3, v85
	s_delay_alu instid0(VALU_DEP_1)
	v_sub_f32_e32 v2, v81, v4
	scratch_store_b32 off, v2, off offset:36
	v_cmpx_lt_u32_e32 8, v0
	s_cbranch_execz .LBB101_219
; %bb.218:
	scratch_load_b32 v2, off, off offset:32
	v_mov_b32_e32 v3, 0
	scratch_store_b32 off, v3, off offset:32
	s_waitcnt vmcnt(0)
	ds_store_b32 v1, v2
.LBB101_219:
	s_or_b32 exec_lo, exec_lo, s0
	s_waitcnt lgkmcnt(0)
	s_waitcnt_vscnt null, 0x0
	s_barrier
	buffer_gl0_inv
	s_clause 0x7
	scratch_load_b128 v[81:84], off, off offset:32
	scratch_load_b128 v[85:88], off, off offset:48
	;; [unrolled: 1-line block ×7, first 2 shown]
	scratch_load_b64 v[3:4], off, off offset:144
	v_mov_b32_e32 v2, 0
	ds_load_2addr_b32 v[109:110], v2 offset0:49 offset1:50
	ds_load_2addr_b32 v[111:112], v2 offset0:51 offset1:52
	;; [unrolled: 1-line block ×4, first 2 shown]
	s_mov_b32 s0, exec_lo
	s_waitcnt vmcnt(7) lgkmcnt(3)
	v_fma_f32 v109, v82, v109, 0
	s_delay_alu instid0(VALU_DEP_1) | instskip(SKIP_4) | instid1(VALU_DEP_1)
	v_fmac_f32_e32 v109, v83, v110
	ds_load_2addr_b32 v[82:83], v2 offset0:57 offset1:58
	s_waitcnt lgkmcnt(3)
	v_fmac_f32_e32 v109, v84, v111
	s_waitcnt vmcnt(6)
	v_fmac_f32_e32 v109, v85, v112
	ds_load_2addr_b32 v[84:85], v2 offset0:59 offset1:60
	s_waitcnt lgkmcnt(3)
	v_fmac_f32_e32 v109, v86, v113
	s_delay_alu instid0(VALU_DEP_1) | instskip(SKIP_1) | instid1(VALU_DEP_1)
	v_fmac_f32_e32 v109, v87, v114
	s_waitcnt lgkmcnt(2)
	v_fmac_f32_e32 v109, v88, v115
	s_waitcnt vmcnt(5)
	s_delay_alu instid0(VALU_DEP_1) | instskip(SKIP_4) | instid1(VALU_DEP_1)
	v_fmac_f32_e32 v109, v89, v116
	ds_load_2addr_b32 v[86:87], v2 offset0:61 offset1:62
	ds_load_2addr_b32 v[88:89], v2 offset0:63 offset1:64
	s_waitcnt lgkmcnt(3)
	v_fmac_f32_e32 v109, v90, v82
	v_fmac_f32_e32 v109, v91, v83
	ds_load_2addr_b32 v[82:83], v2 offset0:65 offset1:66
	s_waitcnt lgkmcnt(3)
	v_fmac_f32_e32 v109, v92, v84
	s_waitcnt vmcnt(4)
	s_delay_alu instid0(VALU_DEP_1) | instskip(SKIP_3) | instid1(VALU_DEP_1)
	v_fmac_f32_e32 v109, v93, v85
	ds_load_2addr_b32 v[84:85], v2 offset0:67 offset1:68
	s_waitcnt lgkmcnt(3)
	v_fmac_f32_e32 v109, v94, v86
	v_fmac_f32_e32 v109, v95, v87
	s_waitcnt lgkmcnt(2)
	s_delay_alu instid0(VALU_DEP_1) | instskip(SKIP_1) | instid1(VALU_DEP_1)
	v_fmac_f32_e32 v109, v96, v88
	s_waitcnt vmcnt(3)
	v_fmac_f32_e32 v109, v97, v89
	ds_load_2addr_b32 v[86:87], v2 offset0:69 offset1:70
	ds_load_2addr_b32 v[88:89], v2 offset0:71 offset1:72
	s_waitcnt lgkmcnt(3)
	v_fmac_f32_e32 v109, v98, v82
	s_delay_alu instid0(VALU_DEP_1) | instskip(SKIP_4) | instid1(VALU_DEP_1)
	v_fmac_f32_e32 v109, v99, v83
	ds_load_2addr_b32 v[82:83], v2 offset0:73 offset1:74
	s_waitcnt lgkmcnt(3)
	v_fmac_f32_e32 v109, v100, v84
	s_waitcnt vmcnt(2)
	v_fmac_f32_e32 v109, v101, v85
	ds_load_2addr_b32 v[84:85], v2 offset0:75 offset1:76
	s_waitcnt lgkmcnt(3)
	v_fmac_f32_e32 v109, v102, v86
	ds_load_b32 v86, v2 offset:308
	v_fmac_f32_e32 v109, v103, v87
	s_waitcnt lgkmcnt(3)
	s_delay_alu instid0(VALU_DEP_1) | instskip(SKIP_1) | instid1(VALU_DEP_1)
	v_fmac_f32_e32 v109, v104, v88
	s_waitcnt vmcnt(1)
	v_fmac_f32_e32 v109, v105, v89
	s_waitcnt lgkmcnt(2)
	s_delay_alu instid0(VALU_DEP_1) | instskip(NEXT) | instid1(VALU_DEP_1)
	v_fmac_f32_e32 v109, v106, v82
	v_fmac_f32_e32 v109, v107, v83
	s_waitcnt lgkmcnt(1)
	s_delay_alu instid0(VALU_DEP_1) | instskip(SKIP_1) | instid1(VALU_DEP_1)
	v_fmac_f32_e32 v109, v108, v84
	s_waitcnt vmcnt(0)
	v_fmac_f32_e32 v109, v3, v85
	s_waitcnt lgkmcnt(0)
	s_delay_alu instid0(VALU_DEP_1) | instskip(NEXT) | instid1(VALU_DEP_1)
	v_fmac_f32_e32 v109, v4, v86
	v_sub_f32_e32 v3, v81, v109
	scratch_store_b32 off, v3, off offset:32
	v_cmpx_lt_u32_e32 7, v0
	s_cbranch_execz .LBB101_221
; %bb.220:
	scratch_load_b32 v3, off, off offset:28
	scratch_store_b32 off, v2, off offset:28
	s_waitcnt vmcnt(0)
	ds_store_b32 v1, v3
.LBB101_221:
	s_or_b32 exec_lo, exec_lo, s0
	s_waitcnt lgkmcnt(0)
	s_waitcnt_vscnt null, 0x0
	s_barrier
	buffer_gl0_inv
	s_clause 0x7
	scratch_load_b128 v[81:84], off, off offset:28
	scratch_load_b128 v[85:88], off, off offset:44
	;; [unrolled: 1-line block ×7, first 2 shown]
	scratch_load_b96 v[117:119], off, off offset:140
	ds_load_b128 v[109:112], v2 offset:192
	ds_load_b128 v[113:116], v2 offset:208
	s_mov_b32 s0, exec_lo
	s_waitcnt vmcnt(7) lgkmcnt(1)
	v_fma_f32 v4, v82, v109, 0
	s_delay_alu instid0(VALU_DEP_1) | instskip(NEXT) | instid1(VALU_DEP_1)
	v_fmac_f32_e32 v4, v83, v110
	v_fmac_f32_e32 v4, v84, v111
	s_waitcnt vmcnt(6)
	s_delay_alu instid0(VALU_DEP_1) | instskip(SKIP_3) | instid1(VALU_DEP_1)
	v_fmac_f32_e32 v4, v85, v112
	ds_load_b128 v[82:85], v2 offset:224
	s_waitcnt lgkmcnt(1)
	v_fmac_f32_e32 v4, v86, v113
	v_fmac_f32_e32 v4, v87, v114
	s_delay_alu instid0(VALU_DEP_1) | instskip(SKIP_1) | instid1(VALU_DEP_1)
	v_fmac_f32_e32 v4, v88, v115
	s_waitcnt vmcnt(5)
	v_fmac_f32_e32 v4, v89, v116
	ds_load_b128 v[86:89], v2 offset:240
	s_waitcnt lgkmcnt(1)
	v_fmac_f32_e32 v4, v90, v82
	s_delay_alu instid0(VALU_DEP_1) | instskip(NEXT) | instid1(VALU_DEP_1)
	v_fmac_f32_e32 v4, v91, v83
	v_fmac_f32_e32 v4, v92, v84
	s_waitcnt vmcnt(4)
	s_delay_alu instid0(VALU_DEP_1) | instskip(SKIP_3) | instid1(VALU_DEP_1)
	v_fmac_f32_e32 v4, v93, v85
	ds_load_b128 v[82:85], v2 offset:256
	s_waitcnt lgkmcnt(1)
	v_fmac_f32_e32 v4, v94, v86
	v_fmac_f32_e32 v4, v95, v87
	s_delay_alu instid0(VALU_DEP_1) | instskip(SKIP_1) | instid1(VALU_DEP_1)
	v_fmac_f32_e32 v4, v96, v88
	s_waitcnt vmcnt(3)
	v_fmac_f32_e32 v4, v97, v89
	ds_load_b128 v[86:89], v2 offset:272
	s_waitcnt lgkmcnt(1)
	v_fmac_f32_e32 v4, v98, v82
	s_delay_alu instid0(VALU_DEP_1) | instskip(NEXT) | instid1(VALU_DEP_1)
	v_fmac_f32_e32 v4, v99, v83
	v_fmac_f32_e32 v4, v100, v84
	s_waitcnt vmcnt(2)
	s_delay_alu instid0(VALU_DEP_1) | instskip(SKIP_4) | instid1(VALU_DEP_1)
	v_fmac_f32_e32 v4, v101, v85
	ds_load_b128 v[82:85], v2 offset:288
	ds_load_b64 v[2:3], v2 offset:304
	s_waitcnt lgkmcnt(2)
	v_fmac_f32_e32 v4, v102, v86
	v_fmac_f32_e32 v4, v103, v87
	s_delay_alu instid0(VALU_DEP_1) | instskip(SKIP_1) | instid1(VALU_DEP_1)
	v_fmac_f32_e32 v4, v104, v88
	s_waitcnt vmcnt(1)
	v_fmac_f32_e32 v4, v105, v89
	s_waitcnt lgkmcnt(1)
	s_delay_alu instid0(VALU_DEP_1) | instskip(NEXT) | instid1(VALU_DEP_1)
	v_fmac_f32_e32 v4, v106, v82
	v_fmac_f32_e32 v4, v107, v83
	s_delay_alu instid0(VALU_DEP_1) | instskip(SKIP_1) | instid1(VALU_DEP_1)
	v_fmac_f32_e32 v4, v108, v84
	s_waitcnt vmcnt(0)
	v_fmac_f32_e32 v4, v117, v85
	s_waitcnt lgkmcnt(0)
	s_delay_alu instid0(VALU_DEP_1) | instskip(NEXT) | instid1(VALU_DEP_1)
	v_fmac_f32_e32 v4, v118, v2
	v_fmac_f32_e32 v4, v119, v3
	s_delay_alu instid0(VALU_DEP_1)
	v_sub_f32_e32 v2, v81, v4
	scratch_store_b32 off, v2, off offset:28
	v_cmpx_lt_u32_e32 6, v0
	s_cbranch_execz .LBB101_223
; %bb.222:
	scratch_load_b32 v2, off, off offset:24
	v_mov_b32_e32 v3, 0
	scratch_store_b32 off, v3, off offset:24
	s_waitcnt vmcnt(0)
	ds_store_b32 v1, v2
.LBB101_223:
	s_or_b32 exec_lo, exec_lo, s0
	s_waitcnt lgkmcnt(0)
	s_waitcnt_vscnt null, 0x0
	s_barrier
	buffer_gl0_inv
	s_clause 0x7
	scratch_load_b128 v[81:84], off, off offset:24
	scratch_load_b128 v[85:88], off, off offset:40
	;; [unrolled: 1-line block ×8, first 2 shown]
	v_mov_b32_e32 v2, 0
	ds_load_2addr_b32 v[3:4], v2 offset0:47 offset1:48
	ds_load_2addr_b32 v[113:114], v2 offset0:49 offset1:50
	;; [unrolled: 1-line block ×4, first 2 shown]
	s_mov_b32 s0, exec_lo
	s_waitcnt vmcnt(7) lgkmcnt(3)
	v_fma_f32 v119, v82, v3, 0
	s_delay_alu instid0(VALU_DEP_1)
	v_fmac_f32_e32 v119, v83, v4
	ds_load_2addr_b32 v[3:4], v2 offset0:55 offset1:56
	ds_load_2addr_b32 v[82:83], v2 offset0:57 offset1:58
	s_waitcnt lgkmcnt(4)
	v_fmac_f32_e32 v119, v84, v113
	s_waitcnt vmcnt(6)
	s_delay_alu instid0(VALU_DEP_1) | instskip(SKIP_1) | instid1(VALU_DEP_1)
	v_fmac_f32_e32 v119, v85, v114
	s_waitcnt lgkmcnt(3)
	v_fmac_f32_e32 v119, v86, v115
	s_delay_alu instid0(VALU_DEP_1)
	v_fmac_f32_e32 v119, v87, v116
	ds_load_2addr_b32 v[84:85], v2 offset0:59 offset1:60
	ds_load_2addr_b32 v[86:87], v2 offset0:61 offset1:62
	s_waitcnt lgkmcnt(4)
	v_fmac_f32_e32 v119, v88, v117
	s_waitcnt vmcnt(5)
	s_delay_alu instid0(VALU_DEP_1) | instskip(SKIP_1) | instid1(VALU_DEP_1)
	v_fmac_f32_e32 v119, v89, v118
	s_waitcnt lgkmcnt(3)
	v_fmac_f32_e32 v119, v90, v3
	s_delay_alu instid0(VALU_DEP_1) | instskip(SKIP_4) | instid1(VALU_DEP_1)
	v_fmac_f32_e32 v119, v91, v4
	ds_load_2addr_b32 v[3:4], v2 offset0:63 offset1:64
	s_waitcnt lgkmcnt(3)
	v_fmac_f32_e32 v119, v92, v82
	s_waitcnt vmcnt(4)
	v_fmac_f32_e32 v119, v93, v83
	ds_load_2addr_b32 v[82:83], v2 offset0:65 offset1:66
	s_waitcnt lgkmcnt(3)
	v_fmac_f32_e32 v119, v94, v84
	s_delay_alu instid0(VALU_DEP_1) | instskip(SKIP_1) | instid1(VALU_DEP_1)
	v_fmac_f32_e32 v119, v95, v85
	s_waitcnt lgkmcnt(2)
	v_fmac_f32_e32 v119, v96, v86
	s_waitcnt vmcnt(3)
	s_delay_alu instid0(VALU_DEP_1) | instskip(SKIP_4) | instid1(VALU_DEP_1)
	v_fmac_f32_e32 v119, v97, v87
	ds_load_2addr_b32 v[84:85], v2 offset0:67 offset1:68
	ds_load_2addr_b32 v[86:87], v2 offset0:69 offset1:70
	s_waitcnt lgkmcnt(3)
	v_fmac_f32_e32 v119, v98, v3
	v_fmac_f32_e32 v119, v99, v4
	ds_load_2addr_b32 v[3:4], v2 offset0:71 offset1:72
	s_waitcnt lgkmcnt(3)
	v_fmac_f32_e32 v119, v100, v82
	s_waitcnt vmcnt(2)
	s_delay_alu instid0(VALU_DEP_1) | instskip(SKIP_3) | instid1(VALU_DEP_1)
	v_fmac_f32_e32 v119, v101, v83
	ds_load_2addr_b32 v[82:83], v2 offset0:73 offset1:74
	s_waitcnt lgkmcnt(3)
	v_fmac_f32_e32 v119, v102, v84
	v_fmac_f32_e32 v119, v103, v85
	s_waitcnt lgkmcnt(2)
	s_delay_alu instid0(VALU_DEP_1)
	v_fmac_f32_e32 v119, v104, v86
	ds_load_2addr_b32 v[84:85], v2 offset0:75 offset1:76
	ds_load_b32 v86, v2 offset:308
	s_waitcnt vmcnt(1)
	v_fmac_f32_e32 v119, v105, v87
	s_waitcnt lgkmcnt(3)
	s_delay_alu instid0(VALU_DEP_1) | instskip(NEXT) | instid1(VALU_DEP_1)
	v_fmac_f32_e32 v119, v106, v3
	v_fmac_f32_e32 v119, v107, v4
	s_waitcnt lgkmcnt(2)
	s_delay_alu instid0(VALU_DEP_1) | instskip(SKIP_1) | instid1(VALU_DEP_1)
	v_fmac_f32_e32 v119, v108, v82
	s_waitcnt vmcnt(0)
	v_fmac_f32_e32 v119, v109, v83
	s_waitcnt lgkmcnt(1)
	s_delay_alu instid0(VALU_DEP_1) | instskip(NEXT) | instid1(VALU_DEP_1)
	v_fmac_f32_e32 v119, v110, v84
	v_fmac_f32_e32 v119, v111, v85
	s_waitcnt lgkmcnt(0)
	s_delay_alu instid0(VALU_DEP_1) | instskip(NEXT) | instid1(VALU_DEP_1)
	v_fmac_f32_e32 v119, v112, v86
	v_sub_f32_e32 v3, v81, v119
	scratch_store_b32 off, v3, off offset:24
	v_cmpx_lt_u32_e32 5, v0
	s_cbranch_execz .LBB101_225
; %bb.224:
	scratch_load_b32 v3, off, off offset:20
	scratch_store_b32 off, v2, off offset:20
	s_waitcnt vmcnt(0)
	ds_store_b32 v1, v3
.LBB101_225:
	s_or_b32 exec_lo, exec_lo, s0
	s_waitcnt lgkmcnt(0)
	s_waitcnt_vscnt null, 0x0
	s_barrier
	buffer_gl0_inv
	s_clause 0x8
	scratch_load_b128 v[81:84], off, off offset:20
	scratch_load_b128 v[85:88], off, off offset:36
	scratch_load_b128 v[89:92], off, off offset:52
	scratch_load_b128 v[93:96], off, off offset:68
	scratch_load_b128 v[97:100], off, off offset:84
	scratch_load_b128 v[101:104], off, off offset:100
	scratch_load_b128 v[105:108], off, off offset:116
	scratch_load_b128 v[109:112], off, off offset:132
	scratch_load_b32 v3, off, off offset:148
	ds_load_2addr_b64 v[113:116], v2 offset0:23 offset1:24
	ds_load_2addr_b64 v[117:120], v2 offset0:25 offset1:26
	s_mov_b32 s0, exec_lo
	s_waitcnt vmcnt(8) lgkmcnt(1)
	v_fma_f32 v4, v82, v113, 0
	s_delay_alu instid0(VALU_DEP_1) | instskip(NEXT) | instid1(VALU_DEP_1)
	v_fmac_f32_e32 v4, v83, v114
	v_fmac_f32_e32 v4, v84, v115
	s_waitcnt vmcnt(7)
	s_delay_alu instid0(VALU_DEP_1) | instskip(SKIP_3) | instid1(VALU_DEP_1)
	v_fmac_f32_e32 v4, v85, v116
	ds_load_2addr_b64 v[82:85], v2 offset0:27 offset1:28
	s_waitcnt lgkmcnt(1)
	v_fmac_f32_e32 v4, v86, v117
	v_fmac_f32_e32 v4, v87, v118
	s_delay_alu instid0(VALU_DEP_1) | instskip(SKIP_1) | instid1(VALU_DEP_1)
	v_fmac_f32_e32 v4, v88, v119
	s_waitcnt vmcnt(6)
	v_fmac_f32_e32 v4, v89, v120
	ds_load_2addr_b64 v[86:89], v2 offset0:29 offset1:30
	s_waitcnt lgkmcnt(1)
	v_fmac_f32_e32 v4, v90, v82
	s_delay_alu instid0(VALU_DEP_1) | instskip(NEXT) | instid1(VALU_DEP_1)
	v_fmac_f32_e32 v4, v91, v83
	v_fmac_f32_e32 v4, v92, v84
	s_waitcnt vmcnt(5)
	s_delay_alu instid0(VALU_DEP_1) | instskip(SKIP_3) | instid1(VALU_DEP_1)
	v_fmac_f32_e32 v4, v93, v85
	ds_load_2addr_b64 v[82:85], v2 offset0:31 offset1:32
	s_waitcnt lgkmcnt(1)
	v_fmac_f32_e32 v4, v94, v86
	v_fmac_f32_e32 v4, v95, v87
	s_delay_alu instid0(VALU_DEP_1) | instskip(SKIP_1) | instid1(VALU_DEP_1)
	v_fmac_f32_e32 v4, v96, v88
	s_waitcnt vmcnt(4)
	v_fmac_f32_e32 v4, v97, v89
	ds_load_2addr_b64 v[86:89], v2 offset0:33 offset1:34
	s_waitcnt lgkmcnt(1)
	v_fmac_f32_e32 v4, v98, v82
	;; [unrolled: 17-line block ×3, first 2 shown]
	s_delay_alu instid0(VALU_DEP_1) | instskip(NEXT) | instid1(VALU_DEP_1)
	v_fmac_f32_e32 v4, v107, v83
	v_fmac_f32_e32 v4, v108, v84
	s_waitcnt vmcnt(1)
	s_delay_alu instid0(VALU_DEP_1) | instskip(SKIP_1) | instid1(VALU_DEP_1)
	v_fmac_f32_e32 v4, v109, v85
	s_waitcnt lgkmcnt(0)
	v_fmac_f32_e32 v4, v110, v86
	s_delay_alu instid0(VALU_DEP_1) | instskip(NEXT) | instid1(VALU_DEP_1)
	v_fmac_f32_e32 v4, v111, v87
	v_fmac_f32_e32 v4, v112, v88
	s_waitcnt vmcnt(0)
	s_delay_alu instid0(VALU_DEP_1) | instskip(NEXT) | instid1(VALU_DEP_1)
	v_fmac_f32_e32 v4, v3, v89
	v_sub_f32_e32 v2, v81, v4
	scratch_store_b32 off, v2, off offset:20
	v_cmpx_lt_u32_e32 4, v0
	s_cbranch_execz .LBB101_227
; %bb.226:
	scratch_load_b32 v2, off, off offset:16
	v_mov_b32_e32 v3, 0
	scratch_store_b32 off, v3, off offset:16
	s_waitcnt vmcnt(0)
	ds_store_b32 v1, v2
.LBB101_227:
	s_or_b32 exec_lo, exec_lo, s0
	s_waitcnt lgkmcnt(0)
	s_waitcnt_vscnt null, 0x0
	s_barrier
	buffer_gl0_inv
	s_clause 0x8
	scratch_load_b128 v[81:84], off, off offset:16
	scratch_load_b128 v[85:88], off, off offset:32
	;; [unrolled: 1-line block ×8, first 2 shown]
	scratch_load_b64 v[3:4], off, off offset:144
	v_mov_b32_e32 v2, 0
	ds_load_2addr_b32 v[113:114], v2 offset0:45 offset1:46
	ds_load_2addr_b32 v[115:116], v2 offset0:47 offset1:48
	;; [unrolled: 1-line block ×4, first 2 shown]
	s_mov_b32 s0, exec_lo
	s_waitcnt vmcnt(8) lgkmcnt(3)
	v_fma_f32 v113, v82, v113, 0
	s_delay_alu instid0(VALU_DEP_1) | instskip(SKIP_4) | instid1(VALU_DEP_1)
	v_fmac_f32_e32 v113, v83, v114
	ds_load_2addr_b32 v[82:83], v2 offset0:53 offset1:54
	s_waitcnt lgkmcnt(3)
	v_fmac_f32_e32 v113, v84, v115
	s_waitcnt vmcnt(7)
	v_fmac_f32_e32 v113, v85, v116
	ds_load_2addr_b32 v[84:85], v2 offset0:55 offset1:56
	s_waitcnt lgkmcnt(3)
	v_fmac_f32_e32 v113, v86, v117
	s_delay_alu instid0(VALU_DEP_1) | instskip(SKIP_1) | instid1(VALU_DEP_1)
	v_fmac_f32_e32 v113, v87, v118
	s_waitcnt lgkmcnt(2)
	v_fmac_f32_e32 v113, v88, v119
	s_waitcnt vmcnt(6)
	s_delay_alu instid0(VALU_DEP_1) | instskip(SKIP_4) | instid1(VALU_DEP_1)
	v_fmac_f32_e32 v113, v89, v120
	ds_load_2addr_b32 v[86:87], v2 offset0:57 offset1:58
	ds_load_2addr_b32 v[88:89], v2 offset0:59 offset1:60
	s_waitcnt lgkmcnt(3)
	v_fmac_f32_e32 v113, v90, v82
	v_fmac_f32_e32 v113, v91, v83
	ds_load_2addr_b32 v[82:83], v2 offset0:61 offset1:62
	s_waitcnt lgkmcnt(3)
	v_fmac_f32_e32 v113, v92, v84
	s_waitcnt vmcnt(5)
	s_delay_alu instid0(VALU_DEP_1) | instskip(SKIP_3) | instid1(VALU_DEP_1)
	v_fmac_f32_e32 v113, v93, v85
	ds_load_2addr_b32 v[84:85], v2 offset0:63 offset1:64
	s_waitcnt lgkmcnt(3)
	v_fmac_f32_e32 v113, v94, v86
	v_fmac_f32_e32 v113, v95, v87
	s_waitcnt lgkmcnt(2)
	s_delay_alu instid0(VALU_DEP_1) | instskip(SKIP_1) | instid1(VALU_DEP_1)
	v_fmac_f32_e32 v113, v96, v88
	s_waitcnt vmcnt(4)
	v_fmac_f32_e32 v113, v97, v89
	ds_load_2addr_b32 v[86:87], v2 offset0:65 offset1:66
	ds_load_2addr_b32 v[88:89], v2 offset0:67 offset1:68
	s_waitcnt lgkmcnt(3)
	v_fmac_f32_e32 v113, v98, v82
	s_delay_alu instid0(VALU_DEP_1) | instskip(SKIP_4) | instid1(VALU_DEP_1)
	v_fmac_f32_e32 v113, v99, v83
	ds_load_2addr_b32 v[82:83], v2 offset0:69 offset1:70
	s_waitcnt lgkmcnt(3)
	v_fmac_f32_e32 v113, v100, v84
	s_waitcnt vmcnt(3)
	v_fmac_f32_e32 v113, v101, v85
	ds_load_2addr_b32 v[84:85], v2 offset0:71 offset1:72
	s_waitcnt lgkmcnt(3)
	v_fmac_f32_e32 v113, v102, v86
	s_delay_alu instid0(VALU_DEP_1) | instskip(SKIP_1) | instid1(VALU_DEP_1)
	v_fmac_f32_e32 v113, v103, v87
	s_waitcnt lgkmcnt(2)
	v_fmac_f32_e32 v113, v104, v88
	s_waitcnt vmcnt(2)
	s_delay_alu instid0(VALU_DEP_1)
	v_fmac_f32_e32 v113, v105, v89
	ds_load_2addr_b32 v[86:87], v2 offset0:73 offset1:74
	ds_load_2addr_b32 v[88:89], v2 offset0:75 offset1:76
	s_waitcnt lgkmcnt(3)
	v_fmac_f32_e32 v113, v106, v82
	ds_load_b32 v82, v2 offset:308
	v_fmac_f32_e32 v113, v107, v83
	s_waitcnt lgkmcnt(3)
	s_delay_alu instid0(VALU_DEP_1) | instskip(SKIP_1) | instid1(VALU_DEP_1)
	v_fmac_f32_e32 v113, v108, v84
	s_waitcnt vmcnt(1)
	v_fmac_f32_e32 v113, v109, v85
	s_waitcnt lgkmcnt(2)
	s_delay_alu instid0(VALU_DEP_1) | instskip(NEXT) | instid1(VALU_DEP_1)
	v_fmac_f32_e32 v113, v110, v86
	v_fmac_f32_e32 v113, v111, v87
	s_waitcnt lgkmcnt(1)
	s_delay_alu instid0(VALU_DEP_1) | instskip(SKIP_1) | instid1(VALU_DEP_1)
	v_fmac_f32_e32 v113, v112, v88
	s_waitcnt vmcnt(0)
	v_fmac_f32_e32 v113, v3, v89
	s_waitcnt lgkmcnt(0)
	s_delay_alu instid0(VALU_DEP_1) | instskip(NEXT) | instid1(VALU_DEP_1)
	v_fmac_f32_e32 v113, v4, v82
	v_sub_f32_e32 v3, v81, v113
	scratch_store_b32 off, v3, off offset:16
	v_cmpx_lt_u32_e32 3, v0
	s_cbranch_execz .LBB101_229
; %bb.228:
	scratch_load_b32 v3, off, off offset:12
	scratch_store_b32 off, v2, off offset:12
	s_waitcnt vmcnt(0)
	ds_store_b32 v1, v3
.LBB101_229:
	s_or_b32 exec_lo, exec_lo, s0
	s_waitcnt lgkmcnt(0)
	s_waitcnt_vscnt null, 0x0
	s_barrier
	buffer_gl0_inv
	s_clause 0x8
	scratch_load_b128 v[81:84], off, off offset:12
	scratch_load_b128 v[85:88], off, off offset:28
	;; [unrolled: 1-line block ×8, first 2 shown]
	scratch_load_b96 v[121:123], off, off offset:140
	ds_load_b128 v[113:116], v2 offset:176
	ds_load_b128 v[117:120], v2 offset:192
	s_mov_b32 s0, exec_lo
	s_waitcnt vmcnt(8) lgkmcnt(1)
	v_fma_f32 v4, v82, v113, 0
	s_delay_alu instid0(VALU_DEP_1) | instskip(NEXT) | instid1(VALU_DEP_1)
	v_fmac_f32_e32 v4, v83, v114
	v_fmac_f32_e32 v4, v84, v115
	s_waitcnt vmcnt(7)
	s_delay_alu instid0(VALU_DEP_1) | instskip(SKIP_3) | instid1(VALU_DEP_1)
	v_fmac_f32_e32 v4, v85, v116
	ds_load_b128 v[82:85], v2 offset:208
	s_waitcnt lgkmcnt(1)
	v_fmac_f32_e32 v4, v86, v117
	v_fmac_f32_e32 v4, v87, v118
	s_delay_alu instid0(VALU_DEP_1) | instskip(SKIP_1) | instid1(VALU_DEP_1)
	v_fmac_f32_e32 v4, v88, v119
	s_waitcnt vmcnt(6)
	v_fmac_f32_e32 v4, v89, v120
	ds_load_b128 v[86:89], v2 offset:224
	s_waitcnt lgkmcnt(1)
	v_fmac_f32_e32 v4, v90, v82
	s_delay_alu instid0(VALU_DEP_1) | instskip(NEXT) | instid1(VALU_DEP_1)
	v_fmac_f32_e32 v4, v91, v83
	v_fmac_f32_e32 v4, v92, v84
	s_waitcnt vmcnt(5)
	s_delay_alu instid0(VALU_DEP_1) | instskip(SKIP_3) | instid1(VALU_DEP_1)
	v_fmac_f32_e32 v4, v93, v85
	ds_load_b128 v[82:85], v2 offset:240
	s_waitcnt lgkmcnt(1)
	v_fmac_f32_e32 v4, v94, v86
	v_fmac_f32_e32 v4, v95, v87
	s_delay_alu instid0(VALU_DEP_1) | instskip(SKIP_1) | instid1(VALU_DEP_1)
	v_fmac_f32_e32 v4, v96, v88
	s_waitcnt vmcnt(4)
	v_fmac_f32_e32 v4, v97, v89
	ds_load_b128 v[86:89], v2 offset:256
	s_waitcnt lgkmcnt(1)
	v_fmac_f32_e32 v4, v98, v82
	s_delay_alu instid0(VALU_DEP_1) | instskip(NEXT) | instid1(VALU_DEP_1)
	v_fmac_f32_e32 v4, v99, v83
	v_fmac_f32_e32 v4, v100, v84
	s_waitcnt vmcnt(3)
	s_delay_alu instid0(VALU_DEP_1) | instskip(SKIP_3) | instid1(VALU_DEP_1)
	v_fmac_f32_e32 v4, v101, v85
	ds_load_b128 v[82:85], v2 offset:272
	s_waitcnt lgkmcnt(1)
	v_fmac_f32_e32 v4, v102, v86
	v_fmac_f32_e32 v4, v103, v87
	s_delay_alu instid0(VALU_DEP_1) | instskip(SKIP_1) | instid1(VALU_DEP_1)
	v_fmac_f32_e32 v4, v104, v88
	s_waitcnt vmcnt(2)
	v_fmac_f32_e32 v4, v105, v89
	ds_load_b128 v[86:89], v2 offset:288
	ds_load_b64 v[2:3], v2 offset:304
	s_waitcnt lgkmcnt(2)
	v_fmac_f32_e32 v4, v106, v82
	s_delay_alu instid0(VALU_DEP_1) | instskip(NEXT) | instid1(VALU_DEP_1)
	v_fmac_f32_e32 v4, v107, v83
	v_fmac_f32_e32 v4, v108, v84
	s_waitcnt vmcnt(1)
	s_delay_alu instid0(VALU_DEP_1) | instskip(SKIP_1) | instid1(VALU_DEP_1)
	v_fmac_f32_e32 v4, v109, v85
	s_waitcnt lgkmcnt(1)
	v_fmac_f32_e32 v4, v110, v86
	s_delay_alu instid0(VALU_DEP_1) | instskip(NEXT) | instid1(VALU_DEP_1)
	v_fmac_f32_e32 v4, v111, v87
	v_fmac_f32_e32 v4, v112, v88
	s_waitcnt vmcnt(0)
	s_delay_alu instid0(VALU_DEP_1) | instskip(SKIP_1) | instid1(VALU_DEP_1)
	v_fmac_f32_e32 v4, v121, v89
	s_waitcnt lgkmcnt(0)
	v_fmac_f32_e32 v4, v122, v2
	s_delay_alu instid0(VALU_DEP_1) | instskip(NEXT) | instid1(VALU_DEP_1)
	v_fmac_f32_e32 v4, v123, v3
	v_sub_f32_e32 v2, v81, v4
	scratch_store_b32 off, v2, off offset:12
	v_cmpx_lt_u32_e32 2, v0
	s_cbranch_execz .LBB101_231
; %bb.230:
	scratch_load_b32 v2, off, off offset:8
	v_mov_b32_e32 v3, 0
	scratch_store_b32 off, v3, off offset:8
	s_waitcnt vmcnt(0)
	ds_store_b32 v1, v2
.LBB101_231:
	s_or_b32 exec_lo, exec_lo, s0
	s_waitcnt lgkmcnt(0)
	s_waitcnt_vscnt null, 0x0
	s_barrier
	buffer_gl0_inv
	s_clause 0x8
	scratch_load_b128 v[81:84], off, off offset:8
	scratch_load_b128 v[85:88], off, off offset:24
	scratch_load_b128 v[89:92], off, off offset:40
	scratch_load_b128 v[93:96], off, off offset:56
	scratch_load_b128 v[97:100], off, off offset:72
	scratch_load_b128 v[101:104], off, off offset:88
	scratch_load_b128 v[105:108], off, off offset:104
	scratch_load_b128 v[109:112], off, off offset:120
	scratch_load_b128 v[113:116], off, off offset:136
	v_mov_b32_e32 v2, 0
	ds_load_2addr_b32 v[3:4], v2 offset0:43 offset1:44
	ds_load_2addr_b32 v[117:118], v2 offset0:45 offset1:46
	ds_load_2addr_b32 v[119:120], v2 offset0:47 offset1:48
	ds_load_2addr_b32 v[121:122], v2 offset0:49 offset1:50
	s_mov_b32 s0, exec_lo
	s_waitcnt vmcnt(8) lgkmcnt(3)
	v_fma_f32 v123, v82, v3, 0
	s_delay_alu instid0(VALU_DEP_1)
	v_fmac_f32_e32 v123, v83, v4
	ds_load_2addr_b32 v[3:4], v2 offset0:51 offset1:52
	ds_load_2addr_b32 v[82:83], v2 offset0:53 offset1:54
	s_waitcnt lgkmcnt(4)
	v_fmac_f32_e32 v123, v84, v117
	s_waitcnt vmcnt(7)
	s_delay_alu instid0(VALU_DEP_1) | instskip(SKIP_1) | instid1(VALU_DEP_1)
	v_fmac_f32_e32 v123, v85, v118
	s_waitcnt lgkmcnt(3)
	v_fmac_f32_e32 v123, v86, v119
	s_delay_alu instid0(VALU_DEP_1)
	v_fmac_f32_e32 v123, v87, v120
	ds_load_2addr_b32 v[84:85], v2 offset0:55 offset1:56
	ds_load_2addr_b32 v[86:87], v2 offset0:57 offset1:58
	s_waitcnt lgkmcnt(4)
	v_fmac_f32_e32 v123, v88, v121
	s_waitcnt vmcnt(6)
	s_delay_alu instid0(VALU_DEP_1) | instskip(SKIP_1) | instid1(VALU_DEP_1)
	v_fmac_f32_e32 v123, v89, v122
	s_waitcnt lgkmcnt(3)
	v_fmac_f32_e32 v123, v90, v3
	s_delay_alu instid0(VALU_DEP_1) | instskip(SKIP_4) | instid1(VALU_DEP_1)
	v_fmac_f32_e32 v123, v91, v4
	ds_load_2addr_b32 v[3:4], v2 offset0:59 offset1:60
	s_waitcnt lgkmcnt(3)
	v_fmac_f32_e32 v123, v92, v82
	s_waitcnt vmcnt(5)
	v_fmac_f32_e32 v123, v93, v83
	ds_load_2addr_b32 v[82:83], v2 offset0:61 offset1:62
	s_waitcnt lgkmcnt(3)
	v_fmac_f32_e32 v123, v94, v84
	s_delay_alu instid0(VALU_DEP_1) | instskip(SKIP_1) | instid1(VALU_DEP_1)
	v_fmac_f32_e32 v123, v95, v85
	s_waitcnt lgkmcnt(2)
	v_fmac_f32_e32 v123, v96, v86
	s_waitcnt vmcnt(4)
	s_delay_alu instid0(VALU_DEP_1) | instskip(SKIP_4) | instid1(VALU_DEP_1)
	v_fmac_f32_e32 v123, v97, v87
	ds_load_2addr_b32 v[84:85], v2 offset0:63 offset1:64
	ds_load_2addr_b32 v[86:87], v2 offset0:65 offset1:66
	s_waitcnt lgkmcnt(3)
	v_fmac_f32_e32 v123, v98, v3
	v_fmac_f32_e32 v123, v99, v4
	ds_load_2addr_b32 v[3:4], v2 offset0:67 offset1:68
	s_waitcnt lgkmcnt(3)
	v_fmac_f32_e32 v123, v100, v82
	s_waitcnt vmcnt(3)
	s_delay_alu instid0(VALU_DEP_1) | instskip(SKIP_3) | instid1(VALU_DEP_1)
	v_fmac_f32_e32 v123, v101, v83
	ds_load_2addr_b32 v[82:83], v2 offset0:69 offset1:70
	s_waitcnt lgkmcnt(3)
	v_fmac_f32_e32 v123, v102, v84
	v_fmac_f32_e32 v123, v103, v85
	s_waitcnt lgkmcnt(2)
	s_delay_alu instid0(VALU_DEP_1) | instskip(SKIP_1) | instid1(VALU_DEP_1)
	v_fmac_f32_e32 v123, v104, v86
	s_waitcnt vmcnt(2)
	v_fmac_f32_e32 v123, v105, v87
	ds_load_2addr_b32 v[84:85], v2 offset0:71 offset1:72
	ds_load_2addr_b32 v[86:87], v2 offset0:73 offset1:74
	s_waitcnt lgkmcnt(3)
	v_fmac_f32_e32 v123, v106, v3
	s_delay_alu instid0(VALU_DEP_1)
	v_fmac_f32_e32 v123, v107, v4
	ds_load_2addr_b32 v[3:4], v2 offset0:75 offset1:76
	s_waitcnt lgkmcnt(3)
	v_fmac_f32_e32 v123, v108, v82
	ds_load_b32 v82, v2 offset:308
	s_waitcnt vmcnt(1)
	v_fmac_f32_e32 v123, v109, v83
	s_waitcnt lgkmcnt(3)
	s_delay_alu instid0(VALU_DEP_1) | instskip(NEXT) | instid1(VALU_DEP_1)
	v_fmac_f32_e32 v123, v110, v84
	v_fmac_f32_e32 v123, v111, v85
	s_waitcnt lgkmcnt(2)
	s_delay_alu instid0(VALU_DEP_1) | instskip(SKIP_1) | instid1(VALU_DEP_1)
	v_fmac_f32_e32 v123, v112, v86
	s_waitcnt vmcnt(0)
	v_fmac_f32_e32 v123, v113, v87
	s_waitcnt lgkmcnt(1)
	s_delay_alu instid0(VALU_DEP_1) | instskip(NEXT) | instid1(VALU_DEP_1)
	v_fmac_f32_e32 v123, v114, v3
	v_fmac_f32_e32 v123, v115, v4
	s_waitcnt lgkmcnt(0)
	s_delay_alu instid0(VALU_DEP_1) | instskip(NEXT) | instid1(VALU_DEP_1)
	v_fmac_f32_e32 v123, v116, v82
	v_sub_f32_e32 v3, v81, v123
	scratch_store_b32 off, v3, off offset:8
	v_cmpx_lt_u32_e32 1, v0
	s_cbranch_execz .LBB101_233
; %bb.232:
	scratch_load_b32 v3, off, off offset:4
	scratch_store_b32 off, v2, off offset:4
	s_waitcnt vmcnt(0)
	ds_store_b32 v1, v3
.LBB101_233:
	s_or_b32 exec_lo, exec_lo, s0
	s_waitcnt lgkmcnt(0)
	s_waitcnt_vscnt null, 0x0
	s_barrier
	buffer_gl0_inv
	s_clause 0x9
	scratch_load_b128 v[81:84], off, off offset:4
	scratch_load_b128 v[85:88], off, off offset:20
	;; [unrolled: 1-line block ×9, first 2 shown]
	scratch_load_b32 v3, off, off offset:148
	ds_load_2addr_b64 v[117:120], v2 offset0:21 offset1:22
	ds_load_2addr_b64 v[121:124], v2 offset0:23 offset1:24
	s_mov_b32 s0, exec_lo
	s_waitcnt vmcnt(9) lgkmcnt(1)
	v_fma_f32 v4, v82, v117, 0
	s_delay_alu instid0(VALU_DEP_1) | instskip(NEXT) | instid1(VALU_DEP_1)
	v_fmac_f32_e32 v4, v83, v118
	v_fmac_f32_e32 v4, v84, v119
	s_waitcnt vmcnt(8)
	s_delay_alu instid0(VALU_DEP_1) | instskip(SKIP_3) | instid1(VALU_DEP_1)
	v_fmac_f32_e32 v4, v85, v120
	ds_load_2addr_b64 v[82:85], v2 offset0:25 offset1:26
	s_waitcnt lgkmcnt(1)
	v_fmac_f32_e32 v4, v86, v121
	v_fmac_f32_e32 v4, v87, v122
	s_delay_alu instid0(VALU_DEP_1) | instskip(SKIP_1) | instid1(VALU_DEP_1)
	v_fmac_f32_e32 v4, v88, v123
	s_waitcnt vmcnt(7)
	v_fmac_f32_e32 v4, v89, v124
	ds_load_2addr_b64 v[86:89], v2 offset0:27 offset1:28
	s_waitcnt lgkmcnt(1)
	v_fmac_f32_e32 v4, v90, v82
	s_delay_alu instid0(VALU_DEP_1) | instskip(NEXT) | instid1(VALU_DEP_1)
	v_fmac_f32_e32 v4, v91, v83
	v_fmac_f32_e32 v4, v92, v84
	s_waitcnt vmcnt(6)
	s_delay_alu instid0(VALU_DEP_1) | instskip(SKIP_3) | instid1(VALU_DEP_1)
	v_fmac_f32_e32 v4, v93, v85
	ds_load_2addr_b64 v[82:85], v2 offset0:29 offset1:30
	s_waitcnt lgkmcnt(1)
	v_fmac_f32_e32 v4, v94, v86
	v_fmac_f32_e32 v4, v95, v87
	s_delay_alu instid0(VALU_DEP_1) | instskip(SKIP_1) | instid1(VALU_DEP_1)
	v_fmac_f32_e32 v4, v96, v88
	s_waitcnt vmcnt(5)
	v_fmac_f32_e32 v4, v97, v89
	ds_load_2addr_b64 v[86:89], v2 offset0:31 offset1:32
	s_waitcnt lgkmcnt(1)
	v_fmac_f32_e32 v4, v98, v82
	;; [unrolled: 17-line block ×3, first 2 shown]
	s_delay_alu instid0(VALU_DEP_1) | instskip(NEXT) | instid1(VALU_DEP_1)
	v_fmac_f32_e32 v4, v107, v83
	v_fmac_f32_e32 v4, v108, v84
	s_waitcnt vmcnt(2)
	s_delay_alu instid0(VALU_DEP_1) | instskip(SKIP_3) | instid1(VALU_DEP_1)
	v_fmac_f32_e32 v4, v109, v85
	ds_load_2addr_b64 v[82:85], v2 offset0:37 offset1:38
	s_waitcnt lgkmcnt(1)
	v_fmac_f32_e32 v4, v110, v86
	v_fmac_f32_e32 v4, v111, v87
	s_delay_alu instid0(VALU_DEP_1) | instskip(SKIP_1) | instid1(VALU_DEP_1)
	v_fmac_f32_e32 v4, v112, v88
	s_waitcnt vmcnt(1)
	v_fmac_f32_e32 v4, v113, v89
	s_waitcnt lgkmcnt(0)
	s_delay_alu instid0(VALU_DEP_1) | instskip(NEXT) | instid1(VALU_DEP_1)
	v_fmac_f32_e32 v4, v114, v82
	v_fmac_f32_e32 v4, v115, v83
	s_delay_alu instid0(VALU_DEP_1) | instskip(SKIP_1) | instid1(VALU_DEP_1)
	v_fmac_f32_e32 v4, v116, v84
	s_waitcnt vmcnt(0)
	v_fmac_f32_e32 v4, v3, v85
	s_delay_alu instid0(VALU_DEP_1)
	v_sub_f32_e32 v2, v81, v4
	scratch_store_b32 off, v2, off offset:4
	v_cmpx_ne_u32_e32 0, v0
	s_cbranch_execz .LBB101_235
; %bb.234:
	scratch_load_b32 v0, off, off
	v_mov_b32_e32 v2, 0
	scratch_store_b32 off, v2, off
	s_waitcnt vmcnt(0)
	ds_store_b32 v1, v0
.LBB101_235:
	s_or_b32 exec_lo, exec_lo, s0
	s_waitcnt lgkmcnt(0)
	s_waitcnt_vscnt null, 0x0
	s_barrier
	buffer_gl0_inv
	s_clause 0x9
	scratch_load_b128 v[81:84], off, off
	scratch_load_b128 v[85:88], off, off offset:16
	scratch_load_b128 v[89:92], off, off offset:32
	;; [unrolled: 1-line block ×8, first 2 shown]
	scratch_load_b64 v[0:1], off, off offset:144
	v_mov_b32_e32 v4, 0
	ds_load_2addr_b32 v[2:3], v4 offset0:41 offset1:42
	ds_load_2addr_b32 v[117:118], v4 offset0:43 offset1:44
	;; [unrolled: 1-line block ×4, first 2 shown]
	s_and_b32 vcc_lo, exec_lo, s12
	s_waitcnt vmcnt(9) lgkmcnt(3)
	v_fma_f32 v123, v82, v2, 0
	s_delay_alu instid0(VALU_DEP_1)
	v_fmac_f32_e32 v123, v83, v3
	ds_load_2addr_b32 v[2:3], v4 offset0:49 offset1:50
	ds_load_2addr_b32 v[82:83], v4 offset0:51 offset1:52
	s_waitcnt lgkmcnt(4)
	v_fmac_f32_e32 v123, v84, v117
	s_waitcnt vmcnt(8)
	s_delay_alu instid0(VALU_DEP_1) | instskip(SKIP_1) | instid1(VALU_DEP_1)
	v_fmac_f32_e32 v123, v85, v118
	s_waitcnt lgkmcnt(3)
	v_fmac_f32_e32 v123, v86, v119
	s_delay_alu instid0(VALU_DEP_1)
	v_fmac_f32_e32 v123, v87, v120
	ds_load_2addr_b32 v[84:85], v4 offset0:53 offset1:54
	ds_load_2addr_b32 v[86:87], v4 offset0:55 offset1:56
	s_waitcnt lgkmcnt(4)
	v_fmac_f32_e32 v123, v88, v121
	s_waitcnt vmcnt(7)
	s_delay_alu instid0(VALU_DEP_1) | instskip(SKIP_1) | instid1(VALU_DEP_1)
	v_fmac_f32_e32 v123, v89, v122
	s_waitcnt lgkmcnt(3)
	v_fmac_f32_e32 v123, v90, v2
	s_delay_alu instid0(VALU_DEP_1) | instskip(SKIP_4) | instid1(VALU_DEP_1)
	v_fmac_f32_e32 v123, v91, v3
	ds_load_2addr_b32 v[2:3], v4 offset0:57 offset1:58
	s_waitcnt lgkmcnt(3)
	v_fmac_f32_e32 v123, v92, v82
	s_waitcnt vmcnt(6)
	v_fmac_f32_e32 v123, v93, v83
	ds_load_2addr_b32 v[82:83], v4 offset0:59 offset1:60
	s_waitcnt lgkmcnt(3)
	v_fmac_f32_e32 v123, v94, v84
	s_delay_alu instid0(VALU_DEP_1) | instskip(SKIP_1) | instid1(VALU_DEP_1)
	v_fmac_f32_e32 v123, v95, v85
	s_waitcnt lgkmcnt(2)
	v_fmac_f32_e32 v123, v96, v86
	s_waitcnt vmcnt(5)
	s_delay_alu instid0(VALU_DEP_1) | instskip(SKIP_4) | instid1(VALU_DEP_1)
	v_fmac_f32_e32 v123, v97, v87
	ds_load_2addr_b32 v[84:85], v4 offset0:61 offset1:62
	ds_load_2addr_b32 v[86:87], v4 offset0:63 offset1:64
	s_waitcnt lgkmcnt(3)
	v_fmac_f32_e32 v123, v98, v2
	v_fmac_f32_e32 v123, v99, v3
	ds_load_2addr_b32 v[2:3], v4 offset0:65 offset1:66
	s_waitcnt lgkmcnt(3)
	v_fmac_f32_e32 v123, v100, v82
	s_waitcnt vmcnt(4)
	s_delay_alu instid0(VALU_DEP_1) | instskip(SKIP_3) | instid1(VALU_DEP_1)
	v_fmac_f32_e32 v123, v101, v83
	ds_load_2addr_b32 v[82:83], v4 offset0:67 offset1:68
	s_waitcnt lgkmcnt(3)
	v_fmac_f32_e32 v123, v102, v84
	v_fmac_f32_e32 v123, v103, v85
	s_waitcnt lgkmcnt(2)
	s_delay_alu instid0(VALU_DEP_1) | instskip(SKIP_1) | instid1(VALU_DEP_1)
	v_fmac_f32_e32 v123, v104, v86
	s_waitcnt vmcnt(3)
	v_fmac_f32_e32 v123, v105, v87
	ds_load_2addr_b32 v[84:85], v4 offset0:69 offset1:70
	ds_load_2addr_b32 v[86:87], v4 offset0:71 offset1:72
	s_waitcnt lgkmcnt(3)
	v_fmac_f32_e32 v123, v106, v2
	s_delay_alu instid0(VALU_DEP_1) | instskip(SKIP_4) | instid1(VALU_DEP_1)
	v_fmac_f32_e32 v123, v107, v3
	ds_load_2addr_b32 v[2:3], v4 offset0:73 offset1:74
	s_waitcnt lgkmcnt(3)
	v_fmac_f32_e32 v123, v108, v82
	s_waitcnt vmcnt(2)
	v_fmac_f32_e32 v123, v109, v83
	ds_load_2addr_b32 v[82:83], v4 offset0:75 offset1:76
	ds_load_b32 v4, v4 offset:308
	s_waitcnt lgkmcnt(4)
	v_fmac_f32_e32 v123, v110, v84
	s_delay_alu instid0(VALU_DEP_1) | instskip(SKIP_1) | instid1(VALU_DEP_1)
	v_fmac_f32_e32 v123, v111, v85
	s_waitcnt lgkmcnt(3)
	v_fmac_f32_e32 v123, v112, v86
	s_waitcnt vmcnt(1)
	s_delay_alu instid0(VALU_DEP_1) | instskip(SKIP_1) | instid1(VALU_DEP_1)
	v_fmac_f32_e32 v123, v113, v87
	s_waitcnt lgkmcnt(2)
	v_fmac_f32_e32 v123, v114, v2
	s_delay_alu instid0(VALU_DEP_1) | instskip(SKIP_1) | instid1(VALU_DEP_1)
	v_fmac_f32_e32 v123, v115, v3
	s_waitcnt lgkmcnt(1)
	v_fmac_f32_e32 v123, v116, v82
	s_waitcnt vmcnt(0)
	s_delay_alu instid0(VALU_DEP_1) | instskip(SKIP_1) | instid1(VALU_DEP_1)
	v_fmac_f32_e32 v123, v0, v83
	s_waitcnt lgkmcnt(0)
	v_fmac_f32_e32 v123, v1, v4
	s_delay_alu instid0(VALU_DEP_1)
	v_sub_f32_e32 v1, v81, v123
	scratch_store_b32 off, v1, off
	s_cbranch_vccz .LBB101_311
; %bb.236:
	v_dual_mov_b32 v1, s2 :: v_dual_mov_b32 v2, s3
	s_mov_b32 s0, exec_lo
	flat_load_b32 v1, v[1:2] offset:144
	s_waitcnt vmcnt(0) lgkmcnt(0)
	v_cmpx_ne_u32_e32 37, v1
	s_cbranch_execz .LBB101_238
; %bb.237:
	v_lshl_add_u32 v1, v1, 2, 0
	scratch_load_b32 v2, v1, off offset:-4
	s_waitcnt vmcnt(0)
	scratch_store_b32 off, v2, off offset:144
	scratch_store_b32 v1, v0, off offset:-4
.LBB101_238:
	s_or_b32 exec_lo, exec_lo, s0
	v_dual_mov_b32 v0, s2 :: v_dual_mov_b32 v1, s3
	s_mov_b32 s0, exec_lo
	flat_load_b32 v0, v[0:1] offset:140
	s_waitcnt vmcnt(0) lgkmcnt(0)
	v_cmpx_ne_u32_e32 36, v0
	s_cbranch_execz .LBB101_240
; %bb.239:
	v_lshl_add_u32 v0, v0, 2, 0
	scratch_load_b32 v1, v0, off offset:-4
	scratch_load_b32 v2, off, off offset:140
	s_waitcnt vmcnt(1)
	scratch_store_b32 off, v1, off offset:140
	s_waitcnt vmcnt(0)
	scratch_store_b32 v0, v2, off offset:-4
.LBB101_240:
	s_or_b32 exec_lo, exec_lo, s0
	v_dual_mov_b32 v0, s2 :: v_dual_mov_b32 v1, s3
	s_mov_b32 s0, exec_lo
	flat_load_b32 v0, v[0:1] offset:136
	s_waitcnt vmcnt(0) lgkmcnt(0)
	v_cmpx_ne_u32_e32 35, v0
	s_cbranch_execz .LBB101_242
; %bb.241:
	v_lshl_add_u32 v0, v0, 2, 0
	scratch_load_b32 v1, v0, off offset:-4
	scratch_load_b32 v2, off, off offset:136
	s_waitcnt vmcnt(1)
	scratch_store_b32 off, v1, off offset:136
	s_waitcnt vmcnt(0)
	scratch_store_b32 v0, v2, off offset:-4
.LBB101_242:
	;; [unrolled: 16-line block ×35, first 2 shown]
	s_or_b32 exec_lo, exec_lo, s0
	v_dual_mov_b32 v0, s2 :: v_dual_mov_b32 v1, s3
	s_mov_b32 s0, exec_lo
	flat_load_b32 v0, v[0:1]
	scratch_load_b32 v1, off, off
	s_waitcnt vmcnt(1) lgkmcnt(0)
	v_cmpx_ne_u32_e32 1, v0
	s_cbranch_execz .LBB101_310
; %bb.309:
	v_lshl_add_u32 v0, v0, 2, 0
	scratch_load_b32 v2, v0, off offset:-4
	s_waitcnt vmcnt(0)
	scratch_store_b32 off, v2, off
	scratch_store_b32 v0, v1, off offset:-4
	scratch_load_b32 v1, off, off
.LBB101_310:
	s_or_b32 exec_lo, exec_lo, s0
.LBB101_311:
	s_clause 0x9
	scratch_load_b128 v[81:84], off, off offset:4
	scratch_load_b128 v[85:88], off, off offset:20
	scratch_load_b128 v[89:92], off, off offset:36
	scratch_load_b128 v[93:96], off, off offset:52
	scratch_load_b128 v[97:100], off, off offset:68
	scratch_load_b128 v[101:104], off, off offset:84
	scratch_load_b128 v[105:108], off, off offset:100
	scratch_load_b128 v[109:112], off, off offset:116
	scratch_load_b128 v[113:116], off, off offset:132
	scratch_load_b32 v0, off, off offset:148
	s_waitcnt vmcnt(10)
	global_store_b32 v[5:6], v1, off
	s_waitcnt vmcnt(9)
	s_clause 0x3
	global_store_b32 v[7:8], v81, off
	global_store_b32 v[9:10], v82, off
	global_store_b32 v[11:12], v83, off
	global_store_b32 v[13:14], v84, off
	s_waitcnt vmcnt(8)
	s_clause 0x3
	global_store_b32 v[15:16], v85, off
	global_store_b32 v[17:18], v86, off
	global_store_b32 v[19:20], v87, off
	;; [unrolled: 6-line block ×9, first 2 shown]
	global_store_b32 v[79:80], v116, off
	s_waitcnt vmcnt(0)
	global_store_b32 v[77:78], v0, off
	s_endpgm
	.section	.rodata,"a",@progbits
	.p2align	6, 0x0
	.amdhsa_kernel _ZN9rocsolver6v33100L18getri_kernel_smallILi38EfPKPfEEvT1_iilPiilS6_bb
		.amdhsa_group_segment_fixed_size 312
		.amdhsa_private_segment_fixed_size 160
		.amdhsa_kernarg_size 60
		.amdhsa_user_sgpr_count 15
		.amdhsa_user_sgpr_dispatch_ptr 0
		.amdhsa_user_sgpr_queue_ptr 0
		.amdhsa_user_sgpr_kernarg_segment_ptr 1
		.amdhsa_user_sgpr_dispatch_id 0
		.amdhsa_user_sgpr_private_segment_size 0
		.amdhsa_wavefront_size32 1
		.amdhsa_uses_dynamic_stack 0
		.amdhsa_enable_private_segment 1
		.amdhsa_system_sgpr_workgroup_id_x 1
		.amdhsa_system_sgpr_workgroup_id_y 0
		.amdhsa_system_sgpr_workgroup_id_z 0
		.amdhsa_system_sgpr_workgroup_info 0
		.amdhsa_system_vgpr_workitem_id 0
		.amdhsa_next_free_vgpr 125
		.amdhsa_next_free_sgpr 17
		.amdhsa_reserve_vcc 1
		.amdhsa_float_round_mode_32 0
		.amdhsa_float_round_mode_16_64 0
		.amdhsa_float_denorm_mode_32 3
		.amdhsa_float_denorm_mode_16_64 3
		.amdhsa_dx10_clamp 1
		.amdhsa_ieee_mode 1
		.amdhsa_fp16_overflow 0
		.amdhsa_workgroup_processor_mode 1
		.amdhsa_memory_ordered 1
		.amdhsa_forward_progress 0
		.amdhsa_shared_vgpr_count 0
		.amdhsa_exception_fp_ieee_invalid_op 0
		.amdhsa_exception_fp_denorm_src 0
		.amdhsa_exception_fp_ieee_div_zero 0
		.amdhsa_exception_fp_ieee_overflow 0
		.amdhsa_exception_fp_ieee_underflow 0
		.amdhsa_exception_fp_ieee_inexact 0
		.amdhsa_exception_int_div_zero 0
	.end_amdhsa_kernel
	.section	.text._ZN9rocsolver6v33100L18getri_kernel_smallILi38EfPKPfEEvT1_iilPiilS6_bb,"axG",@progbits,_ZN9rocsolver6v33100L18getri_kernel_smallILi38EfPKPfEEvT1_iilPiilS6_bb,comdat
.Lfunc_end101:
	.size	_ZN9rocsolver6v33100L18getri_kernel_smallILi38EfPKPfEEvT1_iilPiilS6_bb, .Lfunc_end101-_ZN9rocsolver6v33100L18getri_kernel_smallILi38EfPKPfEEvT1_iilPiilS6_bb
                                        ; -- End function
	.section	.AMDGPU.csdata,"",@progbits
; Kernel info:
; codeLenInByte = 25260
; NumSgprs: 19
; NumVgprs: 125
; ScratchSize: 160
; MemoryBound: 0
; FloatMode: 240
; IeeeMode: 1
; LDSByteSize: 312 bytes/workgroup (compile time only)
; SGPRBlocks: 2
; VGPRBlocks: 15
; NumSGPRsForWavesPerEU: 19
; NumVGPRsForWavesPerEU: 125
; Occupancy: 10
; WaveLimiterHint : 1
; COMPUTE_PGM_RSRC2:SCRATCH_EN: 1
; COMPUTE_PGM_RSRC2:USER_SGPR: 15
; COMPUTE_PGM_RSRC2:TRAP_HANDLER: 0
; COMPUTE_PGM_RSRC2:TGID_X_EN: 1
; COMPUTE_PGM_RSRC2:TGID_Y_EN: 0
; COMPUTE_PGM_RSRC2:TGID_Z_EN: 0
; COMPUTE_PGM_RSRC2:TIDIG_COMP_CNT: 0
	.section	.text._ZN9rocsolver6v33100L18getri_kernel_smallILi39EfPKPfEEvT1_iilPiilS6_bb,"axG",@progbits,_ZN9rocsolver6v33100L18getri_kernel_smallILi39EfPKPfEEvT1_iilPiilS6_bb,comdat
	.globl	_ZN9rocsolver6v33100L18getri_kernel_smallILi39EfPKPfEEvT1_iilPiilS6_bb ; -- Begin function _ZN9rocsolver6v33100L18getri_kernel_smallILi39EfPKPfEEvT1_iilPiilS6_bb
	.p2align	8
	.type	_ZN9rocsolver6v33100L18getri_kernel_smallILi39EfPKPfEEvT1_iilPiilS6_bb,@function
_ZN9rocsolver6v33100L18getri_kernel_smallILi39EfPKPfEEvT1_iilPiilS6_bb: ; @_ZN9rocsolver6v33100L18getri_kernel_smallILi39EfPKPfEEvT1_iilPiilS6_bb
; %bb.0:
	s_mov_b32 s2, exec_lo
	v_cmpx_gt_u32_e32 39, v0
	s_cbranch_execz .LBB102_164
; %bb.1:
	s_clause 0x1
	s_load_b32 s13, s[0:1], 0x38
	s_load_b64 s[2:3], s[0:1], 0x0
	s_mov_b32 s8, s15
	s_load_b128 s[4:7], s[0:1], 0x28
	s_waitcnt lgkmcnt(0)
	s_bitcmp1_b32 s13, 8
	s_cselect_b32 s12, -1, 0
	s_ashr_i32 s9, s15, 31
	s_delay_alu instid0(SALU_CYCLE_1) | instskip(NEXT) | instid1(SALU_CYCLE_1)
	s_lshl_b64 s[10:11], s[8:9], 3
	s_add_u32 s2, s2, s10
	s_addc_u32 s3, s3, s11
	s_load_b64 s[10:11], s[2:3], 0x0
	s_bfe_u32 s2, s13, 0x10008
	s_delay_alu instid0(SALU_CYCLE_1)
	s_cmp_eq_u32 s2, 0
                                        ; implicit-def: $sgpr2_sgpr3
	s_cbranch_scc1 .LBB102_3
; %bb.2:
	s_clause 0x1
	s_load_b32 s2, s[0:1], 0x20
	s_load_b64 s[14:15], s[0:1], 0x18
	s_mul_i32 s3, s8, s5
	s_mul_hi_u32 s5, s8, s4
	s_mul_i32 s16, s9, s4
	s_add_i32 s3, s5, s3
	s_mul_i32 s4, s8, s4
	s_add_i32 s5, s3, s16
	s_delay_alu instid0(SALU_CYCLE_1)
	s_lshl_b64 s[4:5], s[4:5], 2
	s_waitcnt lgkmcnt(0)
	s_ashr_i32 s3, s2, 31
	s_add_u32 s4, s14, s4
	s_addc_u32 s5, s15, s5
	s_lshl_b64 s[2:3], s[2:3], 2
	s_delay_alu instid0(SALU_CYCLE_1)
	s_add_u32 s2, s4, s2
	s_addc_u32 s3, s5, s3
.LBB102_3:
	s_load_b64 s[0:1], s[0:1], 0x8
	v_lshlrev_b32_e32 v83, 2, v0
	s_waitcnt lgkmcnt(0)
	v_add3_u32 v2, s1, s1, v0
	s_ashr_i32 s5, s0, 31
	s_mov_b32 s4, s0
	s_mov_b32 s14, s1
	s_lshl_b64 s[4:5], s[4:5], 2
	v_add_nc_u32_e32 v9, s1, v2
	v_ashrrev_i32_e32 v3, 31, v2
	s_add_u32 s4, s10, s4
	s_addc_u32 s5, s11, s5
	v_add_co_u32 v5, s0, s4, v83
	v_add_nc_u32_e32 v11, s1, v9
	v_ashrrev_i32_e32 v10, 31, v9
	s_ashr_i32 s15, s1, 31
	v_add_co_ci_u32_e64 v6, null, s5, 0, s0
	s_delay_alu instid0(VALU_DEP_3)
	v_add_nc_u32_e32 v13, s1, v11
	v_lshlrev_b64 v[2:3], 2, v[2:3]
	s_lshl_b64 s[10:11], s[14:15], 2
	v_lshlrev_b64 v[34:35], 2, v[9:10]
	v_add_co_u32 v7, vcc_lo, v5, s10
	v_add_nc_u32_e32 v15, s1, v13
	v_ashrrev_i32_e32 v12, 31, v11
	v_add_co_ci_u32_e32 v8, vcc_lo, s11, v6, vcc_lo
	v_add_co_u32 v9, vcc_lo, s4, v2
	s_delay_alu instid0(VALU_DEP_4) | instskip(SKIP_3) | instid1(VALU_DEP_4)
	v_add_nc_u32_e32 v17, s1, v15
	v_ashrrev_i32_e32 v14, 31, v13
	v_add_co_ci_u32_e32 v10, vcc_lo, s5, v3, vcc_lo
	v_lshlrev_b64 v[2:3], 2, v[11:12]
	v_add_nc_u32_e32 v19, s1, v17
	v_add_co_u32 v11, vcc_lo, s4, v34
	v_add_co_ci_u32_e32 v12, vcc_lo, s5, v35, vcc_lo
	s_delay_alu instid0(VALU_DEP_3) | instskip(SKIP_3) | instid1(VALU_DEP_4)
	v_add_nc_u32_e32 v21, s1, v19
	v_lshlrev_b64 v[34:35], 2, v[13:14]
	v_ashrrev_i32_e32 v16, 31, v15
	v_add_co_u32 v13, vcc_lo, s4, v2
	v_add_nc_u32_e32 v23, s1, v21
	v_ashrrev_i32_e32 v18, 31, v17
	v_add_co_ci_u32_e32 v14, vcc_lo, s5, v3, vcc_lo
	v_lshlrev_b64 v[2:3], 2, v[15:16]
	s_delay_alu instid0(VALU_DEP_4) | instskip(SKIP_2) | instid1(VALU_DEP_3)
	v_add_nc_u32_e32 v25, s1, v23
	v_add_co_u32 v15, vcc_lo, s4, v34
	v_add_co_ci_u32_e32 v16, vcc_lo, s5, v35, vcc_lo
	v_add_nc_u32_e32 v27, s1, v25
	v_lshlrev_b64 v[34:35], 2, v[17:18]
	v_ashrrev_i32_e32 v20, 31, v19
	v_add_co_u32 v17, vcc_lo, s4, v2
	s_delay_alu instid0(VALU_DEP_4) | instskip(SKIP_3) | instid1(VALU_DEP_4)
	v_add_nc_u32_e32 v29, s1, v27
	v_ashrrev_i32_e32 v22, 31, v21
	v_add_co_ci_u32_e32 v18, vcc_lo, s5, v3, vcc_lo
	v_lshlrev_b64 v[2:3], 2, v[19:20]
	v_add_nc_u32_e32 v31, s1, v29
	v_add_co_u32 v19, vcc_lo, s4, v34
	v_ashrrev_i32_e32 v24, 31, v23
	v_add_co_ci_u32_e32 v20, vcc_lo, s5, v35, vcc_lo
	s_delay_alu instid0(VALU_DEP_4) | instskip(SKIP_3) | instid1(VALU_DEP_4)
	v_add_nc_u32_e32 v33, s1, v31
	v_lshlrev_b64 v[34:35], 2, v[21:22]
	v_add_co_u32 v21, vcc_lo, s4, v2
	v_lshlrev_b64 v[49:50], 2, v[23:24]
	v_add_nc_u32_e32 v36, s1, v33
	v_ashrrev_i32_e32 v26, 31, v25
	v_add_co_ci_u32_e32 v22, vcc_lo, s5, v3, vcc_lo
	v_add_co_u32 v23, vcc_lo, s4, v34
	s_delay_alu instid0(VALU_DEP_4) | instskip(SKIP_3) | instid1(VALU_DEP_4)
	v_add_nc_u32_e32 v38, s1, v36
	v_ashrrev_i32_e32 v28, 31, v27
	v_add_co_ci_u32_e32 v24, vcc_lo, s5, v35, vcc_lo
	v_lshlrev_b64 v[34:35], 2, v[25:26]
	v_add_nc_u32_e32 v40, s1, v38
	v_add_co_u32 v25, vcc_lo, s4, v49
	v_ashrrev_i32_e32 v30, 31, v29
	v_add_co_ci_u32_e32 v26, vcc_lo, s5, v50, vcc_lo
	s_delay_alu instid0(VALU_DEP_4) | instskip(SKIP_3) | instid1(VALU_DEP_4)
	v_add_nc_u32_e32 v42, s1, v40
	v_lshlrev_b64 v[49:50], 2, v[27:28]
	v_add_co_u32 v27, vcc_lo, s4, v34
	v_lshlrev_b64 v[54:55], 2, v[29:30]
	v_add_nc_u32_e32 v44, s1, v42
	v_ashrrev_i32_e32 v32, 31, v31
	v_add_co_ci_u32_e32 v28, vcc_lo, s5, v35, vcc_lo
	v_add_co_u32 v29, vcc_lo, s4, v49
	s_delay_alu instid0(VALU_DEP_4) | instskip(SKIP_3) | instid1(VALU_DEP_4)
	v_add_nc_u32_e32 v46, s1, v44
	v_ashrrev_i32_e32 v34, 31, v33
	v_add_co_ci_u32_e32 v30, vcc_lo, s5, v50, vcc_lo
	v_lshlrev_b64 v[49:50], 2, v[31:32]
	v_add_nc_u32_e32 v48, s1, v46
	v_add_co_u32 v31, vcc_lo, s4, v54
	v_add_co_ci_u32_e32 v32, vcc_lo, s5, v55, vcc_lo
	s_delay_alu instid0(VALU_DEP_3) | instskip(SKIP_3) | instid1(VALU_DEP_4)
	v_add_nc_u32_e32 v51, s1, v48
	v_lshlrev_b64 v[54:55], 2, v[33:34]
	v_ashrrev_i32_e32 v37, 31, v36
	v_add_co_u32 v33, vcc_lo, s4, v49
	v_add_nc_u32_e32 v53, s1, v51
	v_ashrrev_i32_e32 v39, 31, v38
	v_add_co_ci_u32_e32 v34, vcc_lo, s5, v50, vcc_lo
	v_lshlrev_b64 v[49:50], 2, v[36:37]
	s_delay_alu instid0(VALU_DEP_4) | instskip(SKIP_2) | instid1(VALU_DEP_3)
	v_add_nc_u32_e32 v57, s1, v53
	v_add_co_u32 v35, vcc_lo, s4, v54
	v_add_co_ci_u32_e32 v36, vcc_lo, s5, v55, vcc_lo
	v_add_nc_u32_e32 v59, s1, v57
	v_lshlrev_b64 v[54:55], 2, v[38:39]
	v_ashrrev_i32_e32 v41, 31, v40
	v_add_co_u32 v37, vcc_lo, s4, v49
	s_delay_alu instid0(VALU_DEP_4) | instskip(SKIP_3) | instid1(VALU_DEP_4)
	v_add_nc_u32_e32 v61, s1, v59
	v_ashrrev_i32_e32 v43, 31, v42
	v_add_co_ci_u32_e32 v38, vcc_lo, s5, v50, vcc_lo
	v_lshlrev_b64 v[49:50], 2, v[40:41]
	v_add_nc_u32_e32 v63, s1, v61
	v_add_co_u32 v39, vcc_lo, s4, v54
	v_add_co_ci_u32_e32 v40, vcc_lo, s5, v55, vcc_lo
	s_delay_alu instid0(VALU_DEP_3) | instskip(SKIP_3) | instid1(VALU_DEP_4)
	v_add_nc_u32_e32 v65, s1, v63
	v_lshlrev_b64 v[54:55], 2, v[42:43]
	v_ashrrev_i32_e32 v45, 31, v44
	v_add_co_u32 v41, vcc_lo, s4, v49
	v_add_nc_u32_e32 v67, s1, v65
	v_ashrrev_i32_e32 v47, 31, v46
	v_add_co_ci_u32_e32 v42, vcc_lo, s5, v50, vcc_lo
	v_lshlrev_b64 v[76:77], 2, v[44:45]
	s_delay_alu instid0(VALU_DEP_4) | instskip(SKIP_2) | instid1(VALU_DEP_3)
	v_add_nc_u32_e32 v69, s1, v67
	v_add_co_u32 v43, vcc_lo, s4, v54
	v_add_co_ci_u32_e32 v44, vcc_lo, s5, v55, vcc_lo
	v_add_nc_u32_e32 v71, s1, v69
	v_lshlrev_b64 v[54:55], 2, v[46:47]
	v_ashrrev_i32_e32 v49, 31, v48
	v_add_co_u32 v45, vcc_lo, s4, v76
	s_delay_alu instid0(VALU_DEP_4) | instskip(SKIP_3) | instid1(VALU_DEP_4)
	v_add_nc_u32_e32 v73, s1, v71
	v_add_co_ci_u32_e32 v46, vcc_lo, s5, v77, vcc_lo
	v_ashrrev_i32_e32 v52, 31, v51
	v_add_co_u32 v47, vcc_lo, s4, v54
	v_add_nc_u32_e32 v75, s1, v73
	v_lshlrev_b64 v[49:50], 2, v[48:49]
	v_add_co_ci_u32_e32 v48, vcc_lo, s5, v55, vcc_lo
	v_lshlrev_b64 v[51:52], 2, v[51:52]
	s_delay_alu instid0(VALU_DEP_4) | instskip(SKIP_3) | instid1(VALU_DEP_4)
	v_add_nc_u32_e32 v78, s1, v75
	v_ashrrev_i32_e32 v54, 31, v53
	v_add_co_u32 v49, vcc_lo, s4, v49
	v_add_co_ci_u32_e32 v50, vcc_lo, s5, v50, vcc_lo
	v_add_nc_u32_e32 v80, s1, v78
	s_delay_alu instid0(VALU_DEP_4) | instskip(SKIP_2) | instid1(VALU_DEP_4)
	v_lshlrev_b64 v[76:77], 2, v[53:54]
	v_ashrrev_i32_e32 v58, 31, v57
	v_add_co_u32 v53, vcc_lo, s4, v51
	v_add_nc_u32_e32 v113, s1, v80
	v_add_co_ci_u32_e32 v54, vcc_lo, s5, v52, vcc_lo
	v_ashrrev_i32_e32 v60, 31, v59
	v_lshlrev_b64 v[57:58], 2, v[57:58]
	s_delay_alu instid0(VALU_DEP_4)
	v_add_nc_u32_e32 v55, s1, v113
	v_ashrrev_i32_e32 v62, 31, v61
	v_ashrrev_i32_e32 v64, 31, v63
	v_lshlrev_b64 v[59:60], 2, v[59:60]
	v_ashrrev_i32_e32 v66, 31, v65
	v_ashrrev_i32_e32 v56, 31, v55
	v_lshlrev_b64 v[61:62], 2, v[61:62]
	v_lshlrev_b64 v[63:64], 2, v[63:64]
	v_ashrrev_i32_e32 v68, 31, v67
	v_lshlrev_b64 v[65:66], 2, v[65:66]
	v_lshlrev_b64 v[51:52], 2, v[55:56]
	v_add_co_u32 v55, vcc_lo, s4, v76
	v_add_co_ci_u32_e32 v56, vcc_lo, s5, v77, vcc_lo
	v_ashrrev_i32_e32 v70, 31, v69
	s_delay_alu instid0(VALU_DEP_4)
	v_add_co_u32 v51, vcc_lo, s4, v51
	v_add_co_ci_u32_e32 v52, vcc_lo, s5, v52, vcc_lo
	v_add_co_u32 v57, vcc_lo, s4, v57
	v_add_co_ci_u32_e32 v58, vcc_lo, s5, v58, vcc_lo
	;; [unrolled: 2-line block ×4, first 2 shown]
	v_add_co_u32 v63, vcc_lo, s4, v63
	v_lshlrev_b64 v[67:68], 2, v[67:68]
	v_ashrrev_i32_e32 v72, 31, v71
	v_add_co_ci_u32_e32 v64, vcc_lo, s5, v64, vcc_lo
	v_add_co_u32 v65, vcc_lo, s4, v65
	v_lshlrev_b64 v[69:70], 2, v[69:70]
	v_ashrrev_i32_e32 v74, 31, v73
	v_add_co_ci_u32_e32 v66, vcc_lo, s5, v66, vcc_lo
	;; [unrolled: 4-line block ×6, first 2 shown]
	v_add_co_u32 v75, vcc_lo, s4, v75
	v_lshlrev_b64 v[79:80], 2, v[80:81]
	v_add_co_ci_u32_e32 v76, vcc_lo, s5, v76, vcc_lo
	v_add_co_u32 v77, vcc_lo, s4, v77
	v_lshlrev_b64 v[81:82], 2, v[113:114]
	v_add_co_ci_u32_e32 v78, vcc_lo, s5, v78, vcc_lo
	v_add_co_u32 v79, vcc_lo, s4, v79
	v_add_co_ci_u32_e32 v80, vcc_lo, s5, v80, vcc_lo
	s_delay_alu instid0(VALU_DEP_4)
	v_add_co_u32 v81, vcc_lo, s4, v81
	s_clause 0x1f
	global_load_b32 v1, v83, s[4:5]
	global_load_b32 v2, v[7:8], off
	global_load_b32 v3, v[9:10], off
	;; [unrolled: 1-line block ×32, first 2 shown]
	v_add_co_ci_u32_e32 v82, vcc_lo, s5, v82, vcc_lo
	s_clause 0x5
	global_load_b32 v113, v[73:74], off
	global_load_b32 v114, v[75:76], off
	;; [unrolled: 1-line block ×6, first 2 shown]
	s_mov_b32 s1, -1
	s_bitcmp0_b32 s13, 0
	s_waitcnt vmcnt(35)
	scratch_store_b128 off, v[1:4], off
	s_waitcnt vmcnt(31)
	scratch_store_b128 off, v[84:87], off offset:16
	s_waitcnt vmcnt(27)
	scratch_store_b128 off, v[88:91], off offset:32
	;; [unrolled: 2-line block ×8, first 2 shown]
	s_waitcnt vmcnt(0)
	scratch_store_b96 off, v[116:118], off offset:144
	s_cbranch_scc1 .LBB102_162
; %bb.4:
	v_cmp_eq_u32_e64 s0, 0, v0
	s_delay_alu instid0(VALU_DEP_1)
	s_and_saveexec_b32 s1, s0
	s_cbranch_execz .LBB102_6
; %bb.5:
	v_mov_b32_e32 v1, 0
	ds_store_b32 v1, v1 offset:156
.LBB102_6:
	s_or_b32 exec_lo, exec_lo, s1
	s_waitcnt lgkmcnt(0)
	s_waitcnt_vscnt null, 0x0
	s_barrier
	buffer_gl0_inv
	scratch_load_b32 v1, v83, off
	s_mov_b32 s4, exec_lo
	s_waitcnt vmcnt(0)
	v_cmpx_eq_f32_e32 0, v1
	s_cbranch_execz .LBB102_10
; %bb.7:
	v_mov_b32_e32 v1, 0
	s_mov_b32 s5, 0
	ds_load_b32 v2, v1 offset:156
	s_waitcnt lgkmcnt(0)
	v_readfirstlane_b32 s1, v2
	v_add_nc_u32_e32 v2, 1, v0
	s_delay_alu instid0(VALU_DEP_2) | instskip(NEXT) | instid1(VALU_DEP_1)
	s_cmp_eq_u32 s1, 0
	v_cmp_gt_i32_e32 vcc_lo, s1, v2
	s_cselect_b32 s10, -1, 0
	s_delay_alu instid0(SALU_CYCLE_1) | instskip(NEXT) | instid1(SALU_CYCLE_1)
	s_or_b32 s10, s10, vcc_lo
	s_and_b32 exec_lo, exec_lo, s10
	s_cbranch_execz .LBB102_10
; %bb.8:
	v_mov_b32_e32 v3, s1
.LBB102_9:                              ; =>This Inner Loop Header: Depth=1
	ds_cmpstore_rtn_b32 v3, v1, v2, v3 offset:156
	s_waitcnt lgkmcnt(0)
	v_cmp_ne_u32_e32 vcc_lo, 0, v3
	v_cmp_le_i32_e64 s1, v3, v2
	s_delay_alu instid0(VALU_DEP_1) | instskip(NEXT) | instid1(SALU_CYCLE_1)
	s_and_b32 s1, vcc_lo, s1
	s_and_b32 s1, exec_lo, s1
	s_delay_alu instid0(SALU_CYCLE_1) | instskip(NEXT) | instid1(SALU_CYCLE_1)
	s_or_b32 s5, s1, s5
	s_and_not1_b32 exec_lo, exec_lo, s5
	s_cbranch_execnz .LBB102_9
.LBB102_10:
	s_or_b32 exec_lo, exec_lo, s4
	v_mov_b32_e32 v1, 0
	s_barrier
	buffer_gl0_inv
	ds_load_b32 v2, v1 offset:156
	s_and_saveexec_b32 s1, s0
	s_cbranch_execz .LBB102_12
; %bb.11:
	s_lshl_b64 s[4:5], s[8:9], 2
	s_delay_alu instid0(SALU_CYCLE_1)
	s_add_u32 s4, s6, s4
	s_addc_u32 s5, s7, s5
	s_waitcnt lgkmcnt(0)
	global_store_b32 v1, v2, s[4:5]
.LBB102_12:
	s_or_b32 exec_lo, exec_lo, s1
	s_waitcnt lgkmcnt(0)
	v_cmp_ne_u32_e32 vcc_lo, 0, v2
	s_mov_b32 s1, 0
	s_cbranch_vccnz .LBB102_162
; %bb.13:
	v_add_nc_u32_e32 v1, 0, v83
	scratch_load_b32 v2, v1, off
	s_waitcnt vmcnt(0)
	v_div_scale_f32 v3, null, v2, v2, 1.0
	v_div_scale_f32 v85, vcc_lo, 1.0, v2, 1.0
	s_delay_alu instid0(VALU_DEP_2) | instskip(SKIP_2) | instid1(VALU_DEP_1)
	v_rcp_f32_e32 v4, v3
	s_waitcnt_depctr 0xfff
	v_fma_f32 v84, -v3, v4, 1.0
	v_fmac_f32_e32 v4, v84, v4
	s_delay_alu instid0(VALU_DEP_1) | instskip(NEXT) | instid1(VALU_DEP_1)
	v_mul_f32_e32 v84, v85, v4
	v_fma_f32 v86, -v3, v84, v85
	s_delay_alu instid0(VALU_DEP_1) | instskip(NEXT) | instid1(VALU_DEP_1)
	v_fmac_f32_e32 v84, v86, v4
	v_fma_f32 v3, -v3, v84, v85
	s_delay_alu instid0(VALU_DEP_1) | instskip(NEXT) | instid1(VALU_DEP_1)
	v_div_fmas_f32 v3, v3, v4, v84
	v_div_fixup_f32 v2, v3, v2, 1.0
	scratch_store_b32 v1, v2, off
	scratch_load_b32 v3, off, off offset:4
	v_xor_b32_e32 v4, 0x80000000, v2
	v_add_nc_u32_e32 v2, 0xa0, v83
	s_waitcnt vmcnt(0)
	ds_store_2addr_b32 v83, v4, v3 offset1:40
	s_waitcnt lgkmcnt(0)
	s_waitcnt_vscnt null, 0x0
	s_barrier
	buffer_gl0_inv
	s_and_saveexec_b32 s1, s0
	s_cbranch_execz .LBB102_15
; %bb.14:
	scratch_load_b32 v3, v1, off
	ds_load_b32 v4, v2
	v_mov_b32_e32 v84, 0
	ds_load_b32 v84, v84 offset:4
	s_waitcnt vmcnt(0) lgkmcnt(1)
	v_fma_f32 v3, v3, v4, 0
	s_waitcnt lgkmcnt(0)
	s_delay_alu instid0(VALU_DEP_1)
	v_mul_f32_e32 v3, v3, v84
	scratch_store_b32 off, v3, off offset:4
.LBB102_15:
	s_or_b32 exec_lo, exec_lo, s1
	s_waitcnt_vscnt null, 0x0
	s_barrier
	buffer_gl0_inv
	scratch_load_b32 v3, off, off offset:8
	s_mov_b32 s1, exec_lo
	s_waitcnt vmcnt(0)
	ds_store_b32 v2, v3
	s_waitcnt lgkmcnt(0)
	s_barrier
	buffer_gl0_inv
	v_cmpx_gt_u32_e32 2, v0
	s_cbranch_execz .LBB102_17
; %bb.16:
	scratch_load_b32 v84, v1, off
	scratch_load_b32 v85, off, off offset:4
	ds_load_b32 v86, v2
	v_mov_b32_e32 v3, 0
	ds_load_2addr_b32 v[3:4], v3 offset0:2 offset1:41
	s_waitcnt vmcnt(1) lgkmcnt(1)
	v_fma_f32 v84, v84, v86, 0
	s_waitcnt vmcnt(0) lgkmcnt(0)
	s_delay_alu instid0(VALU_DEP_1) | instskip(NEXT) | instid1(VALU_DEP_1)
	v_fma_f32 v4, v85, v4, v84
	v_cndmask_b32_e64 v4, v84, v4, s0
	s_delay_alu instid0(VALU_DEP_1)
	v_mul_f32_e32 v3, v4, v3
	scratch_store_b32 off, v3, off offset:8
.LBB102_17:
	s_or_b32 exec_lo, exec_lo, s1
	s_waitcnt_vscnt null, 0x0
	s_barrier
	buffer_gl0_inv
	scratch_load_b32 v4, off, off offset:12
	v_add_nc_u32_e32 v3, -1, v0
	s_mov_b32 s0, exec_lo
	s_waitcnt vmcnt(0)
	ds_store_b32 v2, v4
	s_waitcnt lgkmcnt(0)
	s_barrier
	buffer_gl0_inv
	v_cmpx_gt_u32_e32 3, v0
	s_cbranch_execz .LBB102_21
; %bb.18:
	v_add_nc_u32_e32 v84, -1, v0
	v_dual_mov_b32 v4, 0 :: v_dual_add_nc_u32 v85, 0xa0, v83
	v_add_nc_u32_e32 v86, 0, v83
	s_mov_b32 s1, 0
.LBB102_19:                             ; =>This Inner Loop Header: Depth=1
	scratch_load_b32 v87, v86, off
	ds_load_b32 v88, v85
	v_add_nc_u32_e32 v84, 1, v84
	v_add_nc_u32_e32 v85, 4, v85
	v_add_nc_u32_e32 v86, 4, v86
	s_delay_alu instid0(VALU_DEP_3)
	v_cmp_lt_u32_e32 vcc_lo, 1, v84
	s_or_b32 s1, vcc_lo, s1
	s_waitcnt vmcnt(0) lgkmcnt(0)
	v_fmac_f32_e32 v4, v87, v88
	s_and_not1_b32 exec_lo, exec_lo, s1
	s_cbranch_execnz .LBB102_19
; %bb.20:
	s_or_b32 exec_lo, exec_lo, s1
	v_mov_b32_e32 v84, 0
	ds_load_b32 v84, v84 offset:12
	s_waitcnt lgkmcnt(0)
	v_mul_f32_e32 v4, v4, v84
	scratch_store_b32 off, v4, off offset:12
.LBB102_21:
	s_or_b32 exec_lo, exec_lo, s0
	s_waitcnt_vscnt null, 0x0
	s_barrier
	buffer_gl0_inv
	scratch_load_b32 v4, off, off offset:16
	s_mov_b32 s0, exec_lo
	s_waitcnt vmcnt(0)
	ds_store_b32 v2, v4
	s_waitcnt lgkmcnt(0)
	s_barrier
	buffer_gl0_inv
	v_cmpx_gt_u32_e32 4, v0
	s_cbranch_execz .LBB102_25
; %bb.22:
	v_add_nc_u32_e32 v84, -1, v0
	v_dual_mov_b32 v4, 0 :: v_dual_add_nc_u32 v85, 0xa0, v83
	v_add_nc_u32_e32 v86, 0, v83
	s_mov_b32 s1, 0
.LBB102_23:                             ; =>This Inner Loop Header: Depth=1
	scratch_load_b32 v87, v86, off
	ds_load_b32 v88, v85
	v_add_nc_u32_e32 v84, 1, v84
	v_add_nc_u32_e32 v85, 4, v85
	v_add_nc_u32_e32 v86, 4, v86
	s_delay_alu instid0(VALU_DEP_3)
	v_cmp_lt_u32_e32 vcc_lo, 2, v84
	s_or_b32 s1, vcc_lo, s1
	s_waitcnt vmcnt(0) lgkmcnt(0)
	v_fmac_f32_e32 v4, v87, v88
	s_and_not1_b32 exec_lo, exec_lo, s1
	s_cbranch_execnz .LBB102_23
; %bb.24:
	s_or_b32 exec_lo, exec_lo, s1
	v_mov_b32_e32 v84, 0
	ds_load_b32 v84, v84 offset:16
	s_waitcnt lgkmcnt(0)
	v_mul_f32_e32 v4, v4, v84
	scratch_store_b32 off, v4, off offset:16
.LBB102_25:
	s_or_b32 exec_lo, exec_lo, s0
	s_waitcnt_vscnt null, 0x0
	s_barrier
	buffer_gl0_inv
	scratch_load_b32 v4, off, off offset:20
	;; [unrolled: 39-line block ×21, first 2 shown]
	s_mov_b32 s0, exec_lo
	s_waitcnt vmcnt(0)
	ds_store_b32 v2, v4
	s_waitcnt lgkmcnt(0)
	s_barrier
	buffer_gl0_inv
	v_cmpx_gt_u32_e32 24, v0
	s_cbranch_execz .LBB102_105
; %bb.102:
	v_add_nc_u32_e32 v84, -1, v0
	v_dual_mov_b32 v4, 0 :: v_dual_add_nc_u32 v85, 0xa0, v83
	v_add_nc_u32_e32 v86, 0, v83
	s_mov_b32 s1, 0
.LBB102_103:                            ; =>This Inner Loop Header: Depth=1
	scratch_load_b32 v87, v86, off
	ds_load_b32 v88, v85
	v_add_nc_u32_e32 v84, 1, v84
	v_add_nc_u32_e32 v85, 4, v85
	v_add_nc_u32_e32 v86, 4, v86
	s_delay_alu instid0(VALU_DEP_3)
	v_cmp_lt_u32_e32 vcc_lo, 22, v84
	s_or_b32 s1, vcc_lo, s1
	s_waitcnt vmcnt(0) lgkmcnt(0)
	v_fmac_f32_e32 v4, v87, v88
	s_and_not1_b32 exec_lo, exec_lo, s1
	s_cbranch_execnz .LBB102_103
; %bb.104:
	s_or_b32 exec_lo, exec_lo, s1
	v_mov_b32_e32 v84, 0
	ds_load_b32 v84, v84 offset:96
	s_waitcnt lgkmcnt(0)
	v_mul_f32_e32 v4, v4, v84
	scratch_store_b32 off, v4, off offset:96
.LBB102_105:
	s_or_b32 exec_lo, exec_lo, s0
	s_waitcnt_vscnt null, 0x0
	s_barrier
	buffer_gl0_inv
	scratch_load_b32 v4, off, off offset:100
	s_mov_b32 s0, exec_lo
	s_waitcnt vmcnt(0)
	ds_store_b32 v2, v4
	s_waitcnt lgkmcnt(0)
	s_barrier
	buffer_gl0_inv
	v_cmpx_gt_u32_e32 25, v0
	s_cbranch_execz .LBB102_109
; %bb.106:
	v_add_nc_u32_e32 v84, -1, v0
	v_dual_mov_b32 v4, 0 :: v_dual_add_nc_u32 v85, 0xa0, v83
	v_add_nc_u32_e32 v86, 0, v83
	s_mov_b32 s1, 0
.LBB102_107:                            ; =>This Inner Loop Header: Depth=1
	scratch_load_b32 v87, v86, off
	ds_load_b32 v88, v85
	v_add_nc_u32_e32 v84, 1, v84
	v_add_nc_u32_e32 v85, 4, v85
	v_add_nc_u32_e32 v86, 4, v86
	s_delay_alu instid0(VALU_DEP_3)
	v_cmp_lt_u32_e32 vcc_lo, 23, v84
	s_or_b32 s1, vcc_lo, s1
	s_waitcnt vmcnt(0) lgkmcnt(0)
	v_fmac_f32_e32 v4, v87, v88
	s_and_not1_b32 exec_lo, exec_lo, s1
	s_cbranch_execnz .LBB102_107
; %bb.108:
	s_or_b32 exec_lo, exec_lo, s1
	v_mov_b32_e32 v84, 0
	ds_load_b32 v84, v84 offset:100
	s_waitcnt lgkmcnt(0)
	v_mul_f32_e32 v4, v4, v84
	scratch_store_b32 off, v4, off offset:100
.LBB102_109:
	s_or_b32 exec_lo, exec_lo, s0
	s_waitcnt_vscnt null, 0x0
	s_barrier
	buffer_gl0_inv
	scratch_load_b32 v4, off, off offset:104
	s_mov_b32 s0, exec_lo
	s_waitcnt vmcnt(0)
	ds_store_b32 v2, v4
	s_waitcnt lgkmcnt(0)
	s_barrier
	buffer_gl0_inv
	v_cmpx_gt_u32_e32 26, v0
	s_cbranch_execz .LBB102_113
; %bb.110:
	v_add_nc_u32_e32 v84, -1, v0
	v_dual_mov_b32 v4, 0 :: v_dual_add_nc_u32 v85, 0xa0, v83
	v_add_nc_u32_e32 v86, 0, v83
	s_mov_b32 s1, 0
.LBB102_111:                            ; =>This Inner Loop Header: Depth=1
	scratch_load_b32 v87, v86, off
	ds_load_b32 v88, v85
	v_add_nc_u32_e32 v84, 1, v84
	v_add_nc_u32_e32 v85, 4, v85
	v_add_nc_u32_e32 v86, 4, v86
	s_delay_alu instid0(VALU_DEP_3)
	v_cmp_lt_u32_e32 vcc_lo, 24, v84
	s_or_b32 s1, vcc_lo, s1
	s_waitcnt vmcnt(0) lgkmcnt(0)
	v_fmac_f32_e32 v4, v87, v88
	s_and_not1_b32 exec_lo, exec_lo, s1
	s_cbranch_execnz .LBB102_111
; %bb.112:
	s_or_b32 exec_lo, exec_lo, s1
	v_mov_b32_e32 v84, 0
	ds_load_b32 v84, v84 offset:104
	s_waitcnt lgkmcnt(0)
	v_mul_f32_e32 v4, v4, v84
	scratch_store_b32 off, v4, off offset:104
.LBB102_113:
	s_or_b32 exec_lo, exec_lo, s0
	s_waitcnt_vscnt null, 0x0
	s_barrier
	buffer_gl0_inv
	scratch_load_b32 v4, off, off offset:108
	s_mov_b32 s0, exec_lo
	s_waitcnt vmcnt(0)
	ds_store_b32 v2, v4
	s_waitcnt lgkmcnt(0)
	s_barrier
	buffer_gl0_inv
	v_cmpx_gt_u32_e32 27, v0
	s_cbranch_execz .LBB102_117
; %bb.114:
	v_add_nc_u32_e32 v84, -1, v0
	v_dual_mov_b32 v4, 0 :: v_dual_add_nc_u32 v85, 0xa0, v83
	v_add_nc_u32_e32 v86, 0, v83
	s_mov_b32 s1, 0
.LBB102_115:                            ; =>This Inner Loop Header: Depth=1
	scratch_load_b32 v87, v86, off
	ds_load_b32 v88, v85
	v_add_nc_u32_e32 v84, 1, v84
	v_add_nc_u32_e32 v85, 4, v85
	v_add_nc_u32_e32 v86, 4, v86
	s_delay_alu instid0(VALU_DEP_3)
	v_cmp_lt_u32_e32 vcc_lo, 25, v84
	s_or_b32 s1, vcc_lo, s1
	s_waitcnt vmcnt(0) lgkmcnt(0)
	v_fmac_f32_e32 v4, v87, v88
	s_and_not1_b32 exec_lo, exec_lo, s1
	s_cbranch_execnz .LBB102_115
; %bb.116:
	s_or_b32 exec_lo, exec_lo, s1
	v_mov_b32_e32 v84, 0
	ds_load_b32 v84, v84 offset:108
	s_waitcnt lgkmcnt(0)
	v_mul_f32_e32 v4, v4, v84
	scratch_store_b32 off, v4, off offset:108
.LBB102_117:
	s_or_b32 exec_lo, exec_lo, s0
	s_waitcnt_vscnt null, 0x0
	s_barrier
	buffer_gl0_inv
	scratch_load_b32 v4, off, off offset:112
	s_mov_b32 s0, exec_lo
	s_waitcnt vmcnt(0)
	ds_store_b32 v2, v4
	s_waitcnt lgkmcnt(0)
	s_barrier
	buffer_gl0_inv
	v_cmpx_gt_u32_e32 28, v0
	s_cbranch_execz .LBB102_121
; %bb.118:
	v_add_nc_u32_e32 v84, -1, v0
	v_dual_mov_b32 v4, 0 :: v_dual_add_nc_u32 v85, 0xa0, v83
	v_add_nc_u32_e32 v86, 0, v83
	s_mov_b32 s1, 0
.LBB102_119:                            ; =>This Inner Loop Header: Depth=1
	scratch_load_b32 v87, v86, off
	ds_load_b32 v88, v85
	v_add_nc_u32_e32 v84, 1, v84
	v_add_nc_u32_e32 v85, 4, v85
	v_add_nc_u32_e32 v86, 4, v86
	s_delay_alu instid0(VALU_DEP_3)
	v_cmp_lt_u32_e32 vcc_lo, 26, v84
	s_or_b32 s1, vcc_lo, s1
	s_waitcnt vmcnt(0) lgkmcnt(0)
	v_fmac_f32_e32 v4, v87, v88
	s_and_not1_b32 exec_lo, exec_lo, s1
	s_cbranch_execnz .LBB102_119
; %bb.120:
	s_or_b32 exec_lo, exec_lo, s1
	v_mov_b32_e32 v84, 0
	ds_load_b32 v84, v84 offset:112
	s_waitcnt lgkmcnt(0)
	v_mul_f32_e32 v4, v4, v84
	scratch_store_b32 off, v4, off offset:112
.LBB102_121:
	s_or_b32 exec_lo, exec_lo, s0
	s_waitcnt_vscnt null, 0x0
	s_barrier
	buffer_gl0_inv
	scratch_load_b32 v4, off, off offset:116
	s_mov_b32 s0, exec_lo
	s_waitcnt vmcnt(0)
	ds_store_b32 v2, v4
	s_waitcnt lgkmcnt(0)
	s_barrier
	buffer_gl0_inv
	v_cmpx_gt_u32_e32 29, v0
	s_cbranch_execz .LBB102_125
; %bb.122:
	v_add_nc_u32_e32 v84, -1, v0
	v_dual_mov_b32 v4, 0 :: v_dual_add_nc_u32 v85, 0xa0, v83
	v_add_nc_u32_e32 v86, 0, v83
	s_mov_b32 s1, 0
.LBB102_123:                            ; =>This Inner Loop Header: Depth=1
	scratch_load_b32 v87, v86, off
	ds_load_b32 v88, v85
	v_add_nc_u32_e32 v84, 1, v84
	v_add_nc_u32_e32 v85, 4, v85
	v_add_nc_u32_e32 v86, 4, v86
	s_delay_alu instid0(VALU_DEP_3)
	v_cmp_lt_u32_e32 vcc_lo, 27, v84
	s_or_b32 s1, vcc_lo, s1
	s_waitcnt vmcnt(0) lgkmcnt(0)
	v_fmac_f32_e32 v4, v87, v88
	s_and_not1_b32 exec_lo, exec_lo, s1
	s_cbranch_execnz .LBB102_123
; %bb.124:
	s_or_b32 exec_lo, exec_lo, s1
	v_mov_b32_e32 v84, 0
	ds_load_b32 v84, v84 offset:116
	s_waitcnt lgkmcnt(0)
	v_mul_f32_e32 v4, v4, v84
	scratch_store_b32 off, v4, off offset:116
.LBB102_125:
	s_or_b32 exec_lo, exec_lo, s0
	s_waitcnt_vscnt null, 0x0
	s_barrier
	buffer_gl0_inv
	scratch_load_b32 v4, off, off offset:120
	s_mov_b32 s0, exec_lo
	s_waitcnt vmcnt(0)
	ds_store_b32 v2, v4
	s_waitcnt lgkmcnt(0)
	s_barrier
	buffer_gl0_inv
	v_cmpx_gt_u32_e32 30, v0
	s_cbranch_execz .LBB102_129
; %bb.126:
	v_add_nc_u32_e32 v84, -1, v0
	v_dual_mov_b32 v4, 0 :: v_dual_add_nc_u32 v85, 0xa0, v83
	v_add_nc_u32_e32 v86, 0, v83
	s_mov_b32 s1, 0
.LBB102_127:                            ; =>This Inner Loop Header: Depth=1
	scratch_load_b32 v87, v86, off
	ds_load_b32 v88, v85
	v_add_nc_u32_e32 v84, 1, v84
	v_add_nc_u32_e32 v85, 4, v85
	v_add_nc_u32_e32 v86, 4, v86
	s_delay_alu instid0(VALU_DEP_3)
	v_cmp_lt_u32_e32 vcc_lo, 28, v84
	s_or_b32 s1, vcc_lo, s1
	s_waitcnt vmcnt(0) lgkmcnt(0)
	v_fmac_f32_e32 v4, v87, v88
	s_and_not1_b32 exec_lo, exec_lo, s1
	s_cbranch_execnz .LBB102_127
; %bb.128:
	s_or_b32 exec_lo, exec_lo, s1
	v_mov_b32_e32 v84, 0
	ds_load_b32 v84, v84 offset:120
	s_waitcnt lgkmcnt(0)
	v_mul_f32_e32 v4, v4, v84
	scratch_store_b32 off, v4, off offset:120
.LBB102_129:
	s_or_b32 exec_lo, exec_lo, s0
	s_waitcnt_vscnt null, 0x0
	s_barrier
	buffer_gl0_inv
	scratch_load_b32 v4, off, off offset:124
	s_mov_b32 s0, exec_lo
	s_waitcnt vmcnt(0)
	ds_store_b32 v2, v4
	s_waitcnt lgkmcnt(0)
	s_barrier
	buffer_gl0_inv
	v_cmpx_gt_u32_e32 31, v0
	s_cbranch_execz .LBB102_133
; %bb.130:
	v_add_nc_u32_e32 v84, -1, v0
	v_dual_mov_b32 v4, 0 :: v_dual_add_nc_u32 v85, 0xa0, v83
	v_add_nc_u32_e32 v86, 0, v83
	s_mov_b32 s1, 0
.LBB102_131:                            ; =>This Inner Loop Header: Depth=1
	scratch_load_b32 v87, v86, off
	ds_load_b32 v88, v85
	v_add_nc_u32_e32 v84, 1, v84
	v_add_nc_u32_e32 v85, 4, v85
	v_add_nc_u32_e32 v86, 4, v86
	s_delay_alu instid0(VALU_DEP_3)
	v_cmp_lt_u32_e32 vcc_lo, 29, v84
	s_or_b32 s1, vcc_lo, s1
	s_waitcnt vmcnt(0) lgkmcnt(0)
	v_fmac_f32_e32 v4, v87, v88
	s_and_not1_b32 exec_lo, exec_lo, s1
	s_cbranch_execnz .LBB102_131
; %bb.132:
	s_or_b32 exec_lo, exec_lo, s1
	v_mov_b32_e32 v84, 0
	ds_load_b32 v84, v84 offset:124
	s_waitcnt lgkmcnt(0)
	v_mul_f32_e32 v4, v4, v84
	scratch_store_b32 off, v4, off offset:124
.LBB102_133:
	s_or_b32 exec_lo, exec_lo, s0
	s_waitcnt_vscnt null, 0x0
	s_barrier
	buffer_gl0_inv
	scratch_load_b32 v4, off, off offset:128
	s_mov_b32 s0, exec_lo
	s_waitcnt vmcnt(0)
	ds_store_b32 v2, v4
	s_waitcnt lgkmcnt(0)
	s_barrier
	buffer_gl0_inv
	v_cmpx_gt_u32_e32 32, v0
	s_cbranch_execz .LBB102_137
; %bb.134:
	v_add_nc_u32_e32 v84, -1, v0
	v_dual_mov_b32 v4, 0 :: v_dual_add_nc_u32 v85, 0xa0, v83
	v_add_nc_u32_e32 v86, 0, v83
	s_mov_b32 s1, 0
.LBB102_135:                            ; =>This Inner Loop Header: Depth=1
	scratch_load_b32 v87, v86, off
	ds_load_b32 v88, v85
	v_add_nc_u32_e32 v84, 1, v84
	v_add_nc_u32_e32 v85, 4, v85
	v_add_nc_u32_e32 v86, 4, v86
	s_delay_alu instid0(VALU_DEP_3)
	v_cmp_lt_u32_e32 vcc_lo, 30, v84
	s_or_b32 s1, vcc_lo, s1
	s_waitcnt vmcnt(0) lgkmcnt(0)
	v_fmac_f32_e32 v4, v87, v88
	s_and_not1_b32 exec_lo, exec_lo, s1
	s_cbranch_execnz .LBB102_135
; %bb.136:
	s_or_b32 exec_lo, exec_lo, s1
	v_mov_b32_e32 v84, 0
	ds_load_b32 v84, v84 offset:128
	s_waitcnt lgkmcnt(0)
	v_mul_f32_e32 v4, v4, v84
	scratch_store_b32 off, v4, off offset:128
.LBB102_137:
	s_or_b32 exec_lo, exec_lo, s0
	s_waitcnt_vscnt null, 0x0
	s_barrier
	buffer_gl0_inv
	scratch_load_b32 v4, off, off offset:132
	s_mov_b32 s0, exec_lo
	s_waitcnt vmcnt(0)
	ds_store_b32 v2, v4
	s_waitcnt lgkmcnt(0)
	s_barrier
	buffer_gl0_inv
	v_cmpx_gt_u32_e32 33, v0
	s_cbranch_execz .LBB102_141
; %bb.138:
	v_add_nc_u32_e32 v84, -1, v0
	v_dual_mov_b32 v4, 0 :: v_dual_add_nc_u32 v85, 0xa0, v83
	v_add_nc_u32_e32 v86, 0, v83
	s_mov_b32 s1, 0
.LBB102_139:                            ; =>This Inner Loop Header: Depth=1
	scratch_load_b32 v87, v86, off
	ds_load_b32 v88, v85
	v_add_nc_u32_e32 v84, 1, v84
	v_add_nc_u32_e32 v85, 4, v85
	v_add_nc_u32_e32 v86, 4, v86
	s_delay_alu instid0(VALU_DEP_3)
	v_cmp_lt_u32_e32 vcc_lo, 31, v84
	s_or_b32 s1, vcc_lo, s1
	s_waitcnt vmcnt(0) lgkmcnt(0)
	v_fmac_f32_e32 v4, v87, v88
	s_and_not1_b32 exec_lo, exec_lo, s1
	s_cbranch_execnz .LBB102_139
; %bb.140:
	s_or_b32 exec_lo, exec_lo, s1
	v_mov_b32_e32 v84, 0
	ds_load_b32 v84, v84 offset:132
	s_waitcnt lgkmcnt(0)
	v_mul_f32_e32 v4, v4, v84
	scratch_store_b32 off, v4, off offset:132
.LBB102_141:
	s_or_b32 exec_lo, exec_lo, s0
	s_waitcnt_vscnt null, 0x0
	s_barrier
	buffer_gl0_inv
	scratch_load_b32 v4, off, off offset:136
	s_mov_b32 s0, exec_lo
	s_waitcnt vmcnt(0)
	ds_store_b32 v2, v4
	s_waitcnt lgkmcnt(0)
	s_barrier
	buffer_gl0_inv
	v_cmpx_gt_u32_e32 34, v0
	s_cbranch_execz .LBB102_145
; %bb.142:
	v_add_nc_u32_e32 v84, -1, v0
	v_dual_mov_b32 v4, 0 :: v_dual_add_nc_u32 v85, 0xa0, v83
	v_add_nc_u32_e32 v86, 0, v83
	s_mov_b32 s1, 0
.LBB102_143:                            ; =>This Inner Loop Header: Depth=1
	scratch_load_b32 v87, v86, off
	ds_load_b32 v88, v85
	v_add_nc_u32_e32 v84, 1, v84
	v_add_nc_u32_e32 v85, 4, v85
	v_add_nc_u32_e32 v86, 4, v86
	s_delay_alu instid0(VALU_DEP_3)
	v_cmp_lt_u32_e32 vcc_lo, 32, v84
	s_or_b32 s1, vcc_lo, s1
	s_waitcnt vmcnt(0) lgkmcnt(0)
	v_fmac_f32_e32 v4, v87, v88
	s_and_not1_b32 exec_lo, exec_lo, s1
	s_cbranch_execnz .LBB102_143
; %bb.144:
	s_or_b32 exec_lo, exec_lo, s1
	v_mov_b32_e32 v84, 0
	ds_load_b32 v84, v84 offset:136
	s_waitcnt lgkmcnt(0)
	v_mul_f32_e32 v4, v4, v84
	scratch_store_b32 off, v4, off offset:136
.LBB102_145:
	s_or_b32 exec_lo, exec_lo, s0
	s_waitcnt_vscnt null, 0x0
	s_barrier
	buffer_gl0_inv
	scratch_load_b32 v4, off, off offset:140
	s_mov_b32 s0, exec_lo
	s_waitcnt vmcnt(0)
	ds_store_b32 v2, v4
	s_waitcnt lgkmcnt(0)
	s_barrier
	buffer_gl0_inv
	v_cmpx_gt_u32_e32 35, v0
	s_cbranch_execz .LBB102_149
; %bb.146:
	v_add_nc_u32_e32 v84, -1, v0
	v_dual_mov_b32 v4, 0 :: v_dual_add_nc_u32 v85, 0xa0, v83
	v_add_nc_u32_e32 v86, 0, v83
	s_mov_b32 s1, 0
.LBB102_147:                            ; =>This Inner Loop Header: Depth=1
	scratch_load_b32 v87, v86, off
	ds_load_b32 v88, v85
	v_add_nc_u32_e32 v84, 1, v84
	v_add_nc_u32_e32 v85, 4, v85
	v_add_nc_u32_e32 v86, 4, v86
	s_delay_alu instid0(VALU_DEP_3)
	v_cmp_lt_u32_e32 vcc_lo, 33, v84
	s_or_b32 s1, vcc_lo, s1
	s_waitcnt vmcnt(0) lgkmcnt(0)
	v_fmac_f32_e32 v4, v87, v88
	s_and_not1_b32 exec_lo, exec_lo, s1
	s_cbranch_execnz .LBB102_147
; %bb.148:
	s_or_b32 exec_lo, exec_lo, s1
	v_mov_b32_e32 v84, 0
	ds_load_b32 v84, v84 offset:140
	s_waitcnt lgkmcnt(0)
	v_mul_f32_e32 v4, v4, v84
	scratch_store_b32 off, v4, off offset:140
.LBB102_149:
	s_or_b32 exec_lo, exec_lo, s0
	s_waitcnt_vscnt null, 0x0
	s_barrier
	buffer_gl0_inv
	scratch_load_b32 v4, off, off offset:144
	s_mov_b32 s0, exec_lo
	s_waitcnt vmcnt(0)
	ds_store_b32 v2, v4
	s_waitcnt lgkmcnt(0)
	s_barrier
	buffer_gl0_inv
	v_cmpx_gt_u32_e32 36, v0
	s_cbranch_execz .LBB102_153
; %bb.150:
	v_add_nc_u32_e32 v84, -1, v0
	v_dual_mov_b32 v4, 0 :: v_dual_add_nc_u32 v85, 0xa0, v83
	v_add_nc_u32_e32 v86, 0, v83
	s_mov_b32 s1, 0
.LBB102_151:                            ; =>This Inner Loop Header: Depth=1
	scratch_load_b32 v87, v86, off
	ds_load_b32 v88, v85
	v_add_nc_u32_e32 v84, 1, v84
	v_add_nc_u32_e32 v85, 4, v85
	v_add_nc_u32_e32 v86, 4, v86
	s_delay_alu instid0(VALU_DEP_3)
	v_cmp_lt_u32_e32 vcc_lo, 34, v84
	s_or_b32 s1, vcc_lo, s1
	s_waitcnt vmcnt(0) lgkmcnt(0)
	v_fmac_f32_e32 v4, v87, v88
	s_and_not1_b32 exec_lo, exec_lo, s1
	s_cbranch_execnz .LBB102_151
; %bb.152:
	s_or_b32 exec_lo, exec_lo, s1
	v_mov_b32_e32 v84, 0
	ds_load_b32 v84, v84 offset:144
	s_waitcnt lgkmcnt(0)
	v_mul_f32_e32 v4, v4, v84
	scratch_store_b32 off, v4, off offset:144
.LBB102_153:
	s_or_b32 exec_lo, exec_lo, s0
	s_waitcnt_vscnt null, 0x0
	s_barrier
	buffer_gl0_inv
	scratch_load_b32 v4, off, off offset:148
	s_mov_b32 s0, exec_lo
	s_waitcnt vmcnt(0)
	ds_store_b32 v2, v4
	s_waitcnt lgkmcnt(0)
	s_barrier
	buffer_gl0_inv
	v_cmpx_gt_u32_e32 37, v0
	s_cbranch_execz .LBB102_157
; %bb.154:
	v_add_nc_u32_e32 v84, -1, v0
	v_dual_mov_b32 v4, 0 :: v_dual_add_nc_u32 v85, 0xa0, v83
	v_add_nc_u32_e32 v83, 0, v83
	s_mov_b32 s1, 0
.LBB102_155:                            ; =>This Inner Loop Header: Depth=1
	scratch_load_b32 v86, v83, off
	ds_load_b32 v87, v85
	v_add_nc_u32_e32 v84, 1, v84
	v_add_nc_u32_e32 v85, 4, v85
	v_add_nc_u32_e32 v83, 4, v83
	s_delay_alu instid0(VALU_DEP_3)
	v_cmp_lt_u32_e32 vcc_lo, 35, v84
	s_or_b32 s1, vcc_lo, s1
	s_waitcnt vmcnt(0) lgkmcnt(0)
	v_fmac_f32_e32 v4, v86, v87
	s_and_not1_b32 exec_lo, exec_lo, s1
	s_cbranch_execnz .LBB102_155
; %bb.156:
	s_or_b32 exec_lo, exec_lo, s1
	v_mov_b32_e32 v83, 0
	ds_load_b32 v83, v83 offset:148
	s_waitcnt lgkmcnt(0)
	v_mul_f32_e32 v4, v4, v83
	scratch_store_b32 off, v4, off offset:148
.LBB102_157:
	s_or_b32 exec_lo, exec_lo, s0
	s_waitcnt_vscnt null, 0x0
	s_barrier
	buffer_gl0_inv
	scratch_load_b32 v4, off, off offset:152
	s_mov_b32 s0, exec_lo
	s_waitcnt vmcnt(0)
	ds_store_b32 v2, v4
	s_waitcnt lgkmcnt(0)
	s_barrier
	buffer_gl0_inv
	v_cmpx_ne_u32_e32 38, v0
	s_cbranch_execz .LBB102_161
; %bb.158:
	v_mov_b32_e32 v4, 0
	s_mov_b32 s1, 0
.LBB102_159:                            ; =>This Inner Loop Header: Depth=1
	scratch_load_b32 v83, v1, off
	ds_load_b32 v84, v2
	v_add_nc_u32_e32 v3, 1, v3
	v_add_nc_u32_e32 v2, 4, v2
	s_waitcnt vmcnt(0) lgkmcnt(0)
	v_dual_fmac_f32 v4, v83, v84 :: v_dual_add_nc_u32 v1, 4, v1
	s_delay_alu instid0(VALU_DEP_3) | instskip(SKIP_1) | instid1(SALU_CYCLE_1)
	v_cmp_lt_u32_e32 vcc_lo, 36, v3
	s_or_b32 s1, vcc_lo, s1
	s_and_not1_b32 exec_lo, exec_lo, s1
	s_cbranch_execnz .LBB102_159
; %bb.160:
	s_or_b32 exec_lo, exec_lo, s1
	v_mov_b32_e32 v1, 0
	ds_load_b32 v1, v1 offset:152
	s_waitcnt lgkmcnt(0)
	v_mul_f32_e32 v1, v4, v1
	scratch_store_b32 off, v1, off offset:152
.LBB102_161:
	s_or_b32 exec_lo, exec_lo, s0
	s_mov_b32 s1, -1
	s_waitcnt_vscnt null, 0x0
	s_barrier
	buffer_gl0_inv
.LBB102_162:
	s_and_b32 vcc_lo, exec_lo, s1
	s_cbranch_vccz .LBB102_164
; %bb.163:
	s_lshl_b64 s[0:1], s[8:9], 2
	v_mov_b32_e32 v1, 0
	s_add_u32 s0, s6, s0
	s_addc_u32 s1, s7, s1
	global_load_b32 v1, v1, s[0:1]
	s_waitcnt vmcnt(0)
	v_cmp_ne_u32_e32 vcc_lo, 0, v1
	s_cbranch_vccz .LBB102_165
.LBB102_164:
	s_endpgm
.LBB102_165:
	v_lshl_add_u32 v1, v0, 2, 0xa0
	s_mov_b32 s0, exec_lo
	v_cmpx_eq_u32_e32 38, v0
	s_cbranch_execz .LBB102_167
; %bb.166:
	scratch_load_b32 v2, off, off offset:148
	v_mov_b32_e32 v3, 0
	scratch_store_b32 off, v3, off offset:148
	s_waitcnt vmcnt(0)
	ds_store_b32 v1, v2
.LBB102_167:
	s_or_b32 exec_lo, exec_lo, s0
	s_waitcnt lgkmcnt(0)
	s_waitcnt_vscnt null, 0x0
	s_barrier
	buffer_gl0_inv
	scratch_load_b64 v[3:4], off, off offset:148
	v_mov_b32_e32 v2, 0
	s_mov_b32 s0, exec_lo
	ds_load_b32 v83, v2 offset:312
	s_waitcnt vmcnt(0) lgkmcnt(0)
	v_fma_f32 v4, v4, v83, 0
	s_delay_alu instid0(VALU_DEP_1)
	v_sub_f32_e32 v3, v3, v4
	scratch_store_b32 off, v3, off offset:148
	v_cmpx_lt_u32_e32 36, v0
	s_cbranch_execz .LBB102_169
; %bb.168:
	scratch_load_b32 v3, off, off offset:144
	scratch_store_b32 off, v2, off offset:144
	s_waitcnt vmcnt(0)
	ds_store_b32 v1, v3
.LBB102_169:
	s_or_b32 exec_lo, exec_lo, s0
	s_waitcnt lgkmcnt(0)
	s_waitcnt_vscnt null, 0x0
	s_barrier
	buffer_gl0_inv
	scratch_load_b96 v[83:85], off, off offset:144
	ds_load_2addr_b32 v[2:3], v2 offset0:77 offset1:78
	s_mov_b32 s0, exec_lo
	s_waitcnt vmcnt(0) lgkmcnt(0)
	v_fma_f32 v2, v84, v2, 0
	s_delay_alu instid0(VALU_DEP_1) | instskip(NEXT) | instid1(VALU_DEP_1)
	v_fmac_f32_e32 v2, v85, v3
	v_sub_f32_e32 v2, v83, v2
	scratch_store_b32 off, v2, off offset:144
	v_cmpx_lt_u32_e32 35, v0
	s_cbranch_execz .LBB102_171
; %bb.170:
	scratch_load_b32 v2, off, off offset:140
	v_mov_b32_e32 v3, 0
	scratch_store_b32 off, v3, off offset:140
	s_waitcnt vmcnt(0)
	ds_store_b32 v1, v2
.LBB102_171:
	s_or_b32 exec_lo, exec_lo, s0
	s_waitcnt lgkmcnt(0)
	s_waitcnt_vscnt null, 0x0
	s_barrier
	buffer_gl0_inv
	scratch_load_b128 v[83:86], off, off offset:140
	v_mov_b32_e32 v2, 0
	s_mov_b32 s0, exec_lo
	ds_load_b96 v[87:89], v2 offset:304
	s_waitcnt vmcnt(0) lgkmcnt(0)
	v_fma_f32 v3, v84, v87, 0
	s_delay_alu instid0(VALU_DEP_1) | instskip(NEXT) | instid1(VALU_DEP_1)
	v_fmac_f32_e32 v3, v85, v88
	v_fmac_f32_e32 v3, v86, v89
	s_delay_alu instid0(VALU_DEP_1)
	v_sub_f32_e32 v3, v83, v3
	scratch_store_b32 off, v3, off offset:140
	v_cmpx_lt_u32_e32 34, v0
	s_cbranch_execz .LBB102_173
; %bb.172:
	scratch_load_b32 v3, off, off offset:136
	scratch_store_b32 off, v2, off offset:136
	s_waitcnt vmcnt(0)
	ds_store_b32 v1, v3
.LBB102_173:
	s_or_b32 exec_lo, exec_lo, s0
	s_waitcnt lgkmcnt(0)
	s_waitcnt_vscnt null, 0x0
	s_barrier
	buffer_gl0_inv
	s_clause 0x1
	scratch_load_b128 v[83:86], off, off offset:136
	scratch_load_b32 v89, off, off offset:152
	ds_load_2addr_b32 v[3:4], v2 offset0:75 offset1:76
	ds_load_2addr_b32 v[87:88], v2 offset0:77 offset1:78
	s_mov_b32 s0, exec_lo
	s_waitcnt vmcnt(1) lgkmcnt(1)
	v_fma_f32 v2, v84, v3, 0
	s_delay_alu instid0(VALU_DEP_1) | instskip(SKIP_1) | instid1(VALU_DEP_1)
	v_fmac_f32_e32 v2, v85, v4
	s_waitcnt lgkmcnt(0)
	v_fmac_f32_e32 v2, v86, v87
	s_waitcnt vmcnt(0)
	s_delay_alu instid0(VALU_DEP_1) | instskip(NEXT) | instid1(VALU_DEP_1)
	v_fmac_f32_e32 v2, v89, v88
	v_sub_f32_e32 v2, v83, v2
	scratch_store_b32 off, v2, off offset:136
	v_cmpx_lt_u32_e32 33, v0
	s_cbranch_execz .LBB102_175
; %bb.174:
	scratch_load_b32 v2, off, off offset:132
	v_mov_b32_e32 v3, 0
	scratch_store_b32 off, v3, off offset:132
	s_waitcnt vmcnt(0)
	ds_store_b32 v1, v2
.LBB102_175:
	s_or_b32 exec_lo, exec_lo, s0
	s_waitcnt lgkmcnt(0)
	s_waitcnt_vscnt null, 0x0
	s_barrier
	buffer_gl0_inv
	s_clause 0x1
	scratch_load_b128 v[83:86], off, off offset:132
	scratch_load_b64 v[3:4], off, off offset:148
	v_mov_b32_e32 v2, 0
	ds_load_2addr_b64 v[87:90], v2 offset0:37 offset1:38
	ds_load_b32 v91, v2 offset:312
	s_mov_b32 s0, exec_lo
	s_waitcnt vmcnt(1) lgkmcnt(1)
	v_fma_f32 v84, v84, v87, 0
	s_delay_alu instid0(VALU_DEP_1) | instskip(NEXT) | instid1(VALU_DEP_1)
	v_fmac_f32_e32 v84, v85, v88
	v_fmac_f32_e32 v84, v86, v89
	s_waitcnt vmcnt(0)
	s_delay_alu instid0(VALU_DEP_1) | instskip(SKIP_1) | instid1(VALU_DEP_1)
	v_fmac_f32_e32 v84, v3, v90
	s_waitcnt lgkmcnt(0)
	v_fmac_f32_e32 v84, v4, v91
	s_delay_alu instid0(VALU_DEP_1)
	v_sub_f32_e32 v3, v83, v84
	scratch_store_b32 off, v3, off offset:132
	v_cmpx_lt_u32_e32 32, v0
	s_cbranch_execz .LBB102_177
; %bb.176:
	scratch_load_b32 v3, off, off offset:128
	scratch_store_b32 off, v2, off offset:128
	s_waitcnt vmcnt(0)
	ds_store_b32 v1, v3
.LBB102_177:
	s_or_b32 exec_lo, exec_lo, s0
	s_waitcnt lgkmcnt(0)
	s_waitcnt_vscnt null, 0x0
	s_barrier
	buffer_gl0_inv
	s_clause 0x1
	scratch_load_b128 v[83:86], off, off offset:128
	scratch_load_b96 v[87:89], off, off offset:144
	ds_load_2addr_b32 v[3:4], v2 offset0:73 offset1:74
	ds_load_2addr_b32 v[90:91], v2 offset0:75 offset1:76
	;; [unrolled: 1-line block ×3, first 2 shown]
	s_mov_b32 s0, exec_lo
	s_waitcnt vmcnt(1) lgkmcnt(2)
	v_fma_f32 v2, v84, v3, 0
	s_delay_alu instid0(VALU_DEP_1) | instskip(SKIP_1) | instid1(VALU_DEP_1)
	v_fmac_f32_e32 v2, v85, v4
	s_waitcnt lgkmcnt(1)
	v_fmac_f32_e32 v2, v86, v90
	s_waitcnt vmcnt(0)
	s_delay_alu instid0(VALU_DEP_1) | instskip(SKIP_1) | instid1(VALU_DEP_1)
	v_fmac_f32_e32 v2, v87, v91
	s_waitcnt lgkmcnt(0)
	v_fmac_f32_e32 v2, v88, v92
	s_delay_alu instid0(VALU_DEP_1) | instskip(NEXT) | instid1(VALU_DEP_1)
	v_fmac_f32_e32 v2, v89, v93
	v_sub_f32_e32 v2, v83, v2
	scratch_store_b32 off, v2, off offset:128
	v_cmpx_lt_u32_e32 31, v0
	s_cbranch_execz .LBB102_179
; %bb.178:
	scratch_load_b32 v2, off, off offset:124
	v_mov_b32_e32 v3, 0
	scratch_store_b32 off, v3, off offset:124
	s_waitcnt vmcnt(0)
	ds_store_b32 v1, v2
.LBB102_179:
	s_or_b32 exec_lo, exec_lo, s0
	s_waitcnt lgkmcnt(0)
	s_waitcnt_vscnt null, 0x0
	s_barrier
	buffer_gl0_inv
	s_clause 0x1
	scratch_load_b128 v[83:86], off, off offset:124
	scratch_load_b128 v[87:90], off, off offset:140
	v_mov_b32_e32 v2, 0
	ds_load_b128 v[91:94], v2 offset:288
	ds_load_b96 v[95:97], v2 offset:304
	s_mov_b32 s0, exec_lo
	s_waitcnt vmcnt(1) lgkmcnt(1)
	v_fma_f32 v3, v84, v91, 0
	s_delay_alu instid0(VALU_DEP_1) | instskip(NEXT) | instid1(VALU_DEP_1)
	v_fmac_f32_e32 v3, v85, v92
	v_fmac_f32_e32 v3, v86, v93
	s_waitcnt vmcnt(0)
	s_delay_alu instid0(VALU_DEP_1) | instskip(SKIP_1) | instid1(VALU_DEP_1)
	v_fmac_f32_e32 v3, v87, v94
	s_waitcnt lgkmcnt(0)
	v_fmac_f32_e32 v3, v88, v95
	s_delay_alu instid0(VALU_DEP_1) | instskip(NEXT) | instid1(VALU_DEP_1)
	v_fmac_f32_e32 v3, v89, v96
	v_fmac_f32_e32 v3, v90, v97
	s_delay_alu instid0(VALU_DEP_1)
	v_sub_f32_e32 v3, v83, v3
	scratch_store_b32 off, v3, off offset:124
	v_cmpx_lt_u32_e32 30, v0
	s_cbranch_execz .LBB102_181
; %bb.180:
	scratch_load_b32 v3, off, off offset:120
	scratch_store_b32 off, v2, off offset:120
	s_waitcnt vmcnt(0)
	ds_store_b32 v1, v3
.LBB102_181:
	s_or_b32 exec_lo, exec_lo, s0
	s_waitcnt lgkmcnt(0)
	s_waitcnt_vscnt null, 0x0
	s_barrier
	buffer_gl0_inv
	s_clause 0x2
	scratch_load_b128 v[83:86], off, off offset:120
	scratch_load_b128 v[87:90], off, off offset:136
	scratch_load_b32 v97, off, off offset:152
	ds_load_2addr_b32 v[3:4], v2 offset0:71 offset1:72
	ds_load_2addr_b32 v[91:92], v2 offset0:73 offset1:74
	;; [unrolled: 1-line block ×4, first 2 shown]
	s_mov_b32 s0, exec_lo
	s_waitcnt vmcnt(2) lgkmcnt(3)
	v_fma_f32 v2, v84, v3, 0
	s_delay_alu instid0(VALU_DEP_1) | instskip(SKIP_1) | instid1(VALU_DEP_1)
	v_fmac_f32_e32 v2, v85, v4
	s_waitcnt lgkmcnt(2)
	v_fmac_f32_e32 v2, v86, v91
	s_waitcnt vmcnt(1)
	s_delay_alu instid0(VALU_DEP_1) | instskip(SKIP_1) | instid1(VALU_DEP_1)
	v_fmac_f32_e32 v2, v87, v92
	s_waitcnt lgkmcnt(1)
	v_fmac_f32_e32 v2, v88, v93
	s_delay_alu instid0(VALU_DEP_1) | instskip(SKIP_1) | instid1(VALU_DEP_1)
	v_fmac_f32_e32 v2, v89, v94
	s_waitcnt lgkmcnt(0)
	v_fmac_f32_e32 v2, v90, v95
	s_waitcnt vmcnt(0)
	s_delay_alu instid0(VALU_DEP_1) | instskip(NEXT) | instid1(VALU_DEP_1)
	v_fmac_f32_e32 v2, v97, v96
	v_sub_f32_e32 v2, v83, v2
	scratch_store_b32 off, v2, off offset:120
	v_cmpx_lt_u32_e32 29, v0
	s_cbranch_execz .LBB102_183
; %bb.182:
	scratch_load_b32 v2, off, off offset:116
	v_mov_b32_e32 v3, 0
	scratch_store_b32 off, v3, off offset:116
	s_waitcnt vmcnt(0)
	ds_store_b32 v1, v2
.LBB102_183:
	s_or_b32 exec_lo, exec_lo, s0
	s_waitcnt lgkmcnt(0)
	s_waitcnt_vscnt null, 0x0
	s_barrier
	buffer_gl0_inv
	s_clause 0x2
	scratch_load_b128 v[83:86], off, off offset:116
	scratch_load_b128 v[87:90], off, off offset:132
	scratch_load_b64 v[3:4], off, off offset:148
	v_mov_b32_e32 v2, 0
	ds_load_2addr_b64 v[91:94], v2 offset0:35 offset1:36
	ds_load_2addr_b64 v[95:98], v2 offset0:37 offset1:38
	s_mov_b32 s0, exec_lo
	s_waitcnt vmcnt(2) lgkmcnt(1)
	v_fma_f32 v84, v84, v91, 0
	s_delay_alu instid0(VALU_DEP_1) | instskip(SKIP_3) | instid1(VALU_DEP_1)
	v_fmac_f32_e32 v84, v85, v92
	ds_load_b32 v85, v2 offset:312
	v_fmac_f32_e32 v84, v86, v93
	s_waitcnt vmcnt(1)
	v_fmac_f32_e32 v84, v87, v94
	s_waitcnt lgkmcnt(1)
	s_delay_alu instid0(VALU_DEP_1) | instskip(NEXT) | instid1(VALU_DEP_1)
	v_fmac_f32_e32 v84, v88, v95
	v_fmac_f32_e32 v84, v89, v96
	s_delay_alu instid0(VALU_DEP_1) | instskip(SKIP_1) | instid1(VALU_DEP_1)
	v_fmac_f32_e32 v84, v90, v97
	s_waitcnt vmcnt(0)
	v_fmac_f32_e32 v84, v3, v98
	s_waitcnt lgkmcnt(0)
	s_delay_alu instid0(VALU_DEP_1) | instskip(NEXT) | instid1(VALU_DEP_1)
	v_fmac_f32_e32 v84, v4, v85
	v_sub_f32_e32 v3, v83, v84
	scratch_store_b32 off, v3, off offset:116
	v_cmpx_lt_u32_e32 28, v0
	s_cbranch_execz .LBB102_185
; %bb.184:
	scratch_load_b32 v3, off, off offset:112
	scratch_store_b32 off, v2, off offset:112
	s_waitcnt vmcnt(0)
	ds_store_b32 v1, v3
.LBB102_185:
	s_or_b32 exec_lo, exec_lo, s0
	s_waitcnt lgkmcnt(0)
	s_waitcnt_vscnt null, 0x0
	s_barrier
	buffer_gl0_inv
	s_clause 0x2
	scratch_load_b128 v[83:86], off, off offset:112
	scratch_load_b128 v[87:90], off, off offset:128
	scratch_load_b96 v[91:93], off, off offset:144
	ds_load_2addr_b32 v[3:4], v2 offset0:69 offset1:70
	ds_load_2addr_b32 v[94:95], v2 offset0:71 offset1:72
	ds_load_2addr_b32 v[96:97], v2 offset0:73 offset1:74
	ds_load_2addr_b32 v[98:99], v2 offset0:75 offset1:76
	s_mov_b32 s0, exec_lo
	s_waitcnt vmcnt(2) lgkmcnt(3)
	v_fma_f32 v84, v84, v3, 0
	ds_load_2addr_b32 v[2:3], v2 offset0:77 offset1:78
	v_fmac_f32_e32 v84, v85, v4
	s_waitcnt lgkmcnt(3)
	s_delay_alu instid0(VALU_DEP_1) | instskip(SKIP_1) | instid1(VALU_DEP_1)
	v_fmac_f32_e32 v84, v86, v94
	s_waitcnt vmcnt(1)
	v_fmac_f32_e32 v84, v87, v95
	s_waitcnt lgkmcnt(2)
	s_delay_alu instid0(VALU_DEP_1) | instskip(NEXT) | instid1(VALU_DEP_1)
	v_fmac_f32_e32 v84, v88, v96
	v_fmac_f32_e32 v84, v89, v97
	s_waitcnt lgkmcnt(1)
	s_delay_alu instid0(VALU_DEP_1) | instskip(SKIP_1) | instid1(VALU_DEP_1)
	v_fmac_f32_e32 v84, v90, v98
	s_waitcnt vmcnt(0)
	v_fmac_f32_e32 v84, v91, v99
	s_waitcnt lgkmcnt(0)
	s_delay_alu instid0(VALU_DEP_1) | instskip(NEXT) | instid1(VALU_DEP_1)
	v_fmac_f32_e32 v84, v92, v2
	v_fmac_f32_e32 v84, v93, v3
	s_delay_alu instid0(VALU_DEP_1)
	v_sub_f32_e32 v2, v83, v84
	scratch_store_b32 off, v2, off offset:112
	v_cmpx_lt_u32_e32 27, v0
	s_cbranch_execz .LBB102_187
; %bb.186:
	scratch_load_b32 v2, off, off offset:108
	v_mov_b32_e32 v3, 0
	scratch_store_b32 off, v3, off offset:108
	s_waitcnt vmcnt(0)
	ds_store_b32 v1, v2
.LBB102_187:
	s_or_b32 exec_lo, exec_lo, s0
	s_waitcnt lgkmcnt(0)
	s_waitcnt_vscnt null, 0x0
	s_barrier
	buffer_gl0_inv
	s_clause 0x2
	scratch_load_b128 v[83:86], off, off offset:108
	scratch_load_b128 v[87:90], off, off offset:124
	;; [unrolled: 1-line block ×3, first 2 shown]
	v_mov_b32_e32 v2, 0
	ds_load_b128 v[95:98], v2 offset:272
	ds_load_b128 v[99:102], v2 offset:288
	s_mov_b32 s0, exec_lo
	s_waitcnt vmcnt(2) lgkmcnt(1)
	v_fma_f32 v3, v84, v95, 0
	s_delay_alu instid0(VALU_DEP_1) | instskip(NEXT) | instid1(VALU_DEP_1)
	v_fmac_f32_e32 v3, v85, v96
	v_fmac_f32_e32 v3, v86, v97
	ds_load_b96 v[84:86], v2 offset:304
	s_waitcnt vmcnt(1)
	v_fmac_f32_e32 v3, v87, v98
	s_waitcnt lgkmcnt(1)
	s_delay_alu instid0(VALU_DEP_1) | instskip(NEXT) | instid1(VALU_DEP_1)
	v_fmac_f32_e32 v3, v88, v99
	v_fmac_f32_e32 v3, v89, v100
	s_delay_alu instid0(VALU_DEP_1) | instskip(SKIP_1) | instid1(VALU_DEP_1)
	v_fmac_f32_e32 v3, v90, v101
	s_waitcnt vmcnt(0)
	v_fmac_f32_e32 v3, v91, v102
	s_waitcnt lgkmcnt(0)
	s_delay_alu instid0(VALU_DEP_1) | instskip(NEXT) | instid1(VALU_DEP_1)
	v_fmac_f32_e32 v3, v92, v84
	v_fmac_f32_e32 v3, v93, v85
	s_delay_alu instid0(VALU_DEP_1) | instskip(NEXT) | instid1(VALU_DEP_1)
	v_fmac_f32_e32 v3, v94, v86
	v_sub_f32_e32 v3, v83, v3
	scratch_store_b32 off, v3, off offset:108
	v_cmpx_lt_u32_e32 26, v0
	s_cbranch_execz .LBB102_189
; %bb.188:
	scratch_load_b32 v3, off, off offset:104
	scratch_store_b32 off, v2, off offset:104
	s_waitcnt vmcnt(0)
	ds_store_b32 v1, v3
.LBB102_189:
	s_or_b32 exec_lo, exec_lo, s0
	s_waitcnt lgkmcnt(0)
	s_waitcnt_vscnt null, 0x0
	s_barrier
	buffer_gl0_inv
	s_clause 0x3
	scratch_load_b128 v[83:86], off, off offset:104
	scratch_load_b128 v[87:90], off, off offset:120
	;; [unrolled: 1-line block ×3, first 2 shown]
	scratch_load_b32 v101, off, off offset:152
	ds_load_2addr_b32 v[3:4], v2 offset0:67 offset1:68
	ds_load_2addr_b32 v[95:96], v2 offset0:69 offset1:70
	;; [unrolled: 1-line block ×4, first 2 shown]
	s_mov_b32 s0, exec_lo
	s_waitcnt vmcnt(3) lgkmcnt(3)
	v_fma_f32 v102, v84, v3, 0
	s_delay_alu instid0(VALU_DEP_1)
	v_fmac_f32_e32 v102, v85, v4
	ds_load_2addr_b32 v[3:4], v2 offset0:75 offset1:76
	ds_load_2addr_b32 v[84:85], v2 offset0:77 offset1:78
	s_waitcnt lgkmcnt(4)
	v_fmac_f32_e32 v102, v86, v95
	s_waitcnt vmcnt(2)
	s_delay_alu instid0(VALU_DEP_1) | instskip(SKIP_1) | instid1(VALU_DEP_1)
	v_fmac_f32_e32 v102, v87, v96
	s_waitcnt lgkmcnt(3)
	v_fmac_f32_e32 v102, v88, v97
	s_delay_alu instid0(VALU_DEP_1) | instskip(SKIP_1) | instid1(VALU_DEP_1)
	v_fmac_f32_e32 v102, v89, v98
	s_waitcnt lgkmcnt(2)
	v_fmac_f32_e32 v102, v90, v99
	s_waitcnt vmcnt(1)
	s_delay_alu instid0(VALU_DEP_1) | instskip(SKIP_1) | instid1(VALU_DEP_1)
	v_fmac_f32_e32 v102, v91, v100
	s_waitcnt lgkmcnt(1)
	v_fmac_f32_e32 v102, v92, v3
	s_delay_alu instid0(VALU_DEP_1) | instskip(SKIP_1) | instid1(VALU_DEP_1)
	v_fmac_f32_e32 v102, v93, v4
	s_waitcnt lgkmcnt(0)
	v_fmac_f32_e32 v102, v94, v84
	s_waitcnt vmcnt(0)
	s_delay_alu instid0(VALU_DEP_1) | instskip(NEXT) | instid1(VALU_DEP_1)
	v_fmac_f32_e32 v102, v101, v85
	v_sub_f32_e32 v2, v83, v102
	scratch_store_b32 off, v2, off offset:104
	v_cmpx_lt_u32_e32 25, v0
	s_cbranch_execz .LBB102_191
; %bb.190:
	scratch_load_b32 v2, off, off offset:100
	v_mov_b32_e32 v3, 0
	scratch_store_b32 off, v3, off offset:100
	s_waitcnt vmcnt(0)
	ds_store_b32 v1, v2
.LBB102_191:
	s_or_b32 exec_lo, exec_lo, s0
	s_waitcnt lgkmcnt(0)
	s_waitcnt_vscnt null, 0x0
	s_barrier
	buffer_gl0_inv
	s_clause 0x3
	scratch_load_b128 v[83:86], off, off offset:100
	scratch_load_b128 v[87:90], off, off offset:116
	;; [unrolled: 1-line block ×3, first 2 shown]
	scratch_load_b64 v[3:4], off, off offset:148
	v_mov_b32_e32 v2, 0
	ds_load_2addr_b64 v[95:98], v2 offset0:33 offset1:34
	ds_load_2addr_b64 v[99:102], v2 offset0:35 offset1:36
	s_mov_b32 s0, exec_lo
	s_waitcnt vmcnt(3) lgkmcnt(1)
	v_fma_f32 v95, v84, v95, 0
	s_delay_alu instid0(VALU_DEP_1) | instskip(NEXT) | instid1(VALU_DEP_1)
	v_fmac_f32_e32 v95, v85, v96
	v_fmac_f32_e32 v95, v86, v97
	s_waitcnt vmcnt(2)
	s_delay_alu instid0(VALU_DEP_1)
	v_fmac_f32_e32 v95, v87, v98
	ds_load_2addr_b64 v[84:87], v2 offset0:37 offset1:38
	s_waitcnt lgkmcnt(1)
	v_fmac_f32_e32 v95, v88, v99
	ds_load_b32 v88, v2 offset:312
	v_fmac_f32_e32 v95, v89, v100
	s_delay_alu instid0(VALU_DEP_1) | instskip(SKIP_1) | instid1(VALU_DEP_1)
	v_fmac_f32_e32 v95, v90, v101
	s_waitcnt vmcnt(1)
	v_fmac_f32_e32 v95, v91, v102
	s_waitcnt lgkmcnt(1)
	s_delay_alu instid0(VALU_DEP_1) | instskip(NEXT) | instid1(VALU_DEP_1)
	v_fmac_f32_e32 v95, v92, v84
	v_fmac_f32_e32 v95, v93, v85
	s_delay_alu instid0(VALU_DEP_1) | instskip(SKIP_1) | instid1(VALU_DEP_1)
	v_fmac_f32_e32 v95, v94, v86
	s_waitcnt vmcnt(0)
	v_fmac_f32_e32 v95, v3, v87
	s_waitcnt lgkmcnt(0)
	s_delay_alu instid0(VALU_DEP_1) | instskip(NEXT) | instid1(VALU_DEP_1)
	v_fmac_f32_e32 v95, v4, v88
	v_sub_f32_e32 v3, v83, v95
	scratch_store_b32 off, v3, off offset:100
	v_cmpx_lt_u32_e32 24, v0
	s_cbranch_execz .LBB102_193
; %bb.192:
	scratch_load_b32 v3, off, off offset:96
	scratch_store_b32 off, v2, off offset:96
	s_waitcnt vmcnt(0)
	ds_store_b32 v1, v3
.LBB102_193:
	s_or_b32 exec_lo, exec_lo, s0
	s_waitcnt lgkmcnt(0)
	s_waitcnt_vscnt null, 0x0
	s_barrier
	buffer_gl0_inv
	s_clause 0x3
	scratch_load_b128 v[83:86], off, off offset:96
	scratch_load_b128 v[87:90], off, off offset:112
	;; [unrolled: 1-line block ×3, first 2 shown]
	scratch_load_b96 v[95:97], off, off offset:144
	ds_load_2addr_b32 v[3:4], v2 offset0:65 offset1:66
	ds_load_2addr_b32 v[98:99], v2 offset0:67 offset1:68
	;; [unrolled: 1-line block ×4, first 2 shown]
	s_mov_b32 s0, exec_lo
	s_waitcnt vmcnt(3) lgkmcnt(3)
	v_fma_f32 v104, v84, v3, 0
	s_delay_alu instid0(VALU_DEP_1)
	v_fmac_f32_e32 v104, v85, v4
	ds_load_2addr_b32 v[3:4], v2 offset0:73 offset1:74
	ds_load_2addr_b32 v[84:85], v2 offset0:75 offset1:76
	s_waitcnt lgkmcnt(4)
	v_fmac_f32_e32 v104, v86, v98
	s_waitcnt vmcnt(2)
	s_delay_alu instid0(VALU_DEP_1) | instskip(SKIP_3) | instid1(VALU_DEP_1)
	v_fmac_f32_e32 v104, v87, v99
	ds_load_2addr_b32 v[86:87], v2 offset0:77 offset1:78
	s_waitcnt lgkmcnt(4)
	v_fmac_f32_e32 v104, v88, v100
	v_fmac_f32_e32 v104, v89, v101
	s_waitcnt lgkmcnt(3)
	s_delay_alu instid0(VALU_DEP_1) | instskip(SKIP_1) | instid1(VALU_DEP_1)
	v_fmac_f32_e32 v104, v90, v102
	s_waitcnt vmcnt(1)
	v_fmac_f32_e32 v104, v91, v103
	s_waitcnt lgkmcnt(2)
	s_delay_alu instid0(VALU_DEP_1) | instskip(NEXT) | instid1(VALU_DEP_1)
	v_fmac_f32_e32 v104, v92, v3
	v_fmac_f32_e32 v104, v93, v4
	s_waitcnt lgkmcnt(1)
	s_delay_alu instid0(VALU_DEP_1) | instskip(SKIP_1) | instid1(VALU_DEP_1)
	v_fmac_f32_e32 v104, v94, v84
	s_waitcnt vmcnt(0)
	v_fmac_f32_e32 v104, v95, v85
	s_waitcnt lgkmcnt(0)
	s_delay_alu instid0(VALU_DEP_1) | instskip(NEXT) | instid1(VALU_DEP_1)
	v_fmac_f32_e32 v104, v96, v86
	v_fmac_f32_e32 v104, v97, v87
	s_delay_alu instid0(VALU_DEP_1)
	v_sub_f32_e32 v2, v83, v104
	scratch_store_b32 off, v2, off offset:96
	v_cmpx_lt_u32_e32 23, v0
	s_cbranch_execz .LBB102_195
; %bb.194:
	scratch_load_b32 v2, off, off offset:92
	v_mov_b32_e32 v3, 0
	scratch_store_b32 off, v3, off offset:92
	s_waitcnt vmcnt(0)
	ds_store_b32 v1, v2
.LBB102_195:
	s_or_b32 exec_lo, exec_lo, s0
	s_waitcnt lgkmcnt(0)
	s_waitcnt_vscnt null, 0x0
	s_barrier
	buffer_gl0_inv
	s_clause 0x3
	scratch_load_b128 v[83:86], off, off offset:92
	scratch_load_b128 v[87:90], off, off offset:108
	scratch_load_b128 v[91:94], off, off offset:124
	scratch_load_b128 v[95:98], off, off offset:140
	v_mov_b32_e32 v2, 0
	ds_load_b128 v[99:102], v2 offset:256
	ds_load_b128 v[103:106], v2 offset:272
	s_mov_b32 s0, exec_lo
	s_waitcnt vmcnt(3) lgkmcnt(1)
	v_fma_f32 v3, v84, v99, 0
	s_delay_alu instid0(VALU_DEP_1) | instskip(NEXT) | instid1(VALU_DEP_1)
	v_fmac_f32_e32 v3, v85, v100
	v_fmac_f32_e32 v3, v86, v101
	s_waitcnt vmcnt(2)
	s_delay_alu instid0(VALU_DEP_1) | instskip(SKIP_3) | instid1(VALU_DEP_1)
	v_fmac_f32_e32 v3, v87, v102
	ds_load_b128 v[84:87], v2 offset:288
	s_waitcnt lgkmcnt(1)
	v_fmac_f32_e32 v3, v88, v103
	v_fmac_f32_e32 v3, v89, v104
	s_delay_alu instid0(VALU_DEP_1) | instskip(SKIP_4) | instid1(VALU_DEP_1)
	v_fmac_f32_e32 v3, v90, v105
	ds_load_b96 v[88:90], v2 offset:304
	s_waitcnt vmcnt(1)
	v_fmac_f32_e32 v3, v91, v106
	s_waitcnt lgkmcnt(1)
	v_fmac_f32_e32 v3, v92, v84
	s_delay_alu instid0(VALU_DEP_1) | instskip(NEXT) | instid1(VALU_DEP_1)
	v_fmac_f32_e32 v3, v93, v85
	v_fmac_f32_e32 v3, v94, v86
	s_waitcnt vmcnt(0)
	s_delay_alu instid0(VALU_DEP_1) | instskip(SKIP_1) | instid1(VALU_DEP_1)
	v_fmac_f32_e32 v3, v95, v87
	s_waitcnt lgkmcnt(0)
	v_fmac_f32_e32 v3, v96, v88
	s_delay_alu instid0(VALU_DEP_1) | instskip(NEXT) | instid1(VALU_DEP_1)
	v_fmac_f32_e32 v3, v97, v89
	v_fmac_f32_e32 v3, v98, v90
	s_delay_alu instid0(VALU_DEP_1)
	v_sub_f32_e32 v3, v83, v3
	scratch_store_b32 off, v3, off offset:92
	v_cmpx_lt_u32_e32 22, v0
	s_cbranch_execz .LBB102_197
; %bb.196:
	scratch_load_b32 v3, off, off offset:88
	scratch_store_b32 off, v2, off offset:88
	s_waitcnt vmcnt(0)
	ds_store_b32 v1, v3
.LBB102_197:
	s_or_b32 exec_lo, exec_lo, s0
	s_waitcnt lgkmcnt(0)
	s_waitcnt_vscnt null, 0x0
	s_barrier
	buffer_gl0_inv
	s_clause 0x4
	scratch_load_b128 v[83:86], off, off offset:88
	scratch_load_b128 v[87:90], off, off offset:104
	;; [unrolled: 1-line block ×4, first 2 shown]
	scratch_load_b32 v105, off, off offset:152
	ds_load_2addr_b32 v[3:4], v2 offset0:63 offset1:64
	ds_load_2addr_b32 v[99:100], v2 offset0:65 offset1:66
	;; [unrolled: 1-line block ×4, first 2 shown]
	s_mov_b32 s0, exec_lo
	s_waitcnt vmcnt(4) lgkmcnt(3)
	v_fma_f32 v106, v84, v3, 0
	s_delay_alu instid0(VALU_DEP_1)
	v_fmac_f32_e32 v106, v85, v4
	ds_load_2addr_b32 v[3:4], v2 offset0:71 offset1:72
	ds_load_2addr_b32 v[84:85], v2 offset0:73 offset1:74
	s_waitcnt lgkmcnt(4)
	v_fmac_f32_e32 v106, v86, v99
	s_waitcnt vmcnt(3)
	s_delay_alu instid0(VALU_DEP_1) | instskip(SKIP_1) | instid1(VALU_DEP_1)
	v_fmac_f32_e32 v106, v87, v100
	s_waitcnt lgkmcnt(3)
	v_fmac_f32_e32 v106, v88, v101
	s_delay_alu instid0(VALU_DEP_1)
	v_fmac_f32_e32 v106, v89, v102
	ds_load_2addr_b32 v[86:87], v2 offset0:75 offset1:76
	ds_load_2addr_b32 v[88:89], v2 offset0:77 offset1:78
	s_waitcnt lgkmcnt(4)
	v_fmac_f32_e32 v106, v90, v103
	s_waitcnt vmcnt(2)
	s_delay_alu instid0(VALU_DEP_1) | instskip(SKIP_1) | instid1(VALU_DEP_1)
	v_fmac_f32_e32 v106, v91, v104
	s_waitcnt lgkmcnt(3)
	v_fmac_f32_e32 v106, v92, v3
	s_delay_alu instid0(VALU_DEP_1) | instskip(SKIP_1) | instid1(VALU_DEP_1)
	v_fmac_f32_e32 v106, v93, v4
	s_waitcnt lgkmcnt(2)
	v_fmac_f32_e32 v106, v94, v84
	s_waitcnt vmcnt(1)
	s_delay_alu instid0(VALU_DEP_1) | instskip(SKIP_1) | instid1(VALU_DEP_1)
	v_fmac_f32_e32 v106, v95, v85
	s_waitcnt lgkmcnt(1)
	v_fmac_f32_e32 v106, v96, v86
	s_delay_alu instid0(VALU_DEP_1) | instskip(SKIP_1) | instid1(VALU_DEP_1)
	v_fmac_f32_e32 v106, v97, v87
	s_waitcnt lgkmcnt(0)
	v_fmac_f32_e32 v106, v98, v88
	s_waitcnt vmcnt(0)
	s_delay_alu instid0(VALU_DEP_1) | instskip(NEXT) | instid1(VALU_DEP_1)
	v_fmac_f32_e32 v106, v105, v89
	v_sub_f32_e32 v2, v83, v106
	scratch_store_b32 off, v2, off offset:88
	v_cmpx_lt_u32_e32 21, v0
	s_cbranch_execz .LBB102_199
; %bb.198:
	scratch_load_b32 v2, off, off offset:84
	v_mov_b32_e32 v3, 0
	scratch_store_b32 off, v3, off offset:84
	s_waitcnt vmcnt(0)
	ds_store_b32 v1, v2
.LBB102_199:
	s_or_b32 exec_lo, exec_lo, s0
	s_waitcnt lgkmcnt(0)
	s_waitcnt_vscnt null, 0x0
	s_barrier
	buffer_gl0_inv
	s_clause 0x4
	scratch_load_b128 v[83:86], off, off offset:84
	scratch_load_b128 v[87:90], off, off offset:100
	;; [unrolled: 1-line block ×4, first 2 shown]
	scratch_load_b64 v[3:4], off, off offset:148
	v_mov_b32_e32 v2, 0
	ds_load_2addr_b64 v[99:102], v2 offset0:31 offset1:32
	ds_load_2addr_b64 v[103:106], v2 offset0:33 offset1:34
	s_mov_b32 s0, exec_lo
	s_waitcnt vmcnt(4) lgkmcnt(1)
	v_fma_f32 v99, v84, v99, 0
	s_delay_alu instid0(VALU_DEP_1) | instskip(NEXT) | instid1(VALU_DEP_1)
	v_fmac_f32_e32 v99, v85, v100
	v_fmac_f32_e32 v99, v86, v101
	s_waitcnt vmcnt(3)
	s_delay_alu instid0(VALU_DEP_1) | instskip(SKIP_3) | instid1(VALU_DEP_1)
	v_fmac_f32_e32 v99, v87, v102
	ds_load_2addr_b64 v[84:87], v2 offset0:35 offset1:36
	s_waitcnt lgkmcnt(1)
	v_fmac_f32_e32 v99, v88, v103
	v_fmac_f32_e32 v99, v89, v104
	s_delay_alu instid0(VALU_DEP_1) | instskip(SKIP_1) | instid1(VALU_DEP_1)
	v_fmac_f32_e32 v99, v90, v105
	s_waitcnt vmcnt(2)
	v_fmac_f32_e32 v99, v91, v106
	ds_load_2addr_b64 v[88:91], v2 offset0:37 offset1:38
	s_waitcnt lgkmcnt(1)
	v_fmac_f32_e32 v99, v92, v84
	ds_load_b32 v84, v2 offset:312
	v_fmac_f32_e32 v99, v93, v85
	s_delay_alu instid0(VALU_DEP_1) | instskip(SKIP_1) | instid1(VALU_DEP_1)
	v_fmac_f32_e32 v99, v94, v86
	s_waitcnt vmcnt(1)
	v_fmac_f32_e32 v99, v95, v87
	s_waitcnt lgkmcnt(1)
	s_delay_alu instid0(VALU_DEP_1) | instskip(NEXT) | instid1(VALU_DEP_1)
	v_fmac_f32_e32 v99, v96, v88
	v_fmac_f32_e32 v99, v97, v89
	s_delay_alu instid0(VALU_DEP_1) | instskip(SKIP_1) | instid1(VALU_DEP_1)
	v_fmac_f32_e32 v99, v98, v90
	s_waitcnt vmcnt(0)
	v_fmac_f32_e32 v99, v3, v91
	s_waitcnt lgkmcnt(0)
	s_delay_alu instid0(VALU_DEP_1) | instskip(NEXT) | instid1(VALU_DEP_1)
	v_fmac_f32_e32 v99, v4, v84
	v_sub_f32_e32 v3, v83, v99
	scratch_store_b32 off, v3, off offset:84
	v_cmpx_lt_u32_e32 20, v0
	s_cbranch_execz .LBB102_201
; %bb.200:
	scratch_load_b32 v3, off, off offset:80
	scratch_store_b32 off, v2, off offset:80
	s_waitcnt vmcnt(0)
	ds_store_b32 v1, v3
.LBB102_201:
	s_or_b32 exec_lo, exec_lo, s0
	s_waitcnt lgkmcnt(0)
	s_waitcnt_vscnt null, 0x0
	s_barrier
	buffer_gl0_inv
	s_clause 0x4
	scratch_load_b128 v[83:86], off, off offset:80
	scratch_load_b128 v[87:90], off, off offset:96
	;; [unrolled: 1-line block ×4, first 2 shown]
	scratch_load_b96 v[99:101], off, off offset:144
	ds_load_2addr_b32 v[3:4], v2 offset0:61 offset1:62
	ds_load_2addr_b32 v[102:103], v2 offset0:63 offset1:64
	;; [unrolled: 1-line block ×4, first 2 shown]
	s_mov_b32 s0, exec_lo
	s_waitcnt vmcnt(4) lgkmcnt(3)
	v_fma_f32 v108, v84, v3, 0
	s_delay_alu instid0(VALU_DEP_1)
	v_fmac_f32_e32 v108, v85, v4
	ds_load_2addr_b32 v[3:4], v2 offset0:69 offset1:70
	ds_load_2addr_b32 v[84:85], v2 offset0:71 offset1:72
	s_waitcnt lgkmcnt(4)
	v_fmac_f32_e32 v108, v86, v102
	s_waitcnt vmcnt(3)
	s_delay_alu instid0(VALU_DEP_1) | instskip(SKIP_1) | instid1(VALU_DEP_1)
	v_fmac_f32_e32 v108, v87, v103
	s_waitcnt lgkmcnt(3)
	v_fmac_f32_e32 v108, v88, v104
	s_delay_alu instid0(VALU_DEP_1)
	v_fmac_f32_e32 v108, v89, v105
	ds_load_2addr_b32 v[86:87], v2 offset0:73 offset1:74
	ds_load_2addr_b32 v[88:89], v2 offset0:75 offset1:76
	s_waitcnt lgkmcnt(4)
	v_fmac_f32_e32 v108, v90, v106
	s_waitcnt vmcnt(2)
	s_delay_alu instid0(VALU_DEP_1) | instskip(SKIP_1) | instid1(VALU_DEP_1)
	v_fmac_f32_e32 v108, v91, v107
	s_waitcnt lgkmcnt(3)
	v_fmac_f32_e32 v108, v92, v3
	ds_load_2addr_b32 v[2:3], v2 offset0:77 offset1:78
	v_fmac_f32_e32 v108, v93, v4
	s_waitcnt lgkmcnt(3)
	s_delay_alu instid0(VALU_DEP_1) | instskip(SKIP_1) | instid1(VALU_DEP_1)
	v_fmac_f32_e32 v108, v94, v84
	s_waitcnt vmcnt(1)
	v_fmac_f32_e32 v108, v95, v85
	s_waitcnt lgkmcnt(2)
	s_delay_alu instid0(VALU_DEP_1) | instskip(NEXT) | instid1(VALU_DEP_1)
	v_fmac_f32_e32 v108, v96, v86
	v_fmac_f32_e32 v108, v97, v87
	s_waitcnt lgkmcnt(1)
	s_delay_alu instid0(VALU_DEP_1) | instskip(SKIP_1) | instid1(VALU_DEP_1)
	v_fmac_f32_e32 v108, v98, v88
	s_waitcnt vmcnt(0)
	v_fmac_f32_e32 v108, v99, v89
	s_waitcnt lgkmcnt(0)
	s_delay_alu instid0(VALU_DEP_1) | instskip(NEXT) | instid1(VALU_DEP_1)
	v_fmac_f32_e32 v108, v100, v2
	v_fmac_f32_e32 v108, v101, v3
	s_delay_alu instid0(VALU_DEP_1)
	v_sub_f32_e32 v2, v83, v108
	scratch_store_b32 off, v2, off offset:80
	v_cmpx_lt_u32_e32 19, v0
	s_cbranch_execz .LBB102_203
; %bb.202:
	scratch_load_b32 v2, off, off offset:76
	v_mov_b32_e32 v3, 0
	scratch_store_b32 off, v3, off offset:76
	s_waitcnt vmcnt(0)
	ds_store_b32 v1, v2
.LBB102_203:
	s_or_b32 exec_lo, exec_lo, s0
	s_waitcnt lgkmcnt(0)
	s_waitcnt_vscnt null, 0x0
	s_barrier
	buffer_gl0_inv
	s_clause 0x4
	scratch_load_b128 v[83:86], off, off offset:76
	scratch_load_b128 v[87:90], off, off offset:92
	;; [unrolled: 1-line block ×5, first 2 shown]
	v_mov_b32_e32 v2, 0
	ds_load_b128 v[103:106], v2 offset:240
	ds_load_b128 v[107:110], v2 offset:256
	s_mov_b32 s0, exec_lo
	s_waitcnt vmcnt(4) lgkmcnt(1)
	v_fma_f32 v3, v84, v103, 0
	s_delay_alu instid0(VALU_DEP_1) | instskip(NEXT) | instid1(VALU_DEP_1)
	v_fmac_f32_e32 v3, v85, v104
	v_fmac_f32_e32 v3, v86, v105
	s_waitcnt vmcnt(3)
	s_delay_alu instid0(VALU_DEP_1) | instskip(SKIP_3) | instid1(VALU_DEP_1)
	v_fmac_f32_e32 v3, v87, v106
	ds_load_b128 v[84:87], v2 offset:272
	s_waitcnt lgkmcnt(1)
	v_fmac_f32_e32 v3, v88, v107
	v_fmac_f32_e32 v3, v89, v108
	s_delay_alu instid0(VALU_DEP_1) | instskip(SKIP_1) | instid1(VALU_DEP_1)
	v_fmac_f32_e32 v3, v90, v109
	s_waitcnt vmcnt(2)
	v_fmac_f32_e32 v3, v91, v110
	ds_load_b128 v[88:91], v2 offset:288
	s_waitcnt lgkmcnt(1)
	v_fmac_f32_e32 v3, v92, v84
	s_delay_alu instid0(VALU_DEP_1) | instskip(NEXT) | instid1(VALU_DEP_1)
	v_fmac_f32_e32 v3, v93, v85
	v_fmac_f32_e32 v3, v94, v86
	ds_load_b96 v[84:86], v2 offset:304
	s_waitcnt vmcnt(1)
	v_fmac_f32_e32 v3, v95, v87
	s_waitcnt lgkmcnt(1)
	s_delay_alu instid0(VALU_DEP_1) | instskip(NEXT) | instid1(VALU_DEP_1)
	v_fmac_f32_e32 v3, v96, v88
	v_fmac_f32_e32 v3, v97, v89
	s_delay_alu instid0(VALU_DEP_1) | instskip(SKIP_1) | instid1(VALU_DEP_1)
	v_fmac_f32_e32 v3, v98, v90
	s_waitcnt vmcnt(0)
	v_fmac_f32_e32 v3, v99, v91
	s_waitcnt lgkmcnt(0)
	s_delay_alu instid0(VALU_DEP_1) | instskip(NEXT) | instid1(VALU_DEP_1)
	v_fmac_f32_e32 v3, v100, v84
	v_fmac_f32_e32 v3, v101, v85
	s_delay_alu instid0(VALU_DEP_1) | instskip(NEXT) | instid1(VALU_DEP_1)
	v_fmac_f32_e32 v3, v102, v86
	v_sub_f32_e32 v3, v83, v3
	scratch_store_b32 off, v3, off offset:76
	v_cmpx_lt_u32_e32 18, v0
	s_cbranch_execz .LBB102_205
; %bb.204:
	scratch_load_b32 v3, off, off offset:72
	scratch_store_b32 off, v2, off offset:72
	s_waitcnt vmcnt(0)
	ds_store_b32 v1, v3
.LBB102_205:
	s_or_b32 exec_lo, exec_lo, s0
	s_waitcnt lgkmcnt(0)
	s_waitcnt_vscnt null, 0x0
	s_barrier
	buffer_gl0_inv
	s_clause 0x5
	scratch_load_b128 v[83:86], off, off offset:72
	scratch_load_b128 v[87:90], off, off offset:88
	;; [unrolled: 1-line block ×5, first 2 shown]
	scratch_load_b32 v109, off, off offset:152
	ds_load_2addr_b32 v[3:4], v2 offset0:59 offset1:60
	ds_load_2addr_b32 v[103:104], v2 offset0:61 offset1:62
	;; [unrolled: 1-line block ×4, first 2 shown]
	s_mov_b32 s0, exec_lo
	s_waitcnt vmcnt(5) lgkmcnt(3)
	v_fma_f32 v110, v84, v3, 0
	s_delay_alu instid0(VALU_DEP_1)
	v_fmac_f32_e32 v110, v85, v4
	ds_load_2addr_b32 v[3:4], v2 offset0:67 offset1:68
	ds_load_2addr_b32 v[84:85], v2 offset0:69 offset1:70
	s_waitcnt lgkmcnt(4)
	v_fmac_f32_e32 v110, v86, v103
	s_waitcnt vmcnt(4)
	s_delay_alu instid0(VALU_DEP_1) | instskip(SKIP_1) | instid1(VALU_DEP_1)
	v_fmac_f32_e32 v110, v87, v104
	s_waitcnt lgkmcnt(3)
	v_fmac_f32_e32 v110, v88, v105
	s_delay_alu instid0(VALU_DEP_1)
	v_fmac_f32_e32 v110, v89, v106
	ds_load_2addr_b32 v[86:87], v2 offset0:71 offset1:72
	ds_load_2addr_b32 v[88:89], v2 offset0:73 offset1:74
	s_waitcnt lgkmcnt(4)
	v_fmac_f32_e32 v110, v90, v107
	s_waitcnt vmcnt(3)
	s_delay_alu instid0(VALU_DEP_1) | instskip(SKIP_1) | instid1(VALU_DEP_1)
	v_fmac_f32_e32 v110, v91, v108
	s_waitcnt lgkmcnt(3)
	v_fmac_f32_e32 v110, v92, v3
	s_delay_alu instid0(VALU_DEP_1) | instskip(SKIP_4) | instid1(VALU_DEP_1)
	v_fmac_f32_e32 v110, v93, v4
	ds_load_2addr_b32 v[3:4], v2 offset0:75 offset1:76
	s_waitcnt lgkmcnt(3)
	v_fmac_f32_e32 v110, v94, v84
	s_waitcnt vmcnt(2)
	v_fmac_f32_e32 v110, v95, v85
	ds_load_2addr_b32 v[84:85], v2 offset0:77 offset1:78
	s_waitcnt lgkmcnt(3)
	v_fmac_f32_e32 v110, v96, v86
	s_delay_alu instid0(VALU_DEP_1) | instskip(SKIP_1) | instid1(VALU_DEP_1)
	v_fmac_f32_e32 v110, v97, v87
	s_waitcnt lgkmcnt(2)
	v_fmac_f32_e32 v110, v98, v88
	s_waitcnt vmcnt(1)
	s_delay_alu instid0(VALU_DEP_1) | instskip(SKIP_1) | instid1(VALU_DEP_1)
	v_fmac_f32_e32 v110, v99, v89
	s_waitcnt lgkmcnt(1)
	v_fmac_f32_e32 v110, v100, v3
	s_delay_alu instid0(VALU_DEP_1) | instskip(SKIP_1) | instid1(VALU_DEP_1)
	v_fmac_f32_e32 v110, v101, v4
	s_waitcnt lgkmcnt(0)
	v_fmac_f32_e32 v110, v102, v84
	s_waitcnt vmcnt(0)
	s_delay_alu instid0(VALU_DEP_1) | instskip(NEXT) | instid1(VALU_DEP_1)
	v_fmac_f32_e32 v110, v109, v85
	v_sub_f32_e32 v2, v83, v110
	scratch_store_b32 off, v2, off offset:72
	v_cmpx_lt_u32_e32 17, v0
	s_cbranch_execz .LBB102_207
; %bb.206:
	scratch_load_b32 v2, off, off offset:68
	v_mov_b32_e32 v3, 0
	scratch_store_b32 off, v3, off offset:68
	s_waitcnt vmcnt(0)
	ds_store_b32 v1, v2
.LBB102_207:
	s_or_b32 exec_lo, exec_lo, s0
	s_waitcnt lgkmcnt(0)
	s_waitcnt_vscnt null, 0x0
	s_barrier
	buffer_gl0_inv
	s_clause 0x5
	scratch_load_b128 v[83:86], off, off offset:68
	scratch_load_b128 v[87:90], off, off offset:84
	;; [unrolled: 1-line block ×5, first 2 shown]
	scratch_load_b64 v[3:4], off, off offset:148
	v_mov_b32_e32 v2, 0
	ds_load_2addr_b64 v[103:106], v2 offset0:29 offset1:30
	ds_load_2addr_b64 v[107:110], v2 offset0:31 offset1:32
	s_mov_b32 s0, exec_lo
	s_waitcnt vmcnt(5) lgkmcnt(1)
	v_fma_f32 v103, v84, v103, 0
	s_delay_alu instid0(VALU_DEP_1) | instskip(NEXT) | instid1(VALU_DEP_1)
	v_fmac_f32_e32 v103, v85, v104
	v_fmac_f32_e32 v103, v86, v105
	s_waitcnt vmcnt(4)
	s_delay_alu instid0(VALU_DEP_1) | instskip(SKIP_3) | instid1(VALU_DEP_1)
	v_fmac_f32_e32 v103, v87, v106
	ds_load_2addr_b64 v[84:87], v2 offset0:33 offset1:34
	s_waitcnt lgkmcnt(1)
	v_fmac_f32_e32 v103, v88, v107
	v_fmac_f32_e32 v103, v89, v108
	s_delay_alu instid0(VALU_DEP_1) | instskip(SKIP_1) | instid1(VALU_DEP_1)
	v_fmac_f32_e32 v103, v90, v109
	s_waitcnt vmcnt(3)
	v_fmac_f32_e32 v103, v91, v110
	ds_load_2addr_b64 v[88:91], v2 offset0:35 offset1:36
	s_waitcnt lgkmcnt(1)
	v_fmac_f32_e32 v103, v92, v84
	s_delay_alu instid0(VALU_DEP_1) | instskip(NEXT) | instid1(VALU_DEP_1)
	v_fmac_f32_e32 v103, v93, v85
	v_fmac_f32_e32 v103, v94, v86
	s_waitcnt vmcnt(2)
	s_delay_alu instid0(VALU_DEP_1)
	v_fmac_f32_e32 v103, v95, v87
	ds_load_2addr_b64 v[84:87], v2 offset0:37 offset1:38
	s_waitcnt lgkmcnt(1)
	v_fmac_f32_e32 v103, v96, v88
	ds_load_b32 v88, v2 offset:312
	v_fmac_f32_e32 v103, v97, v89
	s_delay_alu instid0(VALU_DEP_1) | instskip(SKIP_1) | instid1(VALU_DEP_1)
	v_fmac_f32_e32 v103, v98, v90
	s_waitcnt vmcnt(1)
	v_fmac_f32_e32 v103, v99, v91
	s_waitcnt lgkmcnt(1)
	s_delay_alu instid0(VALU_DEP_1) | instskip(NEXT) | instid1(VALU_DEP_1)
	v_fmac_f32_e32 v103, v100, v84
	v_fmac_f32_e32 v103, v101, v85
	s_delay_alu instid0(VALU_DEP_1) | instskip(SKIP_1) | instid1(VALU_DEP_1)
	v_fmac_f32_e32 v103, v102, v86
	s_waitcnt vmcnt(0)
	v_fmac_f32_e32 v103, v3, v87
	s_waitcnt lgkmcnt(0)
	s_delay_alu instid0(VALU_DEP_1) | instskip(NEXT) | instid1(VALU_DEP_1)
	v_fmac_f32_e32 v103, v4, v88
	v_sub_f32_e32 v3, v83, v103
	scratch_store_b32 off, v3, off offset:68
	v_cmpx_lt_u32_e32 16, v0
	s_cbranch_execz .LBB102_209
; %bb.208:
	scratch_load_b32 v3, off, off offset:64
	scratch_store_b32 off, v2, off offset:64
	s_waitcnt vmcnt(0)
	ds_store_b32 v1, v3
.LBB102_209:
	s_or_b32 exec_lo, exec_lo, s0
	s_waitcnt lgkmcnt(0)
	s_waitcnt_vscnt null, 0x0
	s_barrier
	buffer_gl0_inv
	s_clause 0x5
	scratch_load_b128 v[83:86], off, off offset:64
	scratch_load_b128 v[87:90], off, off offset:80
	;; [unrolled: 1-line block ×5, first 2 shown]
	scratch_load_b96 v[103:105], off, off offset:144
	ds_load_2addr_b32 v[3:4], v2 offset0:57 offset1:58
	ds_load_2addr_b32 v[106:107], v2 offset0:59 offset1:60
	;; [unrolled: 1-line block ×4, first 2 shown]
	s_mov_b32 s0, exec_lo
	s_waitcnt vmcnt(5) lgkmcnt(3)
	v_fma_f32 v112, v84, v3, 0
	s_delay_alu instid0(VALU_DEP_1)
	v_fmac_f32_e32 v112, v85, v4
	ds_load_2addr_b32 v[3:4], v2 offset0:65 offset1:66
	ds_load_2addr_b32 v[84:85], v2 offset0:67 offset1:68
	s_waitcnt lgkmcnt(4)
	v_fmac_f32_e32 v112, v86, v106
	s_waitcnt vmcnt(4)
	s_delay_alu instid0(VALU_DEP_1) | instskip(SKIP_1) | instid1(VALU_DEP_1)
	v_fmac_f32_e32 v112, v87, v107
	s_waitcnt lgkmcnt(3)
	v_fmac_f32_e32 v112, v88, v108
	s_delay_alu instid0(VALU_DEP_1)
	v_fmac_f32_e32 v112, v89, v109
	ds_load_2addr_b32 v[86:87], v2 offset0:69 offset1:70
	ds_load_2addr_b32 v[88:89], v2 offset0:71 offset1:72
	s_waitcnt lgkmcnt(4)
	v_fmac_f32_e32 v112, v90, v110
	s_waitcnt vmcnt(3)
	s_delay_alu instid0(VALU_DEP_1) | instskip(SKIP_1) | instid1(VALU_DEP_1)
	v_fmac_f32_e32 v112, v91, v111
	s_waitcnt lgkmcnt(3)
	v_fmac_f32_e32 v112, v92, v3
	s_delay_alu instid0(VALU_DEP_1) | instskip(SKIP_4) | instid1(VALU_DEP_1)
	v_fmac_f32_e32 v112, v93, v4
	ds_load_2addr_b32 v[3:4], v2 offset0:73 offset1:74
	s_waitcnt lgkmcnt(3)
	v_fmac_f32_e32 v112, v94, v84
	s_waitcnt vmcnt(2)
	v_fmac_f32_e32 v112, v95, v85
	ds_load_2addr_b32 v[84:85], v2 offset0:75 offset1:76
	s_waitcnt lgkmcnt(3)
	v_fmac_f32_e32 v112, v96, v86
	s_delay_alu instid0(VALU_DEP_1) | instskip(SKIP_4) | instid1(VALU_DEP_1)
	v_fmac_f32_e32 v112, v97, v87
	ds_load_2addr_b32 v[86:87], v2 offset0:77 offset1:78
	s_waitcnt lgkmcnt(3)
	v_fmac_f32_e32 v112, v98, v88
	s_waitcnt vmcnt(1)
	v_fmac_f32_e32 v112, v99, v89
	s_waitcnt lgkmcnt(2)
	s_delay_alu instid0(VALU_DEP_1) | instskip(NEXT) | instid1(VALU_DEP_1)
	v_fmac_f32_e32 v112, v100, v3
	v_fmac_f32_e32 v112, v101, v4
	s_waitcnt lgkmcnt(1)
	s_delay_alu instid0(VALU_DEP_1) | instskip(SKIP_1) | instid1(VALU_DEP_1)
	v_fmac_f32_e32 v112, v102, v84
	s_waitcnt vmcnt(0)
	v_fmac_f32_e32 v112, v103, v85
	s_waitcnt lgkmcnt(0)
	s_delay_alu instid0(VALU_DEP_1) | instskip(NEXT) | instid1(VALU_DEP_1)
	v_fmac_f32_e32 v112, v104, v86
	v_fmac_f32_e32 v112, v105, v87
	s_delay_alu instid0(VALU_DEP_1)
	v_sub_f32_e32 v2, v83, v112
	scratch_store_b32 off, v2, off offset:64
	v_cmpx_lt_u32_e32 15, v0
	s_cbranch_execz .LBB102_211
; %bb.210:
	scratch_load_b32 v2, off, off offset:60
	v_mov_b32_e32 v3, 0
	scratch_store_b32 off, v3, off offset:60
	s_waitcnt vmcnt(0)
	ds_store_b32 v1, v2
.LBB102_211:
	s_or_b32 exec_lo, exec_lo, s0
	s_waitcnt lgkmcnt(0)
	s_waitcnt_vscnt null, 0x0
	s_barrier
	buffer_gl0_inv
	s_clause 0x5
	scratch_load_b128 v[83:86], off, off offset:60
	scratch_load_b128 v[87:90], off, off offset:76
	;; [unrolled: 1-line block ×6, first 2 shown]
	v_mov_b32_e32 v2, 0
	ds_load_b128 v[107:110], v2 offset:224
	ds_load_b128 v[111:114], v2 offset:240
	s_mov_b32 s0, exec_lo
	s_waitcnt vmcnt(5) lgkmcnt(1)
	v_fma_f32 v3, v84, v107, 0
	s_delay_alu instid0(VALU_DEP_1) | instskip(NEXT) | instid1(VALU_DEP_1)
	v_fmac_f32_e32 v3, v85, v108
	v_fmac_f32_e32 v3, v86, v109
	s_waitcnt vmcnt(4)
	s_delay_alu instid0(VALU_DEP_1) | instskip(SKIP_3) | instid1(VALU_DEP_1)
	v_fmac_f32_e32 v3, v87, v110
	ds_load_b128 v[84:87], v2 offset:256
	s_waitcnt lgkmcnt(1)
	v_fmac_f32_e32 v3, v88, v111
	v_fmac_f32_e32 v3, v89, v112
	s_delay_alu instid0(VALU_DEP_1) | instskip(SKIP_1) | instid1(VALU_DEP_1)
	v_fmac_f32_e32 v3, v90, v113
	s_waitcnt vmcnt(3)
	v_fmac_f32_e32 v3, v91, v114
	ds_load_b128 v[88:91], v2 offset:272
	s_waitcnt lgkmcnt(1)
	v_fmac_f32_e32 v3, v92, v84
	s_delay_alu instid0(VALU_DEP_1) | instskip(NEXT) | instid1(VALU_DEP_1)
	v_fmac_f32_e32 v3, v93, v85
	v_fmac_f32_e32 v3, v94, v86
	s_waitcnt vmcnt(2)
	s_delay_alu instid0(VALU_DEP_1) | instskip(SKIP_3) | instid1(VALU_DEP_1)
	v_fmac_f32_e32 v3, v95, v87
	ds_load_b128 v[84:87], v2 offset:288
	s_waitcnt lgkmcnt(1)
	v_fmac_f32_e32 v3, v96, v88
	v_fmac_f32_e32 v3, v97, v89
	s_delay_alu instid0(VALU_DEP_1) | instskip(SKIP_4) | instid1(VALU_DEP_1)
	v_fmac_f32_e32 v3, v98, v90
	ds_load_b96 v[88:90], v2 offset:304
	s_waitcnt vmcnt(1)
	v_fmac_f32_e32 v3, v99, v91
	s_waitcnt lgkmcnt(1)
	v_fmac_f32_e32 v3, v100, v84
	s_delay_alu instid0(VALU_DEP_1) | instskip(NEXT) | instid1(VALU_DEP_1)
	v_fmac_f32_e32 v3, v101, v85
	v_fmac_f32_e32 v3, v102, v86
	s_waitcnt vmcnt(0)
	s_delay_alu instid0(VALU_DEP_1) | instskip(SKIP_1) | instid1(VALU_DEP_1)
	v_fmac_f32_e32 v3, v103, v87
	s_waitcnt lgkmcnt(0)
	v_fmac_f32_e32 v3, v104, v88
	s_delay_alu instid0(VALU_DEP_1) | instskip(NEXT) | instid1(VALU_DEP_1)
	v_fmac_f32_e32 v3, v105, v89
	v_fmac_f32_e32 v3, v106, v90
	s_delay_alu instid0(VALU_DEP_1)
	v_sub_f32_e32 v3, v83, v3
	scratch_store_b32 off, v3, off offset:60
	v_cmpx_lt_u32_e32 14, v0
	s_cbranch_execz .LBB102_213
; %bb.212:
	scratch_load_b32 v3, off, off offset:56
	scratch_store_b32 off, v2, off offset:56
	s_waitcnt vmcnt(0)
	ds_store_b32 v1, v3
.LBB102_213:
	s_or_b32 exec_lo, exec_lo, s0
	s_waitcnt lgkmcnt(0)
	s_waitcnt_vscnt null, 0x0
	s_barrier
	buffer_gl0_inv
	s_clause 0x6
	scratch_load_b128 v[83:86], off, off offset:56
	scratch_load_b128 v[87:90], off, off offset:72
	;; [unrolled: 1-line block ×6, first 2 shown]
	scratch_load_b32 v113, off, off offset:152
	ds_load_2addr_b32 v[3:4], v2 offset0:55 offset1:56
	ds_load_2addr_b32 v[107:108], v2 offset0:57 offset1:58
	;; [unrolled: 1-line block ×4, first 2 shown]
	s_mov_b32 s0, exec_lo
	s_waitcnt vmcnt(6) lgkmcnt(3)
	v_fma_f32 v114, v84, v3, 0
	s_delay_alu instid0(VALU_DEP_1)
	v_fmac_f32_e32 v114, v85, v4
	ds_load_2addr_b32 v[3:4], v2 offset0:63 offset1:64
	ds_load_2addr_b32 v[84:85], v2 offset0:65 offset1:66
	s_waitcnt lgkmcnt(4)
	v_fmac_f32_e32 v114, v86, v107
	s_waitcnt vmcnt(5)
	s_delay_alu instid0(VALU_DEP_1) | instskip(SKIP_1) | instid1(VALU_DEP_1)
	v_fmac_f32_e32 v114, v87, v108
	s_waitcnt lgkmcnt(3)
	v_fmac_f32_e32 v114, v88, v109
	s_delay_alu instid0(VALU_DEP_1)
	v_fmac_f32_e32 v114, v89, v110
	ds_load_2addr_b32 v[86:87], v2 offset0:67 offset1:68
	ds_load_2addr_b32 v[88:89], v2 offset0:69 offset1:70
	s_waitcnt lgkmcnt(4)
	v_fmac_f32_e32 v114, v90, v111
	s_waitcnt vmcnt(4)
	s_delay_alu instid0(VALU_DEP_1) | instskip(SKIP_1) | instid1(VALU_DEP_1)
	v_fmac_f32_e32 v114, v91, v112
	s_waitcnt lgkmcnt(3)
	v_fmac_f32_e32 v114, v92, v3
	s_delay_alu instid0(VALU_DEP_1) | instskip(SKIP_4) | instid1(VALU_DEP_1)
	v_fmac_f32_e32 v114, v93, v4
	ds_load_2addr_b32 v[3:4], v2 offset0:71 offset1:72
	s_waitcnt lgkmcnt(3)
	v_fmac_f32_e32 v114, v94, v84
	s_waitcnt vmcnt(3)
	v_fmac_f32_e32 v114, v95, v85
	ds_load_2addr_b32 v[84:85], v2 offset0:73 offset1:74
	s_waitcnt lgkmcnt(3)
	v_fmac_f32_e32 v114, v96, v86
	s_delay_alu instid0(VALU_DEP_1) | instskip(SKIP_1) | instid1(VALU_DEP_1)
	v_fmac_f32_e32 v114, v97, v87
	s_waitcnt lgkmcnt(2)
	v_fmac_f32_e32 v114, v98, v88
	s_waitcnt vmcnt(2)
	s_delay_alu instid0(VALU_DEP_1) | instskip(SKIP_4) | instid1(VALU_DEP_1)
	v_fmac_f32_e32 v114, v99, v89
	ds_load_2addr_b32 v[86:87], v2 offset0:75 offset1:76
	ds_load_2addr_b32 v[88:89], v2 offset0:77 offset1:78
	s_waitcnt lgkmcnt(3)
	v_fmac_f32_e32 v114, v100, v3
	v_fmac_f32_e32 v114, v101, v4
	s_waitcnt lgkmcnt(2)
	s_delay_alu instid0(VALU_DEP_1) | instskip(SKIP_1) | instid1(VALU_DEP_1)
	v_fmac_f32_e32 v114, v102, v84
	s_waitcnt vmcnt(1)
	v_fmac_f32_e32 v114, v103, v85
	s_waitcnt lgkmcnt(1)
	s_delay_alu instid0(VALU_DEP_1) | instskip(NEXT) | instid1(VALU_DEP_1)
	v_fmac_f32_e32 v114, v104, v86
	v_fmac_f32_e32 v114, v105, v87
	s_waitcnt lgkmcnt(0)
	s_delay_alu instid0(VALU_DEP_1) | instskip(SKIP_1) | instid1(VALU_DEP_1)
	v_fmac_f32_e32 v114, v106, v88
	s_waitcnt vmcnt(0)
	v_fmac_f32_e32 v114, v113, v89
	s_delay_alu instid0(VALU_DEP_1)
	v_sub_f32_e32 v2, v83, v114
	scratch_store_b32 off, v2, off offset:56
	v_cmpx_lt_u32_e32 13, v0
	s_cbranch_execz .LBB102_215
; %bb.214:
	scratch_load_b32 v2, off, off offset:52
	v_mov_b32_e32 v3, 0
	scratch_store_b32 off, v3, off offset:52
	s_waitcnt vmcnt(0)
	ds_store_b32 v1, v2
.LBB102_215:
	s_or_b32 exec_lo, exec_lo, s0
	s_waitcnt lgkmcnt(0)
	s_waitcnt_vscnt null, 0x0
	s_barrier
	buffer_gl0_inv
	s_clause 0x6
	scratch_load_b128 v[83:86], off, off offset:52
	scratch_load_b128 v[87:90], off, off offset:68
	scratch_load_b128 v[91:94], off, off offset:84
	scratch_load_b128 v[95:98], off, off offset:100
	scratch_load_b128 v[99:102], off, off offset:116
	scratch_load_b128 v[103:106], off, off offset:132
	scratch_load_b64 v[3:4], off, off offset:148
	v_mov_b32_e32 v2, 0
	ds_load_2addr_b64 v[107:110], v2 offset0:27 offset1:28
	ds_load_2addr_b64 v[111:114], v2 offset0:29 offset1:30
	s_mov_b32 s0, exec_lo
	s_waitcnt vmcnt(6) lgkmcnt(1)
	v_fma_f32 v107, v84, v107, 0
	s_delay_alu instid0(VALU_DEP_1) | instskip(NEXT) | instid1(VALU_DEP_1)
	v_fmac_f32_e32 v107, v85, v108
	v_fmac_f32_e32 v107, v86, v109
	s_waitcnt vmcnt(5)
	s_delay_alu instid0(VALU_DEP_1) | instskip(SKIP_3) | instid1(VALU_DEP_1)
	v_fmac_f32_e32 v107, v87, v110
	ds_load_2addr_b64 v[84:87], v2 offset0:31 offset1:32
	s_waitcnt lgkmcnt(1)
	v_fmac_f32_e32 v107, v88, v111
	v_fmac_f32_e32 v107, v89, v112
	s_delay_alu instid0(VALU_DEP_1) | instskip(SKIP_1) | instid1(VALU_DEP_1)
	v_fmac_f32_e32 v107, v90, v113
	s_waitcnt vmcnt(4)
	v_fmac_f32_e32 v107, v91, v114
	ds_load_2addr_b64 v[88:91], v2 offset0:33 offset1:34
	s_waitcnt lgkmcnt(1)
	v_fmac_f32_e32 v107, v92, v84
	s_delay_alu instid0(VALU_DEP_1) | instskip(NEXT) | instid1(VALU_DEP_1)
	v_fmac_f32_e32 v107, v93, v85
	v_fmac_f32_e32 v107, v94, v86
	s_waitcnt vmcnt(3)
	s_delay_alu instid0(VALU_DEP_1) | instskip(SKIP_3) | instid1(VALU_DEP_1)
	v_fmac_f32_e32 v107, v95, v87
	ds_load_2addr_b64 v[84:87], v2 offset0:35 offset1:36
	s_waitcnt lgkmcnt(1)
	v_fmac_f32_e32 v107, v96, v88
	v_fmac_f32_e32 v107, v97, v89
	s_delay_alu instid0(VALU_DEP_1) | instskip(SKIP_1) | instid1(VALU_DEP_1)
	v_fmac_f32_e32 v107, v98, v90
	s_waitcnt vmcnt(2)
	v_fmac_f32_e32 v107, v99, v91
	ds_load_2addr_b64 v[88:91], v2 offset0:37 offset1:38
	s_waitcnt lgkmcnt(1)
	v_fmac_f32_e32 v107, v100, v84
	ds_load_b32 v84, v2 offset:312
	v_fmac_f32_e32 v107, v101, v85
	s_delay_alu instid0(VALU_DEP_1) | instskip(SKIP_1) | instid1(VALU_DEP_1)
	v_fmac_f32_e32 v107, v102, v86
	s_waitcnt vmcnt(1)
	v_fmac_f32_e32 v107, v103, v87
	s_waitcnt lgkmcnt(1)
	s_delay_alu instid0(VALU_DEP_1) | instskip(NEXT) | instid1(VALU_DEP_1)
	v_fmac_f32_e32 v107, v104, v88
	v_fmac_f32_e32 v107, v105, v89
	s_delay_alu instid0(VALU_DEP_1) | instskip(SKIP_1) | instid1(VALU_DEP_1)
	v_fmac_f32_e32 v107, v106, v90
	s_waitcnt vmcnt(0)
	v_fmac_f32_e32 v107, v3, v91
	s_waitcnt lgkmcnt(0)
	s_delay_alu instid0(VALU_DEP_1) | instskip(NEXT) | instid1(VALU_DEP_1)
	v_fmac_f32_e32 v107, v4, v84
	v_sub_f32_e32 v3, v83, v107
	scratch_store_b32 off, v3, off offset:52
	v_cmpx_lt_u32_e32 12, v0
	s_cbranch_execz .LBB102_217
; %bb.216:
	scratch_load_b32 v3, off, off offset:48
	scratch_store_b32 off, v2, off offset:48
	s_waitcnt vmcnt(0)
	ds_store_b32 v1, v3
.LBB102_217:
	s_or_b32 exec_lo, exec_lo, s0
	s_waitcnt lgkmcnt(0)
	s_waitcnt_vscnt null, 0x0
	s_barrier
	buffer_gl0_inv
	s_clause 0x6
	scratch_load_b128 v[83:86], off, off offset:48
	scratch_load_b128 v[87:90], off, off offset:64
	;; [unrolled: 1-line block ×6, first 2 shown]
	scratch_load_b96 v[107:109], off, off offset:144
	ds_load_2addr_b32 v[3:4], v2 offset0:53 offset1:54
	ds_load_2addr_b32 v[110:111], v2 offset0:55 offset1:56
	;; [unrolled: 1-line block ×4, first 2 shown]
	s_mov_b32 s0, exec_lo
	s_waitcnt vmcnt(6) lgkmcnt(3)
	v_fma_f32 v116, v84, v3, 0
	s_delay_alu instid0(VALU_DEP_1)
	v_fmac_f32_e32 v116, v85, v4
	ds_load_2addr_b32 v[3:4], v2 offset0:61 offset1:62
	ds_load_2addr_b32 v[84:85], v2 offset0:63 offset1:64
	s_waitcnt lgkmcnt(4)
	v_fmac_f32_e32 v116, v86, v110
	s_waitcnt vmcnt(5)
	s_delay_alu instid0(VALU_DEP_1) | instskip(SKIP_1) | instid1(VALU_DEP_1)
	v_fmac_f32_e32 v116, v87, v111
	s_waitcnt lgkmcnt(3)
	v_fmac_f32_e32 v116, v88, v112
	s_delay_alu instid0(VALU_DEP_1)
	v_fmac_f32_e32 v116, v89, v113
	ds_load_2addr_b32 v[86:87], v2 offset0:65 offset1:66
	ds_load_2addr_b32 v[88:89], v2 offset0:67 offset1:68
	s_waitcnt lgkmcnt(4)
	v_fmac_f32_e32 v116, v90, v114
	s_waitcnt vmcnt(4)
	s_delay_alu instid0(VALU_DEP_1) | instskip(SKIP_1) | instid1(VALU_DEP_1)
	v_fmac_f32_e32 v116, v91, v115
	s_waitcnt lgkmcnt(3)
	v_fmac_f32_e32 v116, v92, v3
	s_delay_alu instid0(VALU_DEP_1) | instskip(SKIP_4) | instid1(VALU_DEP_1)
	v_fmac_f32_e32 v116, v93, v4
	ds_load_2addr_b32 v[3:4], v2 offset0:69 offset1:70
	s_waitcnt lgkmcnt(3)
	v_fmac_f32_e32 v116, v94, v84
	s_waitcnt vmcnt(3)
	v_fmac_f32_e32 v116, v95, v85
	ds_load_2addr_b32 v[84:85], v2 offset0:71 offset1:72
	s_waitcnt lgkmcnt(3)
	v_fmac_f32_e32 v116, v96, v86
	s_delay_alu instid0(VALU_DEP_1) | instskip(SKIP_1) | instid1(VALU_DEP_1)
	v_fmac_f32_e32 v116, v97, v87
	s_waitcnt lgkmcnt(2)
	v_fmac_f32_e32 v116, v98, v88
	s_waitcnt vmcnt(2)
	s_delay_alu instid0(VALU_DEP_1)
	v_fmac_f32_e32 v116, v99, v89
	ds_load_2addr_b32 v[86:87], v2 offset0:73 offset1:74
	ds_load_2addr_b32 v[88:89], v2 offset0:75 offset1:76
	s_waitcnt lgkmcnt(3)
	v_fmac_f32_e32 v116, v100, v3
	ds_load_2addr_b32 v[2:3], v2 offset0:77 offset1:78
	v_fmac_f32_e32 v116, v101, v4
	s_waitcnt lgkmcnt(3)
	s_delay_alu instid0(VALU_DEP_1) | instskip(SKIP_1) | instid1(VALU_DEP_1)
	v_fmac_f32_e32 v116, v102, v84
	s_waitcnt vmcnt(1)
	v_fmac_f32_e32 v116, v103, v85
	s_waitcnt lgkmcnt(2)
	s_delay_alu instid0(VALU_DEP_1) | instskip(NEXT) | instid1(VALU_DEP_1)
	v_fmac_f32_e32 v116, v104, v86
	v_fmac_f32_e32 v116, v105, v87
	s_waitcnt lgkmcnt(1)
	s_delay_alu instid0(VALU_DEP_1) | instskip(SKIP_1) | instid1(VALU_DEP_1)
	v_fmac_f32_e32 v116, v106, v88
	s_waitcnt vmcnt(0)
	v_fmac_f32_e32 v116, v107, v89
	s_waitcnt lgkmcnt(0)
	s_delay_alu instid0(VALU_DEP_1) | instskip(NEXT) | instid1(VALU_DEP_1)
	v_fmac_f32_e32 v116, v108, v2
	v_fmac_f32_e32 v116, v109, v3
	s_delay_alu instid0(VALU_DEP_1)
	v_sub_f32_e32 v2, v83, v116
	scratch_store_b32 off, v2, off offset:48
	v_cmpx_lt_u32_e32 11, v0
	s_cbranch_execz .LBB102_219
; %bb.218:
	scratch_load_b32 v2, off, off offset:44
	v_mov_b32_e32 v3, 0
	scratch_store_b32 off, v3, off offset:44
	s_waitcnt vmcnt(0)
	ds_store_b32 v1, v2
.LBB102_219:
	s_or_b32 exec_lo, exec_lo, s0
	s_waitcnt lgkmcnt(0)
	s_waitcnt_vscnt null, 0x0
	s_barrier
	buffer_gl0_inv
	s_clause 0x6
	scratch_load_b128 v[83:86], off, off offset:44
	scratch_load_b128 v[87:90], off, off offset:60
	;; [unrolled: 1-line block ×7, first 2 shown]
	v_mov_b32_e32 v2, 0
	ds_load_b128 v[111:114], v2 offset:208
	ds_load_b128 v[115:118], v2 offset:224
	s_mov_b32 s0, exec_lo
	s_waitcnt vmcnt(6) lgkmcnt(1)
	v_fma_f32 v3, v84, v111, 0
	s_delay_alu instid0(VALU_DEP_1) | instskip(NEXT) | instid1(VALU_DEP_1)
	v_fmac_f32_e32 v3, v85, v112
	v_fmac_f32_e32 v3, v86, v113
	s_waitcnt vmcnt(5)
	s_delay_alu instid0(VALU_DEP_1) | instskip(SKIP_3) | instid1(VALU_DEP_1)
	v_fmac_f32_e32 v3, v87, v114
	ds_load_b128 v[84:87], v2 offset:240
	s_waitcnt lgkmcnt(1)
	v_fmac_f32_e32 v3, v88, v115
	v_fmac_f32_e32 v3, v89, v116
	s_delay_alu instid0(VALU_DEP_1) | instskip(SKIP_1) | instid1(VALU_DEP_1)
	v_fmac_f32_e32 v3, v90, v117
	s_waitcnt vmcnt(4)
	v_fmac_f32_e32 v3, v91, v118
	ds_load_b128 v[88:91], v2 offset:256
	s_waitcnt lgkmcnt(1)
	v_fmac_f32_e32 v3, v92, v84
	s_delay_alu instid0(VALU_DEP_1) | instskip(NEXT) | instid1(VALU_DEP_1)
	v_fmac_f32_e32 v3, v93, v85
	v_fmac_f32_e32 v3, v94, v86
	s_waitcnt vmcnt(3)
	s_delay_alu instid0(VALU_DEP_1) | instskip(SKIP_3) | instid1(VALU_DEP_1)
	v_fmac_f32_e32 v3, v95, v87
	ds_load_b128 v[84:87], v2 offset:272
	s_waitcnt lgkmcnt(1)
	v_fmac_f32_e32 v3, v96, v88
	v_fmac_f32_e32 v3, v97, v89
	s_delay_alu instid0(VALU_DEP_1) | instskip(SKIP_1) | instid1(VALU_DEP_1)
	v_fmac_f32_e32 v3, v98, v90
	s_waitcnt vmcnt(2)
	v_fmac_f32_e32 v3, v99, v91
	ds_load_b128 v[88:91], v2 offset:288
	s_waitcnt lgkmcnt(1)
	v_fmac_f32_e32 v3, v100, v84
	s_delay_alu instid0(VALU_DEP_1) | instskip(NEXT) | instid1(VALU_DEP_1)
	v_fmac_f32_e32 v3, v101, v85
	v_fmac_f32_e32 v3, v102, v86
	ds_load_b96 v[84:86], v2 offset:304
	s_waitcnt vmcnt(1)
	v_fmac_f32_e32 v3, v103, v87
	s_waitcnt lgkmcnt(1)
	s_delay_alu instid0(VALU_DEP_1) | instskip(NEXT) | instid1(VALU_DEP_1)
	v_fmac_f32_e32 v3, v104, v88
	v_fmac_f32_e32 v3, v105, v89
	s_delay_alu instid0(VALU_DEP_1) | instskip(SKIP_1) | instid1(VALU_DEP_1)
	v_fmac_f32_e32 v3, v106, v90
	s_waitcnt vmcnt(0)
	v_fmac_f32_e32 v3, v107, v91
	s_waitcnt lgkmcnt(0)
	s_delay_alu instid0(VALU_DEP_1) | instskip(NEXT) | instid1(VALU_DEP_1)
	v_fmac_f32_e32 v3, v108, v84
	v_fmac_f32_e32 v3, v109, v85
	s_delay_alu instid0(VALU_DEP_1) | instskip(NEXT) | instid1(VALU_DEP_1)
	v_fmac_f32_e32 v3, v110, v86
	v_sub_f32_e32 v3, v83, v3
	scratch_store_b32 off, v3, off offset:44
	v_cmpx_lt_u32_e32 10, v0
	s_cbranch_execz .LBB102_221
; %bb.220:
	scratch_load_b32 v3, off, off offset:40
	scratch_store_b32 off, v2, off offset:40
	s_waitcnt vmcnt(0)
	ds_store_b32 v1, v3
.LBB102_221:
	s_or_b32 exec_lo, exec_lo, s0
	s_waitcnt lgkmcnt(0)
	s_waitcnt_vscnt null, 0x0
	s_barrier
	buffer_gl0_inv
	s_clause 0x7
	scratch_load_b128 v[83:86], off, off offset:40
	scratch_load_b128 v[87:90], off, off offset:56
	scratch_load_b128 v[91:94], off, off offset:72
	scratch_load_b128 v[95:98], off, off offset:88
	scratch_load_b128 v[99:102], off, off offset:104
	scratch_load_b128 v[103:106], off, off offset:120
	scratch_load_b128 v[107:110], off, off offset:136
	scratch_load_b32 v117, off, off offset:152
	ds_load_2addr_b32 v[3:4], v2 offset0:51 offset1:52
	ds_load_2addr_b32 v[111:112], v2 offset0:53 offset1:54
	;; [unrolled: 1-line block ×4, first 2 shown]
	s_mov_b32 s0, exec_lo
	s_waitcnt vmcnt(7) lgkmcnt(3)
	v_fma_f32 v118, v84, v3, 0
	s_delay_alu instid0(VALU_DEP_1)
	v_fmac_f32_e32 v118, v85, v4
	ds_load_2addr_b32 v[3:4], v2 offset0:59 offset1:60
	ds_load_2addr_b32 v[84:85], v2 offset0:61 offset1:62
	s_waitcnt lgkmcnt(4)
	v_fmac_f32_e32 v118, v86, v111
	s_waitcnt vmcnt(6)
	s_delay_alu instid0(VALU_DEP_1) | instskip(SKIP_1) | instid1(VALU_DEP_1)
	v_fmac_f32_e32 v118, v87, v112
	s_waitcnt lgkmcnt(3)
	v_fmac_f32_e32 v118, v88, v113
	s_delay_alu instid0(VALU_DEP_1)
	v_fmac_f32_e32 v118, v89, v114
	ds_load_2addr_b32 v[86:87], v2 offset0:63 offset1:64
	ds_load_2addr_b32 v[88:89], v2 offset0:65 offset1:66
	s_waitcnt lgkmcnt(4)
	v_fmac_f32_e32 v118, v90, v115
	s_waitcnt vmcnt(5)
	s_delay_alu instid0(VALU_DEP_1) | instskip(SKIP_1) | instid1(VALU_DEP_1)
	v_fmac_f32_e32 v118, v91, v116
	s_waitcnt lgkmcnt(3)
	v_fmac_f32_e32 v118, v92, v3
	s_delay_alu instid0(VALU_DEP_1) | instskip(SKIP_4) | instid1(VALU_DEP_1)
	v_fmac_f32_e32 v118, v93, v4
	ds_load_2addr_b32 v[3:4], v2 offset0:67 offset1:68
	s_waitcnt lgkmcnt(3)
	v_fmac_f32_e32 v118, v94, v84
	s_waitcnt vmcnt(4)
	v_fmac_f32_e32 v118, v95, v85
	ds_load_2addr_b32 v[84:85], v2 offset0:69 offset1:70
	s_waitcnt lgkmcnt(3)
	v_fmac_f32_e32 v118, v96, v86
	s_delay_alu instid0(VALU_DEP_1) | instskip(SKIP_1) | instid1(VALU_DEP_1)
	v_fmac_f32_e32 v118, v97, v87
	s_waitcnt lgkmcnt(2)
	v_fmac_f32_e32 v118, v98, v88
	s_waitcnt vmcnt(3)
	s_delay_alu instid0(VALU_DEP_1) | instskip(SKIP_4) | instid1(VALU_DEP_1)
	v_fmac_f32_e32 v118, v99, v89
	ds_load_2addr_b32 v[86:87], v2 offset0:71 offset1:72
	ds_load_2addr_b32 v[88:89], v2 offset0:73 offset1:74
	s_waitcnt lgkmcnt(3)
	v_fmac_f32_e32 v118, v100, v3
	v_fmac_f32_e32 v118, v101, v4
	ds_load_2addr_b32 v[3:4], v2 offset0:75 offset1:76
	s_waitcnt lgkmcnt(3)
	v_fmac_f32_e32 v118, v102, v84
	s_waitcnt vmcnt(2)
	s_delay_alu instid0(VALU_DEP_1) | instskip(SKIP_3) | instid1(VALU_DEP_1)
	v_fmac_f32_e32 v118, v103, v85
	ds_load_2addr_b32 v[84:85], v2 offset0:77 offset1:78
	s_waitcnt lgkmcnt(3)
	v_fmac_f32_e32 v118, v104, v86
	v_fmac_f32_e32 v118, v105, v87
	s_waitcnt lgkmcnt(2)
	s_delay_alu instid0(VALU_DEP_1) | instskip(SKIP_1) | instid1(VALU_DEP_1)
	v_fmac_f32_e32 v118, v106, v88
	s_waitcnt vmcnt(1)
	v_fmac_f32_e32 v118, v107, v89
	s_waitcnt lgkmcnt(1)
	s_delay_alu instid0(VALU_DEP_1) | instskip(NEXT) | instid1(VALU_DEP_1)
	v_fmac_f32_e32 v118, v108, v3
	v_fmac_f32_e32 v118, v109, v4
	s_waitcnt lgkmcnt(0)
	s_delay_alu instid0(VALU_DEP_1) | instskip(SKIP_1) | instid1(VALU_DEP_1)
	v_fmac_f32_e32 v118, v110, v84
	s_waitcnt vmcnt(0)
	v_fmac_f32_e32 v118, v117, v85
	s_delay_alu instid0(VALU_DEP_1)
	v_sub_f32_e32 v2, v83, v118
	scratch_store_b32 off, v2, off offset:40
	v_cmpx_lt_u32_e32 9, v0
	s_cbranch_execz .LBB102_223
; %bb.222:
	scratch_load_b32 v2, off, off offset:36
	v_mov_b32_e32 v3, 0
	scratch_store_b32 off, v3, off offset:36
	s_waitcnt vmcnt(0)
	ds_store_b32 v1, v2
.LBB102_223:
	s_or_b32 exec_lo, exec_lo, s0
	s_waitcnt lgkmcnt(0)
	s_waitcnt_vscnt null, 0x0
	s_barrier
	buffer_gl0_inv
	s_clause 0x7
	scratch_load_b128 v[83:86], off, off offset:36
	scratch_load_b128 v[87:90], off, off offset:52
	;; [unrolled: 1-line block ×7, first 2 shown]
	scratch_load_b64 v[3:4], off, off offset:148
	v_mov_b32_e32 v2, 0
	ds_load_2addr_b64 v[111:114], v2 offset0:25 offset1:26
	ds_load_2addr_b64 v[115:118], v2 offset0:27 offset1:28
	s_mov_b32 s0, exec_lo
	s_waitcnt vmcnt(7) lgkmcnt(1)
	v_fma_f32 v111, v84, v111, 0
	s_delay_alu instid0(VALU_DEP_1) | instskip(NEXT) | instid1(VALU_DEP_1)
	v_fmac_f32_e32 v111, v85, v112
	v_fmac_f32_e32 v111, v86, v113
	s_waitcnt vmcnt(6)
	s_delay_alu instid0(VALU_DEP_1) | instskip(SKIP_3) | instid1(VALU_DEP_1)
	v_fmac_f32_e32 v111, v87, v114
	ds_load_2addr_b64 v[84:87], v2 offset0:29 offset1:30
	s_waitcnt lgkmcnt(1)
	v_fmac_f32_e32 v111, v88, v115
	v_fmac_f32_e32 v111, v89, v116
	s_delay_alu instid0(VALU_DEP_1) | instskip(SKIP_1) | instid1(VALU_DEP_1)
	v_fmac_f32_e32 v111, v90, v117
	s_waitcnt vmcnt(5)
	v_fmac_f32_e32 v111, v91, v118
	ds_load_2addr_b64 v[88:91], v2 offset0:31 offset1:32
	s_waitcnt lgkmcnt(1)
	v_fmac_f32_e32 v111, v92, v84
	s_delay_alu instid0(VALU_DEP_1) | instskip(NEXT) | instid1(VALU_DEP_1)
	v_fmac_f32_e32 v111, v93, v85
	v_fmac_f32_e32 v111, v94, v86
	s_waitcnt vmcnt(4)
	s_delay_alu instid0(VALU_DEP_1) | instskip(SKIP_3) | instid1(VALU_DEP_1)
	v_fmac_f32_e32 v111, v95, v87
	ds_load_2addr_b64 v[84:87], v2 offset0:33 offset1:34
	s_waitcnt lgkmcnt(1)
	v_fmac_f32_e32 v111, v96, v88
	v_fmac_f32_e32 v111, v97, v89
	s_delay_alu instid0(VALU_DEP_1) | instskip(SKIP_1) | instid1(VALU_DEP_1)
	v_fmac_f32_e32 v111, v98, v90
	s_waitcnt vmcnt(3)
	v_fmac_f32_e32 v111, v99, v91
	ds_load_2addr_b64 v[88:91], v2 offset0:35 offset1:36
	s_waitcnt lgkmcnt(1)
	v_fmac_f32_e32 v111, v100, v84
	s_delay_alu instid0(VALU_DEP_1) | instskip(NEXT) | instid1(VALU_DEP_1)
	v_fmac_f32_e32 v111, v101, v85
	v_fmac_f32_e32 v111, v102, v86
	s_waitcnt vmcnt(2)
	s_delay_alu instid0(VALU_DEP_1)
	v_fmac_f32_e32 v111, v103, v87
	ds_load_2addr_b64 v[84:87], v2 offset0:37 offset1:38
	s_waitcnt lgkmcnt(1)
	v_fmac_f32_e32 v111, v104, v88
	ds_load_b32 v88, v2 offset:312
	v_fmac_f32_e32 v111, v105, v89
	s_delay_alu instid0(VALU_DEP_1) | instskip(SKIP_1) | instid1(VALU_DEP_1)
	v_fmac_f32_e32 v111, v106, v90
	s_waitcnt vmcnt(1)
	v_fmac_f32_e32 v111, v107, v91
	s_waitcnt lgkmcnt(1)
	s_delay_alu instid0(VALU_DEP_1) | instskip(NEXT) | instid1(VALU_DEP_1)
	v_fmac_f32_e32 v111, v108, v84
	v_fmac_f32_e32 v111, v109, v85
	s_delay_alu instid0(VALU_DEP_1) | instskip(SKIP_1) | instid1(VALU_DEP_1)
	v_fmac_f32_e32 v111, v110, v86
	s_waitcnt vmcnt(0)
	v_fmac_f32_e32 v111, v3, v87
	s_waitcnt lgkmcnt(0)
	s_delay_alu instid0(VALU_DEP_1) | instskip(NEXT) | instid1(VALU_DEP_1)
	v_fmac_f32_e32 v111, v4, v88
	v_sub_f32_e32 v3, v83, v111
	scratch_store_b32 off, v3, off offset:36
	v_cmpx_lt_u32_e32 8, v0
	s_cbranch_execz .LBB102_225
; %bb.224:
	scratch_load_b32 v3, off, off offset:32
	scratch_store_b32 off, v2, off offset:32
	s_waitcnt vmcnt(0)
	ds_store_b32 v1, v3
.LBB102_225:
	s_or_b32 exec_lo, exec_lo, s0
	s_waitcnt lgkmcnt(0)
	s_waitcnt_vscnt null, 0x0
	s_barrier
	buffer_gl0_inv
	s_clause 0x7
	scratch_load_b128 v[83:86], off, off offset:32
	scratch_load_b128 v[87:90], off, off offset:48
	;; [unrolled: 1-line block ×7, first 2 shown]
	scratch_load_b96 v[111:113], off, off offset:144
	ds_load_2addr_b32 v[3:4], v2 offset0:49 offset1:50
	ds_load_2addr_b32 v[114:115], v2 offset0:51 offset1:52
	;; [unrolled: 1-line block ×3, first 2 shown]
	s_mov_b32 s0, exec_lo
	s_waitcnt vmcnt(7) lgkmcnt(2)
	v_fma_f32 v118, v84, v3, 0
	s_delay_alu instid0(VALU_DEP_1)
	v_fmac_f32_e32 v118, v85, v4
	ds_load_2addr_b32 v[3:4], v2 offset0:55 offset1:56
	ds_load_2addr_b32 v[84:85], v2 offset0:57 offset1:58
	s_waitcnt lgkmcnt(3)
	v_fmac_f32_e32 v118, v86, v114
	s_waitcnt vmcnt(6)
	s_delay_alu instid0(VALU_DEP_1) | instskip(SKIP_3) | instid1(VALU_DEP_1)
	v_fmac_f32_e32 v118, v87, v115
	ds_load_2addr_b32 v[86:87], v2 offset0:59 offset1:60
	s_waitcnt lgkmcnt(3)
	v_fmac_f32_e32 v118, v88, v116
	v_fmac_f32_e32 v118, v89, v117
	s_waitcnt lgkmcnt(2)
	s_delay_alu instid0(VALU_DEP_1) | instskip(SKIP_1) | instid1(VALU_DEP_1)
	v_fmac_f32_e32 v118, v90, v3
	s_waitcnt vmcnt(5)
	v_fmac_f32_e32 v118, v91, v4
	ds_load_2addr_b32 v[3:4], v2 offset0:61 offset1:62
	s_waitcnt lgkmcnt(2)
	v_fmac_f32_e32 v118, v92, v84
	s_delay_alu instid0(VALU_DEP_1) | instskip(SKIP_4) | instid1(VALU_DEP_1)
	v_fmac_f32_e32 v118, v93, v85
	ds_load_2addr_b32 v[84:85], v2 offset0:63 offset1:64
	s_waitcnt lgkmcnt(2)
	v_fmac_f32_e32 v118, v94, v86
	s_waitcnt vmcnt(4)
	v_fmac_f32_e32 v118, v95, v87
	ds_load_2addr_b32 v[86:87], v2 offset0:65 offset1:66
	s_waitcnt lgkmcnt(2)
	v_fmac_f32_e32 v118, v96, v3
	s_delay_alu instid0(VALU_DEP_1) | instskip(SKIP_4) | instid1(VALU_DEP_1)
	v_fmac_f32_e32 v118, v97, v4
	ds_load_2addr_b32 v[3:4], v2 offset0:67 offset1:68
	s_waitcnt lgkmcnt(2)
	;; [unrolled: 10-line block ×4, first 2 shown]
	v_fmac_f32_e32 v118, v106, v86
	s_waitcnt vmcnt(1)
	v_fmac_f32_e32 v118, v107, v87
	ds_load_2addr_b32 v[86:87], v2 offset0:77 offset1:78
	s_waitcnt lgkmcnt(2)
	v_fmac_f32_e32 v118, v108, v3
	s_delay_alu instid0(VALU_DEP_1) | instskip(SKIP_1) | instid1(VALU_DEP_1)
	v_fmac_f32_e32 v118, v109, v4
	s_waitcnt lgkmcnt(1)
	v_fmac_f32_e32 v118, v110, v84
	s_waitcnt vmcnt(0)
	s_delay_alu instid0(VALU_DEP_1) | instskip(SKIP_1) | instid1(VALU_DEP_1)
	v_fmac_f32_e32 v118, v111, v85
	s_waitcnt lgkmcnt(0)
	v_fmac_f32_e32 v118, v112, v86
	s_delay_alu instid0(VALU_DEP_1) | instskip(NEXT) | instid1(VALU_DEP_1)
	v_fmac_f32_e32 v118, v113, v87
	v_sub_f32_e32 v2, v83, v118
	scratch_store_b32 off, v2, off offset:32
	v_cmpx_lt_u32_e32 7, v0
	s_cbranch_execz .LBB102_227
; %bb.226:
	scratch_load_b32 v2, off, off offset:28
	v_mov_b32_e32 v3, 0
	scratch_store_b32 off, v3, off offset:28
	s_waitcnt vmcnt(0)
	ds_store_b32 v1, v2
.LBB102_227:
	s_or_b32 exec_lo, exec_lo, s0
	s_waitcnt lgkmcnt(0)
	s_waitcnt_vscnt null, 0x0
	s_barrier
	buffer_gl0_inv
	s_clause 0x7
	scratch_load_b128 v[83:86], off, off offset:28
	scratch_load_b128 v[87:90], off, off offset:44
	;; [unrolled: 1-line block ×8, first 2 shown]
	v_mov_b32_e32 v2, 0
	ds_load_b128 v[115:118], v2 offset:192
	ds_load_b128 v[119:122], v2 offset:208
	s_mov_b32 s0, exec_lo
	s_waitcnt vmcnt(7) lgkmcnt(1)
	v_fma_f32 v3, v84, v115, 0
	s_delay_alu instid0(VALU_DEP_1) | instskip(NEXT) | instid1(VALU_DEP_1)
	v_fmac_f32_e32 v3, v85, v116
	v_fmac_f32_e32 v3, v86, v117
	s_waitcnt vmcnt(6)
	s_delay_alu instid0(VALU_DEP_1) | instskip(SKIP_3) | instid1(VALU_DEP_1)
	v_fmac_f32_e32 v3, v87, v118
	ds_load_b128 v[84:87], v2 offset:224
	s_waitcnt lgkmcnt(1)
	v_fmac_f32_e32 v3, v88, v119
	v_fmac_f32_e32 v3, v89, v120
	s_delay_alu instid0(VALU_DEP_1) | instskip(SKIP_1) | instid1(VALU_DEP_1)
	v_fmac_f32_e32 v3, v90, v121
	s_waitcnt vmcnt(5)
	v_fmac_f32_e32 v3, v91, v122
	ds_load_b128 v[88:91], v2 offset:240
	s_waitcnt lgkmcnt(1)
	v_fmac_f32_e32 v3, v92, v84
	s_delay_alu instid0(VALU_DEP_1) | instskip(NEXT) | instid1(VALU_DEP_1)
	v_fmac_f32_e32 v3, v93, v85
	v_fmac_f32_e32 v3, v94, v86
	s_waitcnt vmcnt(4)
	s_delay_alu instid0(VALU_DEP_1) | instskip(SKIP_3) | instid1(VALU_DEP_1)
	v_fmac_f32_e32 v3, v95, v87
	ds_load_b128 v[84:87], v2 offset:256
	s_waitcnt lgkmcnt(1)
	v_fmac_f32_e32 v3, v96, v88
	v_fmac_f32_e32 v3, v97, v89
	s_delay_alu instid0(VALU_DEP_1) | instskip(SKIP_1) | instid1(VALU_DEP_1)
	v_fmac_f32_e32 v3, v98, v90
	s_waitcnt vmcnt(3)
	v_fmac_f32_e32 v3, v99, v91
	ds_load_b128 v[88:91], v2 offset:272
	s_waitcnt lgkmcnt(1)
	v_fmac_f32_e32 v3, v100, v84
	s_delay_alu instid0(VALU_DEP_1) | instskip(NEXT) | instid1(VALU_DEP_1)
	v_fmac_f32_e32 v3, v101, v85
	v_fmac_f32_e32 v3, v102, v86
	s_waitcnt vmcnt(2)
	s_delay_alu instid0(VALU_DEP_1) | instskip(SKIP_3) | instid1(VALU_DEP_1)
	v_fmac_f32_e32 v3, v103, v87
	ds_load_b128 v[84:87], v2 offset:288
	s_waitcnt lgkmcnt(1)
	v_fmac_f32_e32 v3, v104, v88
	v_fmac_f32_e32 v3, v105, v89
	s_delay_alu instid0(VALU_DEP_1) | instskip(SKIP_4) | instid1(VALU_DEP_1)
	v_fmac_f32_e32 v3, v106, v90
	ds_load_b96 v[88:90], v2 offset:304
	s_waitcnt vmcnt(1)
	v_fmac_f32_e32 v3, v107, v91
	s_waitcnt lgkmcnt(1)
	v_fmac_f32_e32 v3, v108, v84
	s_delay_alu instid0(VALU_DEP_1) | instskip(NEXT) | instid1(VALU_DEP_1)
	v_fmac_f32_e32 v3, v109, v85
	v_fmac_f32_e32 v3, v110, v86
	s_waitcnt vmcnt(0)
	s_delay_alu instid0(VALU_DEP_1) | instskip(SKIP_1) | instid1(VALU_DEP_1)
	v_fmac_f32_e32 v3, v111, v87
	s_waitcnt lgkmcnt(0)
	v_fmac_f32_e32 v3, v112, v88
	s_delay_alu instid0(VALU_DEP_1) | instskip(NEXT) | instid1(VALU_DEP_1)
	v_fmac_f32_e32 v3, v113, v89
	v_fmac_f32_e32 v3, v114, v90
	s_delay_alu instid0(VALU_DEP_1)
	v_sub_f32_e32 v3, v83, v3
	scratch_store_b32 off, v3, off offset:28
	v_cmpx_lt_u32_e32 6, v0
	s_cbranch_execz .LBB102_229
; %bb.228:
	scratch_load_b32 v3, off, off offset:24
	scratch_store_b32 off, v2, off offset:24
	s_waitcnt vmcnt(0)
	ds_store_b32 v1, v3
.LBB102_229:
	s_or_b32 exec_lo, exec_lo, s0
	s_waitcnt lgkmcnt(0)
	s_waitcnt_vscnt null, 0x0
	s_barrier
	buffer_gl0_inv
	s_clause 0x8
	scratch_load_b128 v[83:86], off, off offset:24
	scratch_load_b128 v[87:90], off, off offset:40
	;; [unrolled: 1-line block ×8, first 2 shown]
	scratch_load_b32 v121, off, off offset:152
	ds_load_2addr_b32 v[3:4], v2 offset0:47 offset1:48
	ds_load_2addr_b32 v[115:116], v2 offset0:49 offset1:50
	;; [unrolled: 1-line block ×4, first 2 shown]
	s_mov_b32 s0, exec_lo
	s_waitcnt vmcnt(8) lgkmcnt(3)
	v_fma_f32 v122, v84, v3, 0
	s_delay_alu instid0(VALU_DEP_1)
	v_fmac_f32_e32 v122, v85, v4
	ds_load_2addr_b32 v[3:4], v2 offset0:55 offset1:56
	ds_load_2addr_b32 v[84:85], v2 offset0:57 offset1:58
	s_waitcnt lgkmcnt(4)
	v_fmac_f32_e32 v122, v86, v115
	s_waitcnt vmcnt(7)
	s_delay_alu instid0(VALU_DEP_1) | instskip(SKIP_1) | instid1(VALU_DEP_1)
	v_fmac_f32_e32 v122, v87, v116
	s_waitcnt lgkmcnt(3)
	v_fmac_f32_e32 v122, v88, v117
	s_delay_alu instid0(VALU_DEP_1)
	v_fmac_f32_e32 v122, v89, v118
	ds_load_2addr_b32 v[86:87], v2 offset0:59 offset1:60
	ds_load_2addr_b32 v[88:89], v2 offset0:61 offset1:62
	s_waitcnt lgkmcnt(4)
	v_fmac_f32_e32 v122, v90, v119
	s_waitcnt vmcnt(6)
	s_delay_alu instid0(VALU_DEP_1) | instskip(SKIP_1) | instid1(VALU_DEP_1)
	v_fmac_f32_e32 v122, v91, v120
	s_waitcnt lgkmcnt(3)
	v_fmac_f32_e32 v122, v92, v3
	s_delay_alu instid0(VALU_DEP_1) | instskip(SKIP_4) | instid1(VALU_DEP_1)
	v_fmac_f32_e32 v122, v93, v4
	ds_load_2addr_b32 v[3:4], v2 offset0:63 offset1:64
	s_waitcnt lgkmcnt(3)
	v_fmac_f32_e32 v122, v94, v84
	s_waitcnt vmcnt(5)
	v_fmac_f32_e32 v122, v95, v85
	ds_load_2addr_b32 v[84:85], v2 offset0:65 offset1:66
	s_waitcnt lgkmcnt(3)
	v_fmac_f32_e32 v122, v96, v86
	s_delay_alu instid0(VALU_DEP_1) | instskip(SKIP_1) | instid1(VALU_DEP_1)
	v_fmac_f32_e32 v122, v97, v87
	s_waitcnt lgkmcnt(2)
	v_fmac_f32_e32 v122, v98, v88
	s_waitcnt vmcnt(4)
	s_delay_alu instid0(VALU_DEP_1) | instskip(SKIP_4) | instid1(VALU_DEP_1)
	v_fmac_f32_e32 v122, v99, v89
	ds_load_2addr_b32 v[86:87], v2 offset0:67 offset1:68
	ds_load_2addr_b32 v[88:89], v2 offset0:69 offset1:70
	s_waitcnt lgkmcnt(3)
	v_fmac_f32_e32 v122, v100, v3
	v_fmac_f32_e32 v122, v101, v4
	ds_load_2addr_b32 v[3:4], v2 offset0:71 offset1:72
	s_waitcnt lgkmcnt(3)
	v_fmac_f32_e32 v122, v102, v84
	s_waitcnt vmcnt(3)
	s_delay_alu instid0(VALU_DEP_1) | instskip(SKIP_3) | instid1(VALU_DEP_1)
	v_fmac_f32_e32 v122, v103, v85
	ds_load_2addr_b32 v[84:85], v2 offset0:73 offset1:74
	s_waitcnt lgkmcnt(3)
	v_fmac_f32_e32 v122, v104, v86
	v_fmac_f32_e32 v122, v105, v87
	s_waitcnt lgkmcnt(2)
	s_delay_alu instid0(VALU_DEP_1) | instskip(SKIP_1) | instid1(VALU_DEP_1)
	v_fmac_f32_e32 v122, v106, v88
	s_waitcnt vmcnt(2)
	v_fmac_f32_e32 v122, v107, v89
	ds_load_2addr_b32 v[86:87], v2 offset0:75 offset1:76
	ds_load_2addr_b32 v[88:89], v2 offset0:77 offset1:78
	s_waitcnt lgkmcnt(3)
	v_fmac_f32_e32 v122, v108, v3
	s_delay_alu instid0(VALU_DEP_1) | instskip(SKIP_1) | instid1(VALU_DEP_1)
	v_fmac_f32_e32 v122, v109, v4
	s_waitcnt lgkmcnt(2)
	v_fmac_f32_e32 v122, v110, v84
	s_waitcnt vmcnt(1)
	s_delay_alu instid0(VALU_DEP_1) | instskip(SKIP_1) | instid1(VALU_DEP_1)
	v_fmac_f32_e32 v122, v111, v85
	s_waitcnt lgkmcnt(1)
	v_fmac_f32_e32 v122, v112, v86
	s_delay_alu instid0(VALU_DEP_1) | instskip(SKIP_1) | instid1(VALU_DEP_1)
	v_fmac_f32_e32 v122, v113, v87
	s_waitcnt lgkmcnt(0)
	v_fmac_f32_e32 v122, v114, v88
	s_waitcnt vmcnt(0)
	s_delay_alu instid0(VALU_DEP_1) | instskip(NEXT) | instid1(VALU_DEP_1)
	v_fmac_f32_e32 v122, v121, v89
	v_sub_f32_e32 v2, v83, v122
	scratch_store_b32 off, v2, off offset:24
	v_cmpx_lt_u32_e32 5, v0
	s_cbranch_execz .LBB102_231
; %bb.230:
	scratch_load_b32 v2, off, off offset:20
	v_mov_b32_e32 v3, 0
	scratch_store_b32 off, v3, off offset:20
	s_waitcnt vmcnt(0)
	ds_store_b32 v1, v2
.LBB102_231:
	s_or_b32 exec_lo, exec_lo, s0
	s_waitcnt lgkmcnt(0)
	s_waitcnt_vscnt null, 0x0
	s_barrier
	buffer_gl0_inv
	s_clause 0x8
	scratch_load_b128 v[83:86], off, off offset:20
	scratch_load_b128 v[87:90], off, off offset:36
	;; [unrolled: 1-line block ×8, first 2 shown]
	scratch_load_b64 v[3:4], off, off offset:148
	v_mov_b32_e32 v2, 0
	ds_load_2addr_b64 v[115:118], v2 offset0:23 offset1:24
	ds_load_2addr_b64 v[119:122], v2 offset0:25 offset1:26
	s_mov_b32 s0, exec_lo
	s_waitcnt vmcnt(8) lgkmcnt(1)
	v_fma_f32 v115, v84, v115, 0
	s_delay_alu instid0(VALU_DEP_1) | instskip(NEXT) | instid1(VALU_DEP_1)
	v_fmac_f32_e32 v115, v85, v116
	v_fmac_f32_e32 v115, v86, v117
	s_waitcnt vmcnt(7)
	s_delay_alu instid0(VALU_DEP_1) | instskip(SKIP_3) | instid1(VALU_DEP_1)
	v_fmac_f32_e32 v115, v87, v118
	ds_load_2addr_b64 v[84:87], v2 offset0:27 offset1:28
	s_waitcnt lgkmcnt(1)
	v_fmac_f32_e32 v115, v88, v119
	v_fmac_f32_e32 v115, v89, v120
	s_delay_alu instid0(VALU_DEP_1) | instskip(SKIP_1) | instid1(VALU_DEP_1)
	v_fmac_f32_e32 v115, v90, v121
	s_waitcnt vmcnt(6)
	v_fmac_f32_e32 v115, v91, v122
	ds_load_2addr_b64 v[88:91], v2 offset0:29 offset1:30
	s_waitcnt lgkmcnt(1)
	v_fmac_f32_e32 v115, v92, v84
	s_delay_alu instid0(VALU_DEP_1) | instskip(NEXT) | instid1(VALU_DEP_1)
	v_fmac_f32_e32 v115, v93, v85
	v_fmac_f32_e32 v115, v94, v86
	s_waitcnt vmcnt(5)
	s_delay_alu instid0(VALU_DEP_1) | instskip(SKIP_3) | instid1(VALU_DEP_1)
	v_fmac_f32_e32 v115, v95, v87
	ds_load_2addr_b64 v[84:87], v2 offset0:31 offset1:32
	s_waitcnt lgkmcnt(1)
	v_fmac_f32_e32 v115, v96, v88
	v_fmac_f32_e32 v115, v97, v89
	s_delay_alu instid0(VALU_DEP_1) | instskip(SKIP_1) | instid1(VALU_DEP_1)
	v_fmac_f32_e32 v115, v98, v90
	s_waitcnt vmcnt(4)
	v_fmac_f32_e32 v115, v99, v91
	ds_load_2addr_b64 v[88:91], v2 offset0:33 offset1:34
	s_waitcnt lgkmcnt(1)
	v_fmac_f32_e32 v115, v100, v84
	;; [unrolled: 17-line block ×3, first 2 shown]
	ds_load_b32 v84, v2 offset:312
	v_fmac_f32_e32 v115, v109, v85
	s_delay_alu instid0(VALU_DEP_1) | instskip(SKIP_1) | instid1(VALU_DEP_1)
	v_fmac_f32_e32 v115, v110, v86
	s_waitcnt vmcnt(1)
	v_fmac_f32_e32 v115, v111, v87
	s_waitcnt lgkmcnt(1)
	s_delay_alu instid0(VALU_DEP_1) | instskip(NEXT) | instid1(VALU_DEP_1)
	v_fmac_f32_e32 v115, v112, v88
	v_fmac_f32_e32 v115, v113, v89
	s_delay_alu instid0(VALU_DEP_1) | instskip(SKIP_1) | instid1(VALU_DEP_1)
	v_fmac_f32_e32 v115, v114, v90
	s_waitcnt vmcnt(0)
	v_fmac_f32_e32 v115, v3, v91
	s_waitcnt lgkmcnt(0)
	s_delay_alu instid0(VALU_DEP_1) | instskip(NEXT) | instid1(VALU_DEP_1)
	v_fmac_f32_e32 v115, v4, v84
	v_sub_f32_e32 v3, v83, v115
	scratch_store_b32 off, v3, off offset:20
	v_cmpx_lt_u32_e32 4, v0
	s_cbranch_execz .LBB102_233
; %bb.232:
	scratch_load_b32 v3, off, off offset:16
	scratch_store_b32 off, v2, off offset:16
	s_waitcnt vmcnt(0)
	ds_store_b32 v1, v3
.LBB102_233:
	s_or_b32 exec_lo, exec_lo, s0
	s_waitcnt lgkmcnt(0)
	s_waitcnt_vscnt null, 0x0
	s_barrier
	buffer_gl0_inv
	s_clause 0x8
	scratch_load_b128 v[83:86], off, off offset:16
	scratch_load_b128 v[87:90], off, off offset:32
	;; [unrolled: 1-line block ×8, first 2 shown]
	scratch_load_b96 v[115:117], off, off offset:144
	ds_load_2addr_b32 v[3:4], v2 offset0:45 offset1:46
	ds_load_2addr_b32 v[118:119], v2 offset0:47 offset1:48
	;; [unrolled: 1-line block ×4, first 2 shown]
	s_mov_b32 s0, exec_lo
	s_waitcnt vmcnt(8) lgkmcnt(3)
	v_fma_f32 v124, v84, v3, 0
	s_delay_alu instid0(VALU_DEP_1)
	v_fmac_f32_e32 v124, v85, v4
	ds_load_2addr_b32 v[3:4], v2 offset0:53 offset1:54
	ds_load_2addr_b32 v[84:85], v2 offset0:55 offset1:56
	s_waitcnt lgkmcnt(4)
	v_fmac_f32_e32 v124, v86, v118
	s_waitcnt vmcnt(7)
	s_delay_alu instid0(VALU_DEP_1) | instskip(SKIP_1) | instid1(VALU_DEP_1)
	v_fmac_f32_e32 v124, v87, v119
	s_waitcnt lgkmcnt(3)
	v_fmac_f32_e32 v124, v88, v120
	s_delay_alu instid0(VALU_DEP_1)
	v_fmac_f32_e32 v124, v89, v121
	ds_load_2addr_b32 v[86:87], v2 offset0:57 offset1:58
	ds_load_2addr_b32 v[88:89], v2 offset0:59 offset1:60
	s_waitcnt lgkmcnt(4)
	v_fmac_f32_e32 v124, v90, v122
	s_waitcnt vmcnt(6)
	s_delay_alu instid0(VALU_DEP_1) | instskip(SKIP_1) | instid1(VALU_DEP_1)
	v_fmac_f32_e32 v124, v91, v123
	s_waitcnt lgkmcnt(3)
	v_fmac_f32_e32 v124, v92, v3
	s_delay_alu instid0(VALU_DEP_1) | instskip(SKIP_4) | instid1(VALU_DEP_1)
	v_fmac_f32_e32 v124, v93, v4
	ds_load_2addr_b32 v[3:4], v2 offset0:61 offset1:62
	s_waitcnt lgkmcnt(3)
	v_fmac_f32_e32 v124, v94, v84
	s_waitcnt vmcnt(5)
	v_fmac_f32_e32 v124, v95, v85
	ds_load_2addr_b32 v[84:85], v2 offset0:63 offset1:64
	s_waitcnt lgkmcnt(3)
	v_fmac_f32_e32 v124, v96, v86
	s_delay_alu instid0(VALU_DEP_1) | instskip(SKIP_1) | instid1(VALU_DEP_1)
	v_fmac_f32_e32 v124, v97, v87
	s_waitcnt lgkmcnt(2)
	v_fmac_f32_e32 v124, v98, v88
	s_waitcnt vmcnt(4)
	s_delay_alu instid0(VALU_DEP_1) | instskip(SKIP_4) | instid1(VALU_DEP_1)
	v_fmac_f32_e32 v124, v99, v89
	ds_load_2addr_b32 v[86:87], v2 offset0:65 offset1:66
	ds_load_2addr_b32 v[88:89], v2 offset0:67 offset1:68
	s_waitcnt lgkmcnt(3)
	v_fmac_f32_e32 v124, v100, v3
	v_fmac_f32_e32 v124, v101, v4
	ds_load_2addr_b32 v[3:4], v2 offset0:69 offset1:70
	s_waitcnt lgkmcnt(3)
	v_fmac_f32_e32 v124, v102, v84
	s_waitcnt vmcnt(3)
	s_delay_alu instid0(VALU_DEP_1) | instskip(SKIP_3) | instid1(VALU_DEP_1)
	v_fmac_f32_e32 v124, v103, v85
	ds_load_2addr_b32 v[84:85], v2 offset0:71 offset1:72
	s_waitcnt lgkmcnt(3)
	v_fmac_f32_e32 v124, v104, v86
	v_fmac_f32_e32 v124, v105, v87
	s_waitcnt lgkmcnt(2)
	s_delay_alu instid0(VALU_DEP_1) | instskip(SKIP_1) | instid1(VALU_DEP_1)
	v_fmac_f32_e32 v124, v106, v88
	s_waitcnt vmcnt(2)
	v_fmac_f32_e32 v124, v107, v89
	ds_load_2addr_b32 v[86:87], v2 offset0:73 offset1:74
	ds_load_2addr_b32 v[88:89], v2 offset0:75 offset1:76
	s_waitcnt lgkmcnt(3)
	v_fmac_f32_e32 v124, v108, v3
	ds_load_2addr_b32 v[2:3], v2 offset0:77 offset1:78
	v_fmac_f32_e32 v124, v109, v4
	s_waitcnt lgkmcnt(3)
	s_delay_alu instid0(VALU_DEP_1) | instskip(SKIP_1) | instid1(VALU_DEP_1)
	v_fmac_f32_e32 v124, v110, v84
	s_waitcnt vmcnt(1)
	v_fmac_f32_e32 v124, v111, v85
	s_waitcnt lgkmcnt(2)
	s_delay_alu instid0(VALU_DEP_1) | instskip(NEXT) | instid1(VALU_DEP_1)
	v_fmac_f32_e32 v124, v112, v86
	v_fmac_f32_e32 v124, v113, v87
	s_waitcnt lgkmcnt(1)
	s_delay_alu instid0(VALU_DEP_1) | instskip(SKIP_1) | instid1(VALU_DEP_1)
	v_fmac_f32_e32 v124, v114, v88
	s_waitcnt vmcnt(0)
	v_fmac_f32_e32 v124, v115, v89
	s_waitcnt lgkmcnt(0)
	s_delay_alu instid0(VALU_DEP_1) | instskip(NEXT) | instid1(VALU_DEP_1)
	v_fmac_f32_e32 v124, v116, v2
	v_fmac_f32_e32 v124, v117, v3
	s_delay_alu instid0(VALU_DEP_1)
	v_sub_f32_e32 v2, v83, v124
	scratch_store_b32 off, v2, off offset:16
	v_cmpx_lt_u32_e32 3, v0
	s_cbranch_execz .LBB102_235
; %bb.234:
	scratch_load_b32 v2, off, off offset:12
	v_mov_b32_e32 v3, 0
	scratch_store_b32 off, v3, off offset:12
	s_waitcnt vmcnt(0)
	ds_store_b32 v1, v2
.LBB102_235:
	s_or_b32 exec_lo, exec_lo, s0
	s_waitcnt lgkmcnt(0)
	s_waitcnt_vscnt null, 0x0
	s_barrier
	buffer_gl0_inv
	s_clause 0x8
	scratch_load_b128 v[83:86], off, off offset:12
	scratch_load_b128 v[87:90], off, off offset:28
	;; [unrolled: 1-line block ×9, first 2 shown]
	v_mov_b32_e32 v2, 0
	ds_load_b128 v[119:122], v2 offset:176
	ds_load_b128 v[123:126], v2 offset:192
	s_mov_b32 s0, exec_lo
	s_waitcnt vmcnt(8) lgkmcnt(1)
	v_fma_f32 v3, v84, v119, 0
	s_delay_alu instid0(VALU_DEP_1) | instskip(NEXT) | instid1(VALU_DEP_1)
	v_fmac_f32_e32 v3, v85, v120
	v_fmac_f32_e32 v3, v86, v121
	s_waitcnt vmcnt(7)
	s_delay_alu instid0(VALU_DEP_1) | instskip(SKIP_3) | instid1(VALU_DEP_1)
	v_fmac_f32_e32 v3, v87, v122
	ds_load_b128 v[84:87], v2 offset:208
	s_waitcnt lgkmcnt(1)
	v_fmac_f32_e32 v3, v88, v123
	v_fmac_f32_e32 v3, v89, v124
	s_delay_alu instid0(VALU_DEP_1) | instskip(SKIP_1) | instid1(VALU_DEP_1)
	v_fmac_f32_e32 v3, v90, v125
	s_waitcnt vmcnt(6)
	v_fmac_f32_e32 v3, v91, v126
	ds_load_b128 v[88:91], v2 offset:224
	s_waitcnt lgkmcnt(1)
	v_fmac_f32_e32 v3, v92, v84
	s_delay_alu instid0(VALU_DEP_1) | instskip(NEXT) | instid1(VALU_DEP_1)
	v_fmac_f32_e32 v3, v93, v85
	v_fmac_f32_e32 v3, v94, v86
	s_waitcnt vmcnt(5)
	s_delay_alu instid0(VALU_DEP_1) | instskip(SKIP_3) | instid1(VALU_DEP_1)
	v_fmac_f32_e32 v3, v95, v87
	ds_load_b128 v[84:87], v2 offset:240
	s_waitcnt lgkmcnt(1)
	v_fmac_f32_e32 v3, v96, v88
	v_fmac_f32_e32 v3, v97, v89
	s_delay_alu instid0(VALU_DEP_1) | instskip(SKIP_1) | instid1(VALU_DEP_1)
	v_fmac_f32_e32 v3, v98, v90
	s_waitcnt vmcnt(4)
	v_fmac_f32_e32 v3, v99, v91
	ds_load_b128 v[88:91], v2 offset:256
	s_waitcnt lgkmcnt(1)
	v_fmac_f32_e32 v3, v100, v84
	;; [unrolled: 17-line block ×3, first 2 shown]
	s_delay_alu instid0(VALU_DEP_1) | instskip(NEXT) | instid1(VALU_DEP_1)
	v_fmac_f32_e32 v3, v109, v85
	v_fmac_f32_e32 v3, v110, v86
	ds_load_b96 v[84:86], v2 offset:304
	s_waitcnt vmcnt(1)
	v_fmac_f32_e32 v3, v111, v87
	s_waitcnt lgkmcnt(1)
	s_delay_alu instid0(VALU_DEP_1) | instskip(NEXT) | instid1(VALU_DEP_1)
	v_fmac_f32_e32 v3, v112, v88
	v_fmac_f32_e32 v3, v113, v89
	s_delay_alu instid0(VALU_DEP_1) | instskip(SKIP_1) | instid1(VALU_DEP_1)
	v_fmac_f32_e32 v3, v114, v90
	s_waitcnt vmcnt(0)
	v_fmac_f32_e32 v3, v115, v91
	s_waitcnt lgkmcnt(0)
	s_delay_alu instid0(VALU_DEP_1) | instskip(NEXT) | instid1(VALU_DEP_1)
	v_fmac_f32_e32 v3, v116, v84
	v_fmac_f32_e32 v3, v117, v85
	s_delay_alu instid0(VALU_DEP_1) | instskip(NEXT) | instid1(VALU_DEP_1)
	v_fmac_f32_e32 v3, v118, v86
	v_sub_f32_e32 v3, v83, v3
	scratch_store_b32 off, v3, off offset:12
	v_cmpx_lt_u32_e32 2, v0
	s_cbranch_execz .LBB102_237
; %bb.236:
	scratch_load_b32 v3, off, off offset:8
	scratch_store_b32 off, v2, off offset:8
	s_waitcnt vmcnt(0)
	ds_store_b32 v1, v3
.LBB102_237:
	s_or_b32 exec_lo, exec_lo, s0
	s_waitcnt lgkmcnt(0)
	s_waitcnt_vscnt null, 0x0
	s_barrier
	buffer_gl0_inv
	s_clause 0x9
	scratch_load_b128 v[83:86], off, off offset:8
	scratch_load_b128 v[87:90], off, off offset:24
	;; [unrolled: 1-line block ×9, first 2 shown]
	scratch_load_b32 v125, off, off offset:152
	ds_load_2addr_b32 v[3:4], v2 offset0:43 offset1:44
	ds_load_2addr_b32 v[119:120], v2 offset0:45 offset1:46
	;; [unrolled: 1-line block ×4, first 2 shown]
	s_mov_b32 s0, exec_lo
	s_waitcnt vmcnt(9) lgkmcnt(3)
	v_fma_f32 v126, v84, v3, 0
	s_delay_alu instid0(VALU_DEP_1)
	v_fmac_f32_e32 v126, v85, v4
	ds_load_2addr_b32 v[3:4], v2 offset0:51 offset1:52
	ds_load_2addr_b32 v[84:85], v2 offset0:53 offset1:54
	s_waitcnt lgkmcnt(4)
	v_fmac_f32_e32 v126, v86, v119
	s_waitcnt vmcnt(8)
	s_delay_alu instid0(VALU_DEP_1) | instskip(SKIP_1) | instid1(VALU_DEP_1)
	v_fmac_f32_e32 v126, v87, v120
	s_waitcnt lgkmcnt(3)
	v_fmac_f32_e32 v126, v88, v121
	s_delay_alu instid0(VALU_DEP_1)
	v_fmac_f32_e32 v126, v89, v122
	ds_load_2addr_b32 v[86:87], v2 offset0:55 offset1:56
	ds_load_2addr_b32 v[88:89], v2 offset0:57 offset1:58
	s_waitcnt lgkmcnt(4)
	v_fmac_f32_e32 v126, v90, v123
	s_waitcnt vmcnt(7)
	s_delay_alu instid0(VALU_DEP_1) | instskip(SKIP_1) | instid1(VALU_DEP_1)
	v_fmac_f32_e32 v126, v91, v124
	s_waitcnt lgkmcnt(3)
	v_fmac_f32_e32 v126, v92, v3
	s_delay_alu instid0(VALU_DEP_1) | instskip(SKIP_4) | instid1(VALU_DEP_1)
	v_fmac_f32_e32 v126, v93, v4
	ds_load_2addr_b32 v[3:4], v2 offset0:59 offset1:60
	s_waitcnt lgkmcnt(3)
	v_fmac_f32_e32 v126, v94, v84
	s_waitcnt vmcnt(6)
	v_fmac_f32_e32 v126, v95, v85
	ds_load_2addr_b32 v[84:85], v2 offset0:61 offset1:62
	s_waitcnt lgkmcnt(3)
	v_fmac_f32_e32 v126, v96, v86
	s_delay_alu instid0(VALU_DEP_1) | instskip(SKIP_1) | instid1(VALU_DEP_1)
	v_fmac_f32_e32 v126, v97, v87
	s_waitcnt lgkmcnt(2)
	v_fmac_f32_e32 v126, v98, v88
	s_waitcnt vmcnt(5)
	s_delay_alu instid0(VALU_DEP_1) | instskip(SKIP_4) | instid1(VALU_DEP_1)
	v_fmac_f32_e32 v126, v99, v89
	ds_load_2addr_b32 v[86:87], v2 offset0:63 offset1:64
	ds_load_2addr_b32 v[88:89], v2 offset0:65 offset1:66
	s_waitcnt lgkmcnt(3)
	v_fmac_f32_e32 v126, v100, v3
	v_fmac_f32_e32 v126, v101, v4
	ds_load_2addr_b32 v[3:4], v2 offset0:67 offset1:68
	s_waitcnt lgkmcnt(3)
	v_fmac_f32_e32 v126, v102, v84
	s_waitcnt vmcnt(4)
	s_delay_alu instid0(VALU_DEP_1) | instskip(SKIP_3) | instid1(VALU_DEP_1)
	v_fmac_f32_e32 v126, v103, v85
	ds_load_2addr_b32 v[84:85], v2 offset0:69 offset1:70
	s_waitcnt lgkmcnt(3)
	v_fmac_f32_e32 v126, v104, v86
	v_fmac_f32_e32 v126, v105, v87
	s_waitcnt lgkmcnt(2)
	s_delay_alu instid0(VALU_DEP_1) | instskip(SKIP_1) | instid1(VALU_DEP_1)
	v_fmac_f32_e32 v126, v106, v88
	s_waitcnt vmcnt(3)
	v_fmac_f32_e32 v126, v107, v89
	ds_load_2addr_b32 v[86:87], v2 offset0:71 offset1:72
	ds_load_2addr_b32 v[88:89], v2 offset0:73 offset1:74
	s_waitcnt lgkmcnt(3)
	v_fmac_f32_e32 v126, v108, v3
	s_delay_alu instid0(VALU_DEP_1) | instskip(SKIP_4) | instid1(VALU_DEP_1)
	v_fmac_f32_e32 v126, v109, v4
	ds_load_2addr_b32 v[3:4], v2 offset0:75 offset1:76
	s_waitcnt lgkmcnt(3)
	v_fmac_f32_e32 v126, v110, v84
	s_waitcnt vmcnt(2)
	v_fmac_f32_e32 v126, v111, v85
	ds_load_2addr_b32 v[84:85], v2 offset0:77 offset1:78
	s_waitcnt lgkmcnt(3)
	v_fmac_f32_e32 v126, v112, v86
	s_delay_alu instid0(VALU_DEP_1) | instskip(SKIP_1) | instid1(VALU_DEP_1)
	v_fmac_f32_e32 v126, v113, v87
	s_waitcnt lgkmcnt(2)
	v_fmac_f32_e32 v126, v114, v88
	s_waitcnt vmcnt(1)
	s_delay_alu instid0(VALU_DEP_1) | instskip(SKIP_1) | instid1(VALU_DEP_1)
	v_fmac_f32_e32 v126, v115, v89
	s_waitcnt lgkmcnt(1)
	v_fmac_f32_e32 v126, v116, v3
	s_delay_alu instid0(VALU_DEP_1) | instskip(SKIP_1) | instid1(VALU_DEP_1)
	v_fmac_f32_e32 v126, v117, v4
	s_waitcnt lgkmcnt(0)
	v_fmac_f32_e32 v126, v118, v84
	s_waitcnt vmcnt(0)
	s_delay_alu instid0(VALU_DEP_1) | instskip(NEXT) | instid1(VALU_DEP_1)
	v_fmac_f32_e32 v126, v125, v85
	v_sub_f32_e32 v2, v83, v126
	scratch_store_b32 off, v2, off offset:8
	v_cmpx_lt_u32_e32 1, v0
	s_cbranch_execz .LBB102_239
; %bb.238:
	scratch_load_b32 v2, off, off offset:4
	v_mov_b32_e32 v3, 0
	scratch_store_b32 off, v3, off offset:4
	s_waitcnt vmcnt(0)
	ds_store_b32 v1, v2
.LBB102_239:
	s_or_b32 exec_lo, exec_lo, s0
	s_waitcnt lgkmcnt(0)
	s_waitcnt_vscnt null, 0x0
	s_barrier
	buffer_gl0_inv
	s_clause 0x9
	scratch_load_b128 v[83:86], off, off offset:4
	scratch_load_b128 v[87:90], off, off offset:20
	;; [unrolled: 1-line block ×9, first 2 shown]
	scratch_load_b64 v[127:128], off, off offset:148
	v_mov_b32_e32 v3, 0
	ds_load_2addr_b64 v[119:122], v3 offset0:21 offset1:22
	ds_load_2addr_b64 v[123:126], v3 offset0:23 offset1:24
	s_mov_b32 s0, exec_lo
	s_waitcnt vmcnt(9) lgkmcnt(1)
	v_fma_f32 v2, v84, v119, 0
	s_delay_alu instid0(VALU_DEP_1) | instskip(SKIP_3) | instid1(VALU_DEP_1)
	v_fmac_f32_e32 v2, v85, v120
	ds_load_b32 v4, v3 offset:312
	v_fmac_f32_e32 v2, v86, v121
	s_waitcnt vmcnt(8)
	v_fmac_f32_e32 v2, v87, v122
	ds_load_2addr_b64 v[84:87], v3 offset0:25 offset1:26
	s_waitcnt lgkmcnt(2)
	v_fmac_f32_e32 v2, v88, v123
	s_delay_alu instid0(VALU_DEP_1) | instskip(NEXT) | instid1(VALU_DEP_1)
	v_fmac_f32_e32 v2, v89, v124
	v_fmac_f32_e32 v2, v90, v125
	s_waitcnt vmcnt(7)
	s_delay_alu instid0(VALU_DEP_1) | instskip(SKIP_3) | instid1(VALU_DEP_1)
	v_fmac_f32_e32 v2, v91, v126
	ds_load_2addr_b64 v[88:91], v3 offset0:27 offset1:28
	s_waitcnt lgkmcnt(1)
	v_fmac_f32_e32 v2, v92, v84
	v_fmac_f32_e32 v2, v93, v85
	s_delay_alu instid0(VALU_DEP_1) | instskip(SKIP_1) | instid1(VALU_DEP_1)
	v_fmac_f32_e32 v2, v94, v86
	s_waitcnt vmcnt(6)
	v_fmac_f32_e32 v2, v95, v87
	ds_load_2addr_b64 v[84:87], v3 offset0:29 offset1:30
	s_waitcnt lgkmcnt(1)
	v_fmac_f32_e32 v2, v96, v88
	s_delay_alu instid0(VALU_DEP_1) | instskip(NEXT) | instid1(VALU_DEP_1)
	v_fmac_f32_e32 v2, v97, v89
	v_fmac_f32_e32 v2, v98, v90
	s_waitcnt vmcnt(5)
	s_delay_alu instid0(VALU_DEP_1) | instskip(SKIP_3) | instid1(VALU_DEP_1)
	v_fmac_f32_e32 v2, v99, v91
	ds_load_2addr_b64 v[88:91], v3 offset0:31 offset1:32
	s_waitcnt lgkmcnt(1)
	v_fmac_f32_e32 v2, v100, v84
	v_fmac_f32_e32 v2, v101, v85
	s_delay_alu instid0(VALU_DEP_1) | instskip(SKIP_1) | instid1(VALU_DEP_1)
	;; [unrolled: 17-line block ×3, first 2 shown]
	v_fmac_f32_e32 v2, v110, v86
	s_waitcnt vmcnt(2)
	v_fmac_f32_e32 v2, v111, v87
	ds_load_2addr_b64 v[84:87], v3 offset0:37 offset1:38
	s_waitcnt lgkmcnt(1)
	v_fmac_f32_e32 v2, v112, v88
	s_delay_alu instid0(VALU_DEP_1) | instskip(NEXT) | instid1(VALU_DEP_1)
	v_fmac_f32_e32 v2, v113, v89
	v_fmac_f32_e32 v2, v114, v90
	s_waitcnt vmcnt(1)
	s_delay_alu instid0(VALU_DEP_1) | instskip(SKIP_1) | instid1(VALU_DEP_1)
	v_fmac_f32_e32 v2, v115, v91
	s_waitcnt lgkmcnt(0)
	v_fmac_f32_e32 v2, v116, v84
	s_delay_alu instid0(VALU_DEP_1) | instskip(NEXT) | instid1(VALU_DEP_1)
	v_fmac_f32_e32 v2, v117, v85
	v_fmac_f32_e32 v2, v118, v86
	s_waitcnt vmcnt(0)
	s_delay_alu instid0(VALU_DEP_1) | instskip(NEXT) | instid1(VALU_DEP_1)
	v_fmac_f32_e32 v2, v127, v87
	v_fmac_f32_e32 v2, v128, v4
	s_delay_alu instid0(VALU_DEP_1)
	v_sub_f32_e32 v2, v83, v2
	scratch_store_b32 off, v2, off offset:4
	v_cmpx_ne_u32_e32 0, v0
	s_cbranch_execz .LBB102_241
; %bb.240:
	scratch_load_b32 v0, off, off
	scratch_store_b32 off, v3, off
	s_waitcnt vmcnt(0)
	ds_store_b32 v1, v0
.LBB102_241:
	s_or_b32 exec_lo, exec_lo, s0
	s_waitcnt lgkmcnt(0)
	s_waitcnt_vscnt null, 0x0
	s_barrier
	buffer_gl0_inv
	s_clause 0x9
	scratch_load_b128 v[83:86], off, off
	scratch_load_b128 v[87:90], off, off offset:16
	scratch_load_b128 v[91:94], off, off offset:32
	;; [unrolled: 1-line block ×8, first 2 shown]
	scratch_load_b96 v[0:2], off, off offset:144
	ds_load_2addr_b32 v[119:120], v3 offset0:41 offset1:42
	ds_load_2addr_b32 v[121:122], v3 offset0:43 offset1:44
	;; [unrolled: 1-line block ×4, first 2 shown]
	s_and_b32 vcc_lo, exec_lo, s12
	s_waitcnt vmcnt(9) lgkmcnt(3)
	v_fma_f32 v119, v84, v119, 0
	s_delay_alu instid0(VALU_DEP_1) | instskip(SKIP_4) | instid1(VALU_DEP_1)
	v_fmac_f32_e32 v119, v85, v120
	ds_load_2addr_b32 v[84:85], v3 offset0:49 offset1:50
	s_waitcnt lgkmcnt(3)
	v_fmac_f32_e32 v119, v86, v121
	s_waitcnt vmcnt(8)
	v_fmac_f32_e32 v119, v87, v122
	ds_load_2addr_b32 v[86:87], v3 offset0:51 offset1:52
	s_waitcnt lgkmcnt(3)
	v_fmac_f32_e32 v119, v88, v123
	s_delay_alu instid0(VALU_DEP_1) | instskip(SKIP_1) | instid1(VALU_DEP_1)
	v_fmac_f32_e32 v119, v89, v124
	s_waitcnt lgkmcnt(2)
	v_fmac_f32_e32 v119, v90, v125
	s_waitcnt vmcnt(7)
	s_delay_alu instid0(VALU_DEP_1) | instskip(SKIP_4) | instid1(VALU_DEP_1)
	v_fmac_f32_e32 v119, v91, v126
	ds_load_2addr_b32 v[88:89], v3 offset0:53 offset1:54
	ds_load_2addr_b32 v[90:91], v3 offset0:55 offset1:56
	s_waitcnt lgkmcnt(3)
	v_fmac_f32_e32 v119, v92, v84
	v_fmac_f32_e32 v119, v93, v85
	ds_load_2addr_b32 v[84:85], v3 offset0:57 offset1:58
	s_waitcnt lgkmcnt(3)
	v_fmac_f32_e32 v119, v94, v86
	s_waitcnt vmcnt(6)
	s_delay_alu instid0(VALU_DEP_1) | instskip(SKIP_3) | instid1(VALU_DEP_1)
	v_fmac_f32_e32 v119, v95, v87
	ds_load_2addr_b32 v[86:87], v3 offset0:59 offset1:60
	s_waitcnt lgkmcnt(3)
	v_fmac_f32_e32 v119, v96, v88
	v_fmac_f32_e32 v119, v97, v89
	s_waitcnt lgkmcnt(2)
	s_delay_alu instid0(VALU_DEP_1) | instskip(SKIP_1) | instid1(VALU_DEP_1)
	v_fmac_f32_e32 v119, v98, v90
	s_waitcnt vmcnt(5)
	v_fmac_f32_e32 v119, v99, v91
	ds_load_2addr_b32 v[88:89], v3 offset0:61 offset1:62
	ds_load_2addr_b32 v[90:91], v3 offset0:63 offset1:64
	s_waitcnt lgkmcnt(3)
	v_fmac_f32_e32 v119, v100, v84
	s_delay_alu instid0(VALU_DEP_1) | instskip(SKIP_4) | instid1(VALU_DEP_1)
	v_fmac_f32_e32 v119, v101, v85
	ds_load_2addr_b32 v[84:85], v3 offset0:65 offset1:66
	s_waitcnt lgkmcnt(3)
	v_fmac_f32_e32 v119, v102, v86
	s_waitcnt vmcnt(4)
	v_fmac_f32_e32 v119, v103, v87
	ds_load_2addr_b32 v[86:87], v3 offset0:67 offset1:68
	s_waitcnt lgkmcnt(3)
	v_fmac_f32_e32 v119, v104, v88
	s_delay_alu instid0(VALU_DEP_1) | instskip(SKIP_1) | instid1(VALU_DEP_1)
	v_fmac_f32_e32 v119, v105, v89
	s_waitcnt lgkmcnt(2)
	v_fmac_f32_e32 v119, v106, v90
	s_waitcnt vmcnt(3)
	s_delay_alu instid0(VALU_DEP_1) | instskip(SKIP_4) | instid1(VALU_DEP_1)
	v_fmac_f32_e32 v119, v107, v91
	ds_load_2addr_b32 v[88:89], v3 offset0:69 offset1:70
	ds_load_2addr_b32 v[90:91], v3 offset0:71 offset1:72
	s_waitcnt lgkmcnt(3)
	v_fmac_f32_e32 v119, v108, v84
	v_fmac_f32_e32 v119, v109, v85
	ds_load_2addr_b32 v[84:85], v3 offset0:73 offset1:74
	s_waitcnt lgkmcnt(3)
	v_fmac_f32_e32 v119, v110, v86
	s_waitcnt vmcnt(2)
	s_delay_alu instid0(VALU_DEP_1) | instskip(SKIP_4) | instid1(VALU_DEP_1)
	v_fmac_f32_e32 v119, v111, v87
	ds_load_2addr_b32 v[86:87], v3 offset0:75 offset1:76
	ds_load_2addr_b32 v[3:4], v3 offset0:77 offset1:78
	s_waitcnt lgkmcnt(4)
	v_fmac_f32_e32 v119, v112, v88
	v_fmac_f32_e32 v119, v113, v89
	s_waitcnt lgkmcnt(3)
	s_delay_alu instid0(VALU_DEP_1) | instskip(SKIP_1) | instid1(VALU_DEP_1)
	v_fmac_f32_e32 v119, v114, v90
	s_waitcnt vmcnt(1)
	v_fmac_f32_e32 v119, v115, v91
	s_waitcnt lgkmcnt(2)
	s_delay_alu instid0(VALU_DEP_1) | instskip(NEXT) | instid1(VALU_DEP_1)
	v_fmac_f32_e32 v119, v116, v84
	v_fmac_f32_e32 v119, v117, v85
	s_waitcnt lgkmcnt(1)
	s_delay_alu instid0(VALU_DEP_1) | instskip(SKIP_1) | instid1(VALU_DEP_1)
	v_fmac_f32_e32 v119, v118, v86
	s_waitcnt vmcnt(0)
	v_fmac_f32_e32 v119, v0, v87
	s_waitcnt lgkmcnt(0)
	s_delay_alu instid0(VALU_DEP_1) | instskip(NEXT) | instid1(VALU_DEP_1)
	v_fmac_f32_e32 v119, v1, v3
	v_fmac_f32_e32 v119, v2, v4
	s_delay_alu instid0(VALU_DEP_1)
	v_sub_f32_e32 v0, v83, v119
	scratch_store_b32 off, v0, off
	s_cbranch_vccz .LBB102_319
; %bb.242:
	v_dual_mov_b32 v2, s2 :: v_dual_mov_b32 v3, s3
	s_mov_b32 s0, exec_lo
	flat_load_b32 v0, v[2:3] offset:148
	s_waitcnt vmcnt(0) lgkmcnt(0)
	v_cmpx_ne_u32_e32 38, v0
	s_cbranch_execz .LBB102_244
; %bb.243:
	v_lshl_add_u32 v0, v0, 2, 0
	scratch_load_b32 v2, v0, off offset:-4
	s_waitcnt vmcnt(0)
	scratch_store_b32 off, v2, off offset:148
	scratch_store_b32 v0, v1, off offset:-4
.LBB102_244:
	s_or_b32 exec_lo, exec_lo, s0
	v_dual_mov_b32 v0, s2 :: v_dual_mov_b32 v1, s3
	s_mov_b32 s0, exec_lo
	flat_load_b32 v0, v[0:1] offset:144
	s_waitcnt vmcnt(0) lgkmcnt(0)
	v_cmpx_ne_u32_e32 37, v0
	s_cbranch_execz .LBB102_246
; %bb.245:
	v_lshl_add_u32 v0, v0, 2, 0
	scratch_load_b32 v1, v0, off offset:-4
	scratch_load_b32 v2, off, off offset:144
	s_waitcnt vmcnt(1)
	scratch_store_b32 off, v1, off offset:144
	s_waitcnt vmcnt(0)
	scratch_store_b32 v0, v2, off offset:-4
.LBB102_246:
	s_or_b32 exec_lo, exec_lo, s0
	v_dual_mov_b32 v0, s2 :: v_dual_mov_b32 v1, s3
	s_mov_b32 s0, exec_lo
	flat_load_b32 v0, v[0:1] offset:140
	s_waitcnt vmcnt(0) lgkmcnt(0)
	v_cmpx_ne_u32_e32 36, v0
	s_cbranch_execz .LBB102_248
; %bb.247:
	v_lshl_add_u32 v0, v0, 2, 0
	scratch_load_b32 v1, v0, off offset:-4
	scratch_load_b32 v2, off, off offset:140
	s_waitcnt vmcnt(1)
	scratch_store_b32 off, v1, off offset:140
	s_waitcnt vmcnt(0)
	scratch_store_b32 v0, v2, off offset:-4
.LBB102_248:
	;; [unrolled: 16-line block ×36, first 2 shown]
	s_or_b32 exec_lo, exec_lo, s0
	v_dual_mov_b32 v0, s2 :: v_dual_mov_b32 v1, s3
	s_mov_b32 s0, exec_lo
	flat_load_b32 v1, v[0:1]
	scratch_load_b32 v0, off, off
	s_waitcnt vmcnt(1) lgkmcnt(0)
	v_cmpx_ne_u32_e32 1, v1
	s_cbranch_execz .LBB102_318
; %bb.317:
	v_lshl_add_u32 v1, v1, 2, 0
	scratch_load_b32 v2, v1, off offset:-4
	s_waitcnt vmcnt(0)
	scratch_store_b32 off, v2, off
	scratch_store_b32 v1, v0, off offset:-4
	scratch_load_b32 v0, off, off
.LBB102_318:
	s_or_b32 exec_lo, exec_lo, s0
.LBB102_319:
	s_clause 0x9
	scratch_load_b128 v[1:4], off, off offset:4
	scratch_load_b128 v[83:86], off, off offset:20
	;; [unrolled: 1-line block ×9, first 2 shown]
	scratch_load_b64 v[115:116], off, off offset:148
	s_waitcnt vmcnt(10)
	global_store_b32 v[5:6], v0, off
	s_waitcnt vmcnt(9)
	s_clause 0x3
	global_store_b32 v[7:8], v1, off
	global_store_b32 v[9:10], v2, off
	global_store_b32 v[11:12], v3, off
	global_store_b32 v[13:14], v4, off
	s_waitcnt vmcnt(8)
	s_clause 0x3
	global_store_b32 v[15:16], v83, off
	global_store_b32 v[17:18], v84, off
	global_store_b32 v[19:20], v85, off
	;; [unrolled: 6-line block ×9, first 2 shown]
	global_store_b32 v[79:80], v114, off
	s_waitcnt vmcnt(0)
	s_clause 0x1
	global_store_b32 v[81:82], v115, off
	global_store_b32 v[51:52], v116, off
	s_endpgm
	.section	.rodata,"a",@progbits
	.p2align	6, 0x0
	.amdhsa_kernel _ZN9rocsolver6v33100L18getri_kernel_smallILi39EfPKPfEEvT1_iilPiilS6_bb
		.amdhsa_group_segment_fixed_size 316
		.amdhsa_private_segment_fixed_size 160
		.amdhsa_kernarg_size 60
		.amdhsa_user_sgpr_count 15
		.amdhsa_user_sgpr_dispatch_ptr 0
		.amdhsa_user_sgpr_queue_ptr 0
		.amdhsa_user_sgpr_kernarg_segment_ptr 1
		.amdhsa_user_sgpr_dispatch_id 0
		.amdhsa_user_sgpr_private_segment_size 0
		.amdhsa_wavefront_size32 1
		.amdhsa_uses_dynamic_stack 0
		.amdhsa_enable_private_segment 1
		.amdhsa_system_sgpr_workgroup_id_x 1
		.amdhsa_system_sgpr_workgroup_id_y 0
		.amdhsa_system_sgpr_workgroup_id_z 0
		.amdhsa_system_sgpr_workgroup_info 0
		.amdhsa_system_vgpr_workitem_id 0
		.amdhsa_next_free_vgpr 129
		.amdhsa_next_free_sgpr 17
		.amdhsa_reserve_vcc 1
		.amdhsa_float_round_mode_32 0
		.amdhsa_float_round_mode_16_64 0
		.amdhsa_float_denorm_mode_32 3
		.amdhsa_float_denorm_mode_16_64 3
		.amdhsa_dx10_clamp 1
		.amdhsa_ieee_mode 1
		.amdhsa_fp16_overflow 0
		.amdhsa_workgroup_processor_mode 1
		.amdhsa_memory_ordered 1
		.amdhsa_forward_progress 0
		.amdhsa_shared_vgpr_count 0
		.amdhsa_exception_fp_ieee_invalid_op 0
		.amdhsa_exception_fp_denorm_src 0
		.amdhsa_exception_fp_ieee_div_zero 0
		.amdhsa_exception_fp_ieee_overflow 0
		.amdhsa_exception_fp_ieee_underflow 0
		.amdhsa_exception_fp_ieee_inexact 0
		.amdhsa_exception_int_div_zero 0
	.end_amdhsa_kernel
	.section	.text._ZN9rocsolver6v33100L18getri_kernel_smallILi39EfPKPfEEvT1_iilPiilS6_bb,"axG",@progbits,_ZN9rocsolver6v33100L18getri_kernel_smallILi39EfPKPfEEvT1_iilPiilS6_bb,comdat
.Lfunc_end102:
	.size	_ZN9rocsolver6v33100L18getri_kernel_smallILi39EfPKPfEEvT1_iilPiilS6_bb, .Lfunc_end102-_ZN9rocsolver6v33100L18getri_kernel_smallILi39EfPKPfEEvT1_iilPiilS6_bb
                                        ; -- End function
	.section	.AMDGPU.csdata,"",@progbits
; Kernel info:
; codeLenInByte = 26140
; NumSgprs: 19
; NumVgprs: 129
; ScratchSize: 160
; MemoryBound: 0
; FloatMode: 240
; IeeeMode: 1
; LDSByteSize: 316 bytes/workgroup (compile time only)
; SGPRBlocks: 2
; VGPRBlocks: 16
; NumSGPRsForWavesPerEU: 19
; NumVGPRsForWavesPerEU: 129
; Occupancy: 10
; WaveLimiterHint : 1
; COMPUTE_PGM_RSRC2:SCRATCH_EN: 1
; COMPUTE_PGM_RSRC2:USER_SGPR: 15
; COMPUTE_PGM_RSRC2:TRAP_HANDLER: 0
; COMPUTE_PGM_RSRC2:TGID_X_EN: 1
; COMPUTE_PGM_RSRC2:TGID_Y_EN: 0
; COMPUTE_PGM_RSRC2:TGID_Z_EN: 0
; COMPUTE_PGM_RSRC2:TIDIG_COMP_CNT: 0
	.section	.text._ZN9rocsolver6v33100L18getri_kernel_smallILi40EfPKPfEEvT1_iilPiilS6_bb,"axG",@progbits,_ZN9rocsolver6v33100L18getri_kernel_smallILi40EfPKPfEEvT1_iilPiilS6_bb,comdat
	.globl	_ZN9rocsolver6v33100L18getri_kernel_smallILi40EfPKPfEEvT1_iilPiilS6_bb ; -- Begin function _ZN9rocsolver6v33100L18getri_kernel_smallILi40EfPKPfEEvT1_iilPiilS6_bb
	.p2align	8
	.type	_ZN9rocsolver6v33100L18getri_kernel_smallILi40EfPKPfEEvT1_iilPiilS6_bb,@function
_ZN9rocsolver6v33100L18getri_kernel_smallILi40EfPKPfEEvT1_iilPiilS6_bb: ; @_ZN9rocsolver6v33100L18getri_kernel_smallILi40EfPKPfEEvT1_iilPiilS6_bb
; %bb.0:
	s_mov_b32 s2, exec_lo
	v_cmpx_gt_u32_e32 40, v0
	s_cbranch_execz .LBB103_168
; %bb.1:
	s_clause 0x1
	s_load_b32 s13, s[0:1], 0x38
	s_load_b64 s[2:3], s[0:1], 0x0
	s_mov_b32 s8, s15
	s_load_b128 s[4:7], s[0:1], 0x28
	s_waitcnt lgkmcnt(0)
	s_bitcmp1_b32 s13, 8
	s_cselect_b32 s12, -1, 0
	s_ashr_i32 s9, s15, 31
	s_delay_alu instid0(SALU_CYCLE_1) | instskip(NEXT) | instid1(SALU_CYCLE_1)
	s_lshl_b64 s[10:11], s[8:9], 3
	s_add_u32 s2, s2, s10
	s_addc_u32 s3, s3, s11
	s_load_b64 s[10:11], s[2:3], 0x0
	s_bfe_u32 s2, s13, 0x10008
	s_delay_alu instid0(SALU_CYCLE_1)
	s_cmp_eq_u32 s2, 0
                                        ; implicit-def: $sgpr2_sgpr3
	s_cbranch_scc1 .LBB103_3
; %bb.2:
	s_clause 0x1
	s_load_b32 s2, s[0:1], 0x20
	s_load_b64 s[14:15], s[0:1], 0x18
	s_mul_i32 s3, s8, s5
	s_mul_hi_u32 s5, s8, s4
	s_mul_i32 s16, s9, s4
	s_add_i32 s3, s5, s3
	s_mul_i32 s4, s8, s4
	s_add_i32 s5, s3, s16
	s_delay_alu instid0(SALU_CYCLE_1)
	s_lshl_b64 s[4:5], s[4:5], 2
	s_waitcnt lgkmcnt(0)
	s_ashr_i32 s3, s2, 31
	s_add_u32 s4, s14, s4
	s_addc_u32 s5, s15, s5
	s_lshl_b64 s[2:3], s[2:3], 2
	s_delay_alu instid0(SALU_CYCLE_1)
	s_add_u32 s2, s4, s2
	s_addc_u32 s3, s5, s3
.LBB103_3:
	s_load_b64 s[0:1], s[0:1], 0x8
	v_lshlrev_b32_e32 v85, 2, v0
	s_waitcnt lgkmcnt(0)
	v_add3_u32 v2, s1, s1, v0
	s_ashr_i32 s5, s0, 31
	s_mov_b32 s4, s0
	s_mov_b32 s14, s1
	s_lshl_b64 s[4:5], s[4:5], 2
	v_add_nc_u32_e32 v9, s1, v2
	v_ashrrev_i32_e32 v3, 31, v2
	s_add_u32 s4, s10, s4
	s_addc_u32 s5, s11, s5
	v_add_co_u32 v5, s0, s4, v85
	v_add_nc_u32_e32 v11, s1, v9
	v_ashrrev_i32_e32 v10, 31, v9
	s_ashr_i32 s15, s1, 31
	v_add_co_ci_u32_e64 v6, null, s5, 0, s0
	s_delay_alu instid0(VALU_DEP_3)
	v_add_nc_u32_e32 v13, s1, v11
	v_lshlrev_b64 v[2:3], 2, v[2:3]
	s_lshl_b64 s[10:11], s[14:15], 2
	v_lshlrev_b64 v[36:37], 2, v[9:10]
	v_add_co_u32 v7, vcc_lo, v5, s10
	v_add_nc_u32_e32 v15, s1, v13
	v_ashrrev_i32_e32 v12, 31, v11
	v_add_co_ci_u32_e32 v8, vcc_lo, s11, v6, vcc_lo
	v_add_co_u32 v9, vcc_lo, s4, v2
	s_delay_alu instid0(VALU_DEP_4) | instskip(SKIP_3) | instid1(VALU_DEP_4)
	v_add_nc_u32_e32 v17, s1, v15
	v_ashrrev_i32_e32 v14, 31, v13
	v_add_co_ci_u32_e32 v10, vcc_lo, s5, v3, vcc_lo
	v_lshlrev_b64 v[2:3], 2, v[11:12]
	v_add_nc_u32_e32 v19, s1, v17
	v_add_co_u32 v11, vcc_lo, s4, v36
	v_add_co_ci_u32_e32 v12, vcc_lo, s5, v37, vcc_lo
	s_delay_alu instid0(VALU_DEP_3) | instskip(SKIP_3) | instid1(VALU_DEP_4)
	v_add_nc_u32_e32 v21, s1, v19
	v_lshlrev_b64 v[36:37], 2, v[13:14]
	v_ashrrev_i32_e32 v16, 31, v15
	v_add_co_u32 v13, vcc_lo, s4, v2
	v_add_nc_u32_e32 v23, s1, v21
	v_ashrrev_i32_e32 v18, 31, v17
	v_add_co_ci_u32_e32 v14, vcc_lo, s5, v3, vcc_lo
	v_lshlrev_b64 v[2:3], 2, v[15:16]
	s_delay_alu instid0(VALU_DEP_4) | instskip(SKIP_2) | instid1(VALU_DEP_3)
	v_add_nc_u32_e32 v25, s1, v23
	v_add_co_u32 v15, vcc_lo, s4, v36
	v_add_co_ci_u32_e32 v16, vcc_lo, s5, v37, vcc_lo
	v_add_nc_u32_e32 v27, s1, v25
	v_lshlrev_b64 v[36:37], 2, v[17:18]
	v_ashrrev_i32_e32 v20, 31, v19
	v_add_co_u32 v17, vcc_lo, s4, v2
	s_delay_alu instid0(VALU_DEP_4) | instskip(SKIP_3) | instid1(VALU_DEP_4)
	v_add_nc_u32_e32 v29, s1, v27
	v_ashrrev_i32_e32 v22, 31, v21
	v_add_co_ci_u32_e32 v18, vcc_lo, s5, v3, vcc_lo
	v_lshlrev_b64 v[2:3], 2, v[19:20]
	v_add_nc_u32_e32 v31, s1, v29
	v_add_co_u32 v19, vcc_lo, s4, v36
	v_ashrrev_i32_e32 v24, 31, v23
	v_add_co_ci_u32_e32 v20, vcc_lo, s5, v37, vcc_lo
	s_delay_alu instid0(VALU_DEP_4) | instskip(SKIP_3) | instid1(VALU_DEP_4)
	v_add_nc_u32_e32 v33, s1, v31
	v_lshlrev_b64 v[36:37], 2, v[21:22]
	v_add_co_u32 v21, vcc_lo, s4, v2
	v_lshlrev_b64 v[51:52], 2, v[23:24]
	v_add_nc_u32_e32 v35, s1, v33
	v_ashrrev_i32_e32 v26, 31, v25
	v_add_co_ci_u32_e32 v22, vcc_lo, s5, v3, vcc_lo
	v_add_co_u32 v23, vcc_lo, s4, v36
	s_delay_alu instid0(VALU_DEP_4) | instskip(SKIP_3) | instid1(VALU_DEP_4)
	v_add_nc_u32_e32 v38, s1, v35
	v_ashrrev_i32_e32 v28, 31, v27
	v_add_co_ci_u32_e32 v24, vcc_lo, s5, v37, vcc_lo
	v_lshlrev_b64 v[36:37], 2, v[25:26]
	v_add_nc_u32_e32 v40, s1, v38
	v_add_co_u32 v25, vcc_lo, s4, v51
	v_add_co_ci_u32_e32 v26, vcc_lo, s5, v52, vcc_lo
	s_delay_alu instid0(VALU_DEP_3) | instskip(SKIP_3) | instid1(VALU_DEP_4)
	v_add_nc_u32_e32 v42, s1, v40
	v_lshlrev_b64 v[51:52], 2, v[27:28]
	v_ashrrev_i32_e32 v30, 31, v29
	v_add_co_u32 v27, vcc_lo, s4, v36
	v_add_nc_u32_e32 v44, s1, v42
	v_ashrrev_i32_e32 v32, 31, v31
	v_add_co_ci_u32_e32 v28, vcc_lo, s5, v37, vcc_lo
	v_lshlrev_b64 v[36:37], 2, v[29:30]
	s_delay_alu instid0(VALU_DEP_4) | instskip(SKIP_3) | instid1(VALU_DEP_4)
	v_add_nc_u32_e32 v46, s1, v44
	v_add_co_u32 v29, vcc_lo, s4, v51
	v_ashrrev_i32_e32 v34, 31, v33
	v_add_co_ci_u32_e32 v30, vcc_lo, s5, v52, vcc_lo
	v_add_nc_u32_e32 v48, s1, v46
	v_lshlrev_b64 v[51:52], 2, v[31:32]
	v_add_co_u32 v31, vcc_lo, s4, v36
	v_lshlrev_b64 v[64:65], 2, v[33:34]
	s_delay_alu instid0(VALU_DEP_4) | instskip(SKIP_3) | instid1(VALU_DEP_4)
	v_add_nc_u32_e32 v50, s1, v48
	v_ashrrev_i32_e32 v36, 31, v35
	v_add_co_ci_u32_e32 v32, vcc_lo, s5, v37, vcc_lo
	v_add_co_u32 v33, vcc_lo, s4, v51
	v_add_nc_u32_e32 v53, s1, v50
	v_ashrrev_i32_e32 v39, 31, v38
	v_add_co_ci_u32_e32 v34, vcc_lo, s5, v52, vcc_lo
	v_lshlrev_b64 v[51:52], 2, v[35:36]
	s_delay_alu instid0(VALU_DEP_4) | instskip(SKIP_2) | instid1(VALU_DEP_3)
	v_add_nc_u32_e32 v55, s1, v53
	v_add_co_u32 v35, vcc_lo, s4, v64
	v_add_co_ci_u32_e32 v36, vcc_lo, s5, v65, vcc_lo
	v_add_nc_u32_e32 v57, s1, v55
	v_ashrrev_i32_e32 v41, 31, v40
	v_lshlrev_b64 v[64:65], 2, v[38:39]
	v_add_co_u32 v37, vcc_lo, s4, v51
	s_delay_alu instid0(VALU_DEP_4) | instskip(SKIP_3) | instid1(VALU_DEP_4)
	v_add_nc_u32_e32 v59, s1, v57
	v_ashrrev_i32_e32 v43, 31, v42
	v_add_co_ci_u32_e32 v38, vcc_lo, s5, v52, vcc_lo
	v_lshlrev_b64 v[51:52], 2, v[40:41]
	v_add_nc_u32_e32 v61, s1, v59
	v_add_co_u32 v39, vcc_lo, s4, v64
	v_add_co_ci_u32_e32 v40, vcc_lo, s5, v65, vcc_lo
	s_delay_alu instid0(VALU_DEP_3) | instskip(SKIP_3) | instid1(VALU_DEP_4)
	v_add_nc_u32_e32 v63, s1, v61
	v_lshlrev_b64 v[64:65], 2, v[42:43]
	v_ashrrev_i32_e32 v45, 31, v44
	v_add_co_u32 v41, vcc_lo, s4, v51
	v_add_nc_u32_e32 v66, s1, v63
	v_ashrrev_i32_e32 v47, 31, v46
	v_add_co_ci_u32_e32 v42, vcc_lo, s5, v52, vcc_lo
	v_lshlrev_b64 v[51:52], 2, v[44:45]
	s_delay_alu instid0(VALU_DEP_4) | instskip(SKIP_2) | instid1(VALU_DEP_3)
	v_add_nc_u32_e32 v68, s1, v66
	v_add_co_u32 v43, vcc_lo, s4, v64
	v_add_co_ci_u32_e32 v44, vcc_lo, s5, v65, vcc_lo
	v_add_nc_u32_e32 v70, s1, v68
	v_lshlrev_b64 v[64:65], 2, v[46:47]
	v_ashrrev_i32_e32 v49, 31, v48
	v_add_co_u32 v45, vcc_lo, s4, v51
	s_delay_alu instid0(VALU_DEP_4) | instskip(SKIP_3) | instid1(VALU_DEP_4)
	v_add_nc_u32_e32 v73, s1, v70
	v_ashrrev_i32_e32 v51, 31, v50
	v_add_co_ci_u32_e32 v46, vcc_lo, s5, v52, vcc_lo
	v_lshlrev_b64 v[71:72], 2, v[48:49]
	v_add_nc_u32_e32 v75, s1, v73
	v_add_co_u32 v47, vcc_lo, s4, v64
	v_lshlrev_b64 v[51:52], 2, v[50:51]
	v_ashrrev_i32_e32 v54, 31, v53
	s_delay_alu instid0(VALU_DEP_4) | instskip(SKIP_2) | instid1(VALU_DEP_3)
	v_add_nc_u32_e32 v77, s1, v75
	v_add_co_ci_u32_e32 v48, vcc_lo, s5, v65, vcc_lo
	v_add_co_u32 v49, vcc_lo, s4, v71
	v_add_nc_u32_e32 v79, s1, v77
	v_add_co_ci_u32_e32 v50, vcc_lo, s5, v72, vcc_lo
	v_lshlrev_b64 v[71:72], 2, v[53:54]
	v_ashrrev_i32_e32 v56, 31, v55
	s_delay_alu instid0(VALU_DEP_4) | instskip(SKIP_2) | instid1(VALU_DEP_3)
	v_add_nc_u32_e32 v81, s1, v79
	v_add_co_u32 v53, vcc_lo, s4, v51
	v_add_co_ci_u32_e32 v54, vcc_lo, s5, v52, vcc_lo
	v_add_nc_u32_e32 v83, s1, v81
	v_ashrrev_i32_e32 v58, 31, v57
	v_lshlrev_b64 v[107:108], 2, v[55:56]
	v_add_co_u32 v55, vcc_lo, s4, v71
	s_delay_alu instid0(VALU_DEP_4) | instskip(SKIP_3) | instid1(VALU_DEP_4)
	v_add_nc_u32_e32 v64, s1, v83
	v_ashrrev_i32_e32 v60, 31, v59
	v_add_co_ci_u32_e32 v56, vcc_lo, s5, v72, vcc_lo
	v_ashrrev_i32_e32 v62, 31, v61
	v_ashrrev_i32_e32 v65, 31, v64
	s_delay_alu instid0(VALU_DEP_4)
	v_lshlrev_b64 v[71:72], 2, v[59:60]
	v_ashrrev_i32_e32 v67, 31, v66
	v_ashrrev_i32_e32 v69, 31, v68
	;; [unrolled: 1-line block ×3, first 2 shown]
	v_lshlrev_b64 v[51:52], 2, v[64:65]
	v_lshlrev_b64 v[64:65], 2, v[57:58]
	v_ashrrev_i32_e32 v76, 31, v75
	v_lshlrev_b64 v[109:110], 2, v[68:69]
	v_lshlrev_b64 v[73:74], 2, v[73:74]
	v_ashrrev_i32_e32 v78, 31, v77
	v_add_co_u32 v51, vcc_lo, s4, v51
	v_add_co_ci_u32_e32 v52, vcc_lo, s5, v52, vcc_lo
	v_add_co_u32 v57, vcc_lo, s4, v107
	v_add_co_ci_u32_e32 v58, vcc_lo, s5, v108, vcc_lo
	v_add_co_u32 v59, vcc_lo, s4, v64
	v_ashrrev_i32_e32 v64, 31, v63
	v_add_co_ci_u32_e32 v60, vcc_lo, s5, v65, vcc_lo
	v_lshlrev_b64 v[107:108], 2, v[61:62]
	v_add_co_u32 v61, vcc_lo, s4, v71
	v_add_co_ci_u32_e32 v62, vcc_lo, s5, v72, vcc_lo
	v_lshlrev_b64 v[71:72], 2, v[63:64]
	s_delay_alu instid0(VALU_DEP_4) | instskip(SKIP_2) | instid1(VALU_DEP_4)
	v_add_co_u32 v63, vcc_lo, s4, v107
	v_add_co_ci_u32_e32 v64, vcc_lo, s5, v108, vcc_lo
	v_lshlrev_b64 v[107:108], 2, v[66:67]
	v_add_co_u32 v65, vcc_lo, s4, v71
	v_ashrrev_i32_e32 v71, 31, v70
	v_add_co_ci_u32_e32 v66, vcc_lo, s5, v72, vcc_lo
	s_delay_alu instid0(VALU_DEP_4) | instskip(NEXT) | instid1(VALU_DEP_3)
	v_add_co_u32 v67, vcc_lo, s4, v107
	v_lshlrev_b64 v[71:72], 2, v[70:71]
	v_add_co_ci_u32_e32 v68, vcc_lo, s5, v108, vcc_lo
	v_add_co_u32 v69, vcc_lo, s4, v109
	v_add_co_ci_u32_e32 v70, vcc_lo, s5, v110, vcc_lo
	s_delay_alu instid0(VALU_DEP_4)
	v_add_co_u32 v71, vcc_lo, s4, v71
	v_lshlrev_b64 v[75:76], 2, v[75:76]
	v_ashrrev_i32_e32 v80, 31, v79
	v_add_co_ci_u32_e32 v72, vcc_lo, s5, v72, vcc_lo
	v_add_co_u32 v73, vcc_lo, s4, v73
	v_lshlrev_b64 v[77:78], 2, v[77:78]
	v_ashrrev_i32_e32 v82, 31, v81
	v_add_co_ci_u32_e32 v74, vcc_lo, s5, v74, vcc_lo
	;; [unrolled: 4-line block ×3, first 2 shown]
	v_add_co_u32 v77, vcc_lo, s4, v77
	v_lshlrev_b64 v[81:82], 2, v[81:82]
	v_add_co_ci_u32_e32 v78, vcc_lo, s5, v78, vcc_lo
	v_add_co_u32 v79, vcc_lo, s4, v79
	v_lshlrev_b64 v[83:84], 2, v[83:84]
	v_add_co_ci_u32_e32 v80, vcc_lo, s5, v80, vcc_lo
	v_add_co_u32 v81, vcc_lo, s4, v81
	v_add_co_ci_u32_e32 v82, vcc_lo, s5, v82, vcc_lo
	s_delay_alu instid0(VALU_DEP_4)
	v_add_co_u32 v83, vcc_lo, s4, v83
	s_clause 0x1f
	global_load_b32 v1, v85, s[4:5]
	global_load_b32 v2, v[7:8], off
	global_load_b32 v3, v[9:10], off
	;; [unrolled: 1-line block ×32, first 2 shown]
	v_add_co_ci_u32_e32 v84, vcc_lo, s5, v84, vcc_lo
	s_clause 0x6
	global_load_b32 v115, v[73:74], off
	global_load_b32 v116, v[75:76], off
	;; [unrolled: 1-line block ×7, first 2 shown]
	s_mov_b32 s1, -1
	s_bitcmp0_b32 s13, 0
	s_waitcnt vmcnt(36)
	scratch_store_b128 off, v[1:4], off
	s_waitcnt vmcnt(32)
	scratch_store_b128 off, v[86:89], off offset:16
	s_waitcnt vmcnt(28)
	scratch_store_b128 off, v[90:93], off offset:32
	;; [unrolled: 2-line block ×9, first 2 shown]
	s_cbranch_scc1 .LBB103_166
; %bb.4:
	v_cmp_eq_u32_e64 s0, 0, v0
	s_delay_alu instid0(VALU_DEP_1)
	s_and_saveexec_b32 s1, s0
	s_cbranch_execz .LBB103_6
; %bb.5:
	v_mov_b32_e32 v1, 0
	ds_store_b32 v1, v1 offset:320
.LBB103_6:
	s_or_b32 exec_lo, exec_lo, s1
	s_waitcnt lgkmcnt(0)
	s_waitcnt_vscnt null, 0x0
	s_barrier
	buffer_gl0_inv
	scratch_load_b32 v1, v85, off
	s_mov_b32 s4, exec_lo
	s_waitcnt vmcnt(0)
	v_cmpx_eq_f32_e32 0, v1
	s_cbranch_execz .LBB103_10
; %bb.7:
	v_mov_b32_e32 v1, 0
	s_mov_b32 s5, 0
	ds_load_b32 v2, v1 offset:320
	s_waitcnt lgkmcnt(0)
	v_readfirstlane_b32 s1, v2
	v_add_nc_u32_e32 v2, 1, v0
	s_delay_alu instid0(VALU_DEP_2) | instskip(NEXT) | instid1(VALU_DEP_1)
	s_cmp_eq_u32 s1, 0
	v_cmp_gt_i32_e32 vcc_lo, s1, v2
	s_cselect_b32 s10, -1, 0
	s_delay_alu instid0(SALU_CYCLE_1) | instskip(NEXT) | instid1(SALU_CYCLE_1)
	s_or_b32 s10, s10, vcc_lo
	s_and_b32 exec_lo, exec_lo, s10
	s_cbranch_execz .LBB103_10
; %bb.8:
	v_mov_b32_e32 v3, s1
.LBB103_9:                              ; =>This Inner Loop Header: Depth=1
	ds_cmpstore_rtn_b32 v3, v1, v2, v3 offset:320
	s_waitcnt lgkmcnt(0)
	v_cmp_ne_u32_e32 vcc_lo, 0, v3
	v_cmp_le_i32_e64 s1, v3, v2
	s_delay_alu instid0(VALU_DEP_1) | instskip(NEXT) | instid1(SALU_CYCLE_1)
	s_and_b32 s1, vcc_lo, s1
	s_and_b32 s1, exec_lo, s1
	s_delay_alu instid0(SALU_CYCLE_1) | instskip(NEXT) | instid1(SALU_CYCLE_1)
	s_or_b32 s5, s1, s5
	s_and_not1_b32 exec_lo, exec_lo, s5
	s_cbranch_execnz .LBB103_9
.LBB103_10:
	s_or_b32 exec_lo, exec_lo, s4
	v_mov_b32_e32 v1, 0
	s_barrier
	buffer_gl0_inv
	ds_load_b32 v2, v1 offset:320
	s_and_saveexec_b32 s1, s0
	s_cbranch_execz .LBB103_12
; %bb.11:
	s_lshl_b64 s[4:5], s[8:9], 2
	s_delay_alu instid0(SALU_CYCLE_1)
	s_add_u32 s4, s6, s4
	s_addc_u32 s5, s7, s5
	s_waitcnt lgkmcnt(0)
	global_store_b32 v1, v2, s[4:5]
.LBB103_12:
	s_or_b32 exec_lo, exec_lo, s1
	s_waitcnt lgkmcnt(0)
	v_cmp_ne_u32_e32 vcc_lo, 0, v2
	s_mov_b32 s1, 0
	s_cbranch_vccnz .LBB103_166
; %bb.13:
	v_add_nc_u32_e32 v1, 0, v85
	scratch_load_b32 v2, v1, off
	s_waitcnt vmcnt(0)
	v_div_scale_f32 v3, null, v2, v2, 1.0
	v_div_scale_f32 v87, vcc_lo, 1.0, v2, 1.0
	s_delay_alu instid0(VALU_DEP_2) | instskip(SKIP_2) | instid1(VALU_DEP_1)
	v_rcp_f32_e32 v4, v3
	s_waitcnt_depctr 0xfff
	v_fma_f32 v86, -v3, v4, 1.0
	v_fmac_f32_e32 v4, v86, v4
	s_delay_alu instid0(VALU_DEP_1) | instskip(NEXT) | instid1(VALU_DEP_1)
	v_mul_f32_e32 v86, v87, v4
	v_fma_f32 v88, -v3, v86, v87
	s_delay_alu instid0(VALU_DEP_1) | instskip(NEXT) | instid1(VALU_DEP_1)
	v_fmac_f32_e32 v86, v88, v4
	v_fma_f32 v3, -v3, v86, v87
	s_delay_alu instid0(VALU_DEP_1) | instskip(NEXT) | instid1(VALU_DEP_1)
	v_div_fmas_f32 v3, v3, v4, v86
	v_div_fixup_f32 v2, v3, v2, 1.0
	scratch_store_b32 v1, v2, off
	scratch_load_b32 v3, off, off offset:4
	v_xor_b32_e32 v4, 0x80000000, v2
	v_add_nc_u32_e32 v2, 0xa0, v85
	s_waitcnt vmcnt(0)
	ds_store_2addr_b32 v85, v4, v3 offset1:40
	s_waitcnt lgkmcnt(0)
	s_waitcnt_vscnt null, 0x0
	s_barrier
	buffer_gl0_inv
	s_and_saveexec_b32 s1, s0
	s_cbranch_execz .LBB103_15
; %bb.14:
	scratch_load_b32 v3, v1, off
	ds_load_b32 v4, v2
	v_mov_b32_e32 v86, 0
	ds_load_b32 v86, v86 offset:4
	s_waitcnt vmcnt(0) lgkmcnt(1)
	v_fma_f32 v3, v3, v4, 0
	s_waitcnt lgkmcnt(0)
	s_delay_alu instid0(VALU_DEP_1)
	v_mul_f32_e32 v3, v3, v86
	scratch_store_b32 off, v3, off offset:4
.LBB103_15:
	s_or_b32 exec_lo, exec_lo, s1
	s_waitcnt_vscnt null, 0x0
	s_barrier
	buffer_gl0_inv
	scratch_load_b32 v3, off, off offset:8
	s_mov_b32 s1, exec_lo
	s_waitcnt vmcnt(0)
	ds_store_b32 v2, v3
	s_waitcnt lgkmcnt(0)
	s_barrier
	buffer_gl0_inv
	v_cmpx_gt_u32_e32 2, v0
	s_cbranch_execz .LBB103_17
; %bb.16:
	scratch_load_b32 v86, v1, off
	scratch_load_b32 v87, off, off offset:4
	ds_load_b32 v88, v2
	v_mov_b32_e32 v3, 0
	ds_load_2addr_b32 v[3:4], v3 offset0:2 offset1:41
	s_waitcnt vmcnt(1) lgkmcnt(1)
	v_fma_f32 v86, v86, v88, 0
	s_waitcnt vmcnt(0) lgkmcnt(0)
	s_delay_alu instid0(VALU_DEP_1) | instskip(NEXT) | instid1(VALU_DEP_1)
	v_fma_f32 v4, v87, v4, v86
	v_cndmask_b32_e64 v4, v86, v4, s0
	s_delay_alu instid0(VALU_DEP_1)
	v_mul_f32_e32 v3, v4, v3
	scratch_store_b32 off, v3, off offset:8
.LBB103_17:
	s_or_b32 exec_lo, exec_lo, s1
	s_waitcnt_vscnt null, 0x0
	s_barrier
	buffer_gl0_inv
	scratch_load_b32 v4, off, off offset:12
	v_add_nc_u32_e32 v3, -1, v0
	s_mov_b32 s0, exec_lo
	s_waitcnt vmcnt(0)
	ds_store_b32 v2, v4
	s_waitcnt lgkmcnt(0)
	s_barrier
	buffer_gl0_inv
	v_cmpx_gt_u32_e32 3, v0
	s_cbranch_execz .LBB103_21
; %bb.18:
	v_add_nc_u32_e32 v86, -1, v0
	v_dual_mov_b32 v4, 0 :: v_dual_add_nc_u32 v87, 0xa0, v85
	v_add_nc_u32_e32 v88, 0, v85
	s_mov_b32 s1, 0
.LBB103_19:                             ; =>This Inner Loop Header: Depth=1
	scratch_load_b32 v89, v88, off
	ds_load_b32 v90, v87
	v_add_nc_u32_e32 v86, 1, v86
	v_add_nc_u32_e32 v87, 4, v87
	v_add_nc_u32_e32 v88, 4, v88
	s_delay_alu instid0(VALU_DEP_3)
	v_cmp_lt_u32_e32 vcc_lo, 1, v86
	s_or_b32 s1, vcc_lo, s1
	s_waitcnt vmcnt(0) lgkmcnt(0)
	v_fmac_f32_e32 v4, v89, v90
	s_and_not1_b32 exec_lo, exec_lo, s1
	s_cbranch_execnz .LBB103_19
; %bb.20:
	s_or_b32 exec_lo, exec_lo, s1
	v_mov_b32_e32 v86, 0
	ds_load_b32 v86, v86 offset:12
	s_waitcnt lgkmcnt(0)
	v_mul_f32_e32 v4, v4, v86
	scratch_store_b32 off, v4, off offset:12
.LBB103_21:
	s_or_b32 exec_lo, exec_lo, s0
	s_waitcnt_vscnt null, 0x0
	s_barrier
	buffer_gl0_inv
	scratch_load_b32 v4, off, off offset:16
	s_mov_b32 s0, exec_lo
	s_waitcnt vmcnt(0)
	ds_store_b32 v2, v4
	s_waitcnt lgkmcnt(0)
	s_barrier
	buffer_gl0_inv
	v_cmpx_gt_u32_e32 4, v0
	s_cbranch_execz .LBB103_25
; %bb.22:
	v_add_nc_u32_e32 v86, -1, v0
	v_dual_mov_b32 v4, 0 :: v_dual_add_nc_u32 v87, 0xa0, v85
	v_add_nc_u32_e32 v88, 0, v85
	s_mov_b32 s1, 0
.LBB103_23:                             ; =>This Inner Loop Header: Depth=1
	scratch_load_b32 v89, v88, off
	ds_load_b32 v90, v87
	v_add_nc_u32_e32 v86, 1, v86
	v_add_nc_u32_e32 v87, 4, v87
	v_add_nc_u32_e32 v88, 4, v88
	s_delay_alu instid0(VALU_DEP_3)
	v_cmp_lt_u32_e32 vcc_lo, 2, v86
	s_or_b32 s1, vcc_lo, s1
	s_waitcnt vmcnt(0) lgkmcnt(0)
	v_fmac_f32_e32 v4, v89, v90
	s_and_not1_b32 exec_lo, exec_lo, s1
	s_cbranch_execnz .LBB103_23
; %bb.24:
	s_or_b32 exec_lo, exec_lo, s1
	v_mov_b32_e32 v86, 0
	ds_load_b32 v86, v86 offset:16
	s_waitcnt lgkmcnt(0)
	v_mul_f32_e32 v4, v4, v86
	scratch_store_b32 off, v4, off offset:16
.LBB103_25:
	s_or_b32 exec_lo, exec_lo, s0
	s_waitcnt_vscnt null, 0x0
	s_barrier
	buffer_gl0_inv
	scratch_load_b32 v4, off, off offset:20
	;; [unrolled: 39-line block ×21, first 2 shown]
	s_mov_b32 s0, exec_lo
	s_waitcnt vmcnt(0)
	ds_store_b32 v2, v4
	s_waitcnt lgkmcnt(0)
	s_barrier
	buffer_gl0_inv
	v_cmpx_gt_u32_e32 24, v0
	s_cbranch_execz .LBB103_105
; %bb.102:
	v_add_nc_u32_e32 v86, -1, v0
	v_dual_mov_b32 v4, 0 :: v_dual_add_nc_u32 v87, 0xa0, v85
	v_add_nc_u32_e32 v88, 0, v85
	s_mov_b32 s1, 0
.LBB103_103:                            ; =>This Inner Loop Header: Depth=1
	scratch_load_b32 v89, v88, off
	ds_load_b32 v90, v87
	v_add_nc_u32_e32 v86, 1, v86
	v_add_nc_u32_e32 v87, 4, v87
	v_add_nc_u32_e32 v88, 4, v88
	s_delay_alu instid0(VALU_DEP_3)
	v_cmp_lt_u32_e32 vcc_lo, 22, v86
	s_or_b32 s1, vcc_lo, s1
	s_waitcnt vmcnt(0) lgkmcnt(0)
	v_fmac_f32_e32 v4, v89, v90
	s_and_not1_b32 exec_lo, exec_lo, s1
	s_cbranch_execnz .LBB103_103
; %bb.104:
	s_or_b32 exec_lo, exec_lo, s1
	v_mov_b32_e32 v86, 0
	ds_load_b32 v86, v86 offset:96
	s_waitcnt lgkmcnt(0)
	v_mul_f32_e32 v4, v4, v86
	scratch_store_b32 off, v4, off offset:96
.LBB103_105:
	s_or_b32 exec_lo, exec_lo, s0
	s_waitcnt_vscnt null, 0x0
	s_barrier
	buffer_gl0_inv
	scratch_load_b32 v4, off, off offset:100
	s_mov_b32 s0, exec_lo
	s_waitcnt vmcnt(0)
	ds_store_b32 v2, v4
	s_waitcnt lgkmcnt(0)
	s_barrier
	buffer_gl0_inv
	v_cmpx_gt_u32_e32 25, v0
	s_cbranch_execz .LBB103_109
; %bb.106:
	v_add_nc_u32_e32 v86, -1, v0
	v_dual_mov_b32 v4, 0 :: v_dual_add_nc_u32 v87, 0xa0, v85
	v_add_nc_u32_e32 v88, 0, v85
	s_mov_b32 s1, 0
.LBB103_107:                            ; =>This Inner Loop Header: Depth=1
	scratch_load_b32 v89, v88, off
	ds_load_b32 v90, v87
	v_add_nc_u32_e32 v86, 1, v86
	v_add_nc_u32_e32 v87, 4, v87
	v_add_nc_u32_e32 v88, 4, v88
	s_delay_alu instid0(VALU_DEP_3)
	v_cmp_lt_u32_e32 vcc_lo, 23, v86
	s_or_b32 s1, vcc_lo, s1
	s_waitcnt vmcnt(0) lgkmcnt(0)
	v_fmac_f32_e32 v4, v89, v90
	s_and_not1_b32 exec_lo, exec_lo, s1
	s_cbranch_execnz .LBB103_107
; %bb.108:
	s_or_b32 exec_lo, exec_lo, s1
	v_mov_b32_e32 v86, 0
	ds_load_b32 v86, v86 offset:100
	s_waitcnt lgkmcnt(0)
	v_mul_f32_e32 v4, v4, v86
	scratch_store_b32 off, v4, off offset:100
.LBB103_109:
	s_or_b32 exec_lo, exec_lo, s0
	s_waitcnt_vscnt null, 0x0
	s_barrier
	buffer_gl0_inv
	scratch_load_b32 v4, off, off offset:104
	;; [unrolled: 39-line block ×15, first 2 shown]
	s_mov_b32 s0, exec_lo
	s_waitcnt vmcnt(0)
	ds_store_b32 v2, v4
	s_waitcnt lgkmcnt(0)
	s_barrier
	buffer_gl0_inv
	v_cmpx_ne_u32_e32 39, v0
	s_cbranch_execz .LBB103_165
; %bb.162:
	v_mov_b32_e32 v4, 0
	s_mov_b32 s1, 0
.LBB103_163:                            ; =>This Inner Loop Header: Depth=1
	scratch_load_b32 v85, v1, off
	ds_load_b32 v86, v2
	v_add_nc_u32_e32 v3, 1, v3
	v_add_nc_u32_e32 v2, 4, v2
	s_waitcnt vmcnt(0) lgkmcnt(0)
	v_dual_fmac_f32 v4, v85, v86 :: v_dual_add_nc_u32 v1, 4, v1
	s_delay_alu instid0(VALU_DEP_3) | instskip(SKIP_1) | instid1(SALU_CYCLE_1)
	v_cmp_lt_u32_e32 vcc_lo, 37, v3
	s_or_b32 s1, vcc_lo, s1
	s_and_not1_b32 exec_lo, exec_lo, s1
	s_cbranch_execnz .LBB103_163
; %bb.164:
	s_or_b32 exec_lo, exec_lo, s1
	v_mov_b32_e32 v1, 0
	ds_load_b32 v1, v1 offset:156
	s_waitcnt lgkmcnt(0)
	v_mul_f32_e32 v1, v4, v1
	scratch_store_b32 off, v1, off offset:156
.LBB103_165:
	s_or_b32 exec_lo, exec_lo, s0
	s_mov_b32 s1, -1
	s_waitcnt_vscnt null, 0x0
	s_barrier
	buffer_gl0_inv
.LBB103_166:
	s_and_b32 vcc_lo, exec_lo, s1
	s_cbranch_vccz .LBB103_168
; %bb.167:
	s_lshl_b64 s[0:1], s[8:9], 2
	v_mov_b32_e32 v1, 0
	s_add_u32 s0, s6, s0
	s_addc_u32 s1, s7, s1
	global_load_b32 v1, v1, s[0:1]
	s_waitcnt vmcnt(0)
	v_cmp_ne_u32_e32 vcc_lo, 0, v1
	s_cbranch_vccz .LBB103_169
.LBB103_168:
	s_endpgm
.LBB103_169:
	v_lshl_add_u32 v1, v0, 2, 0xa0
	s_mov_b32 s0, exec_lo
	v_cmpx_eq_u32_e32 39, v0
	s_cbranch_execz .LBB103_171
; %bb.170:
	scratch_load_b32 v2, off, off offset:152
	v_mov_b32_e32 v3, 0
	scratch_store_b32 off, v3, off offset:152
	s_waitcnt vmcnt(0)
	ds_store_b32 v1, v2
.LBB103_171:
	s_or_b32 exec_lo, exec_lo, s0
	s_waitcnt lgkmcnt(0)
	s_waitcnt_vscnt null, 0x0
	s_barrier
	buffer_gl0_inv
	scratch_load_b64 v[3:4], off, off offset:152
	v_mov_b32_e32 v2, 0
	s_mov_b32 s0, exec_lo
	ds_load_b32 v85, v2 offset:316
	s_waitcnt vmcnt(0) lgkmcnt(0)
	v_fma_f32 v4, v4, v85, 0
	s_delay_alu instid0(VALU_DEP_1)
	v_sub_f32_e32 v3, v3, v4
	scratch_store_b32 off, v3, off offset:152
	v_cmpx_lt_u32_e32 37, v0
	s_cbranch_execz .LBB103_173
; %bb.172:
	scratch_load_b32 v3, off, off offset:148
	scratch_store_b32 off, v2, off offset:148
	s_waitcnt vmcnt(0)
	ds_store_b32 v1, v3
.LBB103_173:
	s_or_b32 exec_lo, exec_lo, s0
	s_waitcnt lgkmcnt(0)
	s_waitcnt_vscnt null, 0x0
	s_barrier
	buffer_gl0_inv
	scratch_load_b96 v[85:87], off, off offset:148
	ds_load_b64 v[2:3], v2 offset:312
	s_mov_b32 s0, exec_lo
	s_waitcnt vmcnt(0) lgkmcnt(0)
	v_fma_f32 v2, v86, v2, 0
	s_delay_alu instid0(VALU_DEP_1) | instskip(NEXT) | instid1(VALU_DEP_1)
	v_fmac_f32_e32 v2, v87, v3
	v_sub_f32_e32 v2, v85, v2
	scratch_store_b32 off, v2, off offset:148
	v_cmpx_lt_u32_e32 36, v0
	s_cbranch_execz .LBB103_175
; %bb.174:
	scratch_load_b32 v2, off, off offset:144
	v_mov_b32_e32 v3, 0
	scratch_store_b32 off, v3, off offset:144
	s_waitcnt vmcnt(0)
	ds_store_b32 v1, v2
.LBB103_175:
	s_or_b32 exec_lo, exec_lo, s0
	s_waitcnt lgkmcnt(0)
	s_waitcnt_vscnt null, 0x0
	s_barrier
	buffer_gl0_inv
	scratch_load_b128 v[85:88], off, off offset:144
	v_mov_b32_e32 v2, 0
	ds_load_2addr_b32 v[3:4], v2 offset0:77 offset1:78
	ds_load_b32 v89, v2 offset:316
	s_mov_b32 s0, exec_lo
	s_waitcnt vmcnt(0) lgkmcnt(1)
	v_fma_f32 v3, v86, v3, 0
	s_delay_alu instid0(VALU_DEP_1) | instskip(SKIP_1) | instid1(VALU_DEP_1)
	v_fmac_f32_e32 v3, v87, v4
	s_waitcnt lgkmcnt(0)
	v_fmac_f32_e32 v3, v88, v89
	s_delay_alu instid0(VALU_DEP_1)
	v_sub_f32_e32 v3, v85, v3
	scratch_store_b32 off, v3, off offset:144
	v_cmpx_lt_u32_e32 35, v0
	s_cbranch_execz .LBB103_177
; %bb.176:
	scratch_load_b32 v3, off, off offset:140
	scratch_store_b32 off, v2, off offset:140
	s_waitcnt vmcnt(0)
	ds_store_b32 v1, v3
.LBB103_177:
	s_or_b32 exec_lo, exec_lo, s0
	s_waitcnt lgkmcnt(0)
	s_waitcnt_vscnt null, 0x0
	s_barrier
	buffer_gl0_inv
	s_clause 0x1
	scratch_load_b128 v[85:88], off, off offset:140
	scratch_load_b32 v3, off, off offset:156
	ds_load_b128 v[89:92], v2 offset:304
	s_mov_b32 s0, exec_lo
	s_waitcnt vmcnt(1) lgkmcnt(0)
	v_fma_f32 v2, v86, v89, 0
	s_delay_alu instid0(VALU_DEP_1) | instskip(NEXT) | instid1(VALU_DEP_1)
	v_fmac_f32_e32 v2, v87, v90
	v_fmac_f32_e32 v2, v88, v91
	s_waitcnt vmcnt(0)
	s_delay_alu instid0(VALU_DEP_1) | instskip(NEXT) | instid1(VALU_DEP_1)
	v_fmac_f32_e32 v2, v3, v92
	v_sub_f32_e32 v2, v85, v2
	scratch_store_b32 off, v2, off offset:140
	v_cmpx_lt_u32_e32 34, v0
	s_cbranch_execz .LBB103_179
; %bb.178:
	scratch_load_b32 v2, off, off offset:136
	v_mov_b32_e32 v3, 0
	scratch_store_b32 off, v3, off offset:136
	s_waitcnt vmcnt(0)
	ds_store_b32 v1, v2
.LBB103_179:
	s_or_b32 exec_lo, exec_lo, s0
	s_waitcnt lgkmcnt(0)
	s_waitcnt_vscnt null, 0x0
	s_barrier
	buffer_gl0_inv
	s_clause 0x1
	scratch_load_b128 v[85:88], off, off offset:136
	scratch_load_b64 v[3:4], off, off offset:152
	v_mov_b32_e32 v2, 0
	ds_load_2addr_b32 v[89:90], v2 offset0:75 offset1:76
	ds_load_2addr_b32 v[91:92], v2 offset0:77 offset1:78
	ds_load_b32 v93, v2 offset:316
	s_mov_b32 s0, exec_lo
	s_waitcnt vmcnt(1) lgkmcnt(2)
	v_fma_f32 v86, v86, v89, 0
	s_delay_alu instid0(VALU_DEP_1) | instskip(SKIP_1) | instid1(VALU_DEP_1)
	v_fmac_f32_e32 v86, v87, v90
	s_waitcnt lgkmcnt(1)
	v_fmac_f32_e32 v86, v88, v91
	s_waitcnt vmcnt(0)
	s_delay_alu instid0(VALU_DEP_1) | instskip(SKIP_1) | instid1(VALU_DEP_1)
	v_fmac_f32_e32 v86, v3, v92
	s_waitcnt lgkmcnt(0)
	v_fmac_f32_e32 v86, v4, v93
	s_delay_alu instid0(VALU_DEP_1)
	v_sub_f32_e32 v3, v85, v86
	scratch_store_b32 off, v3, off offset:136
	v_cmpx_lt_u32_e32 33, v0
	s_cbranch_execz .LBB103_181
; %bb.180:
	scratch_load_b32 v3, off, off offset:132
	scratch_store_b32 off, v2, off offset:132
	s_waitcnt vmcnt(0)
	ds_store_b32 v1, v3
.LBB103_181:
	s_or_b32 exec_lo, exec_lo, s0
	s_waitcnt lgkmcnt(0)
	s_waitcnt_vscnt null, 0x0
	s_barrier
	buffer_gl0_inv
	s_clause 0x1
	scratch_load_b128 v[85:88], off, off offset:132
	scratch_load_b96 v[93:95], off, off offset:148
	ds_load_2addr_b64 v[89:92], v2 offset0:37 offset1:38
	ds_load_b64 v[2:3], v2 offset:312
	s_mov_b32 s0, exec_lo
	s_waitcnt vmcnt(1) lgkmcnt(1)
	v_fma_f32 v4, v86, v89, 0
	s_delay_alu instid0(VALU_DEP_1) | instskip(NEXT) | instid1(VALU_DEP_1)
	v_fmac_f32_e32 v4, v87, v90
	v_fmac_f32_e32 v4, v88, v91
	s_waitcnt vmcnt(0)
	s_delay_alu instid0(VALU_DEP_1) | instskip(SKIP_1) | instid1(VALU_DEP_1)
	v_fmac_f32_e32 v4, v93, v92
	s_waitcnt lgkmcnt(0)
	v_fmac_f32_e32 v4, v94, v2
	s_delay_alu instid0(VALU_DEP_1) | instskip(NEXT) | instid1(VALU_DEP_1)
	v_fmac_f32_e32 v4, v95, v3
	v_sub_f32_e32 v2, v85, v4
	scratch_store_b32 off, v2, off offset:132
	v_cmpx_lt_u32_e32 32, v0
	s_cbranch_execz .LBB103_183
; %bb.182:
	scratch_load_b32 v2, off, off offset:128
	v_mov_b32_e32 v3, 0
	scratch_store_b32 off, v3, off offset:128
	s_waitcnt vmcnt(0)
	ds_store_b32 v1, v2
.LBB103_183:
	s_or_b32 exec_lo, exec_lo, s0
	s_waitcnt lgkmcnt(0)
	s_waitcnt_vscnt null, 0x0
	s_barrier
	buffer_gl0_inv
	s_clause 0x1
	scratch_load_b128 v[85:88], off, off offset:128
	scratch_load_b128 v[89:92], off, off offset:144
	v_mov_b32_e32 v2, 0
	ds_load_2addr_b32 v[3:4], v2 offset0:73 offset1:74
	ds_load_2addr_b32 v[93:94], v2 offset0:75 offset1:76
	;; [unrolled: 1-line block ×3, first 2 shown]
	ds_load_b32 v97, v2 offset:316
	s_mov_b32 s0, exec_lo
	s_waitcnt vmcnt(1) lgkmcnt(3)
	v_fma_f32 v3, v86, v3, 0
	s_delay_alu instid0(VALU_DEP_1) | instskip(SKIP_1) | instid1(VALU_DEP_1)
	v_fmac_f32_e32 v3, v87, v4
	s_waitcnt lgkmcnt(2)
	v_fmac_f32_e32 v3, v88, v93
	s_waitcnt vmcnt(0)
	s_delay_alu instid0(VALU_DEP_1) | instskip(SKIP_1) | instid1(VALU_DEP_1)
	v_fmac_f32_e32 v3, v89, v94
	s_waitcnt lgkmcnt(1)
	v_fmac_f32_e32 v3, v90, v95
	s_delay_alu instid0(VALU_DEP_1) | instskip(SKIP_1) | instid1(VALU_DEP_1)
	v_fmac_f32_e32 v3, v91, v96
	s_waitcnt lgkmcnt(0)
	v_fmac_f32_e32 v3, v92, v97
	s_delay_alu instid0(VALU_DEP_1)
	v_sub_f32_e32 v3, v85, v3
	scratch_store_b32 off, v3, off offset:128
	v_cmpx_lt_u32_e32 31, v0
	s_cbranch_execz .LBB103_185
; %bb.184:
	scratch_load_b32 v3, off, off offset:124
	scratch_store_b32 off, v2, off offset:124
	s_waitcnt vmcnt(0)
	ds_store_b32 v1, v3
.LBB103_185:
	s_or_b32 exec_lo, exec_lo, s0
	s_waitcnt lgkmcnt(0)
	s_waitcnt_vscnt null, 0x0
	s_barrier
	buffer_gl0_inv
	s_clause 0x2
	scratch_load_b128 v[85:88], off, off offset:124
	scratch_load_b128 v[89:92], off, off offset:140
	scratch_load_b32 v3, off, off offset:156
	ds_load_b128 v[93:96], v2 offset:288
	ds_load_b128 v[97:100], v2 offset:304
	s_mov_b32 s0, exec_lo
	s_waitcnt vmcnt(2) lgkmcnt(1)
	v_fma_f32 v2, v86, v93, 0
	s_delay_alu instid0(VALU_DEP_1) | instskip(NEXT) | instid1(VALU_DEP_1)
	v_fmac_f32_e32 v2, v87, v94
	v_fmac_f32_e32 v2, v88, v95
	s_waitcnt vmcnt(1)
	s_delay_alu instid0(VALU_DEP_1) | instskip(SKIP_1) | instid1(VALU_DEP_1)
	v_fmac_f32_e32 v2, v89, v96
	s_waitcnt lgkmcnt(0)
	v_fmac_f32_e32 v2, v90, v97
	s_delay_alu instid0(VALU_DEP_1) | instskip(NEXT) | instid1(VALU_DEP_1)
	v_fmac_f32_e32 v2, v91, v98
	v_fmac_f32_e32 v2, v92, v99
	s_waitcnt vmcnt(0)
	s_delay_alu instid0(VALU_DEP_1) | instskip(NEXT) | instid1(VALU_DEP_1)
	v_fmac_f32_e32 v2, v3, v100
	v_sub_f32_e32 v2, v85, v2
	scratch_store_b32 off, v2, off offset:124
	v_cmpx_lt_u32_e32 30, v0
	s_cbranch_execz .LBB103_187
; %bb.186:
	scratch_load_b32 v2, off, off offset:120
	v_mov_b32_e32 v3, 0
	scratch_store_b32 off, v3, off offset:120
	s_waitcnt vmcnt(0)
	ds_store_b32 v1, v2
.LBB103_187:
	s_or_b32 exec_lo, exec_lo, s0
	s_waitcnt lgkmcnt(0)
	s_waitcnt_vscnt null, 0x0
	s_barrier
	buffer_gl0_inv
	s_clause 0x2
	scratch_load_b128 v[85:88], off, off offset:120
	scratch_load_b128 v[89:92], off, off offset:136
	scratch_load_b64 v[3:4], off, off offset:152
	v_mov_b32_e32 v2, 0
	ds_load_2addr_b32 v[93:94], v2 offset0:71 offset1:72
	ds_load_2addr_b32 v[95:96], v2 offset0:73 offset1:74
	;; [unrolled: 1-line block ×4, first 2 shown]
	s_mov_b32 s0, exec_lo
	s_waitcnt vmcnt(2) lgkmcnt(3)
	v_fma_f32 v86, v86, v93, 0
	s_delay_alu instid0(VALU_DEP_1) | instskip(SKIP_4) | instid1(VALU_DEP_1)
	v_fmac_f32_e32 v86, v87, v94
	ds_load_b32 v87, v2 offset:316
	s_waitcnt lgkmcnt(3)
	v_fmac_f32_e32 v86, v88, v95
	s_waitcnt vmcnt(1)
	v_fmac_f32_e32 v86, v89, v96
	s_waitcnt lgkmcnt(2)
	s_delay_alu instid0(VALU_DEP_1) | instskip(NEXT) | instid1(VALU_DEP_1)
	v_fmac_f32_e32 v86, v90, v97
	v_fmac_f32_e32 v86, v91, v98
	s_waitcnt lgkmcnt(1)
	s_delay_alu instid0(VALU_DEP_1) | instskip(SKIP_1) | instid1(VALU_DEP_1)
	v_fmac_f32_e32 v86, v92, v99
	s_waitcnt vmcnt(0)
	v_fmac_f32_e32 v86, v3, v100
	s_waitcnt lgkmcnt(0)
	s_delay_alu instid0(VALU_DEP_1) | instskip(NEXT) | instid1(VALU_DEP_1)
	v_fmac_f32_e32 v86, v4, v87
	v_sub_f32_e32 v3, v85, v86
	scratch_store_b32 off, v3, off offset:120
	v_cmpx_lt_u32_e32 29, v0
	s_cbranch_execz .LBB103_189
; %bb.188:
	scratch_load_b32 v3, off, off offset:116
	scratch_store_b32 off, v2, off offset:116
	s_waitcnt vmcnt(0)
	ds_store_b32 v1, v3
.LBB103_189:
	s_or_b32 exec_lo, exec_lo, s0
	s_waitcnt lgkmcnt(0)
	s_waitcnt_vscnt null, 0x0
	s_barrier
	buffer_gl0_inv
	s_clause 0x2
	scratch_load_b128 v[85:88], off, off offset:116
	scratch_load_b128 v[89:92], off, off offset:132
	scratch_load_b96 v[101:103], off, off offset:148
	ds_load_2addr_b64 v[93:96], v2 offset0:35 offset1:36
	ds_load_2addr_b64 v[97:100], v2 offset0:37 offset1:38
	ds_load_b64 v[2:3], v2 offset:312
	s_mov_b32 s0, exec_lo
	s_waitcnt vmcnt(2) lgkmcnt(2)
	v_fma_f32 v4, v86, v93, 0
	s_delay_alu instid0(VALU_DEP_1) | instskip(NEXT) | instid1(VALU_DEP_1)
	v_fmac_f32_e32 v4, v87, v94
	v_fmac_f32_e32 v4, v88, v95
	s_waitcnt vmcnt(1)
	s_delay_alu instid0(VALU_DEP_1) | instskip(SKIP_1) | instid1(VALU_DEP_1)
	v_fmac_f32_e32 v4, v89, v96
	s_waitcnt lgkmcnt(1)
	v_fmac_f32_e32 v4, v90, v97
	s_delay_alu instid0(VALU_DEP_1) | instskip(NEXT) | instid1(VALU_DEP_1)
	v_fmac_f32_e32 v4, v91, v98
	v_fmac_f32_e32 v4, v92, v99
	s_waitcnt vmcnt(0)
	s_delay_alu instid0(VALU_DEP_1) | instskip(SKIP_1) | instid1(VALU_DEP_1)
	v_fmac_f32_e32 v4, v101, v100
	s_waitcnt lgkmcnt(0)
	v_fmac_f32_e32 v4, v102, v2
	s_delay_alu instid0(VALU_DEP_1) | instskip(NEXT) | instid1(VALU_DEP_1)
	v_fmac_f32_e32 v4, v103, v3
	v_sub_f32_e32 v2, v85, v4
	scratch_store_b32 off, v2, off offset:116
	v_cmpx_lt_u32_e32 28, v0
	s_cbranch_execz .LBB103_191
; %bb.190:
	scratch_load_b32 v2, off, off offset:112
	v_mov_b32_e32 v3, 0
	scratch_store_b32 off, v3, off offset:112
	s_waitcnt vmcnt(0)
	ds_store_b32 v1, v2
.LBB103_191:
	s_or_b32 exec_lo, exec_lo, s0
	s_waitcnt lgkmcnt(0)
	s_waitcnt_vscnt null, 0x0
	s_barrier
	buffer_gl0_inv
	s_clause 0x2
	scratch_load_b128 v[85:88], off, off offset:112
	scratch_load_b128 v[89:92], off, off offset:128
	scratch_load_b128 v[93:96], off, off offset:144
	v_mov_b32_e32 v2, 0
	ds_load_2addr_b32 v[3:4], v2 offset0:69 offset1:70
	ds_load_2addr_b32 v[97:98], v2 offset0:71 offset1:72
	ds_load_2addr_b32 v[99:100], v2 offset0:73 offset1:74
	ds_load_2addr_b32 v[101:102], v2 offset0:75 offset1:76
	s_mov_b32 s0, exec_lo
	s_waitcnt vmcnt(2) lgkmcnt(3)
	v_fma_f32 v86, v86, v3, 0
	s_delay_alu instid0(VALU_DEP_1)
	v_fmac_f32_e32 v86, v87, v4
	ds_load_2addr_b32 v[3:4], v2 offset0:77 offset1:78
	ds_load_b32 v87, v2 offset:316
	s_waitcnt lgkmcnt(4)
	v_fmac_f32_e32 v86, v88, v97
	s_waitcnt vmcnt(1)
	s_delay_alu instid0(VALU_DEP_1) | instskip(SKIP_1) | instid1(VALU_DEP_1)
	v_fmac_f32_e32 v86, v89, v98
	s_waitcnt lgkmcnt(3)
	v_fmac_f32_e32 v86, v90, v99
	s_delay_alu instid0(VALU_DEP_1) | instskip(SKIP_1) | instid1(VALU_DEP_1)
	v_fmac_f32_e32 v86, v91, v100
	s_waitcnt lgkmcnt(2)
	v_fmac_f32_e32 v86, v92, v101
	s_waitcnt vmcnt(0)
	s_delay_alu instid0(VALU_DEP_1) | instskip(SKIP_1) | instid1(VALU_DEP_1)
	v_fmac_f32_e32 v86, v93, v102
	s_waitcnt lgkmcnt(1)
	v_fmac_f32_e32 v86, v94, v3
	s_delay_alu instid0(VALU_DEP_1) | instskip(SKIP_1) | instid1(VALU_DEP_1)
	v_fmac_f32_e32 v86, v95, v4
	s_waitcnt lgkmcnt(0)
	v_fmac_f32_e32 v86, v96, v87
	s_delay_alu instid0(VALU_DEP_1)
	v_sub_f32_e32 v3, v85, v86
	scratch_store_b32 off, v3, off offset:112
	v_cmpx_lt_u32_e32 27, v0
	s_cbranch_execz .LBB103_193
; %bb.192:
	scratch_load_b32 v3, off, off offset:108
	scratch_store_b32 off, v2, off offset:108
	s_waitcnt vmcnt(0)
	ds_store_b32 v1, v3
.LBB103_193:
	s_or_b32 exec_lo, exec_lo, s0
	s_waitcnt lgkmcnt(0)
	s_waitcnt_vscnt null, 0x0
	s_barrier
	buffer_gl0_inv
	s_clause 0x3
	scratch_load_b128 v[85:88], off, off offset:108
	scratch_load_b128 v[89:92], off, off offset:124
	;; [unrolled: 1-line block ×3, first 2 shown]
	scratch_load_b32 v3, off, off offset:156
	ds_load_b128 v[97:100], v2 offset:272
	ds_load_b128 v[101:104], v2 offset:288
	s_mov_b32 s0, exec_lo
	s_waitcnt vmcnt(3) lgkmcnt(1)
	v_fma_f32 v4, v86, v97, 0
	s_delay_alu instid0(VALU_DEP_1) | instskip(NEXT) | instid1(VALU_DEP_1)
	v_fmac_f32_e32 v4, v87, v98
	v_fmac_f32_e32 v4, v88, v99
	s_waitcnt vmcnt(2)
	s_delay_alu instid0(VALU_DEP_1) | instskip(SKIP_3) | instid1(VALU_DEP_1)
	v_fmac_f32_e32 v4, v89, v100
	ds_load_b128 v[86:89], v2 offset:304
	s_waitcnt lgkmcnt(1)
	v_fmac_f32_e32 v4, v90, v101
	v_fmac_f32_e32 v4, v91, v102
	s_delay_alu instid0(VALU_DEP_1) | instskip(SKIP_1) | instid1(VALU_DEP_1)
	v_fmac_f32_e32 v4, v92, v103
	s_waitcnt vmcnt(1)
	v_fmac_f32_e32 v4, v93, v104
	s_waitcnt lgkmcnt(0)
	s_delay_alu instid0(VALU_DEP_1) | instskip(NEXT) | instid1(VALU_DEP_1)
	v_fmac_f32_e32 v4, v94, v86
	v_fmac_f32_e32 v4, v95, v87
	s_delay_alu instid0(VALU_DEP_1) | instskip(SKIP_1) | instid1(VALU_DEP_1)
	v_fmac_f32_e32 v4, v96, v88
	s_waitcnt vmcnt(0)
	v_fmac_f32_e32 v4, v3, v89
	s_delay_alu instid0(VALU_DEP_1)
	v_sub_f32_e32 v2, v85, v4
	scratch_store_b32 off, v2, off offset:108
	v_cmpx_lt_u32_e32 26, v0
	s_cbranch_execz .LBB103_195
; %bb.194:
	scratch_load_b32 v2, off, off offset:104
	v_mov_b32_e32 v3, 0
	scratch_store_b32 off, v3, off offset:104
	s_waitcnt vmcnt(0)
	ds_store_b32 v1, v2
.LBB103_195:
	s_or_b32 exec_lo, exec_lo, s0
	s_waitcnt lgkmcnt(0)
	s_waitcnt_vscnt null, 0x0
	s_barrier
	buffer_gl0_inv
	s_clause 0x3
	scratch_load_b128 v[85:88], off, off offset:104
	scratch_load_b128 v[89:92], off, off offset:120
	;; [unrolled: 1-line block ×3, first 2 shown]
	scratch_load_b64 v[3:4], off, off offset:152
	v_mov_b32_e32 v2, 0
	ds_load_2addr_b32 v[97:98], v2 offset0:67 offset1:68
	ds_load_2addr_b32 v[99:100], v2 offset0:69 offset1:70
	;; [unrolled: 1-line block ×4, first 2 shown]
	s_mov_b32 s0, exec_lo
	s_waitcnt vmcnt(3) lgkmcnt(3)
	v_fma_f32 v97, v86, v97, 0
	s_delay_alu instid0(VALU_DEP_1) | instskip(SKIP_4) | instid1(VALU_DEP_1)
	v_fmac_f32_e32 v97, v87, v98
	ds_load_2addr_b32 v[86:87], v2 offset0:75 offset1:76
	s_waitcnt lgkmcnt(3)
	v_fmac_f32_e32 v97, v88, v99
	s_waitcnt vmcnt(2)
	v_fmac_f32_e32 v97, v89, v100
	ds_load_2addr_b32 v[88:89], v2 offset0:77 offset1:78
	s_waitcnt lgkmcnt(3)
	v_fmac_f32_e32 v97, v90, v101
	ds_load_b32 v90, v2 offset:316
	v_fmac_f32_e32 v97, v91, v102
	s_waitcnt lgkmcnt(3)
	s_delay_alu instid0(VALU_DEP_1) | instskip(SKIP_1) | instid1(VALU_DEP_1)
	v_fmac_f32_e32 v97, v92, v103
	s_waitcnt vmcnt(1)
	v_fmac_f32_e32 v97, v93, v104
	s_waitcnt lgkmcnt(2)
	s_delay_alu instid0(VALU_DEP_1) | instskip(NEXT) | instid1(VALU_DEP_1)
	v_fmac_f32_e32 v97, v94, v86
	v_fmac_f32_e32 v97, v95, v87
	s_waitcnt lgkmcnt(1)
	s_delay_alu instid0(VALU_DEP_1) | instskip(SKIP_1) | instid1(VALU_DEP_1)
	v_fmac_f32_e32 v97, v96, v88
	s_waitcnt vmcnt(0)
	v_fmac_f32_e32 v97, v3, v89
	s_waitcnt lgkmcnt(0)
	s_delay_alu instid0(VALU_DEP_1) | instskip(NEXT) | instid1(VALU_DEP_1)
	v_fmac_f32_e32 v97, v4, v90
	v_sub_f32_e32 v3, v85, v97
	scratch_store_b32 off, v3, off offset:104
	v_cmpx_lt_u32_e32 25, v0
	s_cbranch_execz .LBB103_197
; %bb.196:
	scratch_load_b32 v3, off, off offset:100
	scratch_store_b32 off, v2, off offset:100
	s_waitcnt vmcnt(0)
	ds_store_b32 v1, v3
.LBB103_197:
	s_or_b32 exec_lo, exec_lo, s0
	s_waitcnt lgkmcnt(0)
	s_waitcnt_vscnt null, 0x0
	s_barrier
	buffer_gl0_inv
	s_clause 0x3
	scratch_load_b128 v[85:88], off, off offset:100
	scratch_load_b128 v[89:92], off, off offset:116
	;; [unrolled: 1-line block ×3, first 2 shown]
	scratch_load_b96 v[105:107], off, off offset:148
	ds_load_2addr_b64 v[97:100], v2 offset0:33 offset1:34
	ds_load_2addr_b64 v[101:104], v2 offset0:35 offset1:36
	s_mov_b32 s0, exec_lo
	s_waitcnt vmcnt(3) lgkmcnt(1)
	v_fma_f32 v4, v86, v97, 0
	s_delay_alu instid0(VALU_DEP_1) | instskip(NEXT) | instid1(VALU_DEP_1)
	v_fmac_f32_e32 v4, v87, v98
	v_fmac_f32_e32 v4, v88, v99
	s_waitcnt vmcnt(2)
	s_delay_alu instid0(VALU_DEP_1) | instskip(SKIP_4) | instid1(VALU_DEP_1)
	v_fmac_f32_e32 v4, v89, v100
	ds_load_2addr_b64 v[86:89], v2 offset0:37 offset1:38
	ds_load_b64 v[2:3], v2 offset:312
	s_waitcnt lgkmcnt(2)
	v_fmac_f32_e32 v4, v90, v101
	v_fmac_f32_e32 v4, v91, v102
	s_delay_alu instid0(VALU_DEP_1) | instskip(SKIP_1) | instid1(VALU_DEP_1)
	v_fmac_f32_e32 v4, v92, v103
	s_waitcnt vmcnt(1)
	v_fmac_f32_e32 v4, v93, v104
	s_waitcnt lgkmcnt(1)
	s_delay_alu instid0(VALU_DEP_1) | instskip(NEXT) | instid1(VALU_DEP_1)
	v_fmac_f32_e32 v4, v94, v86
	v_fmac_f32_e32 v4, v95, v87
	s_delay_alu instid0(VALU_DEP_1) | instskip(SKIP_1) | instid1(VALU_DEP_1)
	v_fmac_f32_e32 v4, v96, v88
	s_waitcnt vmcnt(0)
	v_fmac_f32_e32 v4, v105, v89
	s_waitcnt lgkmcnt(0)
	s_delay_alu instid0(VALU_DEP_1) | instskip(NEXT) | instid1(VALU_DEP_1)
	v_fmac_f32_e32 v4, v106, v2
	v_fmac_f32_e32 v4, v107, v3
	s_delay_alu instid0(VALU_DEP_1)
	v_sub_f32_e32 v2, v85, v4
	scratch_store_b32 off, v2, off offset:100
	v_cmpx_lt_u32_e32 24, v0
	s_cbranch_execz .LBB103_199
; %bb.198:
	scratch_load_b32 v2, off, off offset:96
	v_mov_b32_e32 v3, 0
	scratch_store_b32 off, v3, off offset:96
	s_waitcnt vmcnt(0)
	ds_store_b32 v1, v2
.LBB103_199:
	s_or_b32 exec_lo, exec_lo, s0
	s_waitcnt lgkmcnt(0)
	s_waitcnt_vscnt null, 0x0
	s_barrier
	buffer_gl0_inv
	s_clause 0x3
	scratch_load_b128 v[85:88], off, off offset:96
	scratch_load_b128 v[89:92], off, off offset:112
	;; [unrolled: 1-line block ×4, first 2 shown]
	v_mov_b32_e32 v2, 0
	ds_load_2addr_b32 v[3:4], v2 offset0:65 offset1:66
	ds_load_2addr_b32 v[101:102], v2 offset0:67 offset1:68
	;; [unrolled: 1-line block ×4, first 2 shown]
	s_mov_b32 s0, exec_lo
	s_waitcnt vmcnt(3) lgkmcnt(3)
	v_fma_f32 v107, v86, v3, 0
	s_delay_alu instid0(VALU_DEP_1)
	v_fmac_f32_e32 v107, v87, v4
	ds_load_2addr_b32 v[3:4], v2 offset0:73 offset1:74
	ds_load_2addr_b32 v[86:87], v2 offset0:75 offset1:76
	s_waitcnt lgkmcnt(4)
	v_fmac_f32_e32 v107, v88, v101
	s_waitcnt vmcnt(2)
	s_delay_alu instid0(VALU_DEP_1) | instskip(SKIP_1) | instid1(VALU_DEP_1)
	v_fmac_f32_e32 v107, v89, v102
	s_waitcnt lgkmcnt(3)
	v_fmac_f32_e32 v107, v90, v103
	ds_load_2addr_b32 v[88:89], v2 offset0:77 offset1:78
	ds_load_b32 v90, v2 offset:316
	v_fmac_f32_e32 v107, v91, v104
	s_waitcnt lgkmcnt(4)
	s_delay_alu instid0(VALU_DEP_1) | instskip(SKIP_1) | instid1(VALU_DEP_1)
	v_fmac_f32_e32 v107, v92, v105
	s_waitcnt vmcnt(1)
	v_fmac_f32_e32 v107, v93, v106
	s_waitcnt lgkmcnt(3)
	s_delay_alu instid0(VALU_DEP_1) | instskip(NEXT) | instid1(VALU_DEP_1)
	v_fmac_f32_e32 v107, v94, v3
	v_fmac_f32_e32 v107, v95, v4
	s_waitcnt lgkmcnt(2)
	s_delay_alu instid0(VALU_DEP_1) | instskip(SKIP_1) | instid1(VALU_DEP_1)
	v_fmac_f32_e32 v107, v96, v86
	s_waitcnt vmcnt(0)
	v_fmac_f32_e32 v107, v97, v87
	s_waitcnt lgkmcnt(1)
	s_delay_alu instid0(VALU_DEP_1) | instskip(NEXT) | instid1(VALU_DEP_1)
	v_fmac_f32_e32 v107, v98, v88
	v_fmac_f32_e32 v107, v99, v89
	s_waitcnt lgkmcnt(0)
	s_delay_alu instid0(VALU_DEP_1) | instskip(NEXT) | instid1(VALU_DEP_1)
	v_fmac_f32_e32 v107, v100, v90
	v_sub_f32_e32 v3, v85, v107
	scratch_store_b32 off, v3, off offset:96
	v_cmpx_lt_u32_e32 23, v0
	s_cbranch_execz .LBB103_201
; %bb.200:
	scratch_load_b32 v3, off, off offset:92
	scratch_store_b32 off, v2, off offset:92
	s_waitcnt vmcnt(0)
	ds_store_b32 v1, v3
.LBB103_201:
	s_or_b32 exec_lo, exec_lo, s0
	s_waitcnt lgkmcnt(0)
	s_waitcnt_vscnt null, 0x0
	s_barrier
	buffer_gl0_inv
	s_clause 0x4
	scratch_load_b128 v[85:88], off, off offset:92
	scratch_load_b128 v[89:92], off, off offset:108
	;; [unrolled: 1-line block ×4, first 2 shown]
	scratch_load_b32 v3, off, off offset:156
	ds_load_b128 v[101:104], v2 offset:256
	ds_load_b128 v[105:108], v2 offset:272
	s_mov_b32 s0, exec_lo
	s_waitcnt vmcnt(4) lgkmcnt(1)
	v_fma_f32 v4, v86, v101, 0
	s_delay_alu instid0(VALU_DEP_1) | instskip(NEXT) | instid1(VALU_DEP_1)
	v_fmac_f32_e32 v4, v87, v102
	v_fmac_f32_e32 v4, v88, v103
	s_waitcnt vmcnt(3)
	s_delay_alu instid0(VALU_DEP_1) | instskip(SKIP_3) | instid1(VALU_DEP_1)
	v_fmac_f32_e32 v4, v89, v104
	ds_load_b128 v[86:89], v2 offset:288
	s_waitcnt lgkmcnt(1)
	v_fmac_f32_e32 v4, v90, v105
	v_fmac_f32_e32 v4, v91, v106
	s_delay_alu instid0(VALU_DEP_1) | instskip(SKIP_1) | instid1(VALU_DEP_1)
	v_fmac_f32_e32 v4, v92, v107
	s_waitcnt vmcnt(2)
	v_fmac_f32_e32 v4, v93, v108
	ds_load_b128 v[90:93], v2 offset:304
	s_waitcnt lgkmcnt(1)
	v_fmac_f32_e32 v4, v94, v86
	s_delay_alu instid0(VALU_DEP_1) | instskip(NEXT) | instid1(VALU_DEP_1)
	v_fmac_f32_e32 v4, v95, v87
	v_fmac_f32_e32 v4, v96, v88
	s_waitcnt vmcnt(1)
	s_delay_alu instid0(VALU_DEP_1) | instskip(SKIP_1) | instid1(VALU_DEP_1)
	v_fmac_f32_e32 v4, v97, v89
	s_waitcnt lgkmcnt(0)
	v_fmac_f32_e32 v4, v98, v90
	s_delay_alu instid0(VALU_DEP_1) | instskip(NEXT) | instid1(VALU_DEP_1)
	v_fmac_f32_e32 v4, v99, v91
	v_fmac_f32_e32 v4, v100, v92
	s_waitcnt vmcnt(0)
	s_delay_alu instid0(VALU_DEP_1) | instskip(NEXT) | instid1(VALU_DEP_1)
	v_fmac_f32_e32 v4, v3, v93
	v_sub_f32_e32 v2, v85, v4
	scratch_store_b32 off, v2, off offset:92
	v_cmpx_lt_u32_e32 22, v0
	s_cbranch_execz .LBB103_203
; %bb.202:
	scratch_load_b32 v2, off, off offset:88
	v_mov_b32_e32 v3, 0
	scratch_store_b32 off, v3, off offset:88
	s_waitcnt vmcnt(0)
	ds_store_b32 v1, v2
.LBB103_203:
	s_or_b32 exec_lo, exec_lo, s0
	s_waitcnt lgkmcnt(0)
	s_waitcnt_vscnt null, 0x0
	s_barrier
	buffer_gl0_inv
	s_clause 0x4
	scratch_load_b128 v[85:88], off, off offset:88
	scratch_load_b128 v[89:92], off, off offset:104
	;; [unrolled: 1-line block ×4, first 2 shown]
	scratch_load_b64 v[3:4], off, off offset:152
	v_mov_b32_e32 v2, 0
	ds_load_2addr_b32 v[101:102], v2 offset0:63 offset1:64
	ds_load_2addr_b32 v[103:104], v2 offset0:65 offset1:66
	;; [unrolled: 1-line block ×4, first 2 shown]
	s_mov_b32 s0, exec_lo
	s_waitcnt vmcnt(4) lgkmcnt(3)
	v_fma_f32 v101, v86, v101, 0
	s_delay_alu instid0(VALU_DEP_1) | instskip(SKIP_4) | instid1(VALU_DEP_1)
	v_fmac_f32_e32 v101, v87, v102
	ds_load_2addr_b32 v[86:87], v2 offset0:71 offset1:72
	s_waitcnt lgkmcnt(3)
	v_fmac_f32_e32 v101, v88, v103
	s_waitcnt vmcnt(3)
	v_fmac_f32_e32 v101, v89, v104
	ds_load_2addr_b32 v[88:89], v2 offset0:73 offset1:74
	s_waitcnt lgkmcnt(3)
	v_fmac_f32_e32 v101, v90, v105
	s_delay_alu instid0(VALU_DEP_1) | instskip(SKIP_1) | instid1(VALU_DEP_1)
	v_fmac_f32_e32 v101, v91, v106
	s_waitcnt lgkmcnt(2)
	v_fmac_f32_e32 v101, v92, v107
	s_waitcnt vmcnt(2)
	s_delay_alu instid0(VALU_DEP_1)
	v_fmac_f32_e32 v101, v93, v108
	ds_load_2addr_b32 v[90:91], v2 offset0:75 offset1:76
	ds_load_2addr_b32 v[92:93], v2 offset0:77 offset1:78
	s_waitcnt lgkmcnt(3)
	v_fmac_f32_e32 v101, v94, v86
	ds_load_b32 v86, v2 offset:316
	v_fmac_f32_e32 v101, v95, v87
	s_waitcnt lgkmcnt(3)
	s_delay_alu instid0(VALU_DEP_1) | instskip(SKIP_1) | instid1(VALU_DEP_1)
	v_fmac_f32_e32 v101, v96, v88
	s_waitcnt vmcnt(1)
	v_fmac_f32_e32 v101, v97, v89
	s_waitcnt lgkmcnt(2)
	s_delay_alu instid0(VALU_DEP_1) | instskip(NEXT) | instid1(VALU_DEP_1)
	v_fmac_f32_e32 v101, v98, v90
	v_fmac_f32_e32 v101, v99, v91
	s_waitcnt lgkmcnt(1)
	s_delay_alu instid0(VALU_DEP_1) | instskip(SKIP_1) | instid1(VALU_DEP_1)
	v_fmac_f32_e32 v101, v100, v92
	s_waitcnt vmcnt(0)
	v_fmac_f32_e32 v101, v3, v93
	s_waitcnt lgkmcnt(0)
	s_delay_alu instid0(VALU_DEP_1) | instskip(NEXT) | instid1(VALU_DEP_1)
	v_fmac_f32_e32 v101, v4, v86
	v_sub_f32_e32 v3, v85, v101
	scratch_store_b32 off, v3, off offset:88
	v_cmpx_lt_u32_e32 21, v0
	s_cbranch_execz .LBB103_205
; %bb.204:
	scratch_load_b32 v3, off, off offset:84
	scratch_store_b32 off, v2, off offset:84
	s_waitcnt vmcnt(0)
	ds_store_b32 v1, v3
.LBB103_205:
	s_or_b32 exec_lo, exec_lo, s0
	s_waitcnt lgkmcnt(0)
	s_waitcnt_vscnt null, 0x0
	s_barrier
	buffer_gl0_inv
	s_clause 0x4
	scratch_load_b128 v[85:88], off, off offset:84
	scratch_load_b128 v[89:92], off, off offset:100
	;; [unrolled: 1-line block ×4, first 2 shown]
	scratch_load_b96 v[109:111], off, off offset:148
	ds_load_2addr_b64 v[101:104], v2 offset0:31 offset1:32
	ds_load_2addr_b64 v[105:108], v2 offset0:33 offset1:34
	s_mov_b32 s0, exec_lo
	s_waitcnt vmcnt(4) lgkmcnt(1)
	v_fma_f32 v4, v86, v101, 0
	s_delay_alu instid0(VALU_DEP_1) | instskip(NEXT) | instid1(VALU_DEP_1)
	v_fmac_f32_e32 v4, v87, v102
	v_fmac_f32_e32 v4, v88, v103
	s_waitcnt vmcnt(3)
	s_delay_alu instid0(VALU_DEP_1) | instskip(SKIP_3) | instid1(VALU_DEP_1)
	v_fmac_f32_e32 v4, v89, v104
	ds_load_2addr_b64 v[86:89], v2 offset0:35 offset1:36
	s_waitcnt lgkmcnt(1)
	v_fmac_f32_e32 v4, v90, v105
	v_fmac_f32_e32 v4, v91, v106
	s_delay_alu instid0(VALU_DEP_1) | instskip(SKIP_1) | instid1(VALU_DEP_1)
	v_fmac_f32_e32 v4, v92, v107
	s_waitcnt vmcnt(2)
	v_fmac_f32_e32 v4, v93, v108
	ds_load_2addr_b64 v[90:93], v2 offset0:37 offset1:38
	ds_load_b64 v[2:3], v2 offset:312
	s_waitcnt lgkmcnt(2)
	v_fmac_f32_e32 v4, v94, v86
	s_delay_alu instid0(VALU_DEP_1) | instskip(NEXT) | instid1(VALU_DEP_1)
	v_fmac_f32_e32 v4, v95, v87
	v_fmac_f32_e32 v4, v96, v88
	s_waitcnt vmcnt(1)
	s_delay_alu instid0(VALU_DEP_1) | instskip(SKIP_1) | instid1(VALU_DEP_1)
	v_fmac_f32_e32 v4, v97, v89
	s_waitcnt lgkmcnt(1)
	v_fmac_f32_e32 v4, v98, v90
	s_delay_alu instid0(VALU_DEP_1) | instskip(NEXT) | instid1(VALU_DEP_1)
	v_fmac_f32_e32 v4, v99, v91
	v_fmac_f32_e32 v4, v100, v92
	s_waitcnt vmcnt(0)
	s_delay_alu instid0(VALU_DEP_1) | instskip(SKIP_1) | instid1(VALU_DEP_1)
	v_fmac_f32_e32 v4, v109, v93
	s_waitcnt lgkmcnt(0)
	v_fmac_f32_e32 v4, v110, v2
	s_delay_alu instid0(VALU_DEP_1) | instskip(NEXT) | instid1(VALU_DEP_1)
	v_fmac_f32_e32 v4, v111, v3
	v_sub_f32_e32 v2, v85, v4
	scratch_store_b32 off, v2, off offset:84
	v_cmpx_lt_u32_e32 20, v0
	s_cbranch_execz .LBB103_207
; %bb.206:
	scratch_load_b32 v2, off, off offset:80
	v_mov_b32_e32 v3, 0
	scratch_store_b32 off, v3, off offset:80
	s_waitcnt vmcnt(0)
	ds_store_b32 v1, v2
.LBB103_207:
	s_or_b32 exec_lo, exec_lo, s0
	s_waitcnt lgkmcnt(0)
	s_waitcnt_vscnt null, 0x0
	s_barrier
	buffer_gl0_inv
	s_clause 0x4
	scratch_load_b128 v[85:88], off, off offset:80
	scratch_load_b128 v[89:92], off, off offset:96
	scratch_load_b128 v[93:96], off, off offset:112
	scratch_load_b128 v[97:100], off, off offset:128
	scratch_load_b128 v[101:104], off, off offset:144
	v_mov_b32_e32 v2, 0
	ds_load_2addr_b32 v[3:4], v2 offset0:61 offset1:62
	ds_load_2addr_b32 v[105:106], v2 offset0:63 offset1:64
	;; [unrolled: 1-line block ×4, first 2 shown]
	s_mov_b32 s0, exec_lo
	s_waitcnt vmcnt(4) lgkmcnt(3)
	v_fma_f32 v111, v86, v3, 0
	s_delay_alu instid0(VALU_DEP_1)
	v_fmac_f32_e32 v111, v87, v4
	ds_load_2addr_b32 v[3:4], v2 offset0:69 offset1:70
	ds_load_2addr_b32 v[86:87], v2 offset0:71 offset1:72
	s_waitcnt lgkmcnt(4)
	v_fmac_f32_e32 v111, v88, v105
	s_waitcnt vmcnt(3)
	s_delay_alu instid0(VALU_DEP_1) | instskip(SKIP_1) | instid1(VALU_DEP_1)
	v_fmac_f32_e32 v111, v89, v106
	s_waitcnt lgkmcnt(3)
	v_fmac_f32_e32 v111, v90, v107
	s_delay_alu instid0(VALU_DEP_1)
	v_fmac_f32_e32 v111, v91, v108
	ds_load_2addr_b32 v[88:89], v2 offset0:73 offset1:74
	ds_load_2addr_b32 v[90:91], v2 offset0:75 offset1:76
	s_waitcnt lgkmcnt(4)
	v_fmac_f32_e32 v111, v92, v109
	s_waitcnt vmcnt(2)
	s_delay_alu instid0(VALU_DEP_1) | instskip(SKIP_1) | instid1(VALU_DEP_1)
	v_fmac_f32_e32 v111, v93, v110
	s_waitcnt lgkmcnt(3)
	v_fmac_f32_e32 v111, v94, v3
	s_delay_alu instid0(VALU_DEP_1)
	v_fmac_f32_e32 v111, v95, v4
	ds_load_2addr_b32 v[3:4], v2 offset0:77 offset1:78
	s_waitcnt lgkmcnt(3)
	v_fmac_f32_e32 v111, v96, v86
	ds_load_b32 v86, v2 offset:316
	s_waitcnt vmcnt(1)
	v_fmac_f32_e32 v111, v97, v87
	s_waitcnt lgkmcnt(3)
	s_delay_alu instid0(VALU_DEP_1) | instskip(NEXT) | instid1(VALU_DEP_1)
	v_fmac_f32_e32 v111, v98, v88
	v_fmac_f32_e32 v111, v99, v89
	s_waitcnt lgkmcnt(2)
	s_delay_alu instid0(VALU_DEP_1) | instskip(SKIP_1) | instid1(VALU_DEP_1)
	v_fmac_f32_e32 v111, v100, v90
	s_waitcnt vmcnt(0)
	v_fmac_f32_e32 v111, v101, v91
	s_waitcnt lgkmcnt(1)
	s_delay_alu instid0(VALU_DEP_1) | instskip(NEXT) | instid1(VALU_DEP_1)
	v_fmac_f32_e32 v111, v102, v3
	v_fmac_f32_e32 v111, v103, v4
	s_waitcnt lgkmcnt(0)
	s_delay_alu instid0(VALU_DEP_1) | instskip(NEXT) | instid1(VALU_DEP_1)
	v_fmac_f32_e32 v111, v104, v86
	v_sub_f32_e32 v3, v85, v111
	scratch_store_b32 off, v3, off offset:80
	v_cmpx_lt_u32_e32 19, v0
	s_cbranch_execz .LBB103_209
; %bb.208:
	scratch_load_b32 v3, off, off offset:76
	scratch_store_b32 off, v2, off offset:76
	s_waitcnt vmcnt(0)
	ds_store_b32 v1, v3
.LBB103_209:
	s_or_b32 exec_lo, exec_lo, s0
	s_waitcnt lgkmcnt(0)
	s_waitcnt_vscnt null, 0x0
	s_barrier
	buffer_gl0_inv
	s_clause 0x5
	scratch_load_b128 v[85:88], off, off offset:76
	scratch_load_b128 v[89:92], off, off offset:92
	;; [unrolled: 1-line block ×5, first 2 shown]
	scratch_load_b32 v3, off, off offset:156
	ds_load_b128 v[105:108], v2 offset:240
	ds_load_b128 v[109:112], v2 offset:256
	s_mov_b32 s0, exec_lo
	s_waitcnt vmcnt(5) lgkmcnt(1)
	v_fma_f32 v4, v86, v105, 0
	s_delay_alu instid0(VALU_DEP_1) | instskip(NEXT) | instid1(VALU_DEP_1)
	v_fmac_f32_e32 v4, v87, v106
	v_fmac_f32_e32 v4, v88, v107
	s_waitcnt vmcnt(4)
	s_delay_alu instid0(VALU_DEP_1) | instskip(SKIP_3) | instid1(VALU_DEP_1)
	v_fmac_f32_e32 v4, v89, v108
	ds_load_b128 v[86:89], v2 offset:272
	s_waitcnt lgkmcnt(1)
	v_fmac_f32_e32 v4, v90, v109
	v_fmac_f32_e32 v4, v91, v110
	s_delay_alu instid0(VALU_DEP_1) | instskip(SKIP_1) | instid1(VALU_DEP_1)
	v_fmac_f32_e32 v4, v92, v111
	s_waitcnt vmcnt(3)
	v_fmac_f32_e32 v4, v93, v112
	ds_load_b128 v[90:93], v2 offset:288
	s_waitcnt lgkmcnt(1)
	v_fmac_f32_e32 v4, v94, v86
	s_delay_alu instid0(VALU_DEP_1) | instskip(NEXT) | instid1(VALU_DEP_1)
	v_fmac_f32_e32 v4, v95, v87
	v_fmac_f32_e32 v4, v96, v88
	s_waitcnt vmcnt(2)
	s_delay_alu instid0(VALU_DEP_1) | instskip(SKIP_3) | instid1(VALU_DEP_1)
	v_fmac_f32_e32 v4, v97, v89
	ds_load_b128 v[86:89], v2 offset:304
	s_waitcnt lgkmcnt(1)
	v_fmac_f32_e32 v4, v98, v90
	v_fmac_f32_e32 v4, v99, v91
	s_delay_alu instid0(VALU_DEP_1) | instskip(SKIP_1) | instid1(VALU_DEP_1)
	v_fmac_f32_e32 v4, v100, v92
	s_waitcnt vmcnt(1)
	v_fmac_f32_e32 v4, v101, v93
	s_waitcnt lgkmcnt(0)
	s_delay_alu instid0(VALU_DEP_1) | instskip(NEXT) | instid1(VALU_DEP_1)
	v_fmac_f32_e32 v4, v102, v86
	v_fmac_f32_e32 v4, v103, v87
	s_delay_alu instid0(VALU_DEP_1) | instskip(SKIP_1) | instid1(VALU_DEP_1)
	v_fmac_f32_e32 v4, v104, v88
	s_waitcnt vmcnt(0)
	v_fmac_f32_e32 v4, v3, v89
	s_delay_alu instid0(VALU_DEP_1)
	v_sub_f32_e32 v2, v85, v4
	scratch_store_b32 off, v2, off offset:76
	v_cmpx_lt_u32_e32 18, v0
	s_cbranch_execz .LBB103_211
; %bb.210:
	scratch_load_b32 v2, off, off offset:72
	v_mov_b32_e32 v3, 0
	scratch_store_b32 off, v3, off offset:72
	s_waitcnt vmcnt(0)
	ds_store_b32 v1, v2
.LBB103_211:
	s_or_b32 exec_lo, exec_lo, s0
	s_waitcnt lgkmcnt(0)
	s_waitcnt_vscnt null, 0x0
	s_barrier
	buffer_gl0_inv
	s_clause 0x5
	scratch_load_b128 v[85:88], off, off offset:72
	scratch_load_b128 v[89:92], off, off offset:88
	;; [unrolled: 1-line block ×5, first 2 shown]
	scratch_load_b64 v[3:4], off, off offset:152
	v_mov_b32_e32 v2, 0
	ds_load_2addr_b32 v[105:106], v2 offset0:59 offset1:60
	ds_load_2addr_b32 v[107:108], v2 offset0:61 offset1:62
	;; [unrolled: 1-line block ×4, first 2 shown]
	s_mov_b32 s0, exec_lo
	s_waitcnt vmcnt(5) lgkmcnt(3)
	v_fma_f32 v105, v86, v105, 0
	s_delay_alu instid0(VALU_DEP_1) | instskip(SKIP_4) | instid1(VALU_DEP_1)
	v_fmac_f32_e32 v105, v87, v106
	ds_load_2addr_b32 v[86:87], v2 offset0:67 offset1:68
	s_waitcnt lgkmcnt(3)
	v_fmac_f32_e32 v105, v88, v107
	s_waitcnt vmcnt(4)
	v_fmac_f32_e32 v105, v89, v108
	ds_load_2addr_b32 v[88:89], v2 offset0:69 offset1:70
	s_waitcnt lgkmcnt(3)
	v_fmac_f32_e32 v105, v90, v109
	s_delay_alu instid0(VALU_DEP_1) | instskip(SKIP_1) | instid1(VALU_DEP_1)
	v_fmac_f32_e32 v105, v91, v110
	s_waitcnt lgkmcnt(2)
	v_fmac_f32_e32 v105, v92, v111
	s_waitcnt vmcnt(3)
	s_delay_alu instid0(VALU_DEP_1) | instskip(SKIP_4) | instid1(VALU_DEP_1)
	v_fmac_f32_e32 v105, v93, v112
	ds_load_2addr_b32 v[90:91], v2 offset0:71 offset1:72
	ds_load_2addr_b32 v[92:93], v2 offset0:73 offset1:74
	s_waitcnt lgkmcnt(3)
	v_fmac_f32_e32 v105, v94, v86
	v_fmac_f32_e32 v105, v95, v87
	ds_load_2addr_b32 v[86:87], v2 offset0:75 offset1:76
	s_waitcnt lgkmcnt(3)
	v_fmac_f32_e32 v105, v96, v88
	s_waitcnt vmcnt(2)
	s_delay_alu instid0(VALU_DEP_1)
	v_fmac_f32_e32 v105, v97, v89
	ds_load_2addr_b32 v[88:89], v2 offset0:77 offset1:78
	s_waitcnt lgkmcnt(3)
	v_fmac_f32_e32 v105, v98, v90
	ds_load_b32 v90, v2 offset:316
	v_fmac_f32_e32 v105, v99, v91
	s_waitcnt lgkmcnt(3)
	s_delay_alu instid0(VALU_DEP_1) | instskip(SKIP_1) | instid1(VALU_DEP_1)
	v_fmac_f32_e32 v105, v100, v92
	s_waitcnt vmcnt(1)
	v_fmac_f32_e32 v105, v101, v93
	s_waitcnt lgkmcnt(2)
	s_delay_alu instid0(VALU_DEP_1) | instskip(NEXT) | instid1(VALU_DEP_1)
	v_fmac_f32_e32 v105, v102, v86
	v_fmac_f32_e32 v105, v103, v87
	s_waitcnt lgkmcnt(1)
	s_delay_alu instid0(VALU_DEP_1) | instskip(SKIP_1) | instid1(VALU_DEP_1)
	v_fmac_f32_e32 v105, v104, v88
	s_waitcnt vmcnt(0)
	v_fmac_f32_e32 v105, v3, v89
	s_waitcnt lgkmcnt(0)
	s_delay_alu instid0(VALU_DEP_1) | instskip(NEXT) | instid1(VALU_DEP_1)
	v_fmac_f32_e32 v105, v4, v90
	v_sub_f32_e32 v3, v85, v105
	scratch_store_b32 off, v3, off offset:72
	v_cmpx_lt_u32_e32 17, v0
	s_cbranch_execz .LBB103_213
; %bb.212:
	scratch_load_b32 v3, off, off offset:68
	scratch_store_b32 off, v2, off offset:68
	s_waitcnt vmcnt(0)
	ds_store_b32 v1, v3
.LBB103_213:
	s_or_b32 exec_lo, exec_lo, s0
	s_waitcnt lgkmcnt(0)
	s_waitcnt_vscnt null, 0x0
	s_barrier
	buffer_gl0_inv
	s_clause 0x5
	scratch_load_b128 v[85:88], off, off offset:68
	scratch_load_b128 v[89:92], off, off offset:84
	;; [unrolled: 1-line block ×5, first 2 shown]
	scratch_load_b96 v[113:115], off, off offset:148
	ds_load_2addr_b64 v[105:108], v2 offset0:29 offset1:30
	ds_load_2addr_b64 v[109:112], v2 offset0:31 offset1:32
	s_mov_b32 s0, exec_lo
	s_waitcnt vmcnt(5) lgkmcnt(1)
	v_fma_f32 v4, v86, v105, 0
	s_delay_alu instid0(VALU_DEP_1) | instskip(NEXT) | instid1(VALU_DEP_1)
	v_fmac_f32_e32 v4, v87, v106
	v_fmac_f32_e32 v4, v88, v107
	s_waitcnt vmcnt(4)
	s_delay_alu instid0(VALU_DEP_1) | instskip(SKIP_3) | instid1(VALU_DEP_1)
	v_fmac_f32_e32 v4, v89, v108
	ds_load_2addr_b64 v[86:89], v2 offset0:33 offset1:34
	s_waitcnt lgkmcnt(1)
	v_fmac_f32_e32 v4, v90, v109
	v_fmac_f32_e32 v4, v91, v110
	s_delay_alu instid0(VALU_DEP_1) | instskip(SKIP_1) | instid1(VALU_DEP_1)
	v_fmac_f32_e32 v4, v92, v111
	s_waitcnt vmcnt(3)
	v_fmac_f32_e32 v4, v93, v112
	ds_load_2addr_b64 v[90:93], v2 offset0:35 offset1:36
	s_waitcnt lgkmcnt(1)
	v_fmac_f32_e32 v4, v94, v86
	s_delay_alu instid0(VALU_DEP_1) | instskip(NEXT) | instid1(VALU_DEP_1)
	v_fmac_f32_e32 v4, v95, v87
	v_fmac_f32_e32 v4, v96, v88
	s_waitcnt vmcnt(2)
	s_delay_alu instid0(VALU_DEP_1) | instskip(SKIP_4) | instid1(VALU_DEP_1)
	v_fmac_f32_e32 v4, v97, v89
	ds_load_2addr_b64 v[86:89], v2 offset0:37 offset1:38
	ds_load_b64 v[2:3], v2 offset:312
	s_waitcnt lgkmcnt(2)
	v_fmac_f32_e32 v4, v98, v90
	v_fmac_f32_e32 v4, v99, v91
	s_delay_alu instid0(VALU_DEP_1) | instskip(SKIP_1) | instid1(VALU_DEP_1)
	v_fmac_f32_e32 v4, v100, v92
	s_waitcnt vmcnt(1)
	v_fmac_f32_e32 v4, v101, v93
	s_waitcnt lgkmcnt(1)
	s_delay_alu instid0(VALU_DEP_1) | instskip(NEXT) | instid1(VALU_DEP_1)
	v_fmac_f32_e32 v4, v102, v86
	v_fmac_f32_e32 v4, v103, v87
	s_delay_alu instid0(VALU_DEP_1) | instskip(SKIP_1) | instid1(VALU_DEP_1)
	v_fmac_f32_e32 v4, v104, v88
	s_waitcnt vmcnt(0)
	v_fmac_f32_e32 v4, v113, v89
	s_waitcnt lgkmcnt(0)
	s_delay_alu instid0(VALU_DEP_1) | instskip(NEXT) | instid1(VALU_DEP_1)
	v_fmac_f32_e32 v4, v114, v2
	v_fmac_f32_e32 v4, v115, v3
	s_delay_alu instid0(VALU_DEP_1)
	v_sub_f32_e32 v2, v85, v4
	scratch_store_b32 off, v2, off offset:68
	v_cmpx_lt_u32_e32 16, v0
	s_cbranch_execz .LBB103_215
; %bb.214:
	scratch_load_b32 v2, off, off offset:64
	v_mov_b32_e32 v3, 0
	scratch_store_b32 off, v3, off offset:64
	s_waitcnt vmcnt(0)
	ds_store_b32 v1, v2
.LBB103_215:
	s_or_b32 exec_lo, exec_lo, s0
	s_waitcnt lgkmcnt(0)
	s_waitcnt_vscnt null, 0x0
	s_barrier
	buffer_gl0_inv
	s_clause 0x5
	scratch_load_b128 v[85:88], off, off offset:64
	scratch_load_b128 v[89:92], off, off offset:80
	;; [unrolled: 1-line block ×6, first 2 shown]
	v_mov_b32_e32 v2, 0
	ds_load_2addr_b32 v[3:4], v2 offset0:57 offset1:58
	ds_load_2addr_b32 v[109:110], v2 offset0:59 offset1:60
	;; [unrolled: 1-line block ×4, first 2 shown]
	s_mov_b32 s0, exec_lo
	s_waitcnt vmcnt(5) lgkmcnt(3)
	v_fma_f32 v115, v86, v3, 0
	s_delay_alu instid0(VALU_DEP_1)
	v_fmac_f32_e32 v115, v87, v4
	ds_load_2addr_b32 v[3:4], v2 offset0:65 offset1:66
	ds_load_2addr_b32 v[86:87], v2 offset0:67 offset1:68
	s_waitcnt lgkmcnt(4)
	v_fmac_f32_e32 v115, v88, v109
	s_waitcnt vmcnt(4)
	s_delay_alu instid0(VALU_DEP_1) | instskip(SKIP_1) | instid1(VALU_DEP_1)
	v_fmac_f32_e32 v115, v89, v110
	s_waitcnt lgkmcnt(3)
	v_fmac_f32_e32 v115, v90, v111
	s_delay_alu instid0(VALU_DEP_1)
	v_fmac_f32_e32 v115, v91, v112
	ds_load_2addr_b32 v[88:89], v2 offset0:69 offset1:70
	ds_load_2addr_b32 v[90:91], v2 offset0:71 offset1:72
	s_waitcnt lgkmcnt(4)
	v_fmac_f32_e32 v115, v92, v113
	s_waitcnt vmcnt(3)
	s_delay_alu instid0(VALU_DEP_1) | instskip(SKIP_1) | instid1(VALU_DEP_1)
	v_fmac_f32_e32 v115, v93, v114
	s_waitcnt lgkmcnt(3)
	v_fmac_f32_e32 v115, v94, v3
	s_delay_alu instid0(VALU_DEP_1) | instskip(SKIP_4) | instid1(VALU_DEP_1)
	v_fmac_f32_e32 v115, v95, v4
	ds_load_2addr_b32 v[3:4], v2 offset0:73 offset1:74
	s_waitcnt lgkmcnt(3)
	v_fmac_f32_e32 v115, v96, v86
	s_waitcnt vmcnt(2)
	v_fmac_f32_e32 v115, v97, v87
	ds_load_2addr_b32 v[86:87], v2 offset0:75 offset1:76
	s_waitcnt lgkmcnt(3)
	v_fmac_f32_e32 v115, v98, v88
	s_delay_alu instid0(VALU_DEP_1) | instskip(SKIP_1) | instid1(VALU_DEP_1)
	v_fmac_f32_e32 v115, v99, v89
	s_waitcnt lgkmcnt(2)
	v_fmac_f32_e32 v115, v100, v90
	ds_load_2addr_b32 v[88:89], v2 offset0:77 offset1:78
	ds_load_b32 v90, v2 offset:316
	s_waitcnt vmcnt(1)
	v_fmac_f32_e32 v115, v101, v91
	s_waitcnt lgkmcnt(3)
	s_delay_alu instid0(VALU_DEP_1) | instskip(NEXT) | instid1(VALU_DEP_1)
	v_fmac_f32_e32 v115, v102, v3
	v_fmac_f32_e32 v115, v103, v4
	s_waitcnt lgkmcnt(2)
	s_delay_alu instid0(VALU_DEP_1) | instskip(SKIP_1) | instid1(VALU_DEP_1)
	v_fmac_f32_e32 v115, v104, v86
	s_waitcnt vmcnt(0)
	v_fmac_f32_e32 v115, v105, v87
	s_waitcnt lgkmcnt(1)
	s_delay_alu instid0(VALU_DEP_1) | instskip(NEXT) | instid1(VALU_DEP_1)
	v_fmac_f32_e32 v115, v106, v88
	v_fmac_f32_e32 v115, v107, v89
	s_waitcnt lgkmcnt(0)
	s_delay_alu instid0(VALU_DEP_1) | instskip(NEXT) | instid1(VALU_DEP_1)
	v_fmac_f32_e32 v115, v108, v90
	v_sub_f32_e32 v3, v85, v115
	scratch_store_b32 off, v3, off offset:64
	v_cmpx_lt_u32_e32 15, v0
	s_cbranch_execz .LBB103_217
; %bb.216:
	scratch_load_b32 v3, off, off offset:60
	scratch_store_b32 off, v2, off offset:60
	s_waitcnt vmcnt(0)
	ds_store_b32 v1, v3
.LBB103_217:
	s_or_b32 exec_lo, exec_lo, s0
	s_waitcnt lgkmcnt(0)
	s_waitcnt_vscnt null, 0x0
	s_barrier
	buffer_gl0_inv
	s_clause 0x6
	scratch_load_b128 v[85:88], off, off offset:60
	scratch_load_b128 v[89:92], off, off offset:76
	;; [unrolled: 1-line block ×6, first 2 shown]
	scratch_load_b32 v3, off, off offset:156
	ds_load_b128 v[109:112], v2 offset:224
	ds_load_b128 v[113:116], v2 offset:240
	s_mov_b32 s0, exec_lo
	s_waitcnt vmcnt(6) lgkmcnt(1)
	v_fma_f32 v4, v86, v109, 0
	s_delay_alu instid0(VALU_DEP_1) | instskip(NEXT) | instid1(VALU_DEP_1)
	v_fmac_f32_e32 v4, v87, v110
	v_fmac_f32_e32 v4, v88, v111
	s_waitcnt vmcnt(5)
	s_delay_alu instid0(VALU_DEP_1) | instskip(SKIP_3) | instid1(VALU_DEP_1)
	v_fmac_f32_e32 v4, v89, v112
	ds_load_b128 v[86:89], v2 offset:256
	s_waitcnt lgkmcnt(1)
	v_fmac_f32_e32 v4, v90, v113
	v_fmac_f32_e32 v4, v91, v114
	s_delay_alu instid0(VALU_DEP_1) | instskip(SKIP_1) | instid1(VALU_DEP_1)
	v_fmac_f32_e32 v4, v92, v115
	s_waitcnt vmcnt(4)
	v_fmac_f32_e32 v4, v93, v116
	ds_load_b128 v[90:93], v2 offset:272
	s_waitcnt lgkmcnt(1)
	v_fmac_f32_e32 v4, v94, v86
	s_delay_alu instid0(VALU_DEP_1) | instskip(NEXT) | instid1(VALU_DEP_1)
	v_fmac_f32_e32 v4, v95, v87
	v_fmac_f32_e32 v4, v96, v88
	s_waitcnt vmcnt(3)
	s_delay_alu instid0(VALU_DEP_1) | instskip(SKIP_3) | instid1(VALU_DEP_1)
	v_fmac_f32_e32 v4, v97, v89
	ds_load_b128 v[86:89], v2 offset:288
	s_waitcnt lgkmcnt(1)
	v_fmac_f32_e32 v4, v98, v90
	v_fmac_f32_e32 v4, v99, v91
	s_delay_alu instid0(VALU_DEP_1) | instskip(SKIP_1) | instid1(VALU_DEP_1)
	v_fmac_f32_e32 v4, v100, v92
	s_waitcnt vmcnt(2)
	v_fmac_f32_e32 v4, v101, v93
	ds_load_b128 v[90:93], v2 offset:304
	s_waitcnt lgkmcnt(1)
	v_fmac_f32_e32 v4, v102, v86
	s_delay_alu instid0(VALU_DEP_1) | instskip(NEXT) | instid1(VALU_DEP_1)
	v_fmac_f32_e32 v4, v103, v87
	v_fmac_f32_e32 v4, v104, v88
	s_waitcnt vmcnt(1)
	s_delay_alu instid0(VALU_DEP_1) | instskip(SKIP_1) | instid1(VALU_DEP_1)
	v_fmac_f32_e32 v4, v105, v89
	s_waitcnt lgkmcnt(0)
	v_fmac_f32_e32 v4, v106, v90
	s_delay_alu instid0(VALU_DEP_1) | instskip(NEXT) | instid1(VALU_DEP_1)
	v_fmac_f32_e32 v4, v107, v91
	v_fmac_f32_e32 v4, v108, v92
	s_waitcnt vmcnt(0)
	s_delay_alu instid0(VALU_DEP_1) | instskip(NEXT) | instid1(VALU_DEP_1)
	v_fmac_f32_e32 v4, v3, v93
	v_sub_f32_e32 v2, v85, v4
	scratch_store_b32 off, v2, off offset:60
	v_cmpx_lt_u32_e32 14, v0
	s_cbranch_execz .LBB103_219
; %bb.218:
	scratch_load_b32 v2, off, off offset:56
	v_mov_b32_e32 v3, 0
	scratch_store_b32 off, v3, off offset:56
	s_waitcnt vmcnt(0)
	ds_store_b32 v1, v2
.LBB103_219:
	s_or_b32 exec_lo, exec_lo, s0
	s_waitcnt lgkmcnt(0)
	s_waitcnt_vscnt null, 0x0
	s_barrier
	buffer_gl0_inv
	s_clause 0x6
	scratch_load_b128 v[85:88], off, off offset:56
	scratch_load_b128 v[89:92], off, off offset:72
	;; [unrolled: 1-line block ×6, first 2 shown]
	scratch_load_b64 v[3:4], off, off offset:152
	v_mov_b32_e32 v2, 0
	ds_load_2addr_b32 v[109:110], v2 offset0:55 offset1:56
	ds_load_2addr_b32 v[111:112], v2 offset0:57 offset1:58
	;; [unrolled: 1-line block ×4, first 2 shown]
	s_mov_b32 s0, exec_lo
	s_waitcnt vmcnt(6) lgkmcnt(3)
	v_fma_f32 v109, v86, v109, 0
	s_delay_alu instid0(VALU_DEP_1) | instskip(SKIP_4) | instid1(VALU_DEP_1)
	v_fmac_f32_e32 v109, v87, v110
	ds_load_2addr_b32 v[86:87], v2 offset0:63 offset1:64
	s_waitcnt lgkmcnt(3)
	v_fmac_f32_e32 v109, v88, v111
	s_waitcnt vmcnt(5)
	v_fmac_f32_e32 v109, v89, v112
	ds_load_2addr_b32 v[88:89], v2 offset0:65 offset1:66
	s_waitcnt lgkmcnt(3)
	v_fmac_f32_e32 v109, v90, v113
	s_delay_alu instid0(VALU_DEP_1) | instskip(SKIP_1) | instid1(VALU_DEP_1)
	v_fmac_f32_e32 v109, v91, v114
	s_waitcnt lgkmcnt(2)
	v_fmac_f32_e32 v109, v92, v115
	s_waitcnt vmcnt(4)
	s_delay_alu instid0(VALU_DEP_1) | instskip(SKIP_4) | instid1(VALU_DEP_1)
	v_fmac_f32_e32 v109, v93, v116
	ds_load_2addr_b32 v[90:91], v2 offset0:67 offset1:68
	ds_load_2addr_b32 v[92:93], v2 offset0:69 offset1:70
	s_waitcnt lgkmcnt(3)
	v_fmac_f32_e32 v109, v94, v86
	v_fmac_f32_e32 v109, v95, v87
	ds_load_2addr_b32 v[86:87], v2 offset0:71 offset1:72
	s_waitcnt lgkmcnt(3)
	v_fmac_f32_e32 v109, v96, v88
	s_waitcnt vmcnt(3)
	s_delay_alu instid0(VALU_DEP_1) | instskip(SKIP_3) | instid1(VALU_DEP_1)
	v_fmac_f32_e32 v109, v97, v89
	ds_load_2addr_b32 v[88:89], v2 offset0:73 offset1:74
	s_waitcnt lgkmcnt(3)
	v_fmac_f32_e32 v109, v98, v90
	v_fmac_f32_e32 v109, v99, v91
	s_waitcnt lgkmcnt(2)
	s_delay_alu instid0(VALU_DEP_1) | instskip(SKIP_1) | instid1(VALU_DEP_1)
	v_fmac_f32_e32 v109, v100, v92
	s_waitcnt vmcnt(2)
	v_fmac_f32_e32 v109, v101, v93
	ds_load_2addr_b32 v[90:91], v2 offset0:75 offset1:76
	ds_load_2addr_b32 v[92:93], v2 offset0:77 offset1:78
	s_waitcnt lgkmcnt(3)
	v_fmac_f32_e32 v109, v102, v86
	ds_load_b32 v86, v2 offset:316
	v_fmac_f32_e32 v109, v103, v87
	s_waitcnt lgkmcnt(3)
	s_delay_alu instid0(VALU_DEP_1) | instskip(SKIP_1) | instid1(VALU_DEP_1)
	v_fmac_f32_e32 v109, v104, v88
	s_waitcnt vmcnt(1)
	v_fmac_f32_e32 v109, v105, v89
	s_waitcnt lgkmcnt(2)
	s_delay_alu instid0(VALU_DEP_1) | instskip(NEXT) | instid1(VALU_DEP_1)
	v_fmac_f32_e32 v109, v106, v90
	v_fmac_f32_e32 v109, v107, v91
	s_waitcnt lgkmcnt(1)
	s_delay_alu instid0(VALU_DEP_1) | instskip(SKIP_1) | instid1(VALU_DEP_1)
	v_fmac_f32_e32 v109, v108, v92
	s_waitcnt vmcnt(0)
	v_fmac_f32_e32 v109, v3, v93
	s_waitcnt lgkmcnt(0)
	s_delay_alu instid0(VALU_DEP_1) | instskip(NEXT) | instid1(VALU_DEP_1)
	v_fmac_f32_e32 v109, v4, v86
	v_sub_f32_e32 v3, v85, v109
	scratch_store_b32 off, v3, off offset:56
	v_cmpx_lt_u32_e32 13, v0
	s_cbranch_execz .LBB103_221
; %bb.220:
	scratch_load_b32 v3, off, off offset:52
	scratch_store_b32 off, v2, off offset:52
	s_waitcnt vmcnt(0)
	ds_store_b32 v1, v3
.LBB103_221:
	s_or_b32 exec_lo, exec_lo, s0
	s_waitcnt lgkmcnt(0)
	s_waitcnt_vscnt null, 0x0
	s_barrier
	buffer_gl0_inv
	s_clause 0x6
	scratch_load_b128 v[85:88], off, off offset:52
	scratch_load_b128 v[89:92], off, off offset:68
	;; [unrolled: 1-line block ×6, first 2 shown]
	scratch_load_b96 v[117:119], off, off offset:148
	ds_load_2addr_b64 v[109:112], v2 offset0:27 offset1:28
	ds_load_2addr_b64 v[113:116], v2 offset0:29 offset1:30
	s_mov_b32 s0, exec_lo
	s_waitcnt vmcnt(6) lgkmcnt(1)
	v_fma_f32 v4, v86, v109, 0
	s_delay_alu instid0(VALU_DEP_1) | instskip(NEXT) | instid1(VALU_DEP_1)
	v_fmac_f32_e32 v4, v87, v110
	v_fmac_f32_e32 v4, v88, v111
	s_waitcnt vmcnt(5)
	s_delay_alu instid0(VALU_DEP_1) | instskip(SKIP_3) | instid1(VALU_DEP_1)
	v_fmac_f32_e32 v4, v89, v112
	ds_load_2addr_b64 v[86:89], v2 offset0:31 offset1:32
	s_waitcnt lgkmcnt(1)
	v_fmac_f32_e32 v4, v90, v113
	v_fmac_f32_e32 v4, v91, v114
	s_delay_alu instid0(VALU_DEP_1) | instskip(SKIP_1) | instid1(VALU_DEP_1)
	v_fmac_f32_e32 v4, v92, v115
	s_waitcnt vmcnt(4)
	v_fmac_f32_e32 v4, v93, v116
	ds_load_2addr_b64 v[90:93], v2 offset0:33 offset1:34
	s_waitcnt lgkmcnt(1)
	v_fmac_f32_e32 v4, v94, v86
	s_delay_alu instid0(VALU_DEP_1) | instskip(NEXT) | instid1(VALU_DEP_1)
	v_fmac_f32_e32 v4, v95, v87
	v_fmac_f32_e32 v4, v96, v88
	s_waitcnt vmcnt(3)
	s_delay_alu instid0(VALU_DEP_1) | instskip(SKIP_3) | instid1(VALU_DEP_1)
	v_fmac_f32_e32 v4, v97, v89
	ds_load_2addr_b64 v[86:89], v2 offset0:35 offset1:36
	s_waitcnt lgkmcnt(1)
	v_fmac_f32_e32 v4, v98, v90
	v_fmac_f32_e32 v4, v99, v91
	s_delay_alu instid0(VALU_DEP_1) | instskip(SKIP_1) | instid1(VALU_DEP_1)
	v_fmac_f32_e32 v4, v100, v92
	s_waitcnt vmcnt(2)
	v_fmac_f32_e32 v4, v101, v93
	ds_load_2addr_b64 v[90:93], v2 offset0:37 offset1:38
	ds_load_b64 v[2:3], v2 offset:312
	s_waitcnt lgkmcnt(2)
	v_fmac_f32_e32 v4, v102, v86
	s_delay_alu instid0(VALU_DEP_1) | instskip(NEXT) | instid1(VALU_DEP_1)
	v_fmac_f32_e32 v4, v103, v87
	v_fmac_f32_e32 v4, v104, v88
	s_waitcnt vmcnt(1)
	s_delay_alu instid0(VALU_DEP_1) | instskip(SKIP_1) | instid1(VALU_DEP_1)
	v_fmac_f32_e32 v4, v105, v89
	s_waitcnt lgkmcnt(1)
	v_fmac_f32_e32 v4, v106, v90
	s_delay_alu instid0(VALU_DEP_1) | instskip(NEXT) | instid1(VALU_DEP_1)
	v_fmac_f32_e32 v4, v107, v91
	v_fmac_f32_e32 v4, v108, v92
	s_waitcnt vmcnt(0)
	s_delay_alu instid0(VALU_DEP_1) | instskip(SKIP_1) | instid1(VALU_DEP_1)
	v_fmac_f32_e32 v4, v117, v93
	s_waitcnt lgkmcnt(0)
	v_fmac_f32_e32 v4, v118, v2
	s_delay_alu instid0(VALU_DEP_1) | instskip(NEXT) | instid1(VALU_DEP_1)
	v_fmac_f32_e32 v4, v119, v3
	v_sub_f32_e32 v2, v85, v4
	scratch_store_b32 off, v2, off offset:52
	v_cmpx_lt_u32_e32 12, v0
	s_cbranch_execz .LBB103_223
; %bb.222:
	scratch_load_b32 v2, off, off offset:48
	v_mov_b32_e32 v3, 0
	scratch_store_b32 off, v3, off offset:48
	s_waitcnt vmcnt(0)
	ds_store_b32 v1, v2
.LBB103_223:
	s_or_b32 exec_lo, exec_lo, s0
	s_waitcnt lgkmcnt(0)
	s_waitcnt_vscnt null, 0x0
	s_barrier
	buffer_gl0_inv
	s_clause 0x6
	scratch_load_b128 v[85:88], off, off offset:48
	scratch_load_b128 v[89:92], off, off offset:64
	;; [unrolled: 1-line block ×7, first 2 shown]
	v_mov_b32_e32 v2, 0
	ds_load_2addr_b32 v[3:4], v2 offset0:53 offset1:54
	ds_load_2addr_b32 v[113:114], v2 offset0:55 offset1:56
	;; [unrolled: 1-line block ×4, first 2 shown]
	s_mov_b32 s0, exec_lo
	s_waitcnt vmcnt(6) lgkmcnt(3)
	v_fma_f32 v119, v86, v3, 0
	s_delay_alu instid0(VALU_DEP_1)
	v_fmac_f32_e32 v119, v87, v4
	ds_load_2addr_b32 v[3:4], v2 offset0:61 offset1:62
	ds_load_2addr_b32 v[86:87], v2 offset0:63 offset1:64
	s_waitcnt lgkmcnt(4)
	v_fmac_f32_e32 v119, v88, v113
	s_waitcnt vmcnt(5)
	s_delay_alu instid0(VALU_DEP_1) | instskip(SKIP_1) | instid1(VALU_DEP_1)
	v_fmac_f32_e32 v119, v89, v114
	s_waitcnt lgkmcnt(3)
	v_fmac_f32_e32 v119, v90, v115
	s_delay_alu instid0(VALU_DEP_1)
	v_fmac_f32_e32 v119, v91, v116
	ds_load_2addr_b32 v[88:89], v2 offset0:65 offset1:66
	ds_load_2addr_b32 v[90:91], v2 offset0:67 offset1:68
	s_waitcnt lgkmcnt(4)
	v_fmac_f32_e32 v119, v92, v117
	s_waitcnt vmcnt(4)
	s_delay_alu instid0(VALU_DEP_1) | instskip(SKIP_1) | instid1(VALU_DEP_1)
	v_fmac_f32_e32 v119, v93, v118
	s_waitcnt lgkmcnt(3)
	v_fmac_f32_e32 v119, v94, v3
	s_delay_alu instid0(VALU_DEP_1) | instskip(SKIP_4) | instid1(VALU_DEP_1)
	v_fmac_f32_e32 v119, v95, v4
	ds_load_2addr_b32 v[3:4], v2 offset0:69 offset1:70
	s_waitcnt lgkmcnt(3)
	v_fmac_f32_e32 v119, v96, v86
	s_waitcnt vmcnt(3)
	v_fmac_f32_e32 v119, v97, v87
	ds_load_2addr_b32 v[86:87], v2 offset0:71 offset1:72
	s_waitcnt lgkmcnt(3)
	v_fmac_f32_e32 v119, v98, v88
	s_delay_alu instid0(VALU_DEP_1) | instskip(SKIP_1) | instid1(VALU_DEP_1)
	v_fmac_f32_e32 v119, v99, v89
	s_waitcnt lgkmcnt(2)
	v_fmac_f32_e32 v119, v100, v90
	s_waitcnt vmcnt(2)
	s_delay_alu instid0(VALU_DEP_1) | instskip(SKIP_4) | instid1(VALU_DEP_1)
	v_fmac_f32_e32 v119, v101, v91
	ds_load_2addr_b32 v[88:89], v2 offset0:73 offset1:74
	ds_load_2addr_b32 v[90:91], v2 offset0:75 offset1:76
	s_waitcnt lgkmcnt(3)
	v_fmac_f32_e32 v119, v102, v3
	v_fmac_f32_e32 v119, v103, v4
	ds_load_2addr_b32 v[3:4], v2 offset0:77 offset1:78
	s_waitcnt lgkmcnt(3)
	v_fmac_f32_e32 v119, v104, v86
	ds_load_b32 v86, v2 offset:316
	s_waitcnt vmcnt(1)
	v_fmac_f32_e32 v119, v105, v87
	s_waitcnt lgkmcnt(3)
	s_delay_alu instid0(VALU_DEP_1) | instskip(NEXT) | instid1(VALU_DEP_1)
	v_fmac_f32_e32 v119, v106, v88
	v_fmac_f32_e32 v119, v107, v89
	s_waitcnt lgkmcnt(2)
	s_delay_alu instid0(VALU_DEP_1) | instskip(SKIP_1) | instid1(VALU_DEP_1)
	v_fmac_f32_e32 v119, v108, v90
	s_waitcnt vmcnt(0)
	v_fmac_f32_e32 v119, v109, v91
	s_waitcnt lgkmcnt(1)
	s_delay_alu instid0(VALU_DEP_1) | instskip(NEXT) | instid1(VALU_DEP_1)
	v_fmac_f32_e32 v119, v110, v3
	v_fmac_f32_e32 v119, v111, v4
	s_waitcnt lgkmcnt(0)
	s_delay_alu instid0(VALU_DEP_1) | instskip(NEXT) | instid1(VALU_DEP_1)
	v_fmac_f32_e32 v119, v112, v86
	v_sub_f32_e32 v3, v85, v119
	scratch_store_b32 off, v3, off offset:48
	v_cmpx_lt_u32_e32 11, v0
	s_cbranch_execz .LBB103_225
; %bb.224:
	scratch_load_b32 v3, off, off offset:44
	scratch_store_b32 off, v2, off offset:44
	s_waitcnt vmcnt(0)
	ds_store_b32 v1, v3
.LBB103_225:
	s_or_b32 exec_lo, exec_lo, s0
	s_waitcnt lgkmcnt(0)
	s_waitcnt_vscnt null, 0x0
	s_barrier
	buffer_gl0_inv
	s_clause 0x7
	scratch_load_b128 v[85:88], off, off offset:44
	scratch_load_b128 v[89:92], off, off offset:60
	;; [unrolled: 1-line block ×7, first 2 shown]
	scratch_load_b32 v3, off, off offset:156
	ds_load_b128 v[113:116], v2 offset:208
	ds_load_b128 v[117:120], v2 offset:224
	s_mov_b32 s0, exec_lo
	s_waitcnt vmcnt(7) lgkmcnt(1)
	v_fma_f32 v4, v86, v113, 0
	s_delay_alu instid0(VALU_DEP_1) | instskip(NEXT) | instid1(VALU_DEP_1)
	v_fmac_f32_e32 v4, v87, v114
	v_fmac_f32_e32 v4, v88, v115
	s_waitcnt vmcnt(6)
	s_delay_alu instid0(VALU_DEP_1) | instskip(SKIP_3) | instid1(VALU_DEP_1)
	v_fmac_f32_e32 v4, v89, v116
	ds_load_b128 v[86:89], v2 offset:240
	s_waitcnt lgkmcnt(1)
	v_fmac_f32_e32 v4, v90, v117
	v_fmac_f32_e32 v4, v91, v118
	s_delay_alu instid0(VALU_DEP_1) | instskip(SKIP_1) | instid1(VALU_DEP_1)
	v_fmac_f32_e32 v4, v92, v119
	s_waitcnt vmcnt(5)
	v_fmac_f32_e32 v4, v93, v120
	ds_load_b128 v[90:93], v2 offset:256
	s_waitcnt lgkmcnt(1)
	v_fmac_f32_e32 v4, v94, v86
	s_delay_alu instid0(VALU_DEP_1) | instskip(NEXT) | instid1(VALU_DEP_1)
	v_fmac_f32_e32 v4, v95, v87
	v_fmac_f32_e32 v4, v96, v88
	s_waitcnt vmcnt(4)
	s_delay_alu instid0(VALU_DEP_1) | instskip(SKIP_3) | instid1(VALU_DEP_1)
	v_fmac_f32_e32 v4, v97, v89
	ds_load_b128 v[86:89], v2 offset:272
	s_waitcnt lgkmcnt(1)
	v_fmac_f32_e32 v4, v98, v90
	v_fmac_f32_e32 v4, v99, v91
	s_delay_alu instid0(VALU_DEP_1) | instskip(SKIP_1) | instid1(VALU_DEP_1)
	v_fmac_f32_e32 v4, v100, v92
	s_waitcnt vmcnt(3)
	v_fmac_f32_e32 v4, v101, v93
	ds_load_b128 v[90:93], v2 offset:288
	s_waitcnt lgkmcnt(1)
	v_fmac_f32_e32 v4, v102, v86
	s_delay_alu instid0(VALU_DEP_1) | instskip(NEXT) | instid1(VALU_DEP_1)
	v_fmac_f32_e32 v4, v103, v87
	v_fmac_f32_e32 v4, v104, v88
	s_waitcnt vmcnt(2)
	s_delay_alu instid0(VALU_DEP_1) | instskip(SKIP_3) | instid1(VALU_DEP_1)
	v_fmac_f32_e32 v4, v105, v89
	ds_load_b128 v[86:89], v2 offset:304
	s_waitcnt lgkmcnt(1)
	v_fmac_f32_e32 v4, v106, v90
	v_fmac_f32_e32 v4, v107, v91
	s_delay_alu instid0(VALU_DEP_1) | instskip(SKIP_1) | instid1(VALU_DEP_1)
	v_fmac_f32_e32 v4, v108, v92
	s_waitcnt vmcnt(1)
	v_fmac_f32_e32 v4, v109, v93
	s_waitcnt lgkmcnt(0)
	s_delay_alu instid0(VALU_DEP_1) | instskip(NEXT) | instid1(VALU_DEP_1)
	v_fmac_f32_e32 v4, v110, v86
	v_fmac_f32_e32 v4, v111, v87
	s_delay_alu instid0(VALU_DEP_1) | instskip(SKIP_1) | instid1(VALU_DEP_1)
	v_fmac_f32_e32 v4, v112, v88
	s_waitcnt vmcnt(0)
	v_fmac_f32_e32 v4, v3, v89
	s_delay_alu instid0(VALU_DEP_1)
	v_sub_f32_e32 v2, v85, v4
	scratch_store_b32 off, v2, off offset:44
	v_cmpx_lt_u32_e32 10, v0
	s_cbranch_execz .LBB103_227
; %bb.226:
	scratch_load_b32 v2, off, off offset:40
	v_mov_b32_e32 v3, 0
	scratch_store_b32 off, v3, off offset:40
	s_waitcnt vmcnt(0)
	ds_store_b32 v1, v2
.LBB103_227:
	s_or_b32 exec_lo, exec_lo, s0
	s_waitcnt lgkmcnt(0)
	s_waitcnt_vscnt null, 0x0
	s_barrier
	buffer_gl0_inv
	s_clause 0x7
	scratch_load_b128 v[85:88], off, off offset:40
	scratch_load_b128 v[89:92], off, off offset:56
	;; [unrolled: 1-line block ×7, first 2 shown]
	scratch_load_b64 v[3:4], off, off offset:152
	v_mov_b32_e32 v2, 0
	ds_load_2addr_b32 v[113:114], v2 offset0:51 offset1:52
	ds_load_2addr_b32 v[115:116], v2 offset0:53 offset1:54
	;; [unrolled: 1-line block ×4, first 2 shown]
	s_mov_b32 s0, exec_lo
	s_waitcnt vmcnt(7) lgkmcnt(3)
	v_fma_f32 v113, v86, v113, 0
	s_delay_alu instid0(VALU_DEP_1) | instskip(SKIP_4) | instid1(VALU_DEP_1)
	v_fmac_f32_e32 v113, v87, v114
	ds_load_2addr_b32 v[86:87], v2 offset0:59 offset1:60
	s_waitcnt lgkmcnt(3)
	v_fmac_f32_e32 v113, v88, v115
	s_waitcnt vmcnt(6)
	v_fmac_f32_e32 v113, v89, v116
	ds_load_2addr_b32 v[88:89], v2 offset0:61 offset1:62
	s_waitcnt lgkmcnt(3)
	v_fmac_f32_e32 v113, v90, v117
	s_delay_alu instid0(VALU_DEP_1) | instskip(SKIP_1) | instid1(VALU_DEP_1)
	v_fmac_f32_e32 v113, v91, v118
	s_waitcnt lgkmcnt(2)
	v_fmac_f32_e32 v113, v92, v119
	s_waitcnt vmcnt(5)
	s_delay_alu instid0(VALU_DEP_1) | instskip(SKIP_4) | instid1(VALU_DEP_1)
	v_fmac_f32_e32 v113, v93, v120
	ds_load_2addr_b32 v[90:91], v2 offset0:63 offset1:64
	ds_load_2addr_b32 v[92:93], v2 offset0:65 offset1:66
	s_waitcnt lgkmcnt(3)
	v_fmac_f32_e32 v113, v94, v86
	v_fmac_f32_e32 v113, v95, v87
	ds_load_2addr_b32 v[86:87], v2 offset0:67 offset1:68
	s_waitcnt lgkmcnt(3)
	v_fmac_f32_e32 v113, v96, v88
	s_waitcnt vmcnt(4)
	s_delay_alu instid0(VALU_DEP_1) | instskip(SKIP_3) | instid1(VALU_DEP_1)
	v_fmac_f32_e32 v113, v97, v89
	ds_load_2addr_b32 v[88:89], v2 offset0:69 offset1:70
	s_waitcnt lgkmcnt(3)
	v_fmac_f32_e32 v113, v98, v90
	v_fmac_f32_e32 v113, v99, v91
	s_waitcnt lgkmcnt(2)
	s_delay_alu instid0(VALU_DEP_1) | instskip(SKIP_1) | instid1(VALU_DEP_1)
	v_fmac_f32_e32 v113, v100, v92
	s_waitcnt vmcnt(3)
	v_fmac_f32_e32 v113, v101, v93
	ds_load_2addr_b32 v[90:91], v2 offset0:71 offset1:72
	ds_load_2addr_b32 v[92:93], v2 offset0:73 offset1:74
	s_waitcnt lgkmcnt(3)
	v_fmac_f32_e32 v113, v102, v86
	s_delay_alu instid0(VALU_DEP_1) | instskip(SKIP_4) | instid1(VALU_DEP_1)
	v_fmac_f32_e32 v113, v103, v87
	ds_load_2addr_b32 v[86:87], v2 offset0:75 offset1:76
	s_waitcnt lgkmcnt(3)
	v_fmac_f32_e32 v113, v104, v88
	s_waitcnt vmcnt(2)
	v_fmac_f32_e32 v113, v105, v89
	ds_load_2addr_b32 v[88:89], v2 offset0:77 offset1:78
	s_waitcnt lgkmcnt(3)
	v_fmac_f32_e32 v113, v106, v90
	ds_load_b32 v90, v2 offset:316
	v_fmac_f32_e32 v113, v107, v91
	s_waitcnt lgkmcnt(3)
	s_delay_alu instid0(VALU_DEP_1) | instskip(SKIP_1) | instid1(VALU_DEP_1)
	v_fmac_f32_e32 v113, v108, v92
	s_waitcnt vmcnt(1)
	v_fmac_f32_e32 v113, v109, v93
	s_waitcnt lgkmcnt(2)
	s_delay_alu instid0(VALU_DEP_1) | instskip(NEXT) | instid1(VALU_DEP_1)
	v_fmac_f32_e32 v113, v110, v86
	v_fmac_f32_e32 v113, v111, v87
	s_waitcnt lgkmcnt(1)
	s_delay_alu instid0(VALU_DEP_1) | instskip(SKIP_1) | instid1(VALU_DEP_1)
	v_fmac_f32_e32 v113, v112, v88
	s_waitcnt vmcnt(0)
	v_fmac_f32_e32 v113, v3, v89
	s_waitcnt lgkmcnt(0)
	s_delay_alu instid0(VALU_DEP_1) | instskip(NEXT) | instid1(VALU_DEP_1)
	v_fmac_f32_e32 v113, v4, v90
	v_sub_f32_e32 v3, v85, v113
	scratch_store_b32 off, v3, off offset:40
	v_cmpx_lt_u32_e32 9, v0
	s_cbranch_execz .LBB103_229
; %bb.228:
	scratch_load_b32 v3, off, off offset:36
	scratch_store_b32 off, v2, off offset:36
	s_waitcnt vmcnt(0)
	ds_store_b32 v1, v3
.LBB103_229:
	s_or_b32 exec_lo, exec_lo, s0
	s_waitcnt lgkmcnt(0)
	s_waitcnt_vscnt null, 0x0
	s_barrier
	buffer_gl0_inv
	s_clause 0x7
	scratch_load_b128 v[85:88], off, off offset:36
	scratch_load_b128 v[89:92], off, off offset:52
	;; [unrolled: 1-line block ×7, first 2 shown]
	scratch_load_b96 v[121:123], off, off offset:148
	ds_load_2addr_b64 v[113:116], v2 offset0:25 offset1:26
	ds_load_2addr_b64 v[117:120], v2 offset0:27 offset1:28
	s_mov_b32 s0, exec_lo
	s_waitcnt vmcnt(7) lgkmcnt(1)
	v_fma_f32 v4, v86, v113, 0
	s_delay_alu instid0(VALU_DEP_1) | instskip(NEXT) | instid1(VALU_DEP_1)
	v_fmac_f32_e32 v4, v87, v114
	v_fmac_f32_e32 v4, v88, v115
	s_waitcnt vmcnt(6)
	s_delay_alu instid0(VALU_DEP_1) | instskip(SKIP_3) | instid1(VALU_DEP_1)
	v_fmac_f32_e32 v4, v89, v116
	ds_load_2addr_b64 v[86:89], v2 offset0:29 offset1:30
	s_waitcnt lgkmcnt(1)
	v_fmac_f32_e32 v4, v90, v117
	v_fmac_f32_e32 v4, v91, v118
	s_delay_alu instid0(VALU_DEP_1) | instskip(SKIP_1) | instid1(VALU_DEP_1)
	v_fmac_f32_e32 v4, v92, v119
	s_waitcnt vmcnt(5)
	v_fmac_f32_e32 v4, v93, v120
	ds_load_2addr_b64 v[90:93], v2 offset0:31 offset1:32
	s_waitcnt lgkmcnt(1)
	v_fmac_f32_e32 v4, v94, v86
	s_delay_alu instid0(VALU_DEP_1) | instskip(NEXT) | instid1(VALU_DEP_1)
	v_fmac_f32_e32 v4, v95, v87
	v_fmac_f32_e32 v4, v96, v88
	s_waitcnt vmcnt(4)
	s_delay_alu instid0(VALU_DEP_1) | instskip(SKIP_3) | instid1(VALU_DEP_1)
	v_fmac_f32_e32 v4, v97, v89
	ds_load_2addr_b64 v[86:89], v2 offset0:33 offset1:34
	s_waitcnt lgkmcnt(1)
	v_fmac_f32_e32 v4, v98, v90
	v_fmac_f32_e32 v4, v99, v91
	s_delay_alu instid0(VALU_DEP_1) | instskip(SKIP_1) | instid1(VALU_DEP_1)
	v_fmac_f32_e32 v4, v100, v92
	s_waitcnt vmcnt(3)
	v_fmac_f32_e32 v4, v101, v93
	ds_load_2addr_b64 v[90:93], v2 offset0:35 offset1:36
	s_waitcnt lgkmcnt(1)
	v_fmac_f32_e32 v4, v102, v86
	s_delay_alu instid0(VALU_DEP_1) | instskip(NEXT) | instid1(VALU_DEP_1)
	v_fmac_f32_e32 v4, v103, v87
	v_fmac_f32_e32 v4, v104, v88
	s_waitcnt vmcnt(2)
	s_delay_alu instid0(VALU_DEP_1) | instskip(SKIP_4) | instid1(VALU_DEP_1)
	v_fmac_f32_e32 v4, v105, v89
	ds_load_2addr_b64 v[86:89], v2 offset0:37 offset1:38
	ds_load_b64 v[2:3], v2 offset:312
	s_waitcnt lgkmcnt(2)
	v_fmac_f32_e32 v4, v106, v90
	v_fmac_f32_e32 v4, v107, v91
	s_delay_alu instid0(VALU_DEP_1) | instskip(SKIP_1) | instid1(VALU_DEP_1)
	v_fmac_f32_e32 v4, v108, v92
	s_waitcnt vmcnt(1)
	v_fmac_f32_e32 v4, v109, v93
	s_waitcnt lgkmcnt(1)
	s_delay_alu instid0(VALU_DEP_1) | instskip(NEXT) | instid1(VALU_DEP_1)
	v_fmac_f32_e32 v4, v110, v86
	v_fmac_f32_e32 v4, v111, v87
	s_delay_alu instid0(VALU_DEP_1) | instskip(SKIP_1) | instid1(VALU_DEP_1)
	v_fmac_f32_e32 v4, v112, v88
	s_waitcnt vmcnt(0)
	v_fmac_f32_e32 v4, v121, v89
	s_waitcnt lgkmcnt(0)
	s_delay_alu instid0(VALU_DEP_1) | instskip(NEXT) | instid1(VALU_DEP_1)
	v_fmac_f32_e32 v4, v122, v2
	v_fmac_f32_e32 v4, v123, v3
	s_delay_alu instid0(VALU_DEP_1)
	v_sub_f32_e32 v2, v85, v4
	scratch_store_b32 off, v2, off offset:36
	v_cmpx_lt_u32_e32 8, v0
	s_cbranch_execz .LBB103_231
; %bb.230:
	scratch_load_b32 v2, off, off offset:32
	v_mov_b32_e32 v3, 0
	scratch_store_b32 off, v3, off offset:32
	s_waitcnt vmcnt(0)
	ds_store_b32 v1, v2
.LBB103_231:
	s_or_b32 exec_lo, exec_lo, s0
	s_waitcnt lgkmcnt(0)
	s_waitcnt_vscnt null, 0x0
	s_barrier
	buffer_gl0_inv
	s_clause 0x7
	scratch_load_b128 v[85:88], off, off offset:32
	scratch_load_b128 v[89:92], off, off offset:48
	;; [unrolled: 1-line block ×8, first 2 shown]
	v_mov_b32_e32 v2, 0
	ds_load_2addr_b32 v[3:4], v2 offset0:49 offset1:50
	ds_load_2addr_b32 v[117:118], v2 offset0:51 offset1:52
	;; [unrolled: 1-line block ×4, first 2 shown]
	s_mov_b32 s0, exec_lo
	s_waitcnt vmcnt(7) lgkmcnt(3)
	v_fma_f32 v123, v86, v3, 0
	s_delay_alu instid0(VALU_DEP_1)
	v_fmac_f32_e32 v123, v87, v4
	ds_load_2addr_b32 v[3:4], v2 offset0:57 offset1:58
	ds_load_2addr_b32 v[86:87], v2 offset0:59 offset1:60
	s_waitcnt lgkmcnt(4)
	v_fmac_f32_e32 v123, v88, v117
	s_waitcnt vmcnt(6)
	s_delay_alu instid0(VALU_DEP_1) | instskip(SKIP_1) | instid1(VALU_DEP_1)
	v_fmac_f32_e32 v123, v89, v118
	s_waitcnt lgkmcnt(3)
	v_fmac_f32_e32 v123, v90, v119
	s_delay_alu instid0(VALU_DEP_1)
	v_fmac_f32_e32 v123, v91, v120
	ds_load_2addr_b32 v[88:89], v2 offset0:61 offset1:62
	ds_load_2addr_b32 v[90:91], v2 offset0:63 offset1:64
	s_waitcnt lgkmcnt(4)
	v_fmac_f32_e32 v123, v92, v121
	s_waitcnt vmcnt(5)
	s_delay_alu instid0(VALU_DEP_1) | instskip(SKIP_1) | instid1(VALU_DEP_1)
	v_fmac_f32_e32 v123, v93, v122
	s_waitcnt lgkmcnt(3)
	v_fmac_f32_e32 v123, v94, v3
	s_delay_alu instid0(VALU_DEP_1) | instskip(SKIP_4) | instid1(VALU_DEP_1)
	v_fmac_f32_e32 v123, v95, v4
	ds_load_2addr_b32 v[3:4], v2 offset0:65 offset1:66
	s_waitcnt lgkmcnt(3)
	v_fmac_f32_e32 v123, v96, v86
	s_waitcnt vmcnt(4)
	v_fmac_f32_e32 v123, v97, v87
	ds_load_2addr_b32 v[86:87], v2 offset0:67 offset1:68
	s_waitcnt lgkmcnt(3)
	v_fmac_f32_e32 v123, v98, v88
	s_delay_alu instid0(VALU_DEP_1) | instskip(SKIP_1) | instid1(VALU_DEP_1)
	v_fmac_f32_e32 v123, v99, v89
	s_waitcnt lgkmcnt(2)
	v_fmac_f32_e32 v123, v100, v90
	s_waitcnt vmcnt(3)
	s_delay_alu instid0(VALU_DEP_1) | instskip(SKIP_4) | instid1(VALU_DEP_1)
	v_fmac_f32_e32 v123, v101, v91
	ds_load_2addr_b32 v[88:89], v2 offset0:69 offset1:70
	ds_load_2addr_b32 v[90:91], v2 offset0:71 offset1:72
	s_waitcnt lgkmcnt(3)
	v_fmac_f32_e32 v123, v102, v3
	v_fmac_f32_e32 v123, v103, v4
	ds_load_2addr_b32 v[3:4], v2 offset0:73 offset1:74
	s_waitcnt lgkmcnt(3)
	v_fmac_f32_e32 v123, v104, v86
	s_waitcnt vmcnt(2)
	s_delay_alu instid0(VALU_DEP_1) | instskip(SKIP_3) | instid1(VALU_DEP_1)
	v_fmac_f32_e32 v123, v105, v87
	ds_load_2addr_b32 v[86:87], v2 offset0:75 offset1:76
	s_waitcnt lgkmcnt(3)
	v_fmac_f32_e32 v123, v106, v88
	v_fmac_f32_e32 v123, v107, v89
	s_waitcnt lgkmcnt(2)
	s_delay_alu instid0(VALU_DEP_1)
	v_fmac_f32_e32 v123, v108, v90
	ds_load_2addr_b32 v[88:89], v2 offset0:77 offset1:78
	ds_load_b32 v90, v2 offset:316
	s_waitcnt vmcnt(1)
	v_fmac_f32_e32 v123, v109, v91
	s_waitcnt lgkmcnt(3)
	s_delay_alu instid0(VALU_DEP_1) | instskip(NEXT) | instid1(VALU_DEP_1)
	v_fmac_f32_e32 v123, v110, v3
	v_fmac_f32_e32 v123, v111, v4
	s_waitcnt lgkmcnt(2)
	s_delay_alu instid0(VALU_DEP_1) | instskip(SKIP_1) | instid1(VALU_DEP_1)
	v_fmac_f32_e32 v123, v112, v86
	s_waitcnt vmcnt(0)
	v_fmac_f32_e32 v123, v113, v87
	s_waitcnt lgkmcnt(1)
	s_delay_alu instid0(VALU_DEP_1) | instskip(NEXT) | instid1(VALU_DEP_1)
	v_fmac_f32_e32 v123, v114, v88
	v_fmac_f32_e32 v123, v115, v89
	s_waitcnt lgkmcnt(0)
	s_delay_alu instid0(VALU_DEP_1) | instskip(NEXT) | instid1(VALU_DEP_1)
	v_fmac_f32_e32 v123, v116, v90
	v_sub_f32_e32 v3, v85, v123
	scratch_store_b32 off, v3, off offset:32
	v_cmpx_lt_u32_e32 7, v0
	s_cbranch_execz .LBB103_233
; %bb.232:
	scratch_load_b32 v3, off, off offset:28
	scratch_store_b32 off, v2, off offset:28
	s_waitcnt vmcnt(0)
	ds_store_b32 v1, v3
.LBB103_233:
	s_or_b32 exec_lo, exec_lo, s0
	s_waitcnt lgkmcnt(0)
	s_waitcnt_vscnt null, 0x0
	s_barrier
	buffer_gl0_inv
	s_clause 0x8
	scratch_load_b128 v[85:88], off, off offset:28
	scratch_load_b128 v[89:92], off, off offset:44
	;; [unrolled: 1-line block ×8, first 2 shown]
	scratch_load_b32 v3, off, off offset:156
	ds_load_b128 v[117:120], v2 offset:192
	ds_load_b128 v[121:124], v2 offset:208
	s_mov_b32 s0, exec_lo
	s_waitcnt vmcnt(8) lgkmcnt(1)
	v_fma_f32 v4, v86, v117, 0
	s_delay_alu instid0(VALU_DEP_1) | instskip(NEXT) | instid1(VALU_DEP_1)
	v_fmac_f32_e32 v4, v87, v118
	v_fmac_f32_e32 v4, v88, v119
	s_waitcnt vmcnt(7)
	s_delay_alu instid0(VALU_DEP_1) | instskip(SKIP_3) | instid1(VALU_DEP_1)
	v_fmac_f32_e32 v4, v89, v120
	ds_load_b128 v[86:89], v2 offset:224
	s_waitcnt lgkmcnt(1)
	v_fmac_f32_e32 v4, v90, v121
	v_fmac_f32_e32 v4, v91, v122
	s_delay_alu instid0(VALU_DEP_1) | instskip(SKIP_1) | instid1(VALU_DEP_1)
	v_fmac_f32_e32 v4, v92, v123
	s_waitcnt vmcnt(6)
	v_fmac_f32_e32 v4, v93, v124
	ds_load_b128 v[90:93], v2 offset:240
	s_waitcnt lgkmcnt(1)
	v_fmac_f32_e32 v4, v94, v86
	s_delay_alu instid0(VALU_DEP_1) | instskip(NEXT) | instid1(VALU_DEP_1)
	v_fmac_f32_e32 v4, v95, v87
	v_fmac_f32_e32 v4, v96, v88
	s_waitcnt vmcnt(5)
	s_delay_alu instid0(VALU_DEP_1) | instskip(SKIP_3) | instid1(VALU_DEP_1)
	v_fmac_f32_e32 v4, v97, v89
	ds_load_b128 v[86:89], v2 offset:256
	s_waitcnt lgkmcnt(1)
	v_fmac_f32_e32 v4, v98, v90
	v_fmac_f32_e32 v4, v99, v91
	s_delay_alu instid0(VALU_DEP_1) | instskip(SKIP_1) | instid1(VALU_DEP_1)
	v_fmac_f32_e32 v4, v100, v92
	s_waitcnt vmcnt(4)
	v_fmac_f32_e32 v4, v101, v93
	ds_load_b128 v[90:93], v2 offset:272
	s_waitcnt lgkmcnt(1)
	v_fmac_f32_e32 v4, v102, v86
	;; [unrolled: 17-line block ×3, first 2 shown]
	s_delay_alu instid0(VALU_DEP_1) | instskip(NEXT) | instid1(VALU_DEP_1)
	v_fmac_f32_e32 v4, v111, v87
	v_fmac_f32_e32 v4, v112, v88
	s_waitcnt vmcnt(1)
	s_delay_alu instid0(VALU_DEP_1) | instskip(SKIP_1) | instid1(VALU_DEP_1)
	v_fmac_f32_e32 v4, v113, v89
	s_waitcnt lgkmcnt(0)
	v_fmac_f32_e32 v4, v114, v90
	s_delay_alu instid0(VALU_DEP_1) | instskip(NEXT) | instid1(VALU_DEP_1)
	v_fmac_f32_e32 v4, v115, v91
	v_fmac_f32_e32 v4, v116, v92
	s_waitcnt vmcnt(0)
	s_delay_alu instid0(VALU_DEP_1) | instskip(NEXT) | instid1(VALU_DEP_1)
	v_fmac_f32_e32 v4, v3, v93
	v_sub_f32_e32 v2, v85, v4
	scratch_store_b32 off, v2, off offset:28
	v_cmpx_lt_u32_e32 6, v0
	s_cbranch_execz .LBB103_235
; %bb.234:
	scratch_load_b32 v2, off, off offset:24
	v_mov_b32_e32 v3, 0
	scratch_store_b32 off, v3, off offset:24
	s_waitcnt vmcnt(0)
	ds_store_b32 v1, v2
.LBB103_235:
	s_or_b32 exec_lo, exec_lo, s0
	s_waitcnt lgkmcnt(0)
	s_waitcnt_vscnt null, 0x0
	s_barrier
	buffer_gl0_inv
	s_clause 0x8
	scratch_load_b128 v[85:88], off, off offset:24
	scratch_load_b128 v[89:92], off, off offset:40
	;; [unrolled: 1-line block ×8, first 2 shown]
	scratch_load_b64 v[3:4], off, off offset:152
	v_mov_b32_e32 v2, 0
	ds_load_2addr_b32 v[117:118], v2 offset0:47 offset1:48
	ds_load_2addr_b32 v[119:120], v2 offset0:49 offset1:50
	;; [unrolled: 1-line block ×4, first 2 shown]
	s_mov_b32 s0, exec_lo
	s_waitcnt vmcnt(8) lgkmcnt(3)
	v_fma_f32 v117, v86, v117, 0
	s_delay_alu instid0(VALU_DEP_1) | instskip(SKIP_4) | instid1(VALU_DEP_1)
	v_fmac_f32_e32 v117, v87, v118
	ds_load_2addr_b32 v[86:87], v2 offset0:55 offset1:56
	s_waitcnt lgkmcnt(3)
	v_fmac_f32_e32 v117, v88, v119
	s_waitcnt vmcnt(7)
	v_fmac_f32_e32 v117, v89, v120
	ds_load_2addr_b32 v[88:89], v2 offset0:57 offset1:58
	s_waitcnt lgkmcnt(3)
	v_fmac_f32_e32 v117, v90, v121
	s_delay_alu instid0(VALU_DEP_1) | instskip(SKIP_1) | instid1(VALU_DEP_1)
	v_fmac_f32_e32 v117, v91, v122
	s_waitcnt lgkmcnt(2)
	v_fmac_f32_e32 v117, v92, v123
	s_waitcnt vmcnt(6)
	s_delay_alu instid0(VALU_DEP_1) | instskip(SKIP_4) | instid1(VALU_DEP_1)
	v_fmac_f32_e32 v117, v93, v124
	ds_load_2addr_b32 v[90:91], v2 offset0:59 offset1:60
	ds_load_2addr_b32 v[92:93], v2 offset0:61 offset1:62
	s_waitcnt lgkmcnt(3)
	v_fmac_f32_e32 v117, v94, v86
	v_fmac_f32_e32 v117, v95, v87
	ds_load_2addr_b32 v[86:87], v2 offset0:63 offset1:64
	s_waitcnt lgkmcnt(3)
	v_fmac_f32_e32 v117, v96, v88
	s_waitcnt vmcnt(5)
	s_delay_alu instid0(VALU_DEP_1) | instskip(SKIP_3) | instid1(VALU_DEP_1)
	v_fmac_f32_e32 v117, v97, v89
	ds_load_2addr_b32 v[88:89], v2 offset0:65 offset1:66
	s_waitcnt lgkmcnt(3)
	v_fmac_f32_e32 v117, v98, v90
	v_fmac_f32_e32 v117, v99, v91
	s_waitcnt lgkmcnt(2)
	s_delay_alu instid0(VALU_DEP_1) | instskip(SKIP_1) | instid1(VALU_DEP_1)
	v_fmac_f32_e32 v117, v100, v92
	s_waitcnt vmcnt(4)
	v_fmac_f32_e32 v117, v101, v93
	ds_load_2addr_b32 v[90:91], v2 offset0:67 offset1:68
	ds_load_2addr_b32 v[92:93], v2 offset0:69 offset1:70
	s_waitcnt lgkmcnt(3)
	v_fmac_f32_e32 v117, v102, v86
	s_delay_alu instid0(VALU_DEP_1) | instskip(SKIP_4) | instid1(VALU_DEP_1)
	v_fmac_f32_e32 v117, v103, v87
	ds_load_2addr_b32 v[86:87], v2 offset0:71 offset1:72
	s_waitcnt lgkmcnt(3)
	v_fmac_f32_e32 v117, v104, v88
	s_waitcnt vmcnt(3)
	v_fmac_f32_e32 v117, v105, v89
	ds_load_2addr_b32 v[88:89], v2 offset0:73 offset1:74
	s_waitcnt lgkmcnt(3)
	v_fmac_f32_e32 v117, v106, v90
	s_delay_alu instid0(VALU_DEP_1) | instskip(SKIP_1) | instid1(VALU_DEP_1)
	v_fmac_f32_e32 v117, v107, v91
	s_waitcnt lgkmcnt(2)
	v_fmac_f32_e32 v117, v108, v92
	s_waitcnt vmcnt(2)
	s_delay_alu instid0(VALU_DEP_1)
	v_fmac_f32_e32 v117, v109, v93
	ds_load_2addr_b32 v[90:91], v2 offset0:75 offset1:76
	ds_load_2addr_b32 v[92:93], v2 offset0:77 offset1:78
	s_waitcnt lgkmcnt(3)
	v_fmac_f32_e32 v117, v110, v86
	ds_load_b32 v86, v2 offset:316
	v_fmac_f32_e32 v117, v111, v87
	s_waitcnt lgkmcnt(3)
	s_delay_alu instid0(VALU_DEP_1) | instskip(SKIP_1) | instid1(VALU_DEP_1)
	v_fmac_f32_e32 v117, v112, v88
	s_waitcnt vmcnt(1)
	v_fmac_f32_e32 v117, v113, v89
	s_waitcnt lgkmcnt(2)
	s_delay_alu instid0(VALU_DEP_1) | instskip(NEXT) | instid1(VALU_DEP_1)
	v_fmac_f32_e32 v117, v114, v90
	v_fmac_f32_e32 v117, v115, v91
	s_waitcnt lgkmcnt(1)
	s_delay_alu instid0(VALU_DEP_1) | instskip(SKIP_1) | instid1(VALU_DEP_1)
	v_fmac_f32_e32 v117, v116, v92
	s_waitcnt vmcnt(0)
	v_fmac_f32_e32 v117, v3, v93
	s_waitcnt lgkmcnt(0)
	s_delay_alu instid0(VALU_DEP_1) | instskip(NEXT) | instid1(VALU_DEP_1)
	v_fmac_f32_e32 v117, v4, v86
	v_sub_f32_e32 v3, v85, v117
	scratch_store_b32 off, v3, off offset:24
	v_cmpx_lt_u32_e32 5, v0
	s_cbranch_execz .LBB103_237
; %bb.236:
	scratch_load_b32 v3, off, off offset:20
	scratch_store_b32 off, v2, off offset:20
	s_waitcnt vmcnt(0)
	ds_store_b32 v1, v3
.LBB103_237:
	s_or_b32 exec_lo, exec_lo, s0
	s_waitcnt lgkmcnt(0)
	s_waitcnt_vscnt null, 0x0
	s_barrier
	buffer_gl0_inv
	s_clause 0x8
	scratch_load_b128 v[85:88], off, off offset:20
	scratch_load_b128 v[89:92], off, off offset:36
	;; [unrolled: 1-line block ×8, first 2 shown]
	scratch_load_b96 v[125:127], off, off offset:148
	ds_load_2addr_b64 v[117:120], v2 offset0:23 offset1:24
	ds_load_2addr_b64 v[121:124], v2 offset0:25 offset1:26
	s_mov_b32 s0, exec_lo
	s_waitcnt vmcnt(8) lgkmcnt(1)
	v_fma_f32 v4, v86, v117, 0
	s_delay_alu instid0(VALU_DEP_1) | instskip(NEXT) | instid1(VALU_DEP_1)
	v_fmac_f32_e32 v4, v87, v118
	v_fmac_f32_e32 v4, v88, v119
	s_waitcnt vmcnt(7)
	s_delay_alu instid0(VALU_DEP_1) | instskip(SKIP_3) | instid1(VALU_DEP_1)
	v_fmac_f32_e32 v4, v89, v120
	ds_load_2addr_b64 v[86:89], v2 offset0:27 offset1:28
	s_waitcnt lgkmcnt(1)
	v_fmac_f32_e32 v4, v90, v121
	v_fmac_f32_e32 v4, v91, v122
	s_delay_alu instid0(VALU_DEP_1) | instskip(SKIP_1) | instid1(VALU_DEP_1)
	v_fmac_f32_e32 v4, v92, v123
	s_waitcnt vmcnt(6)
	v_fmac_f32_e32 v4, v93, v124
	ds_load_2addr_b64 v[90:93], v2 offset0:29 offset1:30
	s_waitcnt lgkmcnt(1)
	v_fmac_f32_e32 v4, v94, v86
	s_delay_alu instid0(VALU_DEP_1) | instskip(NEXT) | instid1(VALU_DEP_1)
	v_fmac_f32_e32 v4, v95, v87
	v_fmac_f32_e32 v4, v96, v88
	s_waitcnt vmcnt(5)
	s_delay_alu instid0(VALU_DEP_1) | instskip(SKIP_3) | instid1(VALU_DEP_1)
	v_fmac_f32_e32 v4, v97, v89
	ds_load_2addr_b64 v[86:89], v2 offset0:31 offset1:32
	s_waitcnt lgkmcnt(1)
	v_fmac_f32_e32 v4, v98, v90
	v_fmac_f32_e32 v4, v99, v91
	s_delay_alu instid0(VALU_DEP_1) | instskip(SKIP_1) | instid1(VALU_DEP_1)
	v_fmac_f32_e32 v4, v100, v92
	s_waitcnt vmcnt(4)
	v_fmac_f32_e32 v4, v101, v93
	ds_load_2addr_b64 v[90:93], v2 offset0:33 offset1:34
	s_waitcnt lgkmcnt(1)
	v_fmac_f32_e32 v4, v102, v86
	s_delay_alu instid0(VALU_DEP_1) | instskip(NEXT) | instid1(VALU_DEP_1)
	v_fmac_f32_e32 v4, v103, v87
	v_fmac_f32_e32 v4, v104, v88
	s_waitcnt vmcnt(3)
	s_delay_alu instid0(VALU_DEP_1) | instskip(SKIP_3) | instid1(VALU_DEP_1)
	v_fmac_f32_e32 v4, v105, v89
	ds_load_2addr_b64 v[86:89], v2 offset0:35 offset1:36
	s_waitcnt lgkmcnt(1)
	v_fmac_f32_e32 v4, v106, v90
	v_fmac_f32_e32 v4, v107, v91
	s_delay_alu instid0(VALU_DEP_1) | instskip(SKIP_1) | instid1(VALU_DEP_1)
	v_fmac_f32_e32 v4, v108, v92
	s_waitcnt vmcnt(2)
	v_fmac_f32_e32 v4, v109, v93
	ds_load_2addr_b64 v[90:93], v2 offset0:37 offset1:38
	ds_load_b64 v[2:3], v2 offset:312
	s_waitcnt lgkmcnt(2)
	v_fmac_f32_e32 v4, v110, v86
	s_delay_alu instid0(VALU_DEP_1) | instskip(NEXT) | instid1(VALU_DEP_1)
	v_fmac_f32_e32 v4, v111, v87
	v_fmac_f32_e32 v4, v112, v88
	s_waitcnt vmcnt(1)
	s_delay_alu instid0(VALU_DEP_1) | instskip(SKIP_1) | instid1(VALU_DEP_1)
	v_fmac_f32_e32 v4, v113, v89
	s_waitcnt lgkmcnt(1)
	v_fmac_f32_e32 v4, v114, v90
	s_delay_alu instid0(VALU_DEP_1) | instskip(NEXT) | instid1(VALU_DEP_1)
	v_fmac_f32_e32 v4, v115, v91
	v_fmac_f32_e32 v4, v116, v92
	s_waitcnt vmcnt(0)
	s_delay_alu instid0(VALU_DEP_1) | instskip(SKIP_1) | instid1(VALU_DEP_1)
	v_fmac_f32_e32 v4, v125, v93
	s_waitcnt lgkmcnt(0)
	v_fmac_f32_e32 v4, v126, v2
	s_delay_alu instid0(VALU_DEP_1) | instskip(NEXT) | instid1(VALU_DEP_1)
	v_fmac_f32_e32 v4, v127, v3
	v_sub_f32_e32 v2, v85, v4
	scratch_store_b32 off, v2, off offset:20
	v_cmpx_lt_u32_e32 4, v0
	s_cbranch_execz .LBB103_239
; %bb.238:
	scratch_load_b32 v2, off, off offset:16
	v_mov_b32_e32 v3, 0
	scratch_store_b32 off, v3, off offset:16
	s_waitcnt vmcnt(0)
	ds_store_b32 v1, v2
.LBB103_239:
	s_or_b32 exec_lo, exec_lo, s0
	s_waitcnt lgkmcnt(0)
	s_waitcnt_vscnt null, 0x0
	s_barrier
	buffer_gl0_inv
	s_clause 0x8
	scratch_load_b128 v[85:88], off, off offset:16
	scratch_load_b128 v[89:92], off, off offset:32
	;; [unrolled: 1-line block ×9, first 2 shown]
	v_mov_b32_e32 v2, 0
	ds_load_2addr_b32 v[3:4], v2 offset0:45 offset1:46
	ds_load_2addr_b32 v[121:122], v2 offset0:47 offset1:48
	;; [unrolled: 1-line block ×4, first 2 shown]
	s_mov_b32 s0, exec_lo
	s_waitcnt vmcnt(8) lgkmcnt(3)
	v_fma_f32 v127, v86, v3, 0
	s_delay_alu instid0(VALU_DEP_1)
	v_fmac_f32_e32 v127, v87, v4
	ds_load_2addr_b32 v[3:4], v2 offset0:53 offset1:54
	ds_load_2addr_b32 v[86:87], v2 offset0:55 offset1:56
	s_waitcnt lgkmcnt(4)
	v_fmac_f32_e32 v127, v88, v121
	s_waitcnt vmcnt(7)
	s_delay_alu instid0(VALU_DEP_1) | instskip(SKIP_1) | instid1(VALU_DEP_1)
	v_fmac_f32_e32 v127, v89, v122
	s_waitcnt lgkmcnt(3)
	v_fmac_f32_e32 v127, v90, v123
	s_delay_alu instid0(VALU_DEP_1)
	v_fmac_f32_e32 v127, v91, v124
	ds_load_2addr_b32 v[88:89], v2 offset0:57 offset1:58
	ds_load_2addr_b32 v[90:91], v2 offset0:59 offset1:60
	s_waitcnt lgkmcnt(4)
	v_fmac_f32_e32 v127, v92, v125
	s_waitcnt vmcnt(6)
	s_delay_alu instid0(VALU_DEP_1) | instskip(SKIP_1) | instid1(VALU_DEP_1)
	v_fmac_f32_e32 v127, v93, v126
	s_waitcnt lgkmcnt(3)
	v_fmac_f32_e32 v127, v94, v3
	s_delay_alu instid0(VALU_DEP_1) | instskip(SKIP_4) | instid1(VALU_DEP_1)
	v_fmac_f32_e32 v127, v95, v4
	ds_load_2addr_b32 v[3:4], v2 offset0:61 offset1:62
	s_waitcnt lgkmcnt(3)
	v_fmac_f32_e32 v127, v96, v86
	s_waitcnt vmcnt(5)
	v_fmac_f32_e32 v127, v97, v87
	ds_load_2addr_b32 v[86:87], v2 offset0:63 offset1:64
	s_waitcnt lgkmcnt(3)
	v_fmac_f32_e32 v127, v98, v88
	s_delay_alu instid0(VALU_DEP_1) | instskip(SKIP_1) | instid1(VALU_DEP_1)
	v_fmac_f32_e32 v127, v99, v89
	s_waitcnt lgkmcnt(2)
	v_fmac_f32_e32 v127, v100, v90
	s_waitcnt vmcnt(4)
	s_delay_alu instid0(VALU_DEP_1) | instskip(SKIP_4) | instid1(VALU_DEP_1)
	v_fmac_f32_e32 v127, v101, v91
	ds_load_2addr_b32 v[88:89], v2 offset0:65 offset1:66
	ds_load_2addr_b32 v[90:91], v2 offset0:67 offset1:68
	s_waitcnt lgkmcnt(3)
	v_fmac_f32_e32 v127, v102, v3
	v_fmac_f32_e32 v127, v103, v4
	ds_load_2addr_b32 v[3:4], v2 offset0:69 offset1:70
	s_waitcnt lgkmcnt(3)
	v_fmac_f32_e32 v127, v104, v86
	s_waitcnt vmcnt(3)
	s_delay_alu instid0(VALU_DEP_1) | instskip(SKIP_3) | instid1(VALU_DEP_1)
	v_fmac_f32_e32 v127, v105, v87
	ds_load_2addr_b32 v[86:87], v2 offset0:71 offset1:72
	s_waitcnt lgkmcnt(3)
	v_fmac_f32_e32 v127, v106, v88
	v_fmac_f32_e32 v127, v107, v89
	s_waitcnt lgkmcnt(2)
	s_delay_alu instid0(VALU_DEP_1) | instskip(SKIP_1) | instid1(VALU_DEP_1)
	v_fmac_f32_e32 v127, v108, v90
	s_waitcnt vmcnt(2)
	v_fmac_f32_e32 v127, v109, v91
	ds_load_2addr_b32 v[88:89], v2 offset0:73 offset1:74
	ds_load_2addr_b32 v[90:91], v2 offset0:75 offset1:76
	s_waitcnt lgkmcnt(3)
	v_fmac_f32_e32 v127, v110, v3
	s_delay_alu instid0(VALU_DEP_1)
	v_fmac_f32_e32 v127, v111, v4
	ds_load_2addr_b32 v[3:4], v2 offset0:77 offset1:78
	s_waitcnt lgkmcnt(3)
	v_fmac_f32_e32 v127, v112, v86
	ds_load_b32 v86, v2 offset:316
	s_waitcnt vmcnt(1)
	v_fmac_f32_e32 v127, v113, v87
	s_waitcnt lgkmcnt(3)
	s_delay_alu instid0(VALU_DEP_1) | instskip(NEXT) | instid1(VALU_DEP_1)
	v_fmac_f32_e32 v127, v114, v88
	v_fmac_f32_e32 v127, v115, v89
	s_waitcnt lgkmcnt(2)
	s_delay_alu instid0(VALU_DEP_1) | instskip(SKIP_1) | instid1(VALU_DEP_1)
	v_fmac_f32_e32 v127, v116, v90
	s_waitcnt vmcnt(0)
	v_fmac_f32_e32 v127, v117, v91
	s_waitcnt lgkmcnt(1)
	s_delay_alu instid0(VALU_DEP_1) | instskip(NEXT) | instid1(VALU_DEP_1)
	v_fmac_f32_e32 v127, v118, v3
	v_fmac_f32_e32 v127, v119, v4
	s_waitcnt lgkmcnt(0)
	s_delay_alu instid0(VALU_DEP_1) | instskip(NEXT) | instid1(VALU_DEP_1)
	v_fmac_f32_e32 v127, v120, v86
	v_sub_f32_e32 v3, v85, v127
	scratch_store_b32 off, v3, off offset:16
	v_cmpx_lt_u32_e32 3, v0
	s_cbranch_execz .LBB103_241
; %bb.240:
	scratch_load_b32 v3, off, off offset:12
	scratch_store_b32 off, v2, off offset:12
	s_waitcnt vmcnt(0)
	ds_store_b32 v1, v3
.LBB103_241:
	s_or_b32 exec_lo, exec_lo, s0
	s_waitcnt lgkmcnt(0)
	s_waitcnt_vscnt null, 0x0
	s_barrier
	buffer_gl0_inv
	s_clause 0x9
	scratch_load_b128 v[85:88], off, off offset:12
	scratch_load_b128 v[89:92], off, off offset:28
	;; [unrolled: 1-line block ×9, first 2 shown]
	scratch_load_b32 v3, off, off offset:156
	ds_load_b128 v[121:124], v2 offset:176
	ds_load_b128 v[125:128], v2 offset:192
	s_mov_b32 s0, exec_lo
	s_waitcnt vmcnt(9) lgkmcnt(1)
	v_fma_f32 v4, v86, v121, 0
	s_delay_alu instid0(VALU_DEP_1) | instskip(NEXT) | instid1(VALU_DEP_1)
	v_fmac_f32_e32 v4, v87, v122
	v_fmac_f32_e32 v4, v88, v123
	s_waitcnt vmcnt(8)
	s_delay_alu instid0(VALU_DEP_1) | instskip(SKIP_3) | instid1(VALU_DEP_1)
	v_fmac_f32_e32 v4, v89, v124
	ds_load_b128 v[86:89], v2 offset:208
	s_waitcnt lgkmcnt(1)
	v_fmac_f32_e32 v4, v90, v125
	v_fmac_f32_e32 v4, v91, v126
	s_delay_alu instid0(VALU_DEP_1) | instskip(SKIP_1) | instid1(VALU_DEP_1)
	v_fmac_f32_e32 v4, v92, v127
	s_waitcnt vmcnt(7)
	v_fmac_f32_e32 v4, v93, v128
	ds_load_b128 v[90:93], v2 offset:224
	s_waitcnt lgkmcnt(1)
	v_fmac_f32_e32 v4, v94, v86
	s_delay_alu instid0(VALU_DEP_1) | instskip(NEXT) | instid1(VALU_DEP_1)
	v_fmac_f32_e32 v4, v95, v87
	v_fmac_f32_e32 v4, v96, v88
	s_waitcnt vmcnt(6)
	s_delay_alu instid0(VALU_DEP_1) | instskip(SKIP_3) | instid1(VALU_DEP_1)
	v_fmac_f32_e32 v4, v97, v89
	ds_load_b128 v[86:89], v2 offset:240
	s_waitcnt lgkmcnt(1)
	v_fmac_f32_e32 v4, v98, v90
	v_fmac_f32_e32 v4, v99, v91
	s_delay_alu instid0(VALU_DEP_1) | instskip(SKIP_1) | instid1(VALU_DEP_1)
	v_fmac_f32_e32 v4, v100, v92
	s_waitcnt vmcnt(5)
	v_fmac_f32_e32 v4, v101, v93
	ds_load_b128 v[90:93], v2 offset:256
	s_waitcnt lgkmcnt(1)
	v_fmac_f32_e32 v4, v102, v86
	s_delay_alu instid0(VALU_DEP_1) | instskip(NEXT) | instid1(VALU_DEP_1)
	v_fmac_f32_e32 v4, v103, v87
	v_fmac_f32_e32 v4, v104, v88
	s_waitcnt vmcnt(4)
	s_delay_alu instid0(VALU_DEP_1) | instskip(SKIP_3) | instid1(VALU_DEP_1)
	v_fmac_f32_e32 v4, v105, v89
	ds_load_b128 v[86:89], v2 offset:272
	s_waitcnt lgkmcnt(1)
	v_fmac_f32_e32 v4, v106, v90
	v_fmac_f32_e32 v4, v107, v91
	s_delay_alu instid0(VALU_DEP_1) | instskip(SKIP_1) | instid1(VALU_DEP_1)
	v_fmac_f32_e32 v4, v108, v92
	s_waitcnt vmcnt(3)
	v_fmac_f32_e32 v4, v109, v93
	ds_load_b128 v[90:93], v2 offset:288
	s_waitcnt lgkmcnt(1)
	v_fmac_f32_e32 v4, v110, v86
	s_delay_alu instid0(VALU_DEP_1) | instskip(NEXT) | instid1(VALU_DEP_1)
	v_fmac_f32_e32 v4, v111, v87
	v_fmac_f32_e32 v4, v112, v88
	s_waitcnt vmcnt(2)
	s_delay_alu instid0(VALU_DEP_1) | instskip(SKIP_3) | instid1(VALU_DEP_1)
	v_fmac_f32_e32 v4, v113, v89
	ds_load_b128 v[86:89], v2 offset:304
	s_waitcnt lgkmcnt(1)
	v_fmac_f32_e32 v4, v114, v90
	v_fmac_f32_e32 v4, v115, v91
	s_delay_alu instid0(VALU_DEP_1) | instskip(SKIP_1) | instid1(VALU_DEP_1)
	v_fmac_f32_e32 v4, v116, v92
	s_waitcnt vmcnt(1)
	v_fmac_f32_e32 v4, v117, v93
	s_waitcnt lgkmcnt(0)
	s_delay_alu instid0(VALU_DEP_1) | instskip(NEXT) | instid1(VALU_DEP_1)
	v_fmac_f32_e32 v4, v118, v86
	v_fmac_f32_e32 v4, v119, v87
	s_delay_alu instid0(VALU_DEP_1) | instskip(SKIP_1) | instid1(VALU_DEP_1)
	v_fmac_f32_e32 v4, v120, v88
	s_waitcnt vmcnt(0)
	v_fmac_f32_e32 v4, v3, v89
	s_delay_alu instid0(VALU_DEP_1)
	v_sub_f32_e32 v2, v85, v4
	scratch_store_b32 off, v2, off offset:12
	v_cmpx_lt_u32_e32 2, v0
	s_cbranch_execz .LBB103_243
; %bb.242:
	scratch_load_b32 v2, off, off offset:8
	v_mov_b32_e32 v3, 0
	scratch_store_b32 off, v3, off offset:8
	s_waitcnt vmcnt(0)
	ds_store_b32 v1, v2
.LBB103_243:
	s_or_b32 exec_lo, exec_lo, s0
	s_waitcnt lgkmcnt(0)
	s_waitcnt_vscnt null, 0x0
	s_barrier
	buffer_gl0_inv
	s_clause 0x9
	scratch_load_b128 v[85:88], off, off offset:8
	scratch_load_b128 v[89:92], off, off offset:24
	;; [unrolled: 1-line block ×9, first 2 shown]
	scratch_load_b64 v[3:4], off, off offset:152
	v_mov_b32_e32 v2, 0
	ds_load_2addr_b32 v[121:122], v2 offset0:43 offset1:44
	ds_load_2addr_b32 v[123:124], v2 offset0:45 offset1:46
	;; [unrolled: 1-line block ×4, first 2 shown]
	s_mov_b32 s0, exec_lo
	s_waitcnt vmcnt(9) lgkmcnt(3)
	v_fma_f32 v121, v86, v121, 0
	s_delay_alu instid0(VALU_DEP_1) | instskip(SKIP_4) | instid1(VALU_DEP_1)
	v_fmac_f32_e32 v121, v87, v122
	ds_load_2addr_b32 v[86:87], v2 offset0:51 offset1:52
	s_waitcnt lgkmcnt(3)
	v_fmac_f32_e32 v121, v88, v123
	s_waitcnt vmcnt(8)
	v_fmac_f32_e32 v121, v89, v124
	ds_load_2addr_b32 v[88:89], v2 offset0:53 offset1:54
	s_waitcnt lgkmcnt(3)
	v_fmac_f32_e32 v121, v90, v125
	s_delay_alu instid0(VALU_DEP_1) | instskip(SKIP_1) | instid1(VALU_DEP_1)
	v_fmac_f32_e32 v121, v91, v126
	s_waitcnt lgkmcnt(2)
	v_fmac_f32_e32 v121, v92, v127
	s_waitcnt vmcnt(7)
	s_delay_alu instid0(VALU_DEP_1) | instskip(SKIP_4) | instid1(VALU_DEP_1)
	v_fmac_f32_e32 v121, v93, v128
	ds_load_2addr_b32 v[90:91], v2 offset0:55 offset1:56
	ds_load_2addr_b32 v[92:93], v2 offset0:57 offset1:58
	s_waitcnt lgkmcnt(3)
	v_fmac_f32_e32 v121, v94, v86
	v_fmac_f32_e32 v121, v95, v87
	ds_load_2addr_b32 v[86:87], v2 offset0:59 offset1:60
	s_waitcnt lgkmcnt(3)
	v_fmac_f32_e32 v121, v96, v88
	s_waitcnt vmcnt(6)
	s_delay_alu instid0(VALU_DEP_1) | instskip(SKIP_3) | instid1(VALU_DEP_1)
	v_fmac_f32_e32 v121, v97, v89
	ds_load_2addr_b32 v[88:89], v2 offset0:61 offset1:62
	s_waitcnt lgkmcnt(3)
	v_fmac_f32_e32 v121, v98, v90
	v_fmac_f32_e32 v121, v99, v91
	s_waitcnt lgkmcnt(2)
	s_delay_alu instid0(VALU_DEP_1) | instskip(SKIP_1) | instid1(VALU_DEP_1)
	v_fmac_f32_e32 v121, v100, v92
	s_waitcnt vmcnt(5)
	v_fmac_f32_e32 v121, v101, v93
	ds_load_2addr_b32 v[90:91], v2 offset0:63 offset1:64
	ds_load_2addr_b32 v[92:93], v2 offset0:65 offset1:66
	s_waitcnt lgkmcnt(3)
	v_fmac_f32_e32 v121, v102, v86
	s_delay_alu instid0(VALU_DEP_1) | instskip(SKIP_4) | instid1(VALU_DEP_1)
	v_fmac_f32_e32 v121, v103, v87
	ds_load_2addr_b32 v[86:87], v2 offset0:67 offset1:68
	s_waitcnt lgkmcnt(3)
	v_fmac_f32_e32 v121, v104, v88
	s_waitcnt vmcnt(4)
	v_fmac_f32_e32 v121, v105, v89
	ds_load_2addr_b32 v[88:89], v2 offset0:69 offset1:70
	s_waitcnt lgkmcnt(3)
	v_fmac_f32_e32 v121, v106, v90
	s_delay_alu instid0(VALU_DEP_1) | instskip(SKIP_1) | instid1(VALU_DEP_1)
	v_fmac_f32_e32 v121, v107, v91
	s_waitcnt lgkmcnt(2)
	v_fmac_f32_e32 v121, v108, v92
	s_waitcnt vmcnt(3)
	s_delay_alu instid0(VALU_DEP_1) | instskip(SKIP_4) | instid1(VALU_DEP_1)
	v_fmac_f32_e32 v121, v109, v93
	ds_load_2addr_b32 v[90:91], v2 offset0:71 offset1:72
	ds_load_2addr_b32 v[92:93], v2 offset0:73 offset1:74
	s_waitcnt lgkmcnt(3)
	v_fmac_f32_e32 v121, v110, v86
	v_fmac_f32_e32 v121, v111, v87
	ds_load_2addr_b32 v[86:87], v2 offset0:75 offset1:76
	s_waitcnt lgkmcnt(3)
	v_fmac_f32_e32 v121, v112, v88
	s_waitcnt vmcnt(2)
	s_delay_alu instid0(VALU_DEP_1)
	v_fmac_f32_e32 v121, v113, v89
	ds_load_2addr_b32 v[88:89], v2 offset0:77 offset1:78
	s_waitcnt lgkmcnt(3)
	v_fmac_f32_e32 v121, v114, v90
	ds_load_b32 v90, v2 offset:316
	v_fmac_f32_e32 v121, v115, v91
	s_waitcnt lgkmcnt(3)
	s_delay_alu instid0(VALU_DEP_1) | instskip(SKIP_1) | instid1(VALU_DEP_1)
	v_fmac_f32_e32 v121, v116, v92
	s_waitcnt vmcnt(1)
	v_fmac_f32_e32 v121, v117, v93
	s_waitcnt lgkmcnt(2)
	s_delay_alu instid0(VALU_DEP_1) | instskip(NEXT) | instid1(VALU_DEP_1)
	v_fmac_f32_e32 v121, v118, v86
	v_fmac_f32_e32 v121, v119, v87
	s_waitcnt lgkmcnt(1)
	s_delay_alu instid0(VALU_DEP_1) | instskip(SKIP_1) | instid1(VALU_DEP_1)
	v_fmac_f32_e32 v121, v120, v88
	s_waitcnt vmcnt(0)
	v_fmac_f32_e32 v121, v3, v89
	s_waitcnt lgkmcnt(0)
	s_delay_alu instid0(VALU_DEP_1) | instskip(NEXT) | instid1(VALU_DEP_1)
	v_fmac_f32_e32 v121, v4, v90
	v_sub_f32_e32 v3, v85, v121
	scratch_store_b32 off, v3, off offset:8
	v_cmpx_lt_u32_e32 1, v0
	s_cbranch_execz .LBB103_245
; %bb.244:
	scratch_load_b32 v3, off, off offset:4
	scratch_store_b32 off, v2, off offset:4
	s_waitcnt vmcnt(0)
	ds_store_b32 v1, v3
.LBB103_245:
	s_or_b32 exec_lo, exec_lo, s0
	s_waitcnt lgkmcnt(0)
	s_waitcnt_vscnt null, 0x0
	s_barrier
	buffer_gl0_inv
	s_clause 0x9
	scratch_load_b128 v[85:88], off, off offset:4
	scratch_load_b128 v[89:92], off, off offset:20
	;; [unrolled: 1-line block ×9, first 2 shown]
	scratch_load_b96 v[129:131], off, off offset:148
	ds_load_2addr_b64 v[121:124], v2 offset0:21 offset1:22
	ds_load_2addr_b64 v[125:128], v2 offset0:23 offset1:24
	s_mov_b32 s0, exec_lo
	s_waitcnt vmcnt(9) lgkmcnt(1)
	v_fma_f32 v4, v86, v121, 0
	s_delay_alu instid0(VALU_DEP_1) | instskip(NEXT) | instid1(VALU_DEP_1)
	v_fmac_f32_e32 v4, v87, v122
	v_fmac_f32_e32 v4, v88, v123
	s_waitcnt vmcnt(8)
	s_delay_alu instid0(VALU_DEP_1) | instskip(SKIP_3) | instid1(VALU_DEP_1)
	v_fmac_f32_e32 v4, v89, v124
	ds_load_2addr_b64 v[86:89], v2 offset0:25 offset1:26
	s_waitcnt lgkmcnt(1)
	v_fmac_f32_e32 v4, v90, v125
	v_fmac_f32_e32 v4, v91, v126
	s_delay_alu instid0(VALU_DEP_1) | instskip(SKIP_1) | instid1(VALU_DEP_1)
	v_fmac_f32_e32 v4, v92, v127
	s_waitcnt vmcnt(7)
	v_fmac_f32_e32 v4, v93, v128
	ds_load_2addr_b64 v[90:93], v2 offset0:27 offset1:28
	s_waitcnt lgkmcnt(1)
	v_fmac_f32_e32 v4, v94, v86
	s_delay_alu instid0(VALU_DEP_1) | instskip(NEXT) | instid1(VALU_DEP_1)
	v_fmac_f32_e32 v4, v95, v87
	v_fmac_f32_e32 v4, v96, v88
	s_waitcnt vmcnt(6)
	s_delay_alu instid0(VALU_DEP_1) | instskip(SKIP_3) | instid1(VALU_DEP_1)
	v_fmac_f32_e32 v4, v97, v89
	ds_load_2addr_b64 v[86:89], v2 offset0:29 offset1:30
	s_waitcnt lgkmcnt(1)
	v_fmac_f32_e32 v4, v98, v90
	v_fmac_f32_e32 v4, v99, v91
	s_delay_alu instid0(VALU_DEP_1) | instskip(SKIP_1) | instid1(VALU_DEP_1)
	v_fmac_f32_e32 v4, v100, v92
	s_waitcnt vmcnt(5)
	v_fmac_f32_e32 v4, v101, v93
	ds_load_2addr_b64 v[90:93], v2 offset0:31 offset1:32
	s_waitcnt lgkmcnt(1)
	v_fmac_f32_e32 v4, v102, v86
	;; [unrolled: 17-line block ×3, first 2 shown]
	s_delay_alu instid0(VALU_DEP_1) | instskip(NEXT) | instid1(VALU_DEP_1)
	v_fmac_f32_e32 v4, v111, v87
	v_fmac_f32_e32 v4, v112, v88
	s_waitcnt vmcnt(2)
	s_delay_alu instid0(VALU_DEP_1) | instskip(SKIP_4) | instid1(VALU_DEP_1)
	v_fmac_f32_e32 v4, v113, v89
	ds_load_2addr_b64 v[86:89], v2 offset0:37 offset1:38
	ds_load_b64 v[2:3], v2 offset:312
	s_waitcnt lgkmcnt(2)
	v_fmac_f32_e32 v4, v114, v90
	v_fmac_f32_e32 v4, v115, v91
	s_delay_alu instid0(VALU_DEP_1) | instskip(SKIP_1) | instid1(VALU_DEP_1)
	v_fmac_f32_e32 v4, v116, v92
	s_waitcnt vmcnt(1)
	v_fmac_f32_e32 v4, v117, v93
	s_waitcnt lgkmcnt(1)
	s_delay_alu instid0(VALU_DEP_1) | instskip(NEXT) | instid1(VALU_DEP_1)
	v_fmac_f32_e32 v4, v118, v86
	v_fmac_f32_e32 v4, v119, v87
	s_delay_alu instid0(VALU_DEP_1) | instskip(SKIP_1) | instid1(VALU_DEP_1)
	v_fmac_f32_e32 v4, v120, v88
	s_waitcnt vmcnt(0)
	v_fmac_f32_e32 v4, v129, v89
	s_waitcnt lgkmcnt(0)
	s_delay_alu instid0(VALU_DEP_1) | instskip(NEXT) | instid1(VALU_DEP_1)
	v_fmac_f32_e32 v4, v130, v2
	v_fmac_f32_e32 v4, v131, v3
	s_delay_alu instid0(VALU_DEP_1)
	v_sub_f32_e32 v2, v85, v4
	scratch_store_b32 off, v2, off offset:4
	v_cmpx_ne_u32_e32 0, v0
	s_cbranch_execz .LBB103_247
; %bb.246:
	scratch_load_b32 v0, off, off
	v_mov_b32_e32 v2, 0
	scratch_store_b32 off, v2, off
	s_waitcnt vmcnt(0)
	ds_store_b32 v1, v0
.LBB103_247:
	s_or_b32 exec_lo, exec_lo, s0
	s_waitcnt lgkmcnt(0)
	s_waitcnt_vscnt null, 0x0
	s_barrier
	buffer_gl0_inv
	s_clause 0x9
	scratch_load_b128 v[85:88], off, off
	scratch_load_b128 v[89:92], off, off offset:16
	scratch_load_b128 v[93:96], off, off offset:32
	;; [unrolled: 1-line block ×9, first 2 shown]
	v_mov_b32_e32 v4, 0
	ds_load_2addr_b32 v[121:122], v4 offset0:41 offset1:42
	ds_load_2addr_b32 v[123:124], v4 offset0:43 offset1:44
	;; [unrolled: 1-line block ×4, first 2 shown]
	s_and_b32 vcc_lo, exec_lo, s12
	s_waitcnt vmcnt(9) lgkmcnt(3)
	v_fma_f32 v121, v86, v121, 0
	s_delay_alu instid0(VALU_DEP_1) | instskip(SKIP_4) | instid1(VALU_DEP_1)
	v_fmac_f32_e32 v121, v87, v122
	ds_load_2addr_b32 v[86:87], v4 offset0:49 offset1:50
	s_waitcnt lgkmcnt(3)
	v_fmac_f32_e32 v121, v88, v123
	s_waitcnt vmcnt(8)
	v_fmac_f32_e32 v121, v89, v124
	ds_load_2addr_b32 v[88:89], v4 offset0:51 offset1:52
	s_waitcnt lgkmcnt(3)
	v_fmac_f32_e32 v121, v90, v125
	s_delay_alu instid0(VALU_DEP_1) | instskip(SKIP_1) | instid1(VALU_DEP_1)
	v_fmac_f32_e32 v121, v91, v126
	s_waitcnt lgkmcnt(2)
	v_fmac_f32_e32 v121, v92, v127
	s_waitcnt vmcnt(7)
	s_delay_alu instid0(VALU_DEP_1) | instskip(SKIP_4) | instid1(VALU_DEP_1)
	v_fmac_f32_e32 v121, v93, v128
	ds_load_2addr_b32 v[90:91], v4 offset0:53 offset1:54
	ds_load_2addr_b32 v[92:93], v4 offset0:55 offset1:56
	s_waitcnt lgkmcnt(3)
	v_fmac_f32_e32 v121, v94, v86
	v_fmac_f32_e32 v121, v95, v87
	ds_load_2addr_b32 v[86:87], v4 offset0:57 offset1:58
	s_waitcnt lgkmcnt(3)
	v_fmac_f32_e32 v121, v96, v88
	s_waitcnt vmcnt(6)
	s_delay_alu instid0(VALU_DEP_1) | instskip(SKIP_3) | instid1(VALU_DEP_1)
	v_fmac_f32_e32 v121, v97, v89
	ds_load_2addr_b32 v[88:89], v4 offset0:59 offset1:60
	s_waitcnt lgkmcnt(3)
	v_fmac_f32_e32 v121, v98, v90
	v_fmac_f32_e32 v121, v99, v91
	s_waitcnt lgkmcnt(2)
	s_delay_alu instid0(VALU_DEP_1) | instskip(SKIP_1) | instid1(VALU_DEP_1)
	v_fmac_f32_e32 v121, v100, v92
	s_waitcnt vmcnt(5)
	v_fmac_f32_e32 v121, v101, v93
	ds_load_2addr_b32 v[90:91], v4 offset0:61 offset1:62
	ds_load_2addr_b32 v[92:93], v4 offset0:63 offset1:64
	s_waitcnt lgkmcnt(3)
	v_fmac_f32_e32 v121, v102, v86
	s_delay_alu instid0(VALU_DEP_1) | instskip(SKIP_4) | instid1(VALU_DEP_1)
	v_fmac_f32_e32 v121, v103, v87
	ds_load_2addr_b32 v[86:87], v4 offset0:65 offset1:66
	s_waitcnt lgkmcnt(3)
	v_fmac_f32_e32 v121, v104, v88
	s_waitcnt vmcnt(4)
	v_fmac_f32_e32 v121, v105, v89
	ds_load_2addr_b32 v[88:89], v4 offset0:67 offset1:68
	s_waitcnt lgkmcnt(3)
	v_fmac_f32_e32 v121, v106, v90
	s_delay_alu instid0(VALU_DEP_1) | instskip(SKIP_1) | instid1(VALU_DEP_1)
	v_fmac_f32_e32 v121, v107, v91
	s_waitcnt lgkmcnt(2)
	v_fmac_f32_e32 v121, v108, v92
	s_waitcnt vmcnt(3)
	s_delay_alu instid0(VALU_DEP_1) | instskip(SKIP_4) | instid1(VALU_DEP_1)
	v_fmac_f32_e32 v121, v109, v93
	ds_load_2addr_b32 v[90:91], v4 offset0:69 offset1:70
	ds_load_2addr_b32 v[92:93], v4 offset0:71 offset1:72
	s_waitcnt lgkmcnt(3)
	v_fmac_f32_e32 v121, v110, v86
	v_fmac_f32_e32 v121, v111, v87
	ds_load_2addr_b32 v[86:87], v4 offset0:73 offset1:74
	s_waitcnt lgkmcnt(3)
	v_fmac_f32_e32 v121, v112, v88
	s_waitcnt vmcnt(2)
	s_delay_alu instid0(VALU_DEP_1) | instskip(SKIP_3) | instid1(VALU_DEP_1)
	v_fmac_f32_e32 v121, v113, v89
	ds_load_2addr_b32 v[88:89], v4 offset0:75 offset1:76
	s_waitcnt lgkmcnt(3)
	v_fmac_f32_e32 v121, v114, v90
	v_fmac_f32_e32 v121, v115, v91
	ds_load_2addr_b32 v[90:91], v4 offset0:77 offset1:78
	ds_load_b32 v4, v4 offset:316
	s_waitcnt lgkmcnt(4)
	v_fmac_f32_e32 v121, v116, v92
	s_waitcnt vmcnt(1)
	s_delay_alu instid0(VALU_DEP_1) | instskip(SKIP_1) | instid1(VALU_DEP_1)
	v_fmac_f32_e32 v121, v117, v93
	s_waitcnt lgkmcnt(3)
	v_fmac_f32_e32 v121, v118, v86
	s_delay_alu instid0(VALU_DEP_1) | instskip(SKIP_1) | instid1(VALU_DEP_1)
	v_fmac_f32_e32 v121, v119, v87
	s_waitcnt lgkmcnt(2)
	v_fmac_f32_e32 v121, v120, v88
	s_waitcnt vmcnt(0)
	s_delay_alu instid0(VALU_DEP_1) | instskip(SKIP_1) | instid1(VALU_DEP_1)
	v_fmac_f32_e32 v121, v0, v89
	s_waitcnt lgkmcnt(1)
	v_fmac_f32_e32 v121, v1, v90
	s_delay_alu instid0(VALU_DEP_1) | instskip(SKIP_1) | instid1(VALU_DEP_1)
	v_fmac_f32_e32 v121, v2, v91
	s_waitcnt lgkmcnt(0)
	v_fmac_f32_e32 v121, v3, v4
	s_delay_alu instid0(VALU_DEP_1)
	v_sub_f32_e32 v0, v85, v121
	scratch_store_b32 off, v0, off
	s_cbranch_vccz .LBB103_327
; %bb.248:
	v_dual_mov_b32 v0, s2 :: v_dual_mov_b32 v1, s3
	s_mov_b32 s0, exec_lo
	flat_load_b32 v0, v[0:1] offset:152
	s_waitcnt vmcnt(0) lgkmcnt(0)
	v_cmpx_ne_u32_e32 39, v0
	s_cbranch_execz .LBB103_250
; %bb.249:
	v_lshl_add_u32 v0, v0, 2, 0
	scratch_load_b32 v1, v0, off offset:-4
	s_waitcnt vmcnt(0)
	scratch_store_b32 off, v1, off offset:152
	scratch_store_b32 v0, v2, off offset:-4
.LBB103_250:
	s_or_b32 exec_lo, exec_lo, s0
	v_dual_mov_b32 v0, s2 :: v_dual_mov_b32 v1, s3
	s_mov_b32 s0, exec_lo
	flat_load_b32 v0, v[0:1] offset:148
	s_waitcnt vmcnt(0) lgkmcnt(0)
	v_cmpx_ne_u32_e32 38, v0
	s_cbranch_execz .LBB103_252
; %bb.251:
	v_lshl_add_u32 v0, v0, 2, 0
	scratch_load_b32 v1, v0, off offset:-4
	scratch_load_b32 v2, off, off offset:148
	s_waitcnt vmcnt(1)
	scratch_store_b32 off, v1, off offset:148
	s_waitcnt vmcnt(0)
	scratch_store_b32 v0, v2, off offset:-4
.LBB103_252:
	s_or_b32 exec_lo, exec_lo, s0
	v_dual_mov_b32 v0, s2 :: v_dual_mov_b32 v1, s3
	s_mov_b32 s0, exec_lo
	flat_load_b32 v0, v[0:1] offset:144
	s_waitcnt vmcnt(0) lgkmcnt(0)
	v_cmpx_ne_u32_e32 37, v0
	s_cbranch_execz .LBB103_254
; %bb.253:
	v_lshl_add_u32 v0, v0, 2, 0
	scratch_load_b32 v1, v0, off offset:-4
	scratch_load_b32 v2, off, off offset:144
	s_waitcnt vmcnt(1)
	scratch_store_b32 off, v1, off offset:144
	s_waitcnt vmcnt(0)
	scratch_store_b32 v0, v2, off offset:-4
.LBB103_254:
	;; [unrolled: 16-line block ×37, first 2 shown]
	s_or_b32 exec_lo, exec_lo, s0
	v_dual_mov_b32 v0, s2 :: v_dual_mov_b32 v1, s3
	s_mov_b32 s0, exec_lo
	flat_load_b32 v1, v[0:1]
	scratch_load_b32 v0, off, off
	s_waitcnt vmcnt(1) lgkmcnt(0)
	v_cmpx_ne_u32_e32 1, v1
	s_cbranch_execz .LBB103_326
; %bb.325:
	v_lshl_add_u32 v1, v1, 2, 0
	scratch_load_b32 v2, v1, off offset:-4
	s_waitcnt vmcnt(0)
	scratch_store_b32 off, v2, off
	scratch_store_b32 v1, v0, off offset:-4
	scratch_load_b32 v0, off, off
.LBB103_326:
	s_or_b32 exec_lo, exec_lo, s0
.LBB103_327:
	s_clause 0x9
	scratch_load_b128 v[1:4], off, off offset:4
	scratch_load_b128 v[85:88], off, off offset:20
	;; [unrolled: 1-line block ×9, first 2 shown]
	scratch_load_b96 v[117:119], off, off offset:148
	s_waitcnt vmcnt(10)
	global_store_b32 v[5:6], v0, off
	s_waitcnt vmcnt(9)
	s_clause 0x3
	global_store_b32 v[7:8], v1, off
	global_store_b32 v[9:10], v2, off
	global_store_b32 v[11:12], v3, off
	global_store_b32 v[13:14], v4, off
	s_waitcnt vmcnt(8)
	s_clause 0x3
	global_store_b32 v[15:16], v85, off
	global_store_b32 v[17:18], v86, off
	global_store_b32 v[19:20], v87, off
	;; [unrolled: 6-line block ×10, first 2 shown]
	s_endpgm
	.section	.rodata,"a",@progbits
	.p2align	6, 0x0
	.amdhsa_kernel _ZN9rocsolver6v33100L18getri_kernel_smallILi40EfPKPfEEvT1_iilPiilS6_bb
		.amdhsa_group_segment_fixed_size 324
		.amdhsa_private_segment_fixed_size 176
		.amdhsa_kernarg_size 60
		.amdhsa_user_sgpr_count 15
		.amdhsa_user_sgpr_dispatch_ptr 0
		.amdhsa_user_sgpr_queue_ptr 0
		.amdhsa_user_sgpr_kernarg_segment_ptr 1
		.amdhsa_user_sgpr_dispatch_id 0
		.amdhsa_user_sgpr_private_segment_size 0
		.amdhsa_wavefront_size32 1
		.amdhsa_uses_dynamic_stack 0
		.amdhsa_enable_private_segment 1
		.amdhsa_system_sgpr_workgroup_id_x 1
		.amdhsa_system_sgpr_workgroup_id_y 0
		.amdhsa_system_sgpr_workgroup_id_z 0
		.amdhsa_system_sgpr_workgroup_info 0
		.amdhsa_system_vgpr_workitem_id 0
		.amdhsa_next_free_vgpr 132
		.amdhsa_next_free_sgpr 17
		.amdhsa_reserve_vcc 1
		.amdhsa_float_round_mode_32 0
		.amdhsa_float_round_mode_16_64 0
		.amdhsa_float_denorm_mode_32 3
		.amdhsa_float_denorm_mode_16_64 3
		.amdhsa_dx10_clamp 1
		.amdhsa_ieee_mode 1
		.amdhsa_fp16_overflow 0
		.amdhsa_workgroup_processor_mode 1
		.amdhsa_memory_ordered 1
		.amdhsa_forward_progress 0
		.amdhsa_shared_vgpr_count 0
		.amdhsa_exception_fp_ieee_invalid_op 0
		.amdhsa_exception_fp_denorm_src 0
		.amdhsa_exception_fp_ieee_div_zero 0
		.amdhsa_exception_fp_ieee_overflow 0
		.amdhsa_exception_fp_ieee_underflow 0
		.amdhsa_exception_fp_ieee_inexact 0
		.amdhsa_exception_int_div_zero 0
	.end_amdhsa_kernel
	.section	.text._ZN9rocsolver6v33100L18getri_kernel_smallILi40EfPKPfEEvT1_iilPiilS6_bb,"axG",@progbits,_ZN9rocsolver6v33100L18getri_kernel_smallILi40EfPKPfEEvT1_iilPiilS6_bb,comdat
.Lfunc_end103:
	.size	_ZN9rocsolver6v33100L18getri_kernel_smallILi40EfPKPfEEvT1_iilPiilS6_bb, .Lfunc_end103-_ZN9rocsolver6v33100L18getri_kernel_smallILi40EfPKPfEEvT1_iilPiilS6_bb
                                        ; -- End function
	.section	.AMDGPU.csdata,"",@progbits
; Kernel info:
; codeLenInByte = 27108
; NumSgprs: 19
; NumVgprs: 132
; ScratchSize: 176
; MemoryBound: 0
; FloatMode: 240
; IeeeMode: 1
; LDSByteSize: 324 bytes/workgroup (compile time only)
; SGPRBlocks: 2
; VGPRBlocks: 16
; NumSGPRsForWavesPerEU: 19
; NumVGPRsForWavesPerEU: 132
; Occupancy: 10
; WaveLimiterHint : 1
; COMPUTE_PGM_RSRC2:SCRATCH_EN: 1
; COMPUTE_PGM_RSRC2:USER_SGPR: 15
; COMPUTE_PGM_RSRC2:TRAP_HANDLER: 0
; COMPUTE_PGM_RSRC2:TGID_X_EN: 1
; COMPUTE_PGM_RSRC2:TGID_Y_EN: 0
; COMPUTE_PGM_RSRC2:TGID_Z_EN: 0
; COMPUTE_PGM_RSRC2:TIDIG_COMP_CNT: 0
	.section	.text._ZN9rocsolver6v33100L18getri_kernel_smallILi41EfPKPfEEvT1_iilPiilS6_bb,"axG",@progbits,_ZN9rocsolver6v33100L18getri_kernel_smallILi41EfPKPfEEvT1_iilPiilS6_bb,comdat
	.globl	_ZN9rocsolver6v33100L18getri_kernel_smallILi41EfPKPfEEvT1_iilPiilS6_bb ; -- Begin function _ZN9rocsolver6v33100L18getri_kernel_smallILi41EfPKPfEEvT1_iilPiilS6_bb
	.p2align	8
	.type	_ZN9rocsolver6v33100L18getri_kernel_smallILi41EfPKPfEEvT1_iilPiilS6_bb,@function
_ZN9rocsolver6v33100L18getri_kernel_smallILi41EfPKPfEEvT1_iilPiilS6_bb: ; @_ZN9rocsolver6v33100L18getri_kernel_smallILi41EfPKPfEEvT1_iilPiilS6_bb
; %bb.0:
	s_mov_b32 s2, exec_lo
	v_cmpx_gt_u32_e32 41, v0
	s_cbranch_execz .LBB104_172
; %bb.1:
	s_clause 0x1
	s_load_b32 s13, s[0:1], 0x38
	s_load_b64 s[2:3], s[0:1], 0x0
	s_mov_b32 s8, s15
	s_load_b128 s[4:7], s[0:1], 0x28
	s_waitcnt lgkmcnt(0)
	s_bitcmp1_b32 s13, 8
	s_cselect_b32 s12, -1, 0
	s_ashr_i32 s9, s15, 31
	s_delay_alu instid0(SALU_CYCLE_1) | instskip(NEXT) | instid1(SALU_CYCLE_1)
	s_lshl_b64 s[10:11], s[8:9], 3
	s_add_u32 s2, s2, s10
	s_addc_u32 s3, s3, s11
	s_load_b64 s[10:11], s[2:3], 0x0
	s_bfe_u32 s2, s13, 0x10008
	s_delay_alu instid0(SALU_CYCLE_1)
	s_cmp_eq_u32 s2, 0
                                        ; implicit-def: $sgpr2_sgpr3
	s_cbranch_scc1 .LBB104_3
; %bb.2:
	s_clause 0x1
	s_load_b32 s2, s[0:1], 0x20
	s_load_b64 s[14:15], s[0:1], 0x18
	s_mul_i32 s3, s8, s5
	s_mul_hi_u32 s5, s8, s4
	s_mul_i32 s16, s9, s4
	s_add_i32 s3, s5, s3
	s_mul_i32 s4, s8, s4
	s_add_i32 s5, s3, s16
	s_delay_alu instid0(SALU_CYCLE_1)
	s_lshl_b64 s[4:5], s[4:5], 2
	s_waitcnt lgkmcnt(0)
	s_ashr_i32 s3, s2, 31
	s_add_u32 s4, s14, s4
	s_addc_u32 s5, s15, s5
	s_lshl_b64 s[2:3], s[2:3], 2
	s_delay_alu instid0(SALU_CYCLE_1)
	s_add_u32 s2, s4, s2
	s_addc_u32 s3, s5, s3
.LBB104_3:
	s_load_b64 s[0:1], s[0:1], 0x8
	v_lshlrev_b32_e32 v87, 2, v0
	s_waitcnt lgkmcnt(0)
	v_add3_u32 v2, s1, s1, v0
	s_ashr_i32 s5, s0, 31
	s_mov_b32 s4, s0
	s_mov_b32 s14, s1
	s_lshl_b64 s[4:5], s[4:5], 2
	v_add_nc_u32_e32 v9, s1, v2
	v_ashrrev_i32_e32 v3, 31, v2
	s_add_u32 s4, s10, s4
	s_addc_u32 s5, s11, s5
	v_add_co_u32 v5, s0, s4, v87
	v_add_nc_u32_e32 v11, s1, v9
	s_ashr_i32 s15, s1, 31
	v_add_co_ci_u32_e64 v6, null, s5, 0, s0
	v_lshlrev_b64 v[2:3], 2, v[2:3]
	s_lshl_b64 s[10:11], s[14:15], 2
	v_ashrrev_i32_e32 v10, 31, v9
	v_add_nc_u32_e32 v15, s1, v11
	v_add_co_u32 v7, vcc_lo, v5, s10
	v_add_co_ci_u32_e32 v8, vcc_lo, s11, v6, vcc_lo
	s_delay_alu instid0(VALU_DEP_4)
	v_lshlrev_b64 v[13:14], 2, v[9:10]
	v_add_co_u32 v9, vcc_lo, s4, v2
	v_add_nc_u32_e32 v2, s1, v15
	v_ashrrev_i32_e32 v12, 31, v11
	v_ashrrev_i32_e32 v16, 31, v15
	v_add_co_ci_u32_e32 v10, vcc_lo, s5, v3, vcc_lo
	s_delay_alu instid0(VALU_DEP_4) | instskip(NEXT) | instid1(VALU_DEP_4)
	v_add_nc_u32_e32 v19, s1, v2
	v_lshlrev_b64 v[17:18], 2, v[11:12]
	v_ashrrev_i32_e32 v3, 31, v2
	v_add_co_u32 v11, vcc_lo, s4, v13
	s_delay_alu instid0(VALU_DEP_4)
	v_add_nc_u32_e32 v21, s1, v19
	v_lshlrev_b64 v[15:16], 2, v[15:16]
	v_add_co_ci_u32_e32 v12, vcc_lo, s5, v14, vcc_lo
	v_add_co_u32 v13, vcc_lo, s4, v17
	v_lshlrev_b64 v[2:3], 2, v[2:3]
	v_add_nc_u32_e32 v23, s1, v21
	v_add_co_ci_u32_e32 v14, vcc_lo, s5, v18, vcc_lo
	v_add_co_u32 v15, vcc_lo, s4, v15
	v_add_co_ci_u32_e32 v16, vcc_lo, s5, v16, vcc_lo
	v_ashrrev_i32_e32 v20, 31, v19
	v_add_co_u32 v17, vcc_lo, s4, v2
	v_add_nc_u32_e32 v2, s1, v23
	v_ashrrev_i32_e32 v22, 31, v21
	s_delay_alu instid0(VALU_DEP_4)
	v_lshlrev_b64 v[19:20], 2, v[19:20]
	v_ashrrev_i32_e32 v24, 31, v23
	v_add_co_ci_u32_e32 v18, vcc_lo, s5, v3, vcc_lo
	v_add_nc_u32_e32 v25, s1, v2
	v_lshlrev_b64 v[21:22], 2, v[21:22]
	v_ashrrev_i32_e32 v3, 31, v2
	v_add_co_u32 v19, vcc_lo, s4, v19
	s_delay_alu instid0(VALU_DEP_4)
	v_add_nc_u32_e32 v29, s1, v25
	v_lshlrev_b64 v[23:24], 2, v[23:24]
	v_ashrrev_i32_e32 v26, 31, v25
	v_add_co_ci_u32_e32 v20, vcc_lo, s5, v20, vcc_lo
	v_add_co_u32 v21, vcc_lo, s4, v21
	v_lshlrev_b64 v[27:28], 2, v[2:3]
	v_add_nc_u32_e32 v33, s1, v29
	v_add_co_ci_u32_e32 v22, vcc_lo, s5, v22, vcc_lo
	v_add_co_u32 v23, vcc_lo, s4, v23
	v_lshlrev_b64 v[31:32], 2, v[25:26]
	v_add_co_ci_u32_e32 v24, vcc_lo, s5, v24, vcc_lo
	v_add_co_u32 v25, vcc_lo, s4, v27
	v_ashrrev_i32_e32 v34, 31, v33
	v_add_nc_u32_e32 v35, s1, v33
	v_add_co_ci_u32_e32 v26, vcc_lo, s5, v28, vcc_lo
	v_ashrrev_i32_e32 v30, 31, v29
	v_add_co_u32 v27, vcc_lo, s4, v31
	v_add_co_ci_u32_e32 v28, vcc_lo, s5, v32, vcc_lo
	v_lshlrev_b64 v[31:32], 2, v[33:34]
	v_add_nc_u32_e32 v33, s1, v35
	v_lshlrev_b64 v[29:30], 2, v[29:30]
	v_ashrrev_i32_e32 v36, 31, v35
	s_clause 0x8
	global_load_b32 v1, v87, s[4:5]
	global_load_b32 v2, v[7:8], off
	global_load_b32 v3, v[9:10], off
	global_load_b32 v4, v[11:12], off
	global_load_b32 v88, v[13:14], off
	global_load_b32 v89, v[15:16], off
	global_load_b32 v90, v[17:18], off
	global_load_b32 v91, v[19:20], off
	global_load_b32 v92, v[21:22], off
	v_add_nc_u32_e32 v37, s1, v33
	v_ashrrev_i32_e32 v34, 31, v33
	v_add_co_u32 v29, vcc_lo, s4, v29
	v_lshlrev_b64 v[35:36], 2, v[35:36]
	s_delay_alu instid0(VALU_DEP_4)
	v_add_nc_u32_e32 v41, s1, v37
	v_add_co_ci_u32_e32 v30, vcc_lo, s5, v30, vcc_lo
	v_add_co_u32 v31, vcc_lo, s4, v31
	v_lshlrev_b64 v[39:40], 2, v[33:34]
	v_add_co_ci_u32_e32 v32, vcc_lo, s5, v32, vcc_lo
	v_add_co_u32 v33, vcc_lo, s4, v35
	v_ashrrev_i32_e32 v42, 31, v41
	v_add_nc_u32_e32 v43, s1, v41
	v_add_co_ci_u32_e32 v34, vcc_lo, s5, v36, vcc_lo
	v_ashrrev_i32_e32 v38, 31, v37
	v_add_co_u32 v35, vcc_lo, s4, v39
	v_add_co_ci_u32_e32 v36, vcc_lo, s5, v40, vcc_lo
	v_lshlrev_b64 v[39:40], 2, v[41:42]
	v_add_nc_u32_e32 v41, s1, v43
	v_lshlrev_b64 v[37:38], 2, v[37:38]
	v_ashrrev_i32_e32 v44, 31, v43
	s_bitcmp0_b32 s13, 0
	s_delay_alu instid0(VALU_DEP_3) | instskip(SKIP_1) | instid1(VALU_DEP_4)
	v_add_nc_u32_e32 v45, s1, v41
	v_ashrrev_i32_e32 v42, 31, v41
	v_add_co_u32 v37, vcc_lo, s4, v37
	v_lshlrev_b64 v[43:44], 2, v[43:44]
	s_delay_alu instid0(VALU_DEP_4)
	v_add_nc_u32_e32 v49, s1, v45
	v_add_co_ci_u32_e32 v38, vcc_lo, s5, v38, vcc_lo
	v_add_co_u32 v39, vcc_lo, s4, v39
	v_lshlrev_b64 v[47:48], 2, v[41:42]
	v_add_co_ci_u32_e32 v40, vcc_lo, s5, v40, vcc_lo
	v_add_co_u32 v41, vcc_lo, s4, v43
	v_ashrrev_i32_e32 v50, 31, v49
	v_add_nc_u32_e32 v51, s1, v49
	v_add_co_ci_u32_e32 v42, vcc_lo, s5, v44, vcc_lo
	v_ashrrev_i32_e32 v46, 31, v45
	v_add_co_u32 v43, vcc_lo, s4, v47
	v_add_co_ci_u32_e32 v44, vcc_lo, s5, v48, vcc_lo
	v_lshlrev_b64 v[47:48], 2, v[49:50]
	v_add_nc_u32_e32 v49, s1, v51
	v_lshlrev_b64 v[45:46], 2, v[45:46]
	v_ashrrev_i32_e32 v52, 31, v51
	s_clause 0x7
	global_load_b32 v93, v[23:24], off
	global_load_b32 v94, v[25:26], off
	global_load_b32 v95, v[27:28], off
	global_load_b32 v96, v[29:30], off
	global_load_b32 v97, v[31:32], off
	global_load_b32 v98, v[33:34], off
	global_load_b32 v99, v[35:36], off
	global_load_b32 v100, v[37:38], off
	v_add_nc_u32_e32 v53, s1, v49
	v_ashrrev_i32_e32 v50, 31, v49
	v_add_co_u32 v45, vcc_lo, s4, v45
	v_lshlrev_b64 v[51:52], 2, v[51:52]
	s_delay_alu instid0(VALU_DEP_4)
	v_add_nc_u32_e32 v57, s1, v53
	v_add_co_ci_u32_e32 v46, vcc_lo, s5, v46, vcc_lo
	v_add_co_u32 v47, vcc_lo, s4, v47
	v_lshlrev_b64 v[55:56], 2, v[49:50]
	v_add_co_ci_u32_e32 v48, vcc_lo, s5, v48, vcc_lo
	v_add_co_u32 v49, vcc_lo, s4, v51
	v_ashrrev_i32_e32 v58, 31, v57
	v_add_nc_u32_e32 v59, s1, v57
	v_add_co_ci_u32_e32 v50, vcc_lo, s5, v52, vcc_lo
	v_ashrrev_i32_e32 v54, 31, v53
	v_add_co_u32 v51, vcc_lo, s4, v55
	v_add_co_ci_u32_e32 v52, vcc_lo, s5, v56, vcc_lo
	v_lshlrev_b64 v[55:56], 2, v[57:58]
	v_add_nc_u32_e32 v57, s1, v59
	v_lshlrev_b64 v[53:54], 2, v[53:54]
	v_ashrrev_i32_e32 v60, 31, v59
	s_delay_alu instid0(VALU_DEP_3) | instskip(SKIP_1) | instid1(VALU_DEP_4)
	v_add_nc_u32_e32 v61, s1, v57
	v_ashrrev_i32_e32 v58, 31, v57
	v_add_co_u32 v53, vcc_lo, s4, v53
	s_delay_alu instid0(VALU_DEP_4) | instskip(NEXT) | instid1(VALU_DEP_4)
	v_lshlrev_b64 v[59:60], 2, v[59:60]
	v_add_nc_u32_e32 v65, s1, v61
	v_add_co_ci_u32_e32 v54, vcc_lo, s5, v54, vcc_lo
	v_add_co_u32 v55, vcc_lo, s4, v55
	v_lshlrev_b64 v[63:64], 2, v[57:58]
	v_add_co_ci_u32_e32 v56, vcc_lo, s5, v56, vcc_lo
	v_add_co_u32 v57, vcc_lo, s4, v59
	v_ashrrev_i32_e32 v66, 31, v65
	v_add_nc_u32_e32 v67, s1, v65
	v_add_co_ci_u32_e32 v58, vcc_lo, s5, v60, vcc_lo
	v_ashrrev_i32_e32 v62, 31, v61
	v_add_co_u32 v59, vcc_lo, s4, v63
	v_add_co_ci_u32_e32 v60, vcc_lo, s5, v64, vcc_lo
	v_lshlrev_b64 v[63:64], 2, v[65:66]
	v_add_nc_u32_e32 v65, s1, v67
	v_lshlrev_b64 v[61:62], 2, v[61:62]
	v_ashrrev_i32_e32 v68, 31, v67
	s_clause 0x7
	global_load_b32 v101, v[39:40], off
	global_load_b32 v102, v[41:42], off
	;; [unrolled: 1-line block ×8, first 2 shown]
	v_add_nc_u32_e32 v71, s1, v65
	v_ashrrev_i32_e32 v66, 31, v65
	v_add_co_u32 v61, vcc_lo, s4, v61
	v_lshlrev_b64 v[67:68], 2, v[67:68]
	s_delay_alu instid0(VALU_DEP_4)
	v_add_nc_u32_e32 v73, s1, v71
	v_add_co_ci_u32_e32 v62, vcc_lo, s5, v62, vcc_lo
	v_add_co_u32 v63, vcc_lo, s4, v63
	v_lshlrev_b64 v[69:70], 2, v[65:66]
	v_add_co_ci_u32_e32 v64, vcc_lo, s5, v64, vcc_lo
	v_add_co_u32 v65, vcc_lo, s4, v67
	v_ashrrev_i32_e32 v72, 31, v71
	v_ashrrev_i32_e32 v74, 31, v73
	v_add_nc_u32_e32 v75, s1, v73
	v_add_co_ci_u32_e32 v66, vcc_lo, s5, v68, vcc_lo
	v_add_co_u32 v67, vcc_lo, s4, v69
	v_add_co_ci_u32_e32 v68, vcc_lo, s5, v70, vcc_lo
	v_lshlrev_b64 v[69:70], 2, v[71:72]
	v_lshlrev_b64 v[71:72], 2, v[73:74]
	v_add_nc_u32_e32 v73, s1, v75
	v_ashrrev_i32_e32 v76, 31, v75
	s_delay_alu instid0(VALU_DEP_4) | instskip(NEXT) | instid1(VALU_DEP_3)
	v_add_co_u32 v69, vcc_lo, s4, v69
	v_ashrrev_i32_e32 v74, 31, v73
	v_add_nc_u32_e32 v77, s1, v73
	s_delay_alu instid0(VALU_DEP_4)
	v_lshlrev_b64 v[75:76], 2, v[75:76]
	v_add_co_ci_u32_e32 v70, vcc_lo, s5, v70, vcc_lo
	v_add_co_u32 v71, vcc_lo, s4, v71
	v_lshlrev_b64 v[79:80], 2, v[73:74]
	v_add_nc_u32_e32 v81, s1, v77
	v_add_co_ci_u32_e32 v72, vcc_lo, s5, v72, vcc_lo
	v_add_co_u32 v73, vcc_lo, s4, v75
	v_add_co_ci_u32_e32 v74, vcc_lo, s5, v76, vcc_lo
	v_add_co_u32 v75, vcc_lo, s4, v79
	v_add_nc_u32_e32 v79, s1, v81
	v_ashrrev_i32_e32 v78, 31, v77
	v_ashrrev_i32_e32 v82, 31, v81
	v_add_co_ci_u32_e32 v76, vcc_lo, s5, v80, vcc_lo
	s_delay_alu instid0(VALU_DEP_4) | instskip(NEXT) | instid1(VALU_DEP_4)
	v_add_nc_u32_e32 v83, s1, v79
	v_lshlrev_b64 v[77:78], 2, v[77:78]
	v_ashrrev_i32_e32 v80, 31, v79
	v_lshlrev_b64 v[81:82], 2, v[81:82]
	s_clause 0x7
	global_load_b32 v109, v[55:56], off
	global_load_b32 v110, v[57:58], off
	;; [unrolled: 1-line block ×8, first 2 shown]
	v_add_nc_u32_e32 v117, s1, v83
	v_ashrrev_i32_e32 v84, 31, v83
	v_add_co_u32 v77, vcc_lo, s4, v77
	v_lshlrev_b64 v[85:86], 2, v[79:80]
	v_add_co_ci_u32_e32 v78, vcc_lo, s5, v78, vcc_lo
	v_add_co_u32 v79, vcc_lo, s4, v81
	v_ashrrev_i32_e32 v118, 31, v117
	v_add_co_ci_u32_e32 v80, vcc_lo, s5, v82, vcc_lo
	v_lshlrev_b64 v[83:84], 2, v[83:84]
	v_add_co_u32 v81, vcc_lo, s4, v85
	v_add_co_ci_u32_e32 v82, vcc_lo, s5, v86, vcc_lo
	v_lshlrev_b64 v[85:86], 2, v[117:118]
	s_delay_alu instid0(VALU_DEP_4) | instskip(SKIP_2) | instid1(VALU_DEP_3)
	v_add_co_u32 v83, vcc_lo, s4, v83
	v_add_co_ci_u32_e32 v84, vcc_lo, s5, v84, vcc_lo
	s_mov_b32 s1, -1
	v_add_co_u32 v85, vcc_lo, s4, v85
	s_delay_alu instid0(VALU_DEP_4)
	v_add_co_ci_u32_e32 v86, vcc_lo, s5, v86, vcc_lo
	s_clause 0x7
	global_load_b32 v117, v[71:72], off
	global_load_b32 v118, v[73:74], off
	;; [unrolled: 1-line block ×8, first 2 shown]
	s_waitcnt vmcnt(37)
	scratch_store_b128 off, v[1:4], off
	s_waitcnt vmcnt(33)
	scratch_store_b128 off, v[88:91], off offset:16
	s_waitcnt vmcnt(29)
	scratch_store_b128 off, v[92:95], off offset:32
	;; [unrolled: 2-line block ×9, first 2 shown]
	s_waitcnt vmcnt(0)
	scratch_store_b32 off, v124, off offset:160
	s_cbranch_scc1 .LBB104_170
; %bb.4:
	v_cmp_eq_u32_e64 s0, 0, v0
	s_delay_alu instid0(VALU_DEP_1)
	s_and_saveexec_b32 s1, s0
	s_cbranch_execz .LBB104_6
; %bb.5:
	v_mov_b32_e32 v1, 0
	ds_store_b32 v1, v1 offset:164
.LBB104_6:
	s_or_b32 exec_lo, exec_lo, s1
	s_waitcnt lgkmcnt(0)
	s_waitcnt_vscnt null, 0x0
	s_barrier
	buffer_gl0_inv
	scratch_load_b32 v1, v87, off
	s_mov_b32 s4, exec_lo
	s_waitcnt vmcnt(0)
	v_cmpx_eq_f32_e32 0, v1
	s_cbranch_execz .LBB104_10
; %bb.7:
	v_mov_b32_e32 v1, 0
	s_mov_b32 s5, 0
	ds_load_b32 v2, v1 offset:164
	s_waitcnt lgkmcnt(0)
	v_readfirstlane_b32 s1, v2
	v_add_nc_u32_e32 v2, 1, v0
	s_delay_alu instid0(VALU_DEP_2) | instskip(NEXT) | instid1(VALU_DEP_1)
	s_cmp_eq_u32 s1, 0
	v_cmp_gt_i32_e32 vcc_lo, s1, v2
	s_cselect_b32 s10, -1, 0
	s_delay_alu instid0(SALU_CYCLE_1) | instskip(NEXT) | instid1(SALU_CYCLE_1)
	s_or_b32 s10, s10, vcc_lo
	s_and_b32 exec_lo, exec_lo, s10
	s_cbranch_execz .LBB104_10
; %bb.8:
	v_mov_b32_e32 v3, s1
.LBB104_9:                              ; =>This Inner Loop Header: Depth=1
	ds_cmpstore_rtn_b32 v3, v1, v2, v3 offset:164
	s_waitcnt lgkmcnt(0)
	v_cmp_ne_u32_e32 vcc_lo, 0, v3
	v_cmp_le_i32_e64 s1, v3, v2
	s_delay_alu instid0(VALU_DEP_1) | instskip(NEXT) | instid1(SALU_CYCLE_1)
	s_and_b32 s1, vcc_lo, s1
	s_and_b32 s1, exec_lo, s1
	s_delay_alu instid0(SALU_CYCLE_1) | instskip(NEXT) | instid1(SALU_CYCLE_1)
	s_or_b32 s5, s1, s5
	s_and_not1_b32 exec_lo, exec_lo, s5
	s_cbranch_execnz .LBB104_9
.LBB104_10:
	s_or_b32 exec_lo, exec_lo, s4
	v_mov_b32_e32 v1, 0
	s_barrier
	buffer_gl0_inv
	ds_load_b32 v2, v1 offset:164
	s_and_saveexec_b32 s1, s0
	s_cbranch_execz .LBB104_12
; %bb.11:
	s_lshl_b64 s[4:5], s[8:9], 2
	s_delay_alu instid0(SALU_CYCLE_1)
	s_add_u32 s4, s6, s4
	s_addc_u32 s5, s7, s5
	s_waitcnt lgkmcnt(0)
	global_store_b32 v1, v2, s[4:5]
.LBB104_12:
	s_or_b32 exec_lo, exec_lo, s1
	s_waitcnt lgkmcnt(0)
	v_cmp_ne_u32_e32 vcc_lo, 0, v2
	s_mov_b32 s1, 0
	s_cbranch_vccnz .LBB104_170
; %bb.13:
	v_add_nc_u32_e32 v1, 0, v87
	scratch_load_b32 v2, v1, off
	s_waitcnt vmcnt(0)
	v_div_scale_f32 v3, null, v2, v2, 1.0
	v_div_scale_f32 v89, vcc_lo, 1.0, v2, 1.0
	s_delay_alu instid0(VALU_DEP_2) | instskip(SKIP_2) | instid1(VALU_DEP_1)
	v_rcp_f32_e32 v4, v3
	s_waitcnt_depctr 0xfff
	v_fma_f32 v88, -v3, v4, 1.0
	v_fmac_f32_e32 v4, v88, v4
	s_delay_alu instid0(VALU_DEP_1) | instskip(NEXT) | instid1(VALU_DEP_1)
	v_mul_f32_e32 v88, v89, v4
	v_fma_f32 v90, -v3, v88, v89
	s_delay_alu instid0(VALU_DEP_1) | instskip(NEXT) | instid1(VALU_DEP_1)
	v_fmac_f32_e32 v88, v90, v4
	v_fma_f32 v3, -v3, v88, v89
	s_delay_alu instid0(VALU_DEP_1) | instskip(NEXT) | instid1(VALU_DEP_1)
	v_div_fmas_f32 v3, v3, v4, v88
	v_div_fixup_f32 v2, v3, v2, 1.0
	scratch_store_b32 v1, v2, off
	scratch_load_b32 v3, off, off offset:4
	v_xor_b32_e32 v4, 0x80000000, v2
	v_add_nc_u32_e32 v2, 0xb0, v87
	s_waitcnt vmcnt(0)
	ds_store_2addr_b32 v87, v4, v3 offset1:44
	s_waitcnt lgkmcnt(0)
	s_waitcnt_vscnt null, 0x0
	s_barrier
	buffer_gl0_inv
	s_and_saveexec_b32 s1, s0
	s_cbranch_execz .LBB104_15
; %bb.14:
	scratch_load_b32 v3, v1, off
	ds_load_b32 v4, v2
	v_mov_b32_e32 v88, 0
	ds_load_b32 v88, v88 offset:4
	s_waitcnt vmcnt(0) lgkmcnt(1)
	v_fma_f32 v3, v3, v4, 0
	s_waitcnt lgkmcnt(0)
	s_delay_alu instid0(VALU_DEP_1)
	v_mul_f32_e32 v3, v3, v88
	scratch_store_b32 off, v3, off offset:4
.LBB104_15:
	s_or_b32 exec_lo, exec_lo, s1
	s_waitcnt_vscnt null, 0x0
	s_barrier
	buffer_gl0_inv
	scratch_load_b32 v3, off, off offset:8
	s_mov_b32 s1, exec_lo
	s_waitcnt vmcnt(0)
	ds_store_b32 v2, v3
	s_waitcnt lgkmcnt(0)
	s_barrier
	buffer_gl0_inv
	v_cmpx_gt_u32_e32 2, v0
	s_cbranch_execz .LBB104_17
; %bb.16:
	scratch_load_b32 v88, v1, off
	scratch_load_b32 v89, off, off offset:4
	ds_load_b32 v90, v2
	v_mov_b32_e32 v3, 0
	ds_load_2addr_b32 v[3:4], v3 offset0:2 offset1:45
	s_waitcnt vmcnt(1) lgkmcnt(1)
	v_fma_f32 v88, v88, v90, 0
	s_waitcnt vmcnt(0) lgkmcnt(0)
	s_delay_alu instid0(VALU_DEP_1) | instskip(NEXT) | instid1(VALU_DEP_1)
	v_fma_f32 v4, v89, v4, v88
	v_cndmask_b32_e64 v4, v88, v4, s0
	s_delay_alu instid0(VALU_DEP_1)
	v_mul_f32_e32 v3, v4, v3
	scratch_store_b32 off, v3, off offset:8
.LBB104_17:
	s_or_b32 exec_lo, exec_lo, s1
	s_waitcnt_vscnt null, 0x0
	s_barrier
	buffer_gl0_inv
	scratch_load_b32 v4, off, off offset:12
	v_add_nc_u32_e32 v3, -1, v0
	s_mov_b32 s0, exec_lo
	s_waitcnt vmcnt(0)
	ds_store_b32 v2, v4
	s_waitcnt lgkmcnt(0)
	s_barrier
	buffer_gl0_inv
	v_cmpx_gt_u32_e32 3, v0
	s_cbranch_execz .LBB104_21
; %bb.18:
	v_add_nc_u32_e32 v88, -1, v0
	v_dual_mov_b32 v4, 0 :: v_dual_add_nc_u32 v89, 0xb0, v87
	v_add_nc_u32_e32 v90, 0, v87
	s_mov_b32 s1, 0
.LBB104_19:                             ; =>This Inner Loop Header: Depth=1
	scratch_load_b32 v91, v90, off
	ds_load_b32 v92, v89
	v_add_nc_u32_e32 v88, 1, v88
	v_add_nc_u32_e32 v89, 4, v89
	v_add_nc_u32_e32 v90, 4, v90
	s_delay_alu instid0(VALU_DEP_3)
	v_cmp_lt_u32_e32 vcc_lo, 1, v88
	s_or_b32 s1, vcc_lo, s1
	s_waitcnt vmcnt(0) lgkmcnt(0)
	v_fmac_f32_e32 v4, v91, v92
	s_and_not1_b32 exec_lo, exec_lo, s1
	s_cbranch_execnz .LBB104_19
; %bb.20:
	s_or_b32 exec_lo, exec_lo, s1
	v_mov_b32_e32 v88, 0
	ds_load_b32 v88, v88 offset:12
	s_waitcnt lgkmcnt(0)
	v_mul_f32_e32 v4, v4, v88
	scratch_store_b32 off, v4, off offset:12
.LBB104_21:
	s_or_b32 exec_lo, exec_lo, s0
	s_waitcnt_vscnt null, 0x0
	s_barrier
	buffer_gl0_inv
	scratch_load_b32 v4, off, off offset:16
	s_mov_b32 s0, exec_lo
	s_waitcnt vmcnt(0)
	ds_store_b32 v2, v4
	s_waitcnt lgkmcnt(0)
	s_barrier
	buffer_gl0_inv
	v_cmpx_gt_u32_e32 4, v0
	s_cbranch_execz .LBB104_25
; %bb.22:
	v_add_nc_u32_e32 v88, -1, v0
	v_dual_mov_b32 v4, 0 :: v_dual_add_nc_u32 v89, 0xb0, v87
	v_add_nc_u32_e32 v90, 0, v87
	s_mov_b32 s1, 0
.LBB104_23:                             ; =>This Inner Loop Header: Depth=1
	scratch_load_b32 v91, v90, off
	ds_load_b32 v92, v89
	v_add_nc_u32_e32 v88, 1, v88
	v_add_nc_u32_e32 v89, 4, v89
	v_add_nc_u32_e32 v90, 4, v90
	s_delay_alu instid0(VALU_DEP_3)
	v_cmp_lt_u32_e32 vcc_lo, 2, v88
	s_or_b32 s1, vcc_lo, s1
	s_waitcnt vmcnt(0) lgkmcnt(0)
	v_fmac_f32_e32 v4, v91, v92
	s_and_not1_b32 exec_lo, exec_lo, s1
	s_cbranch_execnz .LBB104_23
; %bb.24:
	s_or_b32 exec_lo, exec_lo, s1
	v_mov_b32_e32 v88, 0
	ds_load_b32 v88, v88 offset:16
	s_waitcnt lgkmcnt(0)
	v_mul_f32_e32 v4, v4, v88
	scratch_store_b32 off, v4, off offset:16
.LBB104_25:
	s_or_b32 exec_lo, exec_lo, s0
	s_waitcnt_vscnt null, 0x0
	s_barrier
	buffer_gl0_inv
	scratch_load_b32 v4, off, off offset:20
	s_mov_b32 s0, exec_lo
	s_waitcnt vmcnt(0)
	ds_store_b32 v2, v4
	s_waitcnt lgkmcnt(0)
	s_barrier
	buffer_gl0_inv
	v_cmpx_gt_u32_e32 5, v0
	s_cbranch_execz .LBB104_29
; %bb.26:
	v_add_nc_u32_e32 v88, -1, v0
	v_dual_mov_b32 v4, 0 :: v_dual_add_nc_u32 v89, 0xb0, v87
	v_add_nc_u32_e32 v90, 0, v87
	s_mov_b32 s1, 0
.LBB104_27:                             ; =>This Inner Loop Header: Depth=1
	scratch_load_b32 v91, v90, off
	ds_load_b32 v92, v89
	v_add_nc_u32_e32 v88, 1, v88
	v_add_nc_u32_e32 v89, 4, v89
	v_add_nc_u32_e32 v90, 4, v90
	s_delay_alu instid0(VALU_DEP_3)
	v_cmp_lt_u32_e32 vcc_lo, 3, v88
	s_or_b32 s1, vcc_lo, s1
	s_waitcnt vmcnt(0) lgkmcnt(0)
	v_fmac_f32_e32 v4, v91, v92
	s_and_not1_b32 exec_lo, exec_lo, s1
	s_cbranch_execnz .LBB104_27
; %bb.28:
	s_or_b32 exec_lo, exec_lo, s1
	v_mov_b32_e32 v88, 0
	ds_load_b32 v88, v88 offset:20
	s_waitcnt lgkmcnt(0)
	v_mul_f32_e32 v4, v4, v88
	scratch_store_b32 off, v4, off offset:20
.LBB104_29:
	s_or_b32 exec_lo, exec_lo, s0
	s_waitcnt_vscnt null, 0x0
	s_barrier
	buffer_gl0_inv
	scratch_load_b32 v4, off, off offset:24
	s_mov_b32 s0, exec_lo
	s_waitcnt vmcnt(0)
	ds_store_b32 v2, v4
	s_waitcnt lgkmcnt(0)
	s_barrier
	buffer_gl0_inv
	v_cmpx_gt_u32_e32 6, v0
	s_cbranch_execz .LBB104_33
; %bb.30:
	v_add_nc_u32_e32 v88, -1, v0
	v_dual_mov_b32 v4, 0 :: v_dual_add_nc_u32 v89, 0xb0, v87
	v_add_nc_u32_e32 v90, 0, v87
	s_mov_b32 s1, 0
.LBB104_31:                             ; =>This Inner Loop Header: Depth=1
	scratch_load_b32 v91, v90, off
	ds_load_b32 v92, v89
	v_add_nc_u32_e32 v88, 1, v88
	v_add_nc_u32_e32 v89, 4, v89
	v_add_nc_u32_e32 v90, 4, v90
	s_delay_alu instid0(VALU_DEP_3)
	v_cmp_lt_u32_e32 vcc_lo, 4, v88
	s_or_b32 s1, vcc_lo, s1
	s_waitcnt vmcnt(0) lgkmcnt(0)
	v_fmac_f32_e32 v4, v91, v92
	s_and_not1_b32 exec_lo, exec_lo, s1
	s_cbranch_execnz .LBB104_31
; %bb.32:
	s_or_b32 exec_lo, exec_lo, s1
	v_mov_b32_e32 v88, 0
	ds_load_b32 v88, v88 offset:24
	s_waitcnt lgkmcnt(0)
	v_mul_f32_e32 v4, v4, v88
	scratch_store_b32 off, v4, off offset:24
.LBB104_33:
	s_or_b32 exec_lo, exec_lo, s0
	s_waitcnt_vscnt null, 0x0
	s_barrier
	buffer_gl0_inv
	scratch_load_b32 v4, off, off offset:28
	s_mov_b32 s0, exec_lo
	s_waitcnt vmcnt(0)
	ds_store_b32 v2, v4
	s_waitcnt lgkmcnt(0)
	s_barrier
	buffer_gl0_inv
	v_cmpx_gt_u32_e32 7, v0
	s_cbranch_execz .LBB104_37
; %bb.34:
	v_add_nc_u32_e32 v88, -1, v0
	v_dual_mov_b32 v4, 0 :: v_dual_add_nc_u32 v89, 0xb0, v87
	v_add_nc_u32_e32 v90, 0, v87
	s_mov_b32 s1, 0
.LBB104_35:                             ; =>This Inner Loop Header: Depth=1
	scratch_load_b32 v91, v90, off
	ds_load_b32 v92, v89
	v_add_nc_u32_e32 v88, 1, v88
	v_add_nc_u32_e32 v89, 4, v89
	v_add_nc_u32_e32 v90, 4, v90
	s_delay_alu instid0(VALU_DEP_3)
	v_cmp_lt_u32_e32 vcc_lo, 5, v88
	s_or_b32 s1, vcc_lo, s1
	s_waitcnt vmcnt(0) lgkmcnt(0)
	v_fmac_f32_e32 v4, v91, v92
	s_and_not1_b32 exec_lo, exec_lo, s1
	s_cbranch_execnz .LBB104_35
; %bb.36:
	s_or_b32 exec_lo, exec_lo, s1
	v_mov_b32_e32 v88, 0
	ds_load_b32 v88, v88 offset:28
	s_waitcnt lgkmcnt(0)
	v_mul_f32_e32 v4, v4, v88
	scratch_store_b32 off, v4, off offset:28
.LBB104_37:
	s_or_b32 exec_lo, exec_lo, s0
	s_waitcnt_vscnt null, 0x0
	s_barrier
	buffer_gl0_inv
	scratch_load_b32 v4, off, off offset:32
	s_mov_b32 s0, exec_lo
	s_waitcnt vmcnt(0)
	ds_store_b32 v2, v4
	s_waitcnt lgkmcnt(0)
	s_barrier
	buffer_gl0_inv
	v_cmpx_gt_u32_e32 8, v0
	s_cbranch_execz .LBB104_41
; %bb.38:
	v_add_nc_u32_e32 v88, -1, v0
	v_dual_mov_b32 v4, 0 :: v_dual_add_nc_u32 v89, 0xb0, v87
	v_add_nc_u32_e32 v90, 0, v87
	s_mov_b32 s1, 0
.LBB104_39:                             ; =>This Inner Loop Header: Depth=1
	scratch_load_b32 v91, v90, off
	ds_load_b32 v92, v89
	v_add_nc_u32_e32 v88, 1, v88
	v_add_nc_u32_e32 v89, 4, v89
	v_add_nc_u32_e32 v90, 4, v90
	s_delay_alu instid0(VALU_DEP_3)
	v_cmp_lt_u32_e32 vcc_lo, 6, v88
	s_or_b32 s1, vcc_lo, s1
	s_waitcnt vmcnt(0) lgkmcnt(0)
	v_fmac_f32_e32 v4, v91, v92
	s_and_not1_b32 exec_lo, exec_lo, s1
	s_cbranch_execnz .LBB104_39
; %bb.40:
	s_or_b32 exec_lo, exec_lo, s1
	v_mov_b32_e32 v88, 0
	ds_load_b32 v88, v88 offset:32
	s_waitcnt lgkmcnt(0)
	v_mul_f32_e32 v4, v4, v88
	scratch_store_b32 off, v4, off offset:32
.LBB104_41:
	s_or_b32 exec_lo, exec_lo, s0
	s_waitcnt_vscnt null, 0x0
	s_barrier
	buffer_gl0_inv
	scratch_load_b32 v4, off, off offset:36
	s_mov_b32 s0, exec_lo
	s_waitcnt vmcnt(0)
	ds_store_b32 v2, v4
	s_waitcnt lgkmcnt(0)
	s_barrier
	buffer_gl0_inv
	v_cmpx_gt_u32_e32 9, v0
	s_cbranch_execz .LBB104_45
; %bb.42:
	v_add_nc_u32_e32 v88, -1, v0
	v_dual_mov_b32 v4, 0 :: v_dual_add_nc_u32 v89, 0xb0, v87
	v_add_nc_u32_e32 v90, 0, v87
	s_mov_b32 s1, 0
.LBB104_43:                             ; =>This Inner Loop Header: Depth=1
	scratch_load_b32 v91, v90, off
	ds_load_b32 v92, v89
	v_add_nc_u32_e32 v88, 1, v88
	v_add_nc_u32_e32 v89, 4, v89
	v_add_nc_u32_e32 v90, 4, v90
	s_delay_alu instid0(VALU_DEP_3)
	v_cmp_lt_u32_e32 vcc_lo, 7, v88
	s_or_b32 s1, vcc_lo, s1
	s_waitcnt vmcnt(0) lgkmcnt(0)
	v_fmac_f32_e32 v4, v91, v92
	s_and_not1_b32 exec_lo, exec_lo, s1
	s_cbranch_execnz .LBB104_43
; %bb.44:
	s_or_b32 exec_lo, exec_lo, s1
	v_mov_b32_e32 v88, 0
	ds_load_b32 v88, v88 offset:36
	s_waitcnt lgkmcnt(0)
	v_mul_f32_e32 v4, v4, v88
	scratch_store_b32 off, v4, off offset:36
.LBB104_45:
	s_or_b32 exec_lo, exec_lo, s0
	s_waitcnt_vscnt null, 0x0
	s_barrier
	buffer_gl0_inv
	scratch_load_b32 v4, off, off offset:40
	s_mov_b32 s0, exec_lo
	s_waitcnt vmcnt(0)
	ds_store_b32 v2, v4
	s_waitcnt lgkmcnt(0)
	s_barrier
	buffer_gl0_inv
	v_cmpx_gt_u32_e32 10, v0
	s_cbranch_execz .LBB104_49
; %bb.46:
	v_add_nc_u32_e32 v88, -1, v0
	v_dual_mov_b32 v4, 0 :: v_dual_add_nc_u32 v89, 0xb0, v87
	v_add_nc_u32_e32 v90, 0, v87
	s_mov_b32 s1, 0
.LBB104_47:                             ; =>This Inner Loop Header: Depth=1
	scratch_load_b32 v91, v90, off
	ds_load_b32 v92, v89
	v_add_nc_u32_e32 v88, 1, v88
	v_add_nc_u32_e32 v89, 4, v89
	v_add_nc_u32_e32 v90, 4, v90
	s_delay_alu instid0(VALU_DEP_3)
	v_cmp_lt_u32_e32 vcc_lo, 8, v88
	s_or_b32 s1, vcc_lo, s1
	s_waitcnt vmcnt(0) lgkmcnt(0)
	v_fmac_f32_e32 v4, v91, v92
	s_and_not1_b32 exec_lo, exec_lo, s1
	s_cbranch_execnz .LBB104_47
; %bb.48:
	s_or_b32 exec_lo, exec_lo, s1
	v_mov_b32_e32 v88, 0
	ds_load_b32 v88, v88 offset:40
	s_waitcnt lgkmcnt(0)
	v_mul_f32_e32 v4, v4, v88
	scratch_store_b32 off, v4, off offset:40
.LBB104_49:
	s_or_b32 exec_lo, exec_lo, s0
	s_waitcnt_vscnt null, 0x0
	s_barrier
	buffer_gl0_inv
	scratch_load_b32 v4, off, off offset:44
	s_mov_b32 s0, exec_lo
	s_waitcnt vmcnt(0)
	ds_store_b32 v2, v4
	s_waitcnt lgkmcnt(0)
	s_barrier
	buffer_gl0_inv
	v_cmpx_gt_u32_e32 11, v0
	s_cbranch_execz .LBB104_53
; %bb.50:
	v_add_nc_u32_e32 v88, -1, v0
	v_dual_mov_b32 v4, 0 :: v_dual_add_nc_u32 v89, 0xb0, v87
	v_add_nc_u32_e32 v90, 0, v87
	s_mov_b32 s1, 0
.LBB104_51:                             ; =>This Inner Loop Header: Depth=1
	scratch_load_b32 v91, v90, off
	ds_load_b32 v92, v89
	v_add_nc_u32_e32 v88, 1, v88
	v_add_nc_u32_e32 v89, 4, v89
	v_add_nc_u32_e32 v90, 4, v90
	s_delay_alu instid0(VALU_DEP_3)
	v_cmp_lt_u32_e32 vcc_lo, 9, v88
	s_or_b32 s1, vcc_lo, s1
	s_waitcnt vmcnt(0) lgkmcnt(0)
	v_fmac_f32_e32 v4, v91, v92
	s_and_not1_b32 exec_lo, exec_lo, s1
	s_cbranch_execnz .LBB104_51
; %bb.52:
	s_or_b32 exec_lo, exec_lo, s1
	v_mov_b32_e32 v88, 0
	ds_load_b32 v88, v88 offset:44
	s_waitcnt lgkmcnt(0)
	v_mul_f32_e32 v4, v4, v88
	scratch_store_b32 off, v4, off offset:44
.LBB104_53:
	s_or_b32 exec_lo, exec_lo, s0
	s_waitcnt_vscnt null, 0x0
	s_barrier
	buffer_gl0_inv
	scratch_load_b32 v4, off, off offset:48
	s_mov_b32 s0, exec_lo
	s_waitcnt vmcnt(0)
	ds_store_b32 v2, v4
	s_waitcnt lgkmcnt(0)
	s_barrier
	buffer_gl0_inv
	v_cmpx_gt_u32_e32 12, v0
	s_cbranch_execz .LBB104_57
; %bb.54:
	v_add_nc_u32_e32 v88, -1, v0
	v_dual_mov_b32 v4, 0 :: v_dual_add_nc_u32 v89, 0xb0, v87
	v_add_nc_u32_e32 v90, 0, v87
	s_mov_b32 s1, 0
.LBB104_55:                             ; =>This Inner Loop Header: Depth=1
	scratch_load_b32 v91, v90, off
	ds_load_b32 v92, v89
	v_add_nc_u32_e32 v88, 1, v88
	v_add_nc_u32_e32 v89, 4, v89
	v_add_nc_u32_e32 v90, 4, v90
	s_delay_alu instid0(VALU_DEP_3)
	v_cmp_lt_u32_e32 vcc_lo, 10, v88
	s_or_b32 s1, vcc_lo, s1
	s_waitcnt vmcnt(0) lgkmcnt(0)
	v_fmac_f32_e32 v4, v91, v92
	s_and_not1_b32 exec_lo, exec_lo, s1
	s_cbranch_execnz .LBB104_55
; %bb.56:
	s_or_b32 exec_lo, exec_lo, s1
	v_mov_b32_e32 v88, 0
	ds_load_b32 v88, v88 offset:48
	s_waitcnt lgkmcnt(0)
	v_mul_f32_e32 v4, v4, v88
	scratch_store_b32 off, v4, off offset:48
.LBB104_57:
	s_or_b32 exec_lo, exec_lo, s0
	s_waitcnt_vscnt null, 0x0
	s_barrier
	buffer_gl0_inv
	scratch_load_b32 v4, off, off offset:52
	s_mov_b32 s0, exec_lo
	s_waitcnt vmcnt(0)
	ds_store_b32 v2, v4
	s_waitcnt lgkmcnt(0)
	s_barrier
	buffer_gl0_inv
	v_cmpx_gt_u32_e32 13, v0
	s_cbranch_execz .LBB104_61
; %bb.58:
	v_add_nc_u32_e32 v88, -1, v0
	v_dual_mov_b32 v4, 0 :: v_dual_add_nc_u32 v89, 0xb0, v87
	v_add_nc_u32_e32 v90, 0, v87
	s_mov_b32 s1, 0
.LBB104_59:                             ; =>This Inner Loop Header: Depth=1
	scratch_load_b32 v91, v90, off
	ds_load_b32 v92, v89
	v_add_nc_u32_e32 v88, 1, v88
	v_add_nc_u32_e32 v89, 4, v89
	v_add_nc_u32_e32 v90, 4, v90
	s_delay_alu instid0(VALU_DEP_3)
	v_cmp_lt_u32_e32 vcc_lo, 11, v88
	s_or_b32 s1, vcc_lo, s1
	s_waitcnt vmcnt(0) lgkmcnt(0)
	v_fmac_f32_e32 v4, v91, v92
	s_and_not1_b32 exec_lo, exec_lo, s1
	s_cbranch_execnz .LBB104_59
; %bb.60:
	s_or_b32 exec_lo, exec_lo, s1
	v_mov_b32_e32 v88, 0
	ds_load_b32 v88, v88 offset:52
	s_waitcnt lgkmcnt(0)
	v_mul_f32_e32 v4, v4, v88
	scratch_store_b32 off, v4, off offset:52
.LBB104_61:
	s_or_b32 exec_lo, exec_lo, s0
	s_waitcnt_vscnt null, 0x0
	s_barrier
	buffer_gl0_inv
	scratch_load_b32 v4, off, off offset:56
	s_mov_b32 s0, exec_lo
	s_waitcnt vmcnt(0)
	ds_store_b32 v2, v4
	s_waitcnt lgkmcnt(0)
	s_barrier
	buffer_gl0_inv
	v_cmpx_gt_u32_e32 14, v0
	s_cbranch_execz .LBB104_65
; %bb.62:
	v_add_nc_u32_e32 v88, -1, v0
	v_dual_mov_b32 v4, 0 :: v_dual_add_nc_u32 v89, 0xb0, v87
	v_add_nc_u32_e32 v90, 0, v87
	s_mov_b32 s1, 0
.LBB104_63:                             ; =>This Inner Loop Header: Depth=1
	scratch_load_b32 v91, v90, off
	ds_load_b32 v92, v89
	v_add_nc_u32_e32 v88, 1, v88
	v_add_nc_u32_e32 v89, 4, v89
	v_add_nc_u32_e32 v90, 4, v90
	s_delay_alu instid0(VALU_DEP_3)
	v_cmp_lt_u32_e32 vcc_lo, 12, v88
	s_or_b32 s1, vcc_lo, s1
	s_waitcnt vmcnt(0) lgkmcnt(0)
	v_fmac_f32_e32 v4, v91, v92
	s_and_not1_b32 exec_lo, exec_lo, s1
	s_cbranch_execnz .LBB104_63
; %bb.64:
	s_or_b32 exec_lo, exec_lo, s1
	v_mov_b32_e32 v88, 0
	ds_load_b32 v88, v88 offset:56
	s_waitcnt lgkmcnt(0)
	v_mul_f32_e32 v4, v4, v88
	scratch_store_b32 off, v4, off offset:56
.LBB104_65:
	s_or_b32 exec_lo, exec_lo, s0
	s_waitcnt_vscnt null, 0x0
	s_barrier
	buffer_gl0_inv
	scratch_load_b32 v4, off, off offset:60
	s_mov_b32 s0, exec_lo
	s_waitcnt vmcnt(0)
	ds_store_b32 v2, v4
	s_waitcnt lgkmcnt(0)
	s_barrier
	buffer_gl0_inv
	v_cmpx_gt_u32_e32 15, v0
	s_cbranch_execz .LBB104_69
; %bb.66:
	v_add_nc_u32_e32 v88, -1, v0
	v_dual_mov_b32 v4, 0 :: v_dual_add_nc_u32 v89, 0xb0, v87
	v_add_nc_u32_e32 v90, 0, v87
	s_mov_b32 s1, 0
.LBB104_67:                             ; =>This Inner Loop Header: Depth=1
	scratch_load_b32 v91, v90, off
	ds_load_b32 v92, v89
	v_add_nc_u32_e32 v88, 1, v88
	v_add_nc_u32_e32 v89, 4, v89
	v_add_nc_u32_e32 v90, 4, v90
	s_delay_alu instid0(VALU_DEP_3)
	v_cmp_lt_u32_e32 vcc_lo, 13, v88
	s_or_b32 s1, vcc_lo, s1
	s_waitcnt vmcnt(0) lgkmcnt(0)
	v_fmac_f32_e32 v4, v91, v92
	s_and_not1_b32 exec_lo, exec_lo, s1
	s_cbranch_execnz .LBB104_67
; %bb.68:
	s_or_b32 exec_lo, exec_lo, s1
	v_mov_b32_e32 v88, 0
	ds_load_b32 v88, v88 offset:60
	s_waitcnt lgkmcnt(0)
	v_mul_f32_e32 v4, v4, v88
	scratch_store_b32 off, v4, off offset:60
.LBB104_69:
	s_or_b32 exec_lo, exec_lo, s0
	s_waitcnt_vscnt null, 0x0
	s_barrier
	buffer_gl0_inv
	scratch_load_b32 v4, off, off offset:64
	s_mov_b32 s0, exec_lo
	s_waitcnt vmcnt(0)
	ds_store_b32 v2, v4
	s_waitcnt lgkmcnt(0)
	s_barrier
	buffer_gl0_inv
	v_cmpx_gt_u32_e32 16, v0
	s_cbranch_execz .LBB104_73
; %bb.70:
	v_add_nc_u32_e32 v88, -1, v0
	v_dual_mov_b32 v4, 0 :: v_dual_add_nc_u32 v89, 0xb0, v87
	v_add_nc_u32_e32 v90, 0, v87
	s_mov_b32 s1, 0
.LBB104_71:                             ; =>This Inner Loop Header: Depth=1
	scratch_load_b32 v91, v90, off
	ds_load_b32 v92, v89
	v_add_nc_u32_e32 v88, 1, v88
	v_add_nc_u32_e32 v89, 4, v89
	v_add_nc_u32_e32 v90, 4, v90
	s_delay_alu instid0(VALU_DEP_3)
	v_cmp_lt_u32_e32 vcc_lo, 14, v88
	s_or_b32 s1, vcc_lo, s1
	s_waitcnt vmcnt(0) lgkmcnt(0)
	v_fmac_f32_e32 v4, v91, v92
	s_and_not1_b32 exec_lo, exec_lo, s1
	s_cbranch_execnz .LBB104_71
; %bb.72:
	s_or_b32 exec_lo, exec_lo, s1
	v_mov_b32_e32 v88, 0
	ds_load_b32 v88, v88 offset:64
	s_waitcnt lgkmcnt(0)
	v_mul_f32_e32 v4, v4, v88
	scratch_store_b32 off, v4, off offset:64
.LBB104_73:
	s_or_b32 exec_lo, exec_lo, s0
	s_waitcnt_vscnt null, 0x0
	s_barrier
	buffer_gl0_inv
	scratch_load_b32 v4, off, off offset:68
	s_mov_b32 s0, exec_lo
	s_waitcnt vmcnt(0)
	ds_store_b32 v2, v4
	s_waitcnt lgkmcnt(0)
	s_barrier
	buffer_gl0_inv
	v_cmpx_gt_u32_e32 17, v0
	s_cbranch_execz .LBB104_77
; %bb.74:
	v_add_nc_u32_e32 v88, -1, v0
	v_dual_mov_b32 v4, 0 :: v_dual_add_nc_u32 v89, 0xb0, v87
	v_add_nc_u32_e32 v90, 0, v87
	s_mov_b32 s1, 0
.LBB104_75:                             ; =>This Inner Loop Header: Depth=1
	scratch_load_b32 v91, v90, off
	ds_load_b32 v92, v89
	v_add_nc_u32_e32 v88, 1, v88
	v_add_nc_u32_e32 v89, 4, v89
	v_add_nc_u32_e32 v90, 4, v90
	s_delay_alu instid0(VALU_DEP_3)
	v_cmp_lt_u32_e32 vcc_lo, 15, v88
	s_or_b32 s1, vcc_lo, s1
	s_waitcnt vmcnt(0) lgkmcnt(0)
	v_fmac_f32_e32 v4, v91, v92
	s_and_not1_b32 exec_lo, exec_lo, s1
	s_cbranch_execnz .LBB104_75
; %bb.76:
	s_or_b32 exec_lo, exec_lo, s1
	v_mov_b32_e32 v88, 0
	ds_load_b32 v88, v88 offset:68
	s_waitcnt lgkmcnt(0)
	v_mul_f32_e32 v4, v4, v88
	scratch_store_b32 off, v4, off offset:68
.LBB104_77:
	s_or_b32 exec_lo, exec_lo, s0
	s_waitcnt_vscnt null, 0x0
	s_barrier
	buffer_gl0_inv
	scratch_load_b32 v4, off, off offset:72
	s_mov_b32 s0, exec_lo
	s_waitcnt vmcnt(0)
	ds_store_b32 v2, v4
	s_waitcnt lgkmcnt(0)
	s_barrier
	buffer_gl0_inv
	v_cmpx_gt_u32_e32 18, v0
	s_cbranch_execz .LBB104_81
; %bb.78:
	v_add_nc_u32_e32 v88, -1, v0
	v_dual_mov_b32 v4, 0 :: v_dual_add_nc_u32 v89, 0xb0, v87
	v_add_nc_u32_e32 v90, 0, v87
	s_mov_b32 s1, 0
.LBB104_79:                             ; =>This Inner Loop Header: Depth=1
	scratch_load_b32 v91, v90, off
	ds_load_b32 v92, v89
	v_add_nc_u32_e32 v88, 1, v88
	v_add_nc_u32_e32 v89, 4, v89
	v_add_nc_u32_e32 v90, 4, v90
	s_delay_alu instid0(VALU_DEP_3)
	v_cmp_lt_u32_e32 vcc_lo, 16, v88
	s_or_b32 s1, vcc_lo, s1
	s_waitcnt vmcnt(0) lgkmcnt(0)
	v_fmac_f32_e32 v4, v91, v92
	s_and_not1_b32 exec_lo, exec_lo, s1
	s_cbranch_execnz .LBB104_79
; %bb.80:
	s_or_b32 exec_lo, exec_lo, s1
	v_mov_b32_e32 v88, 0
	ds_load_b32 v88, v88 offset:72
	s_waitcnt lgkmcnt(0)
	v_mul_f32_e32 v4, v4, v88
	scratch_store_b32 off, v4, off offset:72
.LBB104_81:
	s_or_b32 exec_lo, exec_lo, s0
	s_waitcnt_vscnt null, 0x0
	s_barrier
	buffer_gl0_inv
	scratch_load_b32 v4, off, off offset:76
	s_mov_b32 s0, exec_lo
	s_waitcnt vmcnt(0)
	ds_store_b32 v2, v4
	s_waitcnt lgkmcnt(0)
	s_barrier
	buffer_gl0_inv
	v_cmpx_gt_u32_e32 19, v0
	s_cbranch_execz .LBB104_85
; %bb.82:
	v_add_nc_u32_e32 v88, -1, v0
	v_dual_mov_b32 v4, 0 :: v_dual_add_nc_u32 v89, 0xb0, v87
	v_add_nc_u32_e32 v90, 0, v87
	s_mov_b32 s1, 0
.LBB104_83:                             ; =>This Inner Loop Header: Depth=1
	scratch_load_b32 v91, v90, off
	ds_load_b32 v92, v89
	v_add_nc_u32_e32 v88, 1, v88
	v_add_nc_u32_e32 v89, 4, v89
	v_add_nc_u32_e32 v90, 4, v90
	s_delay_alu instid0(VALU_DEP_3)
	v_cmp_lt_u32_e32 vcc_lo, 17, v88
	s_or_b32 s1, vcc_lo, s1
	s_waitcnt vmcnt(0) lgkmcnt(0)
	v_fmac_f32_e32 v4, v91, v92
	s_and_not1_b32 exec_lo, exec_lo, s1
	s_cbranch_execnz .LBB104_83
; %bb.84:
	s_or_b32 exec_lo, exec_lo, s1
	v_mov_b32_e32 v88, 0
	ds_load_b32 v88, v88 offset:76
	s_waitcnt lgkmcnt(0)
	v_mul_f32_e32 v4, v4, v88
	scratch_store_b32 off, v4, off offset:76
.LBB104_85:
	s_or_b32 exec_lo, exec_lo, s0
	s_waitcnt_vscnt null, 0x0
	s_barrier
	buffer_gl0_inv
	scratch_load_b32 v4, off, off offset:80
	s_mov_b32 s0, exec_lo
	s_waitcnt vmcnt(0)
	ds_store_b32 v2, v4
	s_waitcnt lgkmcnt(0)
	s_barrier
	buffer_gl0_inv
	v_cmpx_gt_u32_e32 20, v0
	s_cbranch_execz .LBB104_89
; %bb.86:
	v_add_nc_u32_e32 v88, -1, v0
	v_dual_mov_b32 v4, 0 :: v_dual_add_nc_u32 v89, 0xb0, v87
	v_add_nc_u32_e32 v90, 0, v87
	s_mov_b32 s1, 0
.LBB104_87:                             ; =>This Inner Loop Header: Depth=1
	scratch_load_b32 v91, v90, off
	ds_load_b32 v92, v89
	v_add_nc_u32_e32 v88, 1, v88
	v_add_nc_u32_e32 v89, 4, v89
	v_add_nc_u32_e32 v90, 4, v90
	s_delay_alu instid0(VALU_DEP_3)
	v_cmp_lt_u32_e32 vcc_lo, 18, v88
	s_or_b32 s1, vcc_lo, s1
	s_waitcnt vmcnt(0) lgkmcnt(0)
	v_fmac_f32_e32 v4, v91, v92
	s_and_not1_b32 exec_lo, exec_lo, s1
	s_cbranch_execnz .LBB104_87
; %bb.88:
	s_or_b32 exec_lo, exec_lo, s1
	v_mov_b32_e32 v88, 0
	ds_load_b32 v88, v88 offset:80
	s_waitcnt lgkmcnt(0)
	v_mul_f32_e32 v4, v4, v88
	scratch_store_b32 off, v4, off offset:80
.LBB104_89:
	s_or_b32 exec_lo, exec_lo, s0
	s_waitcnt_vscnt null, 0x0
	s_barrier
	buffer_gl0_inv
	scratch_load_b32 v4, off, off offset:84
	s_mov_b32 s0, exec_lo
	s_waitcnt vmcnt(0)
	ds_store_b32 v2, v4
	s_waitcnt lgkmcnt(0)
	s_barrier
	buffer_gl0_inv
	v_cmpx_gt_u32_e32 21, v0
	s_cbranch_execz .LBB104_93
; %bb.90:
	v_add_nc_u32_e32 v88, -1, v0
	v_dual_mov_b32 v4, 0 :: v_dual_add_nc_u32 v89, 0xb0, v87
	v_add_nc_u32_e32 v90, 0, v87
	s_mov_b32 s1, 0
.LBB104_91:                             ; =>This Inner Loop Header: Depth=1
	scratch_load_b32 v91, v90, off
	ds_load_b32 v92, v89
	v_add_nc_u32_e32 v88, 1, v88
	v_add_nc_u32_e32 v89, 4, v89
	v_add_nc_u32_e32 v90, 4, v90
	s_delay_alu instid0(VALU_DEP_3)
	v_cmp_lt_u32_e32 vcc_lo, 19, v88
	s_or_b32 s1, vcc_lo, s1
	s_waitcnt vmcnt(0) lgkmcnt(0)
	v_fmac_f32_e32 v4, v91, v92
	s_and_not1_b32 exec_lo, exec_lo, s1
	s_cbranch_execnz .LBB104_91
; %bb.92:
	s_or_b32 exec_lo, exec_lo, s1
	v_mov_b32_e32 v88, 0
	ds_load_b32 v88, v88 offset:84
	s_waitcnt lgkmcnt(0)
	v_mul_f32_e32 v4, v4, v88
	scratch_store_b32 off, v4, off offset:84
.LBB104_93:
	s_or_b32 exec_lo, exec_lo, s0
	s_waitcnt_vscnt null, 0x0
	s_barrier
	buffer_gl0_inv
	scratch_load_b32 v4, off, off offset:88
	s_mov_b32 s0, exec_lo
	s_waitcnt vmcnt(0)
	ds_store_b32 v2, v4
	s_waitcnt lgkmcnt(0)
	s_barrier
	buffer_gl0_inv
	v_cmpx_gt_u32_e32 22, v0
	s_cbranch_execz .LBB104_97
; %bb.94:
	v_add_nc_u32_e32 v88, -1, v0
	v_dual_mov_b32 v4, 0 :: v_dual_add_nc_u32 v89, 0xb0, v87
	v_add_nc_u32_e32 v90, 0, v87
	s_mov_b32 s1, 0
.LBB104_95:                             ; =>This Inner Loop Header: Depth=1
	scratch_load_b32 v91, v90, off
	ds_load_b32 v92, v89
	v_add_nc_u32_e32 v88, 1, v88
	v_add_nc_u32_e32 v89, 4, v89
	v_add_nc_u32_e32 v90, 4, v90
	s_delay_alu instid0(VALU_DEP_3)
	v_cmp_lt_u32_e32 vcc_lo, 20, v88
	s_or_b32 s1, vcc_lo, s1
	s_waitcnt vmcnt(0) lgkmcnt(0)
	v_fmac_f32_e32 v4, v91, v92
	s_and_not1_b32 exec_lo, exec_lo, s1
	s_cbranch_execnz .LBB104_95
; %bb.96:
	s_or_b32 exec_lo, exec_lo, s1
	v_mov_b32_e32 v88, 0
	ds_load_b32 v88, v88 offset:88
	s_waitcnt lgkmcnt(0)
	v_mul_f32_e32 v4, v4, v88
	scratch_store_b32 off, v4, off offset:88
.LBB104_97:
	s_or_b32 exec_lo, exec_lo, s0
	s_waitcnt_vscnt null, 0x0
	s_barrier
	buffer_gl0_inv
	scratch_load_b32 v4, off, off offset:92
	s_mov_b32 s0, exec_lo
	s_waitcnt vmcnt(0)
	ds_store_b32 v2, v4
	s_waitcnt lgkmcnt(0)
	s_barrier
	buffer_gl0_inv
	v_cmpx_gt_u32_e32 23, v0
	s_cbranch_execz .LBB104_101
; %bb.98:
	v_add_nc_u32_e32 v88, -1, v0
	v_dual_mov_b32 v4, 0 :: v_dual_add_nc_u32 v89, 0xb0, v87
	v_add_nc_u32_e32 v90, 0, v87
	s_mov_b32 s1, 0
.LBB104_99:                             ; =>This Inner Loop Header: Depth=1
	scratch_load_b32 v91, v90, off
	ds_load_b32 v92, v89
	v_add_nc_u32_e32 v88, 1, v88
	v_add_nc_u32_e32 v89, 4, v89
	v_add_nc_u32_e32 v90, 4, v90
	s_delay_alu instid0(VALU_DEP_3)
	v_cmp_lt_u32_e32 vcc_lo, 21, v88
	s_or_b32 s1, vcc_lo, s1
	s_waitcnt vmcnt(0) lgkmcnt(0)
	v_fmac_f32_e32 v4, v91, v92
	s_and_not1_b32 exec_lo, exec_lo, s1
	s_cbranch_execnz .LBB104_99
; %bb.100:
	s_or_b32 exec_lo, exec_lo, s1
	v_mov_b32_e32 v88, 0
	ds_load_b32 v88, v88 offset:92
	s_waitcnt lgkmcnt(0)
	v_mul_f32_e32 v4, v4, v88
	scratch_store_b32 off, v4, off offset:92
.LBB104_101:
	s_or_b32 exec_lo, exec_lo, s0
	s_waitcnt_vscnt null, 0x0
	s_barrier
	buffer_gl0_inv
	scratch_load_b32 v4, off, off offset:96
	s_mov_b32 s0, exec_lo
	s_waitcnt vmcnt(0)
	ds_store_b32 v2, v4
	s_waitcnt lgkmcnt(0)
	s_barrier
	buffer_gl0_inv
	v_cmpx_gt_u32_e32 24, v0
	s_cbranch_execz .LBB104_105
; %bb.102:
	v_add_nc_u32_e32 v88, -1, v0
	v_dual_mov_b32 v4, 0 :: v_dual_add_nc_u32 v89, 0xb0, v87
	v_add_nc_u32_e32 v90, 0, v87
	s_mov_b32 s1, 0
.LBB104_103:                            ; =>This Inner Loop Header: Depth=1
	scratch_load_b32 v91, v90, off
	ds_load_b32 v92, v89
	v_add_nc_u32_e32 v88, 1, v88
	v_add_nc_u32_e32 v89, 4, v89
	v_add_nc_u32_e32 v90, 4, v90
	s_delay_alu instid0(VALU_DEP_3)
	v_cmp_lt_u32_e32 vcc_lo, 22, v88
	s_or_b32 s1, vcc_lo, s1
	s_waitcnt vmcnt(0) lgkmcnt(0)
	v_fmac_f32_e32 v4, v91, v92
	s_and_not1_b32 exec_lo, exec_lo, s1
	s_cbranch_execnz .LBB104_103
; %bb.104:
	s_or_b32 exec_lo, exec_lo, s1
	v_mov_b32_e32 v88, 0
	ds_load_b32 v88, v88 offset:96
	s_waitcnt lgkmcnt(0)
	v_mul_f32_e32 v4, v4, v88
	scratch_store_b32 off, v4, off offset:96
.LBB104_105:
	s_or_b32 exec_lo, exec_lo, s0
	s_waitcnt_vscnt null, 0x0
	s_barrier
	buffer_gl0_inv
	scratch_load_b32 v4, off, off offset:100
	s_mov_b32 s0, exec_lo
	s_waitcnt vmcnt(0)
	ds_store_b32 v2, v4
	s_waitcnt lgkmcnt(0)
	s_barrier
	buffer_gl0_inv
	v_cmpx_gt_u32_e32 25, v0
	s_cbranch_execz .LBB104_109
; %bb.106:
	v_add_nc_u32_e32 v88, -1, v0
	v_dual_mov_b32 v4, 0 :: v_dual_add_nc_u32 v89, 0xb0, v87
	v_add_nc_u32_e32 v90, 0, v87
	s_mov_b32 s1, 0
.LBB104_107:                            ; =>This Inner Loop Header: Depth=1
	scratch_load_b32 v91, v90, off
	ds_load_b32 v92, v89
	v_add_nc_u32_e32 v88, 1, v88
	v_add_nc_u32_e32 v89, 4, v89
	v_add_nc_u32_e32 v90, 4, v90
	s_delay_alu instid0(VALU_DEP_3)
	v_cmp_lt_u32_e32 vcc_lo, 23, v88
	s_or_b32 s1, vcc_lo, s1
	s_waitcnt vmcnt(0) lgkmcnt(0)
	v_fmac_f32_e32 v4, v91, v92
	s_and_not1_b32 exec_lo, exec_lo, s1
	s_cbranch_execnz .LBB104_107
; %bb.108:
	s_or_b32 exec_lo, exec_lo, s1
	v_mov_b32_e32 v88, 0
	ds_load_b32 v88, v88 offset:100
	s_waitcnt lgkmcnt(0)
	v_mul_f32_e32 v4, v4, v88
	scratch_store_b32 off, v4, off offset:100
.LBB104_109:
	s_or_b32 exec_lo, exec_lo, s0
	s_waitcnt_vscnt null, 0x0
	s_barrier
	buffer_gl0_inv
	scratch_load_b32 v4, off, off offset:104
	;; [unrolled: 39-line block ×16, first 2 shown]
	s_mov_b32 s0, exec_lo
	s_waitcnt vmcnt(0)
	ds_store_b32 v2, v4
	s_waitcnt lgkmcnt(0)
	s_barrier
	buffer_gl0_inv
	v_cmpx_ne_u32_e32 40, v0
	s_cbranch_execz .LBB104_169
; %bb.166:
	v_mov_b32_e32 v4, 0
	s_mov_b32 s1, 0
.LBB104_167:                            ; =>This Inner Loop Header: Depth=1
	scratch_load_b32 v87, v1, off
	ds_load_b32 v88, v2
	v_add_nc_u32_e32 v3, 1, v3
	v_add_nc_u32_e32 v2, 4, v2
	s_waitcnt vmcnt(0) lgkmcnt(0)
	v_dual_fmac_f32 v4, v87, v88 :: v_dual_add_nc_u32 v1, 4, v1
	s_delay_alu instid0(VALU_DEP_3) | instskip(SKIP_1) | instid1(SALU_CYCLE_1)
	v_cmp_lt_u32_e32 vcc_lo, 38, v3
	s_or_b32 s1, vcc_lo, s1
	s_and_not1_b32 exec_lo, exec_lo, s1
	s_cbranch_execnz .LBB104_167
; %bb.168:
	s_or_b32 exec_lo, exec_lo, s1
	v_mov_b32_e32 v1, 0
	ds_load_b32 v1, v1 offset:160
	s_waitcnt lgkmcnt(0)
	v_mul_f32_e32 v1, v4, v1
	scratch_store_b32 off, v1, off offset:160
.LBB104_169:
	s_or_b32 exec_lo, exec_lo, s0
	s_mov_b32 s1, -1
	s_waitcnt_vscnt null, 0x0
	s_barrier
	buffer_gl0_inv
.LBB104_170:
	s_and_b32 vcc_lo, exec_lo, s1
	s_cbranch_vccz .LBB104_172
; %bb.171:
	s_lshl_b64 s[0:1], s[8:9], 2
	v_mov_b32_e32 v1, 0
	s_add_u32 s0, s6, s0
	s_addc_u32 s1, s7, s1
	global_load_b32 v1, v1, s[0:1]
	s_waitcnt vmcnt(0)
	v_cmp_ne_u32_e32 vcc_lo, 0, v1
	s_cbranch_vccz .LBB104_173
.LBB104_172:
	s_endpgm
.LBB104_173:
	v_lshl_add_u32 v1, v0, 2, 0xb0
	s_mov_b32 s0, exec_lo
	v_cmpx_eq_u32_e32 40, v0
	s_cbranch_execz .LBB104_175
; %bb.174:
	scratch_load_b32 v2, off, off offset:156
	v_mov_b32_e32 v3, 0
	scratch_store_b32 off, v3, off offset:156
	s_waitcnt vmcnt(0)
	ds_store_b32 v1, v2
.LBB104_175:
	s_or_b32 exec_lo, exec_lo, s0
	s_waitcnt lgkmcnt(0)
	s_waitcnt_vscnt null, 0x0
	s_barrier
	buffer_gl0_inv
	scratch_load_b64 v[3:4], off, off offset:156
	v_mov_b32_e32 v2, 0
	s_mov_b32 s0, exec_lo
	ds_load_b32 v87, v2 offset:336
	s_waitcnt vmcnt(0) lgkmcnt(0)
	v_fma_f32 v4, v4, v87, 0
	s_delay_alu instid0(VALU_DEP_1)
	v_sub_f32_e32 v3, v3, v4
	scratch_store_b32 off, v3, off offset:156
	v_cmpx_lt_u32_e32 38, v0
	s_cbranch_execz .LBB104_177
; %bb.176:
	scratch_load_b32 v3, off, off offset:152
	scratch_store_b32 off, v2, off offset:152
	s_waitcnt vmcnt(0)
	ds_store_b32 v1, v3
.LBB104_177:
	s_or_b32 exec_lo, exec_lo, s0
	s_waitcnt lgkmcnt(0)
	s_waitcnt_vscnt null, 0x0
	s_barrier
	buffer_gl0_inv
	scratch_load_b96 v[87:89], off, off offset:152
	ds_load_2addr_b32 v[2:3], v2 offset0:83 offset1:84
	s_mov_b32 s0, exec_lo
	s_waitcnt vmcnt(0) lgkmcnt(0)
	v_fma_f32 v2, v88, v2, 0
	s_delay_alu instid0(VALU_DEP_1) | instskip(NEXT) | instid1(VALU_DEP_1)
	v_fmac_f32_e32 v2, v89, v3
	v_sub_f32_e32 v2, v87, v2
	scratch_store_b32 off, v2, off offset:152
	v_cmpx_lt_u32_e32 37, v0
	s_cbranch_execz .LBB104_179
; %bb.178:
	scratch_load_b32 v2, off, off offset:148
	v_mov_b32_e32 v3, 0
	scratch_store_b32 off, v3, off offset:148
	s_waitcnt vmcnt(0)
	ds_store_b32 v1, v2
.LBB104_179:
	s_or_b32 exec_lo, exec_lo, s0
	s_waitcnt lgkmcnt(0)
	s_waitcnt_vscnt null, 0x0
	s_barrier
	buffer_gl0_inv
	scratch_load_b128 v[87:90], off, off offset:148
	v_mov_b32_e32 v2, 0
	ds_load_b64 v[3:4], v2 offset:328
	ds_load_b32 v91, v2 offset:336
	s_mov_b32 s0, exec_lo
	s_waitcnt vmcnt(0) lgkmcnt(1)
	v_fma_f32 v3, v88, v3, 0
	s_delay_alu instid0(VALU_DEP_1) | instskip(SKIP_1) | instid1(VALU_DEP_1)
	v_fmac_f32_e32 v3, v89, v4
	s_waitcnt lgkmcnt(0)
	v_fmac_f32_e32 v3, v90, v91
	s_delay_alu instid0(VALU_DEP_1)
	v_sub_f32_e32 v3, v87, v3
	scratch_store_b32 off, v3, off offset:148
	v_cmpx_lt_u32_e32 36, v0
	s_cbranch_execz .LBB104_181
; %bb.180:
	scratch_load_b32 v3, off, off offset:144
	scratch_store_b32 off, v2, off offset:144
	s_waitcnt vmcnt(0)
	ds_store_b32 v1, v3
.LBB104_181:
	s_or_b32 exec_lo, exec_lo, s0
	s_waitcnt lgkmcnt(0)
	s_waitcnt_vscnt null, 0x0
	s_barrier
	buffer_gl0_inv
	s_clause 0x1
	scratch_load_b128 v[87:90], off, off offset:144
	scratch_load_b32 v93, off, off offset:160
	ds_load_2addr_b32 v[3:4], v2 offset0:81 offset1:82
	ds_load_2addr_b32 v[91:92], v2 offset0:83 offset1:84
	s_mov_b32 s0, exec_lo
	s_waitcnt vmcnt(1) lgkmcnt(1)
	v_fma_f32 v2, v88, v3, 0
	s_delay_alu instid0(VALU_DEP_1) | instskip(SKIP_1) | instid1(VALU_DEP_1)
	v_fmac_f32_e32 v2, v89, v4
	s_waitcnt lgkmcnt(0)
	v_fmac_f32_e32 v2, v90, v91
	s_waitcnt vmcnt(0)
	s_delay_alu instid0(VALU_DEP_1) | instskip(NEXT) | instid1(VALU_DEP_1)
	v_fmac_f32_e32 v2, v93, v92
	v_sub_f32_e32 v2, v87, v2
	scratch_store_b32 off, v2, off offset:144
	v_cmpx_lt_u32_e32 35, v0
	s_cbranch_execz .LBB104_183
; %bb.182:
	scratch_load_b32 v2, off, off offset:140
	v_mov_b32_e32 v3, 0
	scratch_store_b32 off, v3, off offset:140
	s_waitcnt vmcnt(0)
	ds_store_b32 v1, v2
.LBB104_183:
	s_or_b32 exec_lo, exec_lo, s0
	s_waitcnt lgkmcnt(0)
	s_waitcnt_vscnt null, 0x0
	s_barrier
	buffer_gl0_inv
	s_clause 0x1
	scratch_load_b128 v[87:90], off, off offset:140
	scratch_load_b64 v[3:4], off, off offset:156
	v_mov_b32_e32 v2, 0
	ds_load_b128 v[91:94], v2 offset:320
	ds_load_b32 v95, v2 offset:336
	s_mov_b32 s0, exec_lo
	s_waitcnt vmcnt(1) lgkmcnt(1)
	v_fma_f32 v88, v88, v91, 0
	s_delay_alu instid0(VALU_DEP_1) | instskip(NEXT) | instid1(VALU_DEP_1)
	v_fmac_f32_e32 v88, v89, v92
	v_fmac_f32_e32 v88, v90, v93
	s_waitcnt vmcnt(0)
	s_delay_alu instid0(VALU_DEP_1) | instskip(SKIP_1) | instid1(VALU_DEP_1)
	v_fmac_f32_e32 v88, v3, v94
	s_waitcnt lgkmcnt(0)
	v_fmac_f32_e32 v88, v4, v95
	s_delay_alu instid0(VALU_DEP_1)
	v_sub_f32_e32 v3, v87, v88
	scratch_store_b32 off, v3, off offset:140
	v_cmpx_lt_u32_e32 34, v0
	s_cbranch_execz .LBB104_185
; %bb.184:
	scratch_load_b32 v3, off, off offset:136
	scratch_store_b32 off, v2, off offset:136
	s_waitcnt vmcnt(0)
	ds_store_b32 v1, v3
.LBB104_185:
	s_or_b32 exec_lo, exec_lo, s0
	s_waitcnt lgkmcnt(0)
	s_waitcnt_vscnt null, 0x0
	s_barrier
	buffer_gl0_inv
	s_clause 0x1
	scratch_load_b128 v[87:90], off, off offset:136
	scratch_load_b96 v[91:93], off, off offset:152
	ds_load_2addr_b32 v[3:4], v2 offset0:79 offset1:80
	ds_load_2addr_b32 v[94:95], v2 offset0:81 offset1:82
	;; [unrolled: 1-line block ×3, first 2 shown]
	s_mov_b32 s0, exec_lo
	s_waitcnt vmcnt(1) lgkmcnt(2)
	v_fma_f32 v2, v88, v3, 0
	s_delay_alu instid0(VALU_DEP_1) | instskip(SKIP_1) | instid1(VALU_DEP_1)
	v_fmac_f32_e32 v2, v89, v4
	s_waitcnt lgkmcnt(1)
	v_fmac_f32_e32 v2, v90, v94
	s_waitcnt vmcnt(0)
	s_delay_alu instid0(VALU_DEP_1) | instskip(SKIP_1) | instid1(VALU_DEP_1)
	v_fmac_f32_e32 v2, v91, v95
	s_waitcnt lgkmcnt(0)
	v_fmac_f32_e32 v2, v92, v96
	s_delay_alu instid0(VALU_DEP_1) | instskip(NEXT) | instid1(VALU_DEP_1)
	v_fmac_f32_e32 v2, v93, v97
	v_sub_f32_e32 v2, v87, v2
	scratch_store_b32 off, v2, off offset:136
	v_cmpx_lt_u32_e32 33, v0
	s_cbranch_execz .LBB104_187
; %bb.186:
	scratch_load_b32 v2, off, off offset:132
	v_mov_b32_e32 v3, 0
	scratch_store_b32 off, v3, off offset:132
	s_waitcnt vmcnt(0)
	ds_store_b32 v1, v2
.LBB104_187:
	s_or_b32 exec_lo, exec_lo, s0
	s_waitcnt lgkmcnt(0)
	s_waitcnt_vscnt null, 0x0
	s_barrier
	buffer_gl0_inv
	s_clause 0x1
	scratch_load_b128 v[87:90], off, off offset:132
	scratch_load_b128 v[91:94], off, off offset:148
	v_mov_b32_e32 v2, 0
	ds_load_2addr_b64 v[95:98], v2 offset0:39 offset1:40
	ds_load_b64 v[3:4], v2 offset:328
	s_mov_b32 s0, exec_lo
	s_waitcnt vmcnt(1) lgkmcnt(1)
	v_fma_f32 v88, v88, v95, 0
	s_delay_alu instid0(VALU_DEP_1) | instskip(SKIP_3) | instid1(VALU_DEP_1)
	v_fmac_f32_e32 v88, v89, v96
	ds_load_b32 v89, v2 offset:336
	v_fmac_f32_e32 v88, v90, v97
	s_waitcnt vmcnt(0)
	v_fmac_f32_e32 v88, v91, v98
	s_waitcnt lgkmcnt(1)
	s_delay_alu instid0(VALU_DEP_1) | instskip(NEXT) | instid1(VALU_DEP_1)
	v_fmac_f32_e32 v88, v92, v3
	v_fmac_f32_e32 v88, v93, v4
	s_waitcnt lgkmcnt(0)
	s_delay_alu instid0(VALU_DEP_1) | instskip(NEXT) | instid1(VALU_DEP_1)
	v_fmac_f32_e32 v88, v94, v89
	v_sub_f32_e32 v3, v87, v88
	scratch_store_b32 off, v3, off offset:132
	v_cmpx_lt_u32_e32 32, v0
	s_cbranch_execz .LBB104_189
; %bb.188:
	scratch_load_b32 v3, off, off offset:128
	scratch_store_b32 off, v2, off offset:128
	s_waitcnt vmcnt(0)
	ds_store_b32 v1, v3
.LBB104_189:
	s_or_b32 exec_lo, exec_lo, s0
	s_waitcnt lgkmcnt(0)
	s_waitcnt_vscnt null, 0x0
	s_barrier
	buffer_gl0_inv
	s_clause 0x2
	scratch_load_b128 v[87:90], off, off offset:128
	scratch_load_b128 v[91:94], off, off offset:144
	scratch_load_b32 v101, off, off offset:160
	ds_load_2addr_b32 v[3:4], v2 offset0:77 offset1:78
	ds_load_2addr_b32 v[95:96], v2 offset0:79 offset1:80
	;; [unrolled: 1-line block ×4, first 2 shown]
	s_mov_b32 s0, exec_lo
	s_waitcnt vmcnt(2) lgkmcnt(3)
	v_fma_f32 v2, v88, v3, 0
	s_delay_alu instid0(VALU_DEP_1) | instskip(SKIP_1) | instid1(VALU_DEP_1)
	v_fmac_f32_e32 v2, v89, v4
	s_waitcnt lgkmcnt(2)
	v_fmac_f32_e32 v2, v90, v95
	s_waitcnt vmcnt(1)
	s_delay_alu instid0(VALU_DEP_1) | instskip(SKIP_1) | instid1(VALU_DEP_1)
	v_fmac_f32_e32 v2, v91, v96
	s_waitcnt lgkmcnt(1)
	v_fmac_f32_e32 v2, v92, v97
	s_delay_alu instid0(VALU_DEP_1) | instskip(SKIP_1) | instid1(VALU_DEP_1)
	v_fmac_f32_e32 v2, v93, v98
	s_waitcnt lgkmcnt(0)
	v_fmac_f32_e32 v2, v94, v99
	s_waitcnt vmcnt(0)
	s_delay_alu instid0(VALU_DEP_1) | instskip(NEXT) | instid1(VALU_DEP_1)
	v_fmac_f32_e32 v2, v101, v100
	v_sub_f32_e32 v2, v87, v2
	scratch_store_b32 off, v2, off offset:128
	v_cmpx_lt_u32_e32 31, v0
	s_cbranch_execz .LBB104_191
; %bb.190:
	scratch_load_b32 v2, off, off offset:124
	v_mov_b32_e32 v3, 0
	scratch_store_b32 off, v3, off offset:124
	s_waitcnt vmcnt(0)
	ds_store_b32 v1, v2
.LBB104_191:
	s_or_b32 exec_lo, exec_lo, s0
	s_waitcnt lgkmcnt(0)
	s_waitcnt_vscnt null, 0x0
	s_barrier
	buffer_gl0_inv
	s_clause 0x2
	scratch_load_b128 v[87:90], off, off offset:124
	scratch_load_b128 v[91:94], off, off offset:140
	scratch_load_b64 v[3:4], off, off offset:156
	v_mov_b32_e32 v2, 0
	ds_load_b128 v[95:98], v2 offset:304
	ds_load_b128 v[99:102], v2 offset:320
	s_mov_b32 s0, exec_lo
	s_waitcnt vmcnt(2) lgkmcnt(1)
	v_fma_f32 v88, v88, v95, 0
	s_delay_alu instid0(VALU_DEP_1) | instskip(SKIP_3) | instid1(VALU_DEP_1)
	v_fmac_f32_e32 v88, v89, v96
	ds_load_b32 v89, v2 offset:336
	v_fmac_f32_e32 v88, v90, v97
	s_waitcnt vmcnt(1)
	v_fmac_f32_e32 v88, v91, v98
	s_waitcnt lgkmcnt(1)
	s_delay_alu instid0(VALU_DEP_1) | instskip(NEXT) | instid1(VALU_DEP_1)
	v_fmac_f32_e32 v88, v92, v99
	v_fmac_f32_e32 v88, v93, v100
	s_delay_alu instid0(VALU_DEP_1) | instskip(SKIP_1) | instid1(VALU_DEP_1)
	v_fmac_f32_e32 v88, v94, v101
	s_waitcnt vmcnt(0)
	v_fmac_f32_e32 v88, v3, v102
	s_waitcnt lgkmcnt(0)
	s_delay_alu instid0(VALU_DEP_1) | instskip(NEXT) | instid1(VALU_DEP_1)
	v_fmac_f32_e32 v88, v4, v89
	v_sub_f32_e32 v3, v87, v88
	scratch_store_b32 off, v3, off offset:124
	v_cmpx_lt_u32_e32 30, v0
	s_cbranch_execz .LBB104_193
; %bb.192:
	scratch_load_b32 v3, off, off offset:120
	scratch_store_b32 off, v2, off offset:120
	s_waitcnt vmcnt(0)
	ds_store_b32 v1, v3
.LBB104_193:
	s_or_b32 exec_lo, exec_lo, s0
	s_waitcnt lgkmcnt(0)
	s_waitcnt_vscnt null, 0x0
	s_barrier
	buffer_gl0_inv
	s_clause 0x2
	scratch_load_b128 v[87:90], off, off offset:120
	scratch_load_b128 v[91:94], off, off offset:136
	scratch_load_b96 v[95:97], off, off offset:152
	ds_load_2addr_b32 v[3:4], v2 offset0:75 offset1:76
	ds_load_2addr_b32 v[98:99], v2 offset0:77 offset1:78
	;; [unrolled: 1-line block ×4, first 2 shown]
	s_mov_b32 s0, exec_lo
	s_waitcnt vmcnt(2) lgkmcnt(3)
	v_fma_f32 v88, v88, v3, 0
	ds_load_2addr_b32 v[2:3], v2 offset0:83 offset1:84
	v_fmac_f32_e32 v88, v89, v4
	s_waitcnt lgkmcnt(3)
	s_delay_alu instid0(VALU_DEP_1) | instskip(SKIP_1) | instid1(VALU_DEP_1)
	v_fmac_f32_e32 v88, v90, v98
	s_waitcnt vmcnt(1)
	v_fmac_f32_e32 v88, v91, v99
	s_waitcnt lgkmcnt(2)
	s_delay_alu instid0(VALU_DEP_1) | instskip(NEXT) | instid1(VALU_DEP_1)
	v_fmac_f32_e32 v88, v92, v100
	v_fmac_f32_e32 v88, v93, v101
	s_waitcnt lgkmcnt(1)
	s_delay_alu instid0(VALU_DEP_1) | instskip(SKIP_1) | instid1(VALU_DEP_1)
	v_fmac_f32_e32 v88, v94, v102
	s_waitcnt vmcnt(0)
	v_fmac_f32_e32 v88, v95, v103
	s_waitcnt lgkmcnt(0)
	s_delay_alu instid0(VALU_DEP_1) | instskip(NEXT) | instid1(VALU_DEP_1)
	v_fmac_f32_e32 v88, v96, v2
	v_fmac_f32_e32 v88, v97, v3
	s_delay_alu instid0(VALU_DEP_1)
	v_sub_f32_e32 v2, v87, v88
	scratch_store_b32 off, v2, off offset:120
	v_cmpx_lt_u32_e32 29, v0
	s_cbranch_execz .LBB104_195
; %bb.194:
	scratch_load_b32 v2, off, off offset:116
	v_mov_b32_e32 v3, 0
	scratch_store_b32 off, v3, off offset:116
	s_waitcnt vmcnt(0)
	ds_store_b32 v1, v2
.LBB104_195:
	s_or_b32 exec_lo, exec_lo, s0
	s_waitcnt lgkmcnt(0)
	s_waitcnt_vscnt null, 0x0
	s_barrier
	buffer_gl0_inv
	s_clause 0x2
	scratch_load_b128 v[87:90], off, off offset:116
	scratch_load_b128 v[91:94], off, off offset:132
	;; [unrolled: 1-line block ×3, first 2 shown]
	v_mov_b32_e32 v2, 0
	ds_load_2addr_b64 v[99:102], v2 offset0:37 offset1:38
	ds_load_2addr_b64 v[103:106], v2 offset0:39 offset1:40
	ds_load_b64 v[3:4], v2 offset:328
	s_mov_b32 s0, exec_lo
	s_waitcnt vmcnt(2) lgkmcnt(2)
	v_fma_f32 v88, v88, v99, 0
	s_delay_alu instid0(VALU_DEP_1) | instskip(SKIP_3) | instid1(VALU_DEP_1)
	v_fmac_f32_e32 v88, v89, v100
	ds_load_b32 v89, v2 offset:336
	v_fmac_f32_e32 v88, v90, v101
	s_waitcnt vmcnt(1)
	v_fmac_f32_e32 v88, v91, v102
	s_waitcnt lgkmcnt(2)
	s_delay_alu instid0(VALU_DEP_1) | instskip(NEXT) | instid1(VALU_DEP_1)
	v_fmac_f32_e32 v88, v92, v103
	v_fmac_f32_e32 v88, v93, v104
	s_delay_alu instid0(VALU_DEP_1) | instskip(SKIP_1) | instid1(VALU_DEP_1)
	v_fmac_f32_e32 v88, v94, v105
	s_waitcnt vmcnt(0)
	v_fmac_f32_e32 v88, v95, v106
	s_waitcnt lgkmcnt(1)
	s_delay_alu instid0(VALU_DEP_1) | instskip(NEXT) | instid1(VALU_DEP_1)
	v_fmac_f32_e32 v88, v96, v3
	v_fmac_f32_e32 v88, v97, v4
	s_waitcnt lgkmcnt(0)
	s_delay_alu instid0(VALU_DEP_1) | instskip(NEXT) | instid1(VALU_DEP_1)
	v_fmac_f32_e32 v88, v98, v89
	v_sub_f32_e32 v3, v87, v88
	scratch_store_b32 off, v3, off offset:116
	v_cmpx_lt_u32_e32 28, v0
	s_cbranch_execz .LBB104_197
; %bb.196:
	scratch_load_b32 v3, off, off offset:112
	scratch_store_b32 off, v2, off offset:112
	s_waitcnt vmcnt(0)
	ds_store_b32 v1, v3
.LBB104_197:
	s_or_b32 exec_lo, exec_lo, s0
	s_waitcnt lgkmcnt(0)
	s_waitcnt_vscnt null, 0x0
	s_barrier
	buffer_gl0_inv
	s_clause 0x3
	scratch_load_b128 v[87:90], off, off offset:112
	scratch_load_b128 v[91:94], off, off offset:128
	;; [unrolled: 1-line block ×3, first 2 shown]
	scratch_load_b32 v105, off, off offset:160
	ds_load_2addr_b32 v[3:4], v2 offset0:73 offset1:74
	ds_load_2addr_b32 v[99:100], v2 offset0:75 offset1:76
	;; [unrolled: 1-line block ×4, first 2 shown]
	s_mov_b32 s0, exec_lo
	s_waitcnt vmcnt(3) lgkmcnt(3)
	v_fma_f32 v106, v88, v3, 0
	s_delay_alu instid0(VALU_DEP_1)
	v_fmac_f32_e32 v106, v89, v4
	ds_load_2addr_b32 v[3:4], v2 offset0:81 offset1:82
	ds_load_2addr_b32 v[88:89], v2 offset0:83 offset1:84
	s_waitcnt lgkmcnt(4)
	v_fmac_f32_e32 v106, v90, v99
	s_waitcnt vmcnt(2)
	s_delay_alu instid0(VALU_DEP_1) | instskip(SKIP_1) | instid1(VALU_DEP_1)
	v_fmac_f32_e32 v106, v91, v100
	s_waitcnt lgkmcnt(3)
	v_fmac_f32_e32 v106, v92, v101
	s_delay_alu instid0(VALU_DEP_1) | instskip(SKIP_1) | instid1(VALU_DEP_1)
	v_fmac_f32_e32 v106, v93, v102
	s_waitcnt lgkmcnt(2)
	v_fmac_f32_e32 v106, v94, v103
	s_waitcnt vmcnt(1)
	s_delay_alu instid0(VALU_DEP_1) | instskip(SKIP_1) | instid1(VALU_DEP_1)
	v_fmac_f32_e32 v106, v95, v104
	s_waitcnt lgkmcnt(1)
	v_fmac_f32_e32 v106, v96, v3
	s_delay_alu instid0(VALU_DEP_1) | instskip(SKIP_1) | instid1(VALU_DEP_1)
	v_fmac_f32_e32 v106, v97, v4
	s_waitcnt lgkmcnt(0)
	v_fmac_f32_e32 v106, v98, v88
	s_waitcnt vmcnt(0)
	s_delay_alu instid0(VALU_DEP_1) | instskip(NEXT) | instid1(VALU_DEP_1)
	v_fmac_f32_e32 v106, v105, v89
	v_sub_f32_e32 v2, v87, v106
	scratch_store_b32 off, v2, off offset:112
	v_cmpx_lt_u32_e32 27, v0
	s_cbranch_execz .LBB104_199
; %bb.198:
	scratch_load_b32 v2, off, off offset:108
	v_mov_b32_e32 v3, 0
	scratch_store_b32 off, v3, off offset:108
	s_waitcnt vmcnt(0)
	ds_store_b32 v1, v2
.LBB104_199:
	s_or_b32 exec_lo, exec_lo, s0
	s_waitcnt lgkmcnt(0)
	s_waitcnt_vscnt null, 0x0
	s_barrier
	buffer_gl0_inv
	s_clause 0x3
	scratch_load_b128 v[87:90], off, off offset:108
	scratch_load_b128 v[91:94], off, off offset:124
	;; [unrolled: 1-line block ×3, first 2 shown]
	scratch_load_b64 v[3:4], off, off offset:156
	v_mov_b32_e32 v2, 0
	ds_load_b128 v[99:102], v2 offset:288
	ds_load_b128 v[103:106], v2 offset:304
	s_mov_b32 s0, exec_lo
	s_waitcnt vmcnt(3) lgkmcnt(1)
	v_fma_f32 v99, v88, v99, 0
	s_delay_alu instid0(VALU_DEP_1) | instskip(NEXT) | instid1(VALU_DEP_1)
	v_fmac_f32_e32 v99, v89, v100
	v_fmac_f32_e32 v99, v90, v101
	s_waitcnt vmcnt(2)
	s_delay_alu instid0(VALU_DEP_1)
	v_fmac_f32_e32 v99, v91, v102
	ds_load_b128 v[88:91], v2 offset:320
	s_waitcnt lgkmcnt(1)
	v_fmac_f32_e32 v99, v92, v103
	ds_load_b32 v92, v2 offset:336
	v_fmac_f32_e32 v99, v93, v104
	s_delay_alu instid0(VALU_DEP_1) | instskip(SKIP_1) | instid1(VALU_DEP_1)
	v_fmac_f32_e32 v99, v94, v105
	s_waitcnt vmcnt(1)
	v_fmac_f32_e32 v99, v95, v106
	s_waitcnt lgkmcnt(1)
	s_delay_alu instid0(VALU_DEP_1) | instskip(NEXT) | instid1(VALU_DEP_1)
	v_fmac_f32_e32 v99, v96, v88
	v_fmac_f32_e32 v99, v97, v89
	s_delay_alu instid0(VALU_DEP_1) | instskip(SKIP_1) | instid1(VALU_DEP_1)
	v_fmac_f32_e32 v99, v98, v90
	s_waitcnt vmcnt(0)
	v_fmac_f32_e32 v99, v3, v91
	s_waitcnt lgkmcnt(0)
	s_delay_alu instid0(VALU_DEP_1) | instskip(NEXT) | instid1(VALU_DEP_1)
	v_fmac_f32_e32 v99, v4, v92
	v_sub_f32_e32 v3, v87, v99
	scratch_store_b32 off, v3, off offset:108
	v_cmpx_lt_u32_e32 26, v0
	s_cbranch_execz .LBB104_201
; %bb.200:
	scratch_load_b32 v3, off, off offset:104
	scratch_store_b32 off, v2, off offset:104
	s_waitcnt vmcnt(0)
	ds_store_b32 v1, v3
.LBB104_201:
	s_or_b32 exec_lo, exec_lo, s0
	s_waitcnt lgkmcnt(0)
	s_waitcnt_vscnt null, 0x0
	s_barrier
	buffer_gl0_inv
	s_clause 0x3
	scratch_load_b128 v[87:90], off, off offset:104
	scratch_load_b128 v[91:94], off, off offset:120
	;; [unrolled: 1-line block ×3, first 2 shown]
	scratch_load_b96 v[99:101], off, off offset:152
	ds_load_2addr_b32 v[3:4], v2 offset0:71 offset1:72
	ds_load_2addr_b32 v[102:103], v2 offset0:73 offset1:74
	;; [unrolled: 1-line block ×4, first 2 shown]
	s_mov_b32 s0, exec_lo
	s_waitcnt vmcnt(3) lgkmcnt(3)
	v_fma_f32 v108, v88, v3, 0
	s_delay_alu instid0(VALU_DEP_1)
	v_fmac_f32_e32 v108, v89, v4
	ds_load_2addr_b32 v[3:4], v2 offset0:79 offset1:80
	ds_load_2addr_b32 v[88:89], v2 offset0:81 offset1:82
	s_waitcnt lgkmcnt(4)
	v_fmac_f32_e32 v108, v90, v102
	s_waitcnt vmcnt(2)
	s_delay_alu instid0(VALU_DEP_1) | instskip(SKIP_3) | instid1(VALU_DEP_1)
	v_fmac_f32_e32 v108, v91, v103
	ds_load_2addr_b32 v[90:91], v2 offset0:83 offset1:84
	s_waitcnt lgkmcnt(4)
	v_fmac_f32_e32 v108, v92, v104
	v_fmac_f32_e32 v108, v93, v105
	s_waitcnt lgkmcnt(3)
	s_delay_alu instid0(VALU_DEP_1) | instskip(SKIP_1) | instid1(VALU_DEP_1)
	v_fmac_f32_e32 v108, v94, v106
	s_waitcnt vmcnt(1)
	v_fmac_f32_e32 v108, v95, v107
	s_waitcnt lgkmcnt(2)
	s_delay_alu instid0(VALU_DEP_1) | instskip(NEXT) | instid1(VALU_DEP_1)
	v_fmac_f32_e32 v108, v96, v3
	v_fmac_f32_e32 v108, v97, v4
	s_waitcnt lgkmcnt(1)
	s_delay_alu instid0(VALU_DEP_1) | instskip(SKIP_1) | instid1(VALU_DEP_1)
	v_fmac_f32_e32 v108, v98, v88
	s_waitcnt vmcnt(0)
	v_fmac_f32_e32 v108, v99, v89
	s_waitcnt lgkmcnt(0)
	s_delay_alu instid0(VALU_DEP_1) | instskip(NEXT) | instid1(VALU_DEP_1)
	v_fmac_f32_e32 v108, v100, v90
	v_fmac_f32_e32 v108, v101, v91
	s_delay_alu instid0(VALU_DEP_1)
	v_sub_f32_e32 v2, v87, v108
	scratch_store_b32 off, v2, off offset:104
	v_cmpx_lt_u32_e32 25, v0
	s_cbranch_execz .LBB104_203
; %bb.202:
	scratch_load_b32 v2, off, off offset:100
	v_mov_b32_e32 v3, 0
	scratch_store_b32 off, v3, off offset:100
	s_waitcnt vmcnt(0)
	ds_store_b32 v1, v2
.LBB104_203:
	s_or_b32 exec_lo, exec_lo, s0
	s_waitcnt lgkmcnt(0)
	s_waitcnt_vscnt null, 0x0
	s_barrier
	buffer_gl0_inv
	s_clause 0x3
	scratch_load_b128 v[87:90], off, off offset:100
	scratch_load_b128 v[91:94], off, off offset:116
	;; [unrolled: 1-line block ×4, first 2 shown]
	v_mov_b32_e32 v2, 0
	ds_load_2addr_b64 v[103:106], v2 offset0:35 offset1:36
	ds_load_2addr_b64 v[107:110], v2 offset0:37 offset1:38
	s_mov_b32 s0, exec_lo
	s_waitcnt vmcnt(3) lgkmcnt(1)
	v_fma_f32 v103, v88, v103, 0
	s_delay_alu instid0(VALU_DEP_1) | instskip(SKIP_3) | instid1(VALU_DEP_1)
	v_fmac_f32_e32 v103, v89, v104
	ds_load_b64 v[3:4], v2 offset:328
	v_fmac_f32_e32 v103, v90, v105
	s_waitcnt vmcnt(2)
	v_fmac_f32_e32 v103, v91, v106
	ds_load_2addr_b64 v[88:91], v2 offset0:39 offset1:40
	s_waitcnt lgkmcnt(2)
	v_fmac_f32_e32 v103, v92, v107
	s_delay_alu instid0(VALU_DEP_1) | instskip(NEXT) | instid1(VALU_DEP_1)
	v_fmac_f32_e32 v103, v93, v108
	v_fmac_f32_e32 v103, v94, v109
	s_waitcnt vmcnt(1)
	s_delay_alu instid0(VALU_DEP_1) | instskip(SKIP_1) | instid1(VALU_DEP_1)
	v_fmac_f32_e32 v103, v95, v110
	s_waitcnt lgkmcnt(0)
	v_fmac_f32_e32 v103, v96, v88
	ds_load_b32 v88, v2 offset:336
	v_fmac_f32_e32 v103, v97, v89
	s_delay_alu instid0(VALU_DEP_1) | instskip(SKIP_1) | instid1(VALU_DEP_1)
	v_fmac_f32_e32 v103, v98, v90
	s_waitcnt vmcnt(0)
	v_fmac_f32_e32 v103, v99, v91
	s_delay_alu instid0(VALU_DEP_1) | instskip(NEXT) | instid1(VALU_DEP_1)
	v_fmac_f32_e32 v103, v100, v3
	v_fmac_f32_e32 v103, v101, v4
	s_waitcnt lgkmcnt(0)
	s_delay_alu instid0(VALU_DEP_1) | instskip(NEXT) | instid1(VALU_DEP_1)
	v_fmac_f32_e32 v103, v102, v88
	v_sub_f32_e32 v3, v87, v103
	scratch_store_b32 off, v3, off offset:100
	v_cmpx_lt_u32_e32 24, v0
	s_cbranch_execz .LBB104_205
; %bb.204:
	scratch_load_b32 v3, off, off offset:96
	scratch_store_b32 off, v2, off offset:96
	s_waitcnt vmcnt(0)
	ds_store_b32 v1, v3
.LBB104_205:
	s_or_b32 exec_lo, exec_lo, s0
	s_waitcnt lgkmcnt(0)
	s_waitcnt_vscnt null, 0x0
	s_barrier
	buffer_gl0_inv
	s_clause 0x4
	scratch_load_b128 v[87:90], off, off offset:96
	scratch_load_b128 v[91:94], off, off offset:112
	;; [unrolled: 1-line block ×4, first 2 shown]
	scratch_load_b32 v109, off, off offset:160
	ds_load_2addr_b32 v[3:4], v2 offset0:69 offset1:70
	ds_load_2addr_b32 v[103:104], v2 offset0:71 offset1:72
	ds_load_2addr_b32 v[105:106], v2 offset0:73 offset1:74
	ds_load_2addr_b32 v[107:108], v2 offset0:75 offset1:76
	s_mov_b32 s0, exec_lo
	s_waitcnt vmcnt(4) lgkmcnt(3)
	v_fma_f32 v110, v88, v3, 0
	s_delay_alu instid0(VALU_DEP_1)
	v_fmac_f32_e32 v110, v89, v4
	ds_load_2addr_b32 v[3:4], v2 offset0:77 offset1:78
	ds_load_2addr_b32 v[88:89], v2 offset0:79 offset1:80
	s_waitcnt lgkmcnt(4)
	v_fmac_f32_e32 v110, v90, v103
	s_waitcnt vmcnt(3)
	s_delay_alu instid0(VALU_DEP_1) | instskip(SKIP_1) | instid1(VALU_DEP_1)
	v_fmac_f32_e32 v110, v91, v104
	s_waitcnt lgkmcnt(3)
	v_fmac_f32_e32 v110, v92, v105
	s_delay_alu instid0(VALU_DEP_1)
	v_fmac_f32_e32 v110, v93, v106
	ds_load_2addr_b32 v[90:91], v2 offset0:81 offset1:82
	ds_load_2addr_b32 v[92:93], v2 offset0:83 offset1:84
	s_waitcnt lgkmcnt(4)
	v_fmac_f32_e32 v110, v94, v107
	s_waitcnt vmcnt(2)
	s_delay_alu instid0(VALU_DEP_1) | instskip(SKIP_1) | instid1(VALU_DEP_1)
	v_fmac_f32_e32 v110, v95, v108
	s_waitcnt lgkmcnt(3)
	v_fmac_f32_e32 v110, v96, v3
	s_delay_alu instid0(VALU_DEP_1) | instskip(SKIP_1) | instid1(VALU_DEP_1)
	v_fmac_f32_e32 v110, v97, v4
	s_waitcnt lgkmcnt(2)
	v_fmac_f32_e32 v110, v98, v88
	s_waitcnt vmcnt(1)
	s_delay_alu instid0(VALU_DEP_1) | instskip(SKIP_1) | instid1(VALU_DEP_1)
	v_fmac_f32_e32 v110, v99, v89
	s_waitcnt lgkmcnt(1)
	v_fmac_f32_e32 v110, v100, v90
	s_delay_alu instid0(VALU_DEP_1) | instskip(SKIP_1) | instid1(VALU_DEP_1)
	v_fmac_f32_e32 v110, v101, v91
	s_waitcnt lgkmcnt(0)
	v_fmac_f32_e32 v110, v102, v92
	s_waitcnt vmcnt(0)
	s_delay_alu instid0(VALU_DEP_1) | instskip(NEXT) | instid1(VALU_DEP_1)
	v_fmac_f32_e32 v110, v109, v93
	v_sub_f32_e32 v2, v87, v110
	scratch_store_b32 off, v2, off offset:96
	v_cmpx_lt_u32_e32 23, v0
	s_cbranch_execz .LBB104_207
; %bb.206:
	scratch_load_b32 v2, off, off offset:92
	v_mov_b32_e32 v3, 0
	scratch_store_b32 off, v3, off offset:92
	s_waitcnt vmcnt(0)
	ds_store_b32 v1, v2
.LBB104_207:
	s_or_b32 exec_lo, exec_lo, s0
	s_waitcnt lgkmcnt(0)
	s_waitcnt_vscnt null, 0x0
	s_barrier
	buffer_gl0_inv
	s_clause 0x4
	scratch_load_b128 v[87:90], off, off offset:92
	scratch_load_b128 v[91:94], off, off offset:108
	;; [unrolled: 1-line block ×4, first 2 shown]
	scratch_load_b64 v[3:4], off, off offset:156
	v_mov_b32_e32 v2, 0
	ds_load_b128 v[103:106], v2 offset:272
	ds_load_b128 v[107:110], v2 offset:288
	s_mov_b32 s0, exec_lo
	s_waitcnt vmcnt(4) lgkmcnt(1)
	v_fma_f32 v103, v88, v103, 0
	s_delay_alu instid0(VALU_DEP_1) | instskip(NEXT) | instid1(VALU_DEP_1)
	v_fmac_f32_e32 v103, v89, v104
	v_fmac_f32_e32 v103, v90, v105
	s_waitcnt vmcnt(3)
	s_delay_alu instid0(VALU_DEP_1) | instskip(SKIP_3) | instid1(VALU_DEP_1)
	v_fmac_f32_e32 v103, v91, v106
	ds_load_b128 v[88:91], v2 offset:304
	s_waitcnt lgkmcnt(1)
	v_fmac_f32_e32 v103, v92, v107
	v_fmac_f32_e32 v103, v93, v108
	s_delay_alu instid0(VALU_DEP_1) | instskip(SKIP_1) | instid1(VALU_DEP_1)
	v_fmac_f32_e32 v103, v94, v109
	s_waitcnt vmcnt(2)
	v_fmac_f32_e32 v103, v95, v110
	ds_load_b128 v[92:95], v2 offset:320
	s_waitcnt lgkmcnt(1)
	v_fmac_f32_e32 v103, v96, v88
	ds_load_b32 v88, v2 offset:336
	v_fmac_f32_e32 v103, v97, v89
	s_delay_alu instid0(VALU_DEP_1) | instskip(SKIP_1) | instid1(VALU_DEP_1)
	v_fmac_f32_e32 v103, v98, v90
	s_waitcnt vmcnt(1)
	v_fmac_f32_e32 v103, v99, v91
	s_waitcnt lgkmcnt(1)
	s_delay_alu instid0(VALU_DEP_1) | instskip(NEXT) | instid1(VALU_DEP_1)
	v_fmac_f32_e32 v103, v100, v92
	v_fmac_f32_e32 v103, v101, v93
	s_delay_alu instid0(VALU_DEP_1) | instskip(SKIP_1) | instid1(VALU_DEP_1)
	v_fmac_f32_e32 v103, v102, v94
	s_waitcnt vmcnt(0)
	v_fmac_f32_e32 v103, v3, v95
	s_waitcnt lgkmcnt(0)
	s_delay_alu instid0(VALU_DEP_1) | instskip(NEXT) | instid1(VALU_DEP_1)
	v_fmac_f32_e32 v103, v4, v88
	v_sub_f32_e32 v3, v87, v103
	scratch_store_b32 off, v3, off offset:92
	v_cmpx_lt_u32_e32 22, v0
	s_cbranch_execz .LBB104_209
; %bb.208:
	scratch_load_b32 v3, off, off offset:88
	scratch_store_b32 off, v2, off offset:88
	s_waitcnt vmcnt(0)
	ds_store_b32 v1, v3
.LBB104_209:
	s_or_b32 exec_lo, exec_lo, s0
	s_waitcnt lgkmcnt(0)
	s_waitcnt_vscnt null, 0x0
	s_barrier
	buffer_gl0_inv
	s_clause 0x4
	scratch_load_b128 v[87:90], off, off offset:88
	scratch_load_b128 v[91:94], off, off offset:104
	;; [unrolled: 1-line block ×4, first 2 shown]
	scratch_load_b96 v[103:105], off, off offset:152
	ds_load_2addr_b32 v[3:4], v2 offset0:67 offset1:68
	ds_load_2addr_b32 v[106:107], v2 offset0:69 offset1:70
	;; [unrolled: 1-line block ×4, first 2 shown]
	s_mov_b32 s0, exec_lo
	s_waitcnt vmcnt(4) lgkmcnt(3)
	v_fma_f32 v112, v88, v3, 0
	s_delay_alu instid0(VALU_DEP_1)
	v_fmac_f32_e32 v112, v89, v4
	ds_load_2addr_b32 v[3:4], v2 offset0:75 offset1:76
	ds_load_2addr_b32 v[88:89], v2 offset0:77 offset1:78
	s_waitcnt lgkmcnt(4)
	v_fmac_f32_e32 v112, v90, v106
	s_waitcnt vmcnt(3)
	s_delay_alu instid0(VALU_DEP_1) | instskip(SKIP_1) | instid1(VALU_DEP_1)
	v_fmac_f32_e32 v112, v91, v107
	s_waitcnt lgkmcnt(3)
	v_fmac_f32_e32 v112, v92, v108
	s_delay_alu instid0(VALU_DEP_1)
	v_fmac_f32_e32 v112, v93, v109
	ds_load_2addr_b32 v[90:91], v2 offset0:79 offset1:80
	ds_load_2addr_b32 v[92:93], v2 offset0:81 offset1:82
	s_waitcnt lgkmcnt(4)
	v_fmac_f32_e32 v112, v94, v110
	s_waitcnt vmcnt(2)
	s_delay_alu instid0(VALU_DEP_1) | instskip(SKIP_1) | instid1(VALU_DEP_1)
	v_fmac_f32_e32 v112, v95, v111
	s_waitcnt lgkmcnt(3)
	v_fmac_f32_e32 v112, v96, v3
	ds_load_2addr_b32 v[2:3], v2 offset0:83 offset1:84
	v_fmac_f32_e32 v112, v97, v4
	s_waitcnt lgkmcnt(3)
	s_delay_alu instid0(VALU_DEP_1) | instskip(SKIP_1) | instid1(VALU_DEP_1)
	v_fmac_f32_e32 v112, v98, v88
	s_waitcnt vmcnt(1)
	v_fmac_f32_e32 v112, v99, v89
	s_waitcnt lgkmcnt(2)
	s_delay_alu instid0(VALU_DEP_1) | instskip(NEXT) | instid1(VALU_DEP_1)
	v_fmac_f32_e32 v112, v100, v90
	v_fmac_f32_e32 v112, v101, v91
	s_waitcnt lgkmcnt(1)
	s_delay_alu instid0(VALU_DEP_1) | instskip(SKIP_1) | instid1(VALU_DEP_1)
	v_fmac_f32_e32 v112, v102, v92
	s_waitcnt vmcnt(0)
	v_fmac_f32_e32 v112, v103, v93
	s_waitcnt lgkmcnt(0)
	s_delay_alu instid0(VALU_DEP_1) | instskip(NEXT) | instid1(VALU_DEP_1)
	v_fmac_f32_e32 v112, v104, v2
	v_fmac_f32_e32 v112, v105, v3
	s_delay_alu instid0(VALU_DEP_1)
	v_sub_f32_e32 v2, v87, v112
	scratch_store_b32 off, v2, off offset:88
	v_cmpx_lt_u32_e32 21, v0
	s_cbranch_execz .LBB104_211
; %bb.210:
	scratch_load_b32 v2, off, off offset:84
	v_mov_b32_e32 v3, 0
	scratch_store_b32 off, v3, off offset:84
	s_waitcnt vmcnt(0)
	ds_store_b32 v1, v2
.LBB104_211:
	s_or_b32 exec_lo, exec_lo, s0
	s_waitcnt lgkmcnt(0)
	s_waitcnt_vscnt null, 0x0
	s_barrier
	buffer_gl0_inv
	s_clause 0x4
	scratch_load_b128 v[87:90], off, off offset:84
	scratch_load_b128 v[91:94], off, off offset:100
	;; [unrolled: 1-line block ×5, first 2 shown]
	v_mov_b32_e32 v2, 0
	ds_load_2addr_b64 v[107:110], v2 offset0:33 offset1:34
	ds_load_2addr_b64 v[111:114], v2 offset0:35 offset1:36
	s_mov_b32 s0, exec_lo
	s_waitcnt vmcnt(4) lgkmcnt(1)
	v_fma_f32 v107, v88, v107, 0
	s_delay_alu instid0(VALU_DEP_1) | instskip(SKIP_3) | instid1(VALU_DEP_1)
	v_fmac_f32_e32 v107, v89, v108
	ds_load_b64 v[3:4], v2 offset:328
	v_fmac_f32_e32 v107, v90, v109
	s_waitcnt vmcnt(3)
	v_fmac_f32_e32 v107, v91, v110
	ds_load_2addr_b64 v[88:91], v2 offset0:37 offset1:38
	s_waitcnt lgkmcnt(2)
	v_fmac_f32_e32 v107, v92, v111
	s_delay_alu instid0(VALU_DEP_1) | instskip(NEXT) | instid1(VALU_DEP_1)
	v_fmac_f32_e32 v107, v93, v112
	v_fmac_f32_e32 v107, v94, v113
	s_waitcnt vmcnt(2)
	s_delay_alu instid0(VALU_DEP_1)
	v_fmac_f32_e32 v107, v95, v114
	ds_load_2addr_b64 v[92:95], v2 offset0:39 offset1:40
	s_waitcnt lgkmcnt(1)
	v_fmac_f32_e32 v107, v96, v88
	ds_load_b32 v88, v2 offset:336
	v_fmac_f32_e32 v107, v97, v89
	s_delay_alu instid0(VALU_DEP_1) | instskip(SKIP_1) | instid1(VALU_DEP_1)
	v_fmac_f32_e32 v107, v98, v90
	s_waitcnt vmcnt(1)
	v_fmac_f32_e32 v107, v99, v91
	s_waitcnt lgkmcnt(1)
	s_delay_alu instid0(VALU_DEP_1) | instskip(NEXT) | instid1(VALU_DEP_1)
	v_fmac_f32_e32 v107, v100, v92
	v_fmac_f32_e32 v107, v101, v93
	s_delay_alu instid0(VALU_DEP_1) | instskip(SKIP_1) | instid1(VALU_DEP_1)
	v_fmac_f32_e32 v107, v102, v94
	s_waitcnt vmcnt(0)
	v_fmac_f32_e32 v107, v103, v95
	s_delay_alu instid0(VALU_DEP_1) | instskip(NEXT) | instid1(VALU_DEP_1)
	v_fmac_f32_e32 v107, v104, v3
	v_fmac_f32_e32 v107, v105, v4
	s_waitcnt lgkmcnt(0)
	s_delay_alu instid0(VALU_DEP_1) | instskip(NEXT) | instid1(VALU_DEP_1)
	v_fmac_f32_e32 v107, v106, v88
	v_sub_f32_e32 v3, v87, v107
	scratch_store_b32 off, v3, off offset:84
	v_cmpx_lt_u32_e32 20, v0
	s_cbranch_execz .LBB104_213
; %bb.212:
	scratch_load_b32 v3, off, off offset:80
	scratch_store_b32 off, v2, off offset:80
	s_waitcnt vmcnt(0)
	ds_store_b32 v1, v3
.LBB104_213:
	s_or_b32 exec_lo, exec_lo, s0
	s_waitcnt lgkmcnt(0)
	s_waitcnt_vscnt null, 0x0
	s_barrier
	buffer_gl0_inv
	s_clause 0x5
	scratch_load_b128 v[87:90], off, off offset:80
	scratch_load_b128 v[91:94], off, off offset:96
	scratch_load_b128 v[95:98], off, off offset:112
	scratch_load_b128 v[99:102], off, off offset:128
	scratch_load_b128 v[103:106], off, off offset:144
	scratch_load_b32 v113, off, off offset:160
	ds_load_2addr_b32 v[3:4], v2 offset0:65 offset1:66
	ds_load_2addr_b32 v[107:108], v2 offset0:67 offset1:68
	;; [unrolled: 1-line block ×4, first 2 shown]
	s_mov_b32 s0, exec_lo
	s_waitcnt vmcnt(5) lgkmcnt(3)
	v_fma_f32 v114, v88, v3, 0
	s_delay_alu instid0(VALU_DEP_1)
	v_fmac_f32_e32 v114, v89, v4
	ds_load_2addr_b32 v[3:4], v2 offset0:73 offset1:74
	ds_load_2addr_b32 v[88:89], v2 offset0:75 offset1:76
	s_waitcnt lgkmcnt(4)
	v_fmac_f32_e32 v114, v90, v107
	s_waitcnt vmcnt(4)
	s_delay_alu instid0(VALU_DEP_1) | instskip(SKIP_1) | instid1(VALU_DEP_1)
	v_fmac_f32_e32 v114, v91, v108
	s_waitcnt lgkmcnt(3)
	v_fmac_f32_e32 v114, v92, v109
	s_delay_alu instid0(VALU_DEP_1)
	v_fmac_f32_e32 v114, v93, v110
	ds_load_2addr_b32 v[90:91], v2 offset0:77 offset1:78
	ds_load_2addr_b32 v[92:93], v2 offset0:79 offset1:80
	s_waitcnt lgkmcnt(4)
	v_fmac_f32_e32 v114, v94, v111
	s_waitcnt vmcnt(3)
	s_delay_alu instid0(VALU_DEP_1) | instskip(SKIP_1) | instid1(VALU_DEP_1)
	v_fmac_f32_e32 v114, v95, v112
	s_waitcnt lgkmcnt(3)
	v_fmac_f32_e32 v114, v96, v3
	s_delay_alu instid0(VALU_DEP_1) | instskip(SKIP_4) | instid1(VALU_DEP_1)
	v_fmac_f32_e32 v114, v97, v4
	ds_load_2addr_b32 v[3:4], v2 offset0:81 offset1:82
	s_waitcnt lgkmcnt(3)
	v_fmac_f32_e32 v114, v98, v88
	s_waitcnt vmcnt(2)
	v_fmac_f32_e32 v114, v99, v89
	ds_load_2addr_b32 v[88:89], v2 offset0:83 offset1:84
	s_waitcnt lgkmcnt(3)
	v_fmac_f32_e32 v114, v100, v90
	s_delay_alu instid0(VALU_DEP_1) | instskip(SKIP_1) | instid1(VALU_DEP_1)
	v_fmac_f32_e32 v114, v101, v91
	s_waitcnt lgkmcnt(2)
	v_fmac_f32_e32 v114, v102, v92
	s_waitcnt vmcnt(1)
	s_delay_alu instid0(VALU_DEP_1) | instskip(SKIP_1) | instid1(VALU_DEP_1)
	v_fmac_f32_e32 v114, v103, v93
	s_waitcnt lgkmcnt(1)
	v_fmac_f32_e32 v114, v104, v3
	s_delay_alu instid0(VALU_DEP_1) | instskip(SKIP_1) | instid1(VALU_DEP_1)
	v_fmac_f32_e32 v114, v105, v4
	s_waitcnt lgkmcnt(0)
	v_fmac_f32_e32 v114, v106, v88
	s_waitcnt vmcnt(0)
	s_delay_alu instid0(VALU_DEP_1) | instskip(NEXT) | instid1(VALU_DEP_1)
	v_fmac_f32_e32 v114, v113, v89
	v_sub_f32_e32 v2, v87, v114
	scratch_store_b32 off, v2, off offset:80
	v_cmpx_lt_u32_e32 19, v0
	s_cbranch_execz .LBB104_215
; %bb.214:
	scratch_load_b32 v2, off, off offset:76
	v_mov_b32_e32 v3, 0
	scratch_store_b32 off, v3, off offset:76
	s_waitcnt vmcnt(0)
	ds_store_b32 v1, v2
.LBB104_215:
	s_or_b32 exec_lo, exec_lo, s0
	s_waitcnt lgkmcnt(0)
	s_waitcnt_vscnt null, 0x0
	s_barrier
	buffer_gl0_inv
	s_clause 0x5
	scratch_load_b128 v[87:90], off, off offset:76
	scratch_load_b128 v[91:94], off, off offset:92
	;; [unrolled: 1-line block ×5, first 2 shown]
	scratch_load_b64 v[3:4], off, off offset:156
	v_mov_b32_e32 v2, 0
	ds_load_b128 v[107:110], v2 offset:256
	ds_load_b128 v[111:114], v2 offset:272
	s_mov_b32 s0, exec_lo
	s_waitcnt vmcnt(5) lgkmcnt(1)
	v_fma_f32 v107, v88, v107, 0
	s_delay_alu instid0(VALU_DEP_1) | instskip(NEXT) | instid1(VALU_DEP_1)
	v_fmac_f32_e32 v107, v89, v108
	v_fmac_f32_e32 v107, v90, v109
	s_waitcnt vmcnt(4)
	s_delay_alu instid0(VALU_DEP_1) | instskip(SKIP_3) | instid1(VALU_DEP_1)
	v_fmac_f32_e32 v107, v91, v110
	ds_load_b128 v[88:91], v2 offset:288
	s_waitcnt lgkmcnt(1)
	v_fmac_f32_e32 v107, v92, v111
	v_fmac_f32_e32 v107, v93, v112
	s_delay_alu instid0(VALU_DEP_1) | instskip(SKIP_1) | instid1(VALU_DEP_1)
	v_fmac_f32_e32 v107, v94, v113
	s_waitcnt vmcnt(3)
	v_fmac_f32_e32 v107, v95, v114
	ds_load_b128 v[92:95], v2 offset:304
	s_waitcnt lgkmcnt(1)
	v_fmac_f32_e32 v107, v96, v88
	s_delay_alu instid0(VALU_DEP_1) | instskip(NEXT) | instid1(VALU_DEP_1)
	v_fmac_f32_e32 v107, v97, v89
	v_fmac_f32_e32 v107, v98, v90
	s_waitcnt vmcnt(2)
	s_delay_alu instid0(VALU_DEP_1)
	v_fmac_f32_e32 v107, v99, v91
	ds_load_b128 v[88:91], v2 offset:320
	s_waitcnt lgkmcnt(1)
	v_fmac_f32_e32 v107, v100, v92
	ds_load_b32 v92, v2 offset:336
	v_fmac_f32_e32 v107, v101, v93
	s_delay_alu instid0(VALU_DEP_1) | instskip(SKIP_1) | instid1(VALU_DEP_1)
	v_fmac_f32_e32 v107, v102, v94
	s_waitcnt vmcnt(1)
	v_fmac_f32_e32 v107, v103, v95
	s_waitcnt lgkmcnt(1)
	s_delay_alu instid0(VALU_DEP_1) | instskip(NEXT) | instid1(VALU_DEP_1)
	v_fmac_f32_e32 v107, v104, v88
	v_fmac_f32_e32 v107, v105, v89
	s_delay_alu instid0(VALU_DEP_1) | instskip(SKIP_1) | instid1(VALU_DEP_1)
	v_fmac_f32_e32 v107, v106, v90
	s_waitcnt vmcnt(0)
	v_fmac_f32_e32 v107, v3, v91
	s_waitcnt lgkmcnt(0)
	s_delay_alu instid0(VALU_DEP_1) | instskip(NEXT) | instid1(VALU_DEP_1)
	v_fmac_f32_e32 v107, v4, v92
	v_sub_f32_e32 v3, v87, v107
	scratch_store_b32 off, v3, off offset:76
	v_cmpx_lt_u32_e32 18, v0
	s_cbranch_execz .LBB104_217
; %bb.216:
	scratch_load_b32 v3, off, off offset:72
	scratch_store_b32 off, v2, off offset:72
	s_waitcnt vmcnt(0)
	ds_store_b32 v1, v3
.LBB104_217:
	s_or_b32 exec_lo, exec_lo, s0
	s_waitcnt lgkmcnt(0)
	s_waitcnt_vscnt null, 0x0
	s_barrier
	buffer_gl0_inv
	s_clause 0x5
	scratch_load_b128 v[87:90], off, off offset:72
	scratch_load_b128 v[91:94], off, off offset:88
	;; [unrolled: 1-line block ×5, first 2 shown]
	scratch_load_b96 v[107:109], off, off offset:152
	ds_load_2addr_b32 v[3:4], v2 offset0:63 offset1:64
	ds_load_2addr_b32 v[110:111], v2 offset0:65 offset1:66
	ds_load_2addr_b32 v[112:113], v2 offset0:67 offset1:68
	ds_load_2addr_b32 v[114:115], v2 offset0:69 offset1:70
	s_mov_b32 s0, exec_lo
	s_waitcnt vmcnt(5) lgkmcnt(3)
	v_fma_f32 v116, v88, v3, 0
	s_delay_alu instid0(VALU_DEP_1)
	v_fmac_f32_e32 v116, v89, v4
	ds_load_2addr_b32 v[3:4], v2 offset0:71 offset1:72
	ds_load_2addr_b32 v[88:89], v2 offset0:73 offset1:74
	s_waitcnt lgkmcnt(4)
	v_fmac_f32_e32 v116, v90, v110
	s_waitcnt vmcnt(4)
	s_delay_alu instid0(VALU_DEP_1) | instskip(SKIP_1) | instid1(VALU_DEP_1)
	v_fmac_f32_e32 v116, v91, v111
	s_waitcnt lgkmcnt(3)
	v_fmac_f32_e32 v116, v92, v112
	s_delay_alu instid0(VALU_DEP_1)
	v_fmac_f32_e32 v116, v93, v113
	ds_load_2addr_b32 v[90:91], v2 offset0:75 offset1:76
	ds_load_2addr_b32 v[92:93], v2 offset0:77 offset1:78
	s_waitcnt lgkmcnt(4)
	v_fmac_f32_e32 v116, v94, v114
	s_waitcnt vmcnt(3)
	s_delay_alu instid0(VALU_DEP_1) | instskip(SKIP_1) | instid1(VALU_DEP_1)
	v_fmac_f32_e32 v116, v95, v115
	s_waitcnt lgkmcnt(3)
	v_fmac_f32_e32 v116, v96, v3
	s_delay_alu instid0(VALU_DEP_1) | instskip(SKIP_4) | instid1(VALU_DEP_1)
	v_fmac_f32_e32 v116, v97, v4
	ds_load_2addr_b32 v[3:4], v2 offset0:79 offset1:80
	s_waitcnt lgkmcnt(3)
	v_fmac_f32_e32 v116, v98, v88
	s_waitcnt vmcnt(2)
	v_fmac_f32_e32 v116, v99, v89
	ds_load_2addr_b32 v[88:89], v2 offset0:81 offset1:82
	s_waitcnt lgkmcnt(3)
	v_fmac_f32_e32 v116, v100, v90
	s_delay_alu instid0(VALU_DEP_1) | instskip(SKIP_4) | instid1(VALU_DEP_1)
	v_fmac_f32_e32 v116, v101, v91
	ds_load_2addr_b32 v[90:91], v2 offset0:83 offset1:84
	s_waitcnt lgkmcnt(3)
	v_fmac_f32_e32 v116, v102, v92
	s_waitcnt vmcnt(1)
	v_fmac_f32_e32 v116, v103, v93
	s_waitcnt lgkmcnt(2)
	s_delay_alu instid0(VALU_DEP_1) | instskip(NEXT) | instid1(VALU_DEP_1)
	v_fmac_f32_e32 v116, v104, v3
	v_fmac_f32_e32 v116, v105, v4
	s_waitcnt lgkmcnt(1)
	s_delay_alu instid0(VALU_DEP_1) | instskip(SKIP_1) | instid1(VALU_DEP_1)
	v_fmac_f32_e32 v116, v106, v88
	s_waitcnt vmcnt(0)
	v_fmac_f32_e32 v116, v107, v89
	s_waitcnt lgkmcnt(0)
	s_delay_alu instid0(VALU_DEP_1) | instskip(NEXT) | instid1(VALU_DEP_1)
	v_fmac_f32_e32 v116, v108, v90
	v_fmac_f32_e32 v116, v109, v91
	s_delay_alu instid0(VALU_DEP_1)
	v_sub_f32_e32 v2, v87, v116
	scratch_store_b32 off, v2, off offset:72
	v_cmpx_lt_u32_e32 17, v0
	s_cbranch_execz .LBB104_219
; %bb.218:
	scratch_load_b32 v2, off, off offset:68
	v_mov_b32_e32 v3, 0
	scratch_store_b32 off, v3, off offset:68
	s_waitcnt vmcnt(0)
	ds_store_b32 v1, v2
.LBB104_219:
	s_or_b32 exec_lo, exec_lo, s0
	s_waitcnt lgkmcnt(0)
	s_waitcnt_vscnt null, 0x0
	s_barrier
	buffer_gl0_inv
	s_clause 0x5
	scratch_load_b128 v[87:90], off, off offset:68
	scratch_load_b128 v[91:94], off, off offset:84
	scratch_load_b128 v[95:98], off, off offset:100
	scratch_load_b128 v[99:102], off, off offset:116
	scratch_load_b128 v[103:106], off, off offset:132
	scratch_load_b128 v[107:110], off, off offset:148
	v_mov_b32_e32 v2, 0
	ds_load_2addr_b64 v[111:114], v2 offset0:31 offset1:32
	ds_load_2addr_b64 v[115:118], v2 offset0:33 offset1:34
	s_mov_b32 s0, exec_lo
	s_waitcnt vmcnt(5) lgkmcnt(1)
	v_fma_f32 v111, v88, v111, 0
	s_delay_alu instid0(VALU_DEP_1) | instskip(SKIP_3) | instid1(VALU_DEP_1)
	v_fmac_f32_e32 v111, v89, v112
	ds_load_b64 v[3:4], v2 offset:328
	v_fmac_f32_e32 v111, v90, v113
	s_waitcnt vmcnt(4)
	v_fmac_f32_e32 v111, v91, v114
	ds_load_2addr_b64 v[88:91], v2 offset0:35 offset1:36
	s_waitcnt lgkmcnt(2)
	v_fmac_f32_e32 v111, v92, v115
	s_delay_alu instid0(VALU_DEP_1) | instskip(NEXT) | instid1(VALU_DEP_1)
	v_fmac_f32_e32 v111, v93, v116
	v_fmac_f32_e32 v111, v94, v117
	s_waitcnt vmcnt(3)
	s_delay_alu instid0(VALU_DEP_1) | instskip(SKIP_3) | instid1(VALU_DEP_1)
	v_fmac_f32_e32 v111, v95, v118
	ds_load_2addr_b64 v[92:95], v2 offset0:37 offset1:38
	s_waitcnt lgkmcnt(1)
	v_fmac_f32_e32 v111, v96, v88
	v_fmac_f32_e32 v111, v97, v89
	s_delay_alu instid0(VALU_DEP_1) | instskip(SKIP_1) | instid1(VALU_DEP_1)
	v_fmac_f32_e32 v111, v98, v90
	s_waitcnt vmcnt(2)
	v_fmac_f32_e32 v111, v99, v91
	ds_load_2addr_b64 v[88:91], v2 offset0:39 offset1:40
	s_waitcnt lgkmcnt(1)
	v_fmac_f32_e32 v111, v100, v92
	s_delay_alu instid0(VALU_DEP_1) | instskip(NEXT) | instid1(VALU_DEP_1)
	v_fmac_f32_e32 v111, v101, v93
	v_fmac_f32_e32 v111, v102, v94
	s_waitcnt vmcnt(1)
	s_delay_alu instid0(VALU_DEP_1) | instskip(SKIP_1) | instid1(VALU_DEP_1)
	v_fmac_f32_e32 v111, v103, v95
	s_waitcnt lgkmcnt(0)
	v_fmac_f32_e32 v111, v104, v88
	ds_load_b32 v88, v2 offset:336
	v_fmac_f32_e32 v111, v105, v89
	s_delay_alu instid0(VALU_DEP_1) | instskip(SKIP_1) | instid1(VALU_DEP_1)
	v_fmac_f32_e32 v111, v106, v90
	s_waitcnt vmcnt(0)
	v_fmac_f32_e32 v111, v107, v91
	s_delay_alu instid0(VALU_DEP_1) | instskip(NEXT) | instid1(VALU_DEP_1)
	v_fmac_f32_e32 v111, v108, v3
	v_fmac_f32_e32 v111, v109, v4
	s_waitcnt lgkmcnt(0)
	s_delay_alu instid0(VALU_DEP_1) | instskip(NEXT) | instid1(VALU_DEP_1)
	v_fmac_f32_e32 v111, v110, v88
	v_sub_f32_e32 v3, v87, v111
	scratch_store_b32 off, v3, off offset:68
	v_cmpx_lt_u32_e32 16, v0
	s_cbranch_execz .LBB104_221
; %bb.220:
	scratch_load_b32 v3, off, off offset:64
	scratch_store_b32 off, v2, off offset:64
	s_waitcnt vmcnt(0)
	ds_store_b32 v1, v3
.LBB104_221:
	s_or_b32 exec_lo, exec_lo, s0
	s_waitcnt lgkmcnt(0)
	s_waitcnt_vscnt null, 0x0
	s_barrier
	buffer_gl0_inv
	s_clause 0x6
	scratch_load_b128 v[87:90], off, off offset:64
	scratch_load_b128 v[91:94], off, off offset:80
	;; [unrolled: 1-line block ×6, first 2 shown]
	scratch_load_b32 v117, off, off offset:160
	ds_load_2addr_b32 v[3:4], v2 offset0:61 offset1:62
	ds_load_2addr_b32 v[111:112], v2 offset0:63 offset1:64
	;; [unrolled: 1-line block ×4, first 2 shown]
	s_mov_b32 s0, exec_lo
	s_waitcnt vmcnt(6) lgkmcnt(3)
	v_fma_f32 v118, v88, v3, 0
	s_delay_alu instid0(VALU_DEP_1)
	v_fmac_f32_e32 v118, v89, v4
	ds_load_2addr_b32 v[3:4], v2 offset0:69 offset1:70
	ds_load_2addr_b32 v[88:89], v2 offset0:71 offset1:72
	s_waitcnt lgkmcnt(4)
	v_fmac_f32_e32 v118, v90, v111
	s_waitcnt vmcnt(5)
	s_delay_alu instid0(VALU_DEP_1) | instskip(SKIP_1) | instid1(VALU_DEP_1)
	v_fmac_f32_e32 v118, v91, v112
	s_waitcnt lgkmcnt(3)
	v_fmac_f32_e32 v118, v92, v113
	s_delay_alu instid0(VALU_DEP_1)
	v_fmac_f32_e32 v118, v93, v114
	ds_load_2addr_b32 v[90:91], v2 offset0:73 offset1:74
	ds_load_2addr_b32 v[92:93], v2 offset0:75 offset1:76
	s_waitcnt lgkmcnt(4)
	v_fmac_f32_e32 v118, v94, v115
	s_waitcnt vmcnt(4)
	s_delay_alu instid0(VALU_DEP_1) | instskip(SKIP_1) | instid1(VALU_DEP_1)
	v_fmac_f32_e32 v118, v95, v116
	s_waitcnt lgkmcnt(3)
	v_fmac_f32_e32 v118, v96, v3
	s_delay_alu instid0(VALU_DEP_1) | instskip(SKIP_4) | instid1(VALU_DEP_1)
	v_fmac_f32_e32 v118, v97, v4
	ds_load_2addr_b32 v[3:4], v2 offset0:77 offset1:78
	s_waitcnt lgkmcnt(3)
	v_fmac_f32_e32 v118, v98, v88
	s_waitcnt vmcnt(3)
	v_fmac_f32_e32 v118, v99, v89
	ds_load_2addr_b32 v[88:89], v2 offset0:79 offset1:80
	s_waitcnt lgkmcnt(3)
	v_fmac_f32_e32 v118, v100, v90
	s_delay_alu instid0(VALU_DEP_1) | instskip(SKIP_1) | instid1(VALU_DEP_1)
	v_fmac_f32_e32 v118, v101, v91
	s_waitcnt lgkmcnt(2)
	v_fmac_f32_e32 v118, v102, v92
	s_waitcnt vmcnt(2)
	s_delay_alu instid0(VALU_DEP_1) | instskip(SKIP_4) | instid1(VALU_DEP_1)
	v_fmac_f32_e32 v118, v103, v93
	ds_load_2addr_b32 v[90:91], v2 offset0:81 offset1:82
	ds_load_2addr_b32 v[92:93], v2 offset0:83 offset1:84
	s_waitcnt lgkmcnt(3)
	v_fmac_f32_e32 v118, v104, v3
	v_fmac_f32_e32 v118, v105, v4
	s_waitcnt lgkmcnt(2)
	s_delay_alu instid0(VALU_DEP_1) | instskip(SKIP_1) | instid1(VALU_DEP_1)
	v_fmac_f32_e32 v118, v106, v88
	s_waitcnt vmcnt(1)
	v_fmac_f32_e32 v118, v107, v89
	s_waitcnt lgkmcnt(1)
	s_delay_alu instid0(VALU_DEP_1) | instskip(NEXT) | instid1(VALU_DEP_1)
	v_fmac_f32_e32 v118, v108, v90
	v_fmac_f32_e32 v118, v109, v91
	s_waitcnt lgkmcnt(0)
	s_delay_alu instid0(VALU_DEP_1) | instskip(SKIP_1) | instid1(VALU_DEP_1)
	v_fmac_f32_e32 v118, v110, v92
	s_waitcnt vmcnt(0)
	v_fmac_f32_e32 v118, v117, v93
	s_delay_alu instid0(VALU_DEP_1)
	v_sub_f32_e32 v2, v87, v118
	scratch_store_b32 off, v2, off offset:64
	v_cmpx_lt_u32_e32 15, v0
	s_cbranch_execz .LBB104_223
; %bb.222:
	scratch_load_b32 v2, off, off offset:60
	v_mov_b32_e32 v3, 0
	scratch_store_b32 off, v3, off offset:60
	s_waitcnt vmcnt(0)
	ds_store_b32 v1, v2
.LBB104_223:
	s_or_b32 exec_lo, exec_lo, s0
	s_waitcnt lgkmcnt(0)
	s_waitcnt_vscnt null, 0x0
	s_barrier
	buffer_gl0_inv
	s_clause 0x6
	scratch_load_b128 v[87:90], off, off offset:60
	scratch_load_b128 v[91:94], off, off offset:76
	;; [unrolled: 1-line block ×6, first 2 shown]
	scratch_load_b64 v[3:4], off, off offset:156
	v_mov_b32_e32 v2, 0
	ds_load_b128 v[111:114], v2 offset:240
	ds_load_b128 v[115:118], v2 offset:256
	s_mov_b32 s0, exec_lo
	s_waitcnt vmcnt(6) lgkmcnt(1)
	v_fma_f32 v111, v88, v111, 0
	s_delay_alu instid0(VALU_DEP_1) | instskip(NEXT) | instid1(VALU_DEP_1)
	v_fmac_f32_e32 v111, v89, v112
	v_fmac_f32_e32 v111, v90, v113
	s_waitcnt vmcnt(5)
	s_delay_alu instid0(VALU_DEP_1) | instskip(SKIP_3) | instid1(VALU_DEP_1)
	v_fmac_f32_e32 v111, v91, v114
	ds_load_b128 v[88:91], v2 offset:272
	s_waitcnt lgkmcnt(1)
	v_fmac_f32_e32 v111, v92, v115
	v_fmac_f32_e32 v111, v93, v116
	s_delay_alu instid0(VALU_DEP_1) | instskip(SKIP_1) | instid1(VALU_DEP_1)
	v_fmac_f32_e32 v111, v94, v117
	s_waitcnt vmcnt(4)
	v_fmac_f32_e32 v111, v95, v118
	ds_load_b128 v[92:95], v2 offset:288
	s_waitcnt lgkmcnt(1)
	v_fmac_f32_e32 v111, v96, v88
	s_delay_alu instid0(VALU_DEP_1) | instskip(NEXT) | instid1(VALU_DEP_1)
	v_fmac_f32_e32 v111, v97, v89
	v_fmac_f32_e32 v111, v98, v90
	s_waitcnt vmcnt(3)
	s_delay_alu instid0(VALU_DEP_1) | instskip(SKIP_3) | instid1(VALU_DEP_1)
	v_fmac_f32_e32 v111, v99, v91
	ds_load_b128 v[88:91], v2 offset:304
	s_waitcnt lgkmcnt(1)
	v_fmac_f32_e32 v111, v100, v92
	v_fmac_f32_e32 v111, v101, v93
	s_delay_alu instid0(VALU_DEP_1) | instskip(SKIP_1) | instid1(VALU_DEP_1)
	v_fmac_f32_e32 v111, v102, v94
	s_waitcnt vmcnt(2)
	v_fmac_f32_e32 v111, v103, v95
	ds_load_b128 v[92:95], v2 offset:320
	s_waitcnt lgkmcnt(1)
	v_fmac_f32_e32 v111, v104, v88
	ds_load_b32 v88, v2 offset:336
	v_fmac_f32_e32 v111, v105, v89
	s_delay_alu instid0(VALU_DEP_1) | instskip(SKIP_1) | instid1(VALU_DEP_1)
	v_fmac_f32_e32 v111, v106, v90
	s_waitcnt vmcnt(1)
	v_fmac_f32_e32 v111, v107, v91
	s_waitcnt lgkmcnt(1)
	s_delay_alu instid0(VALU_DEP_1) | instskip(NEXT) | instid1(VALU_DEP_1)
	v_fmac_f32_e32 v111, v108, v92
	v_fmac_f32_e32 v111, v109, v93
	s_delay_alu instid0(VALU_DEP_1) | instskip(SKIP_1) | instid1(VALU_DEP_1)
	v_fmac_f32_e32 v111, v110, v94
	s_waitcnt vmcnt(0)
	v_fmac_f32_e32 v111, v3, v95
	s_waitcnt lgkmcnt(0)
	s_delay_alu instid0(VALU_DEP_1) | instskip(NEXT) | instid1(VALU_DEP_1)
	v_fmac_f32_e32 v111, v4, v88
	v_sub_f32_e32 v3, v87, v111
	scratch_store_b32 off, v3, off offset:60
	v_cmpx_lt_u32_e32 14, v0
	s_cbranch_execz .LBB104_225
; %bb.224:
	scratch_load_b32 v3, off, off offset:56
	scratch_store_b32 off, v2, off offset:56
	s_waitcnt vmcnt(0)
	ds_store_b32 v1, v3
.LBB104_225:
	s_or_b32 exec_lo, exec_lo, s0
	s_waitcnt lgkmcnt(0)
	s_waitcnt_vscnt null, 0x0
	s_barrier
	buffer_gl0_inv
	s_clause 0x6
	scratch_load_b128 v[87:90], off, off offset:56
	scratch_load_b128 v[91:94], off, off offset:72
	;; [unrolled: 1-line block ×6, first 2 shown]
	scratch_load_b96 v[111:113], off, off offset:152
	ds_load_2addr_b32 v[3:4], v2 offset0:59 offset1:60
	ds_load_2addr_b32 v[114:115], v2 offset0:61 offset1:62
	;; [unrolled: 1-line block ×3, first 2 shown]
	s_mov_b32 s0, exec_lo
	s_waitcnt vmcnt(6) lgkmcnt(2)
	v_fma_f32 v118, v88, v3, 0
	s_delay_alu instid0(VALU_DEP_1)
	v_fmac_f32_e32 v118, v89, v4
	ds_load_2addr_b32 v[3:4], v2 offset0:65 offset1:66
	ds_load_2addr_b32 v[88:89], v2 offset0:67 offset1:68
	s_waitcnt lgkmcnt(3)
	v_fmac_f32_e32 v118, v90, v114
	s_waitcnt vmcnt(5)
	s_delay_alu instid0(VALU_DEP_1) | instskip(SKIP_3) | instid1(VALU_DEP_1)
	v_fmac_f32_e32 v118, v91, v115
	ds_load_2addr_b32 v[90:91], v2 offset0:69 offset1:70
	s_waitcnt lgkmcnt(3)
	v_fmac_f32_e32 v118, v92, v116
	v_fmac_f32_e32 v118, v93, v117
	s_waitcnt lgkmcnt(2)
	s_delay_alu instid0(VALU_DEP_1) | instskip(SKIP_1) | instid1(VALU_DEP_1)
	v_fmac_f32_e32 v118, v94, v3
	s_waitcnt vmcnt(4)
	v_fmac_f32_e32 v118, v95, v4
	ds_load_2addr_b32 v[3:4], v2 offset0:71 offset1:72
	s_waitcnt lgkmcnt(2)
	v_fmac_f32_e32 v118, v96, v88
	s_delay_alu instid0(VALU_DEP_1) | instskip(SKIP_4) | instid1(VALU_DEP_1)
	v_fmac_f32_e32 v118, v97, v89
	ds_load_2addr_b32 v[88:89], v2 offset0:73 offset1:74
	s_waitcnt lgkmcnt(2)
	v_fmac_f32_e32 v118, v98, v90
	s_waitcnt vmcnt(3)
	v_fmac_f32_e32 v118, v99, v91
	ds_load_2addr_b32 v[90:91], v2 offset0:75 offset1:76
	s_waitcnt lgkmcnt(2)
	v_fmac_f32_e32 v118, v100, v3
	s_delay_alu instid0(VALU_DEP_1) | instskip(SKIP_4) | instid1(VALU_DEP_1)
	v_fmac_f32_e32 v118, v101, v4
	ds_load_2addr_b32 v[3:4], v2 offset0:77 offset1:78
	s_waitcnt lgkmcnt(2)
	v_fmac_f32_e32 v118, v102, v88
	s_waitcnt vmcnt(2)
	v_fmac_f32_e32 v118, v103, v89
	ds_load_2addr_b32 v[88:89], v2 offset0:79 offset1:80
	s_waitcnt lgkmcnt(2)
	v_fmac_f32_e32 v118, v104, v90
	s_delay_alu instid0(VALU_DEP_1)
	v_fmac_f32_e32 v118, v105, v91
	ds_load_2addr_b32 v[90:91], v2 offset0:81 offset1:82
	s_waitcnt lgkmcnt(2)
	v_fmac_f32_e32 v118, v106, v3
	ds_load_2addr_b32 v[2:3], v2 offset0:83 offset1:84
	s_waitcnt vmcnt(1)
	v_fmac_f32_e32 v118, v107, v4
	s_waitcnt lgkmcnt(2)
	s_delay_alu instid0(VALU_DEP_1) | instskip(NEXT) | instid1(VALU_DEP_1)
	v_fmac_f32_e32 v118, v108, v88
	v_fmac_f32_e32 v118, v109, v89
	s_waitcnt lgkmcnt(1)
	s_delay_alu instid0(VALU_DEP_1) | instskip(SKIP_1) | instid1(VALU_DEP_1)
	v_fmac_f32_e32 v118, v110, v90
	s_waitcnt vmcnt(0)
	v_fmac_f32_e32 v118, v111, v91
	s_waitcnt lgkmcnt(0)
	s_delay_alu instid0(VALU_DEP_1) | instskip(NEXT) | instid1(VALU_DEP_1)
	v_fmac_f32_e32 v118, v112, v2
	v_fmac_f32_e32 v118, v113, v3
	s_delay_alu instid0(VALU_DEP_1)
	v_sub_f32_e32 v2, v87, v118
	scratch_store_b32 off, v2, off offset:56
	v_cmpx_lt_u32_e32 13, v0
	s_cbranch_execz .LBB104_227
; %bb.226:
	scratch_load_b32 v2, off, off offset:52
	v_mov_b32_e32 v3, 0
	scratch_store_b32 off, v3, off offset:52
	s_waitcnt vmcnt(0)
	ds_store_b32 v1, v2
.LBB104_227:
	s_or_b32 exec_lo, exec_lo, s0
	s_waitcnt lgkmcnt(0)
	s_waitcnt_vscnt null, 0x0
	s_barrier
	buffer_gl0_inv
	s_clause 0x6
	scratch_load_b128 v[87:90], off, off offset:52
	scratch_load_b128 v[91:94], off, off offset:68
	;; [unrolled: 1-line block ×7, first 2 shown]
	v_mov_b32_e32 v2, 0
	ds_load_2addr_b64 v[115:118], v2 offset0:29 offset1:30
	ds_load_2addr_b64 v[119:122], v2 offset0:31 offset1:32
	s_mov_b32 s0, exec_lo
	s_waitcnt vmcnt(6) lgkmcnt(1)
	v_fma_f32 v115, v88, v115, 0
	s_delay_alu instid0(VALU_DEP_1) | instskip(SKIP_3) | instid1(VALU_DEP_1)
	v_fmac_f32_e32 v115, v89, v116
	ds_load_b64 v[3:4], v2 offset:328
	v_fmac_f32_e32 v115, v90, v117
	s_waitcnt vmcnt(5)
	v_fmac_f32_e32 v115, v91, v118
	ds_load_2addr_b64 v[88:91], v2 offset0:33 offset1:34
	s_waitcnt lgkmcnt(2)
	v_fmac_f32_e32 v115, v92, v119
	s_delay_alu instid0(VALU_DEP_1) | instskip(NEXT) | instid1(VALU_DEP_1)
	v_fmac_f32_e32 v115, v93, v120
	v_fmac_f32_e32 v115, v94, v121
	s_waitcnt vmcnt(4)
	s_delay_alu instid0(VALU_DEP_1) | instskip(SKIP_3) | instid1(VALU_DEP_1)
	v_fmac_f32_e32 v115, v95, v122
	ds_load_2addr_b64 v[92:95], v2 offset0:35 offset1:36
	s_waitcnt lgkmcnt(1)
	v_fmac_f32_e32 v115, v96, v88
	v_fmac_f32_e32 v115, v97, v89
	s_delay_alu instid0(VALU_DEP_1) | instskip(SKIP_1) | instid1(VALU_DEP_1)
	v_fmac_f32_e32 v115, v98, v90
	s_waitcnt vmcnt(3)
	v_fmac_f32_e32 v115, v99, v91
	ds_load_2addr_b64 v[88:91], v2 offset0:37 offset1:38
	s_waitcnt lgkmcnt(1)
	v_fmac_f32_e32 v115, v100, v92
	s_delay_alu instid0(VALU_DEP_1) | instskip(NEXT) | instid1(VALU_DEP_1)
	v_fmac_f32_e32 v115, v101, v93
	v_fmac_f32_e32 v115, v102, v94
	s_waitcnt vmcnt(2)
	s_delay_alu instid0(VALU_DEP_1)
	v_fmac_f32_e32 v115, v103, v95
	ds_load_2addr_b64 v[92:95], v2 offset0:39 offset1:40
	s_waitcnt lgkmcnt(1)
	v_fmac_f32_e32 v115, v104, v88
	ds_load_b32 v88, v2 offset:336
	v_fmac_f32_e32 v115, v105, v89
	s_delay_alu instid0(VALU_DEP_1) | instskip(SKIP_1) | instid1(VALU_DEP_1)
	v_fmac_f32_e32 v115, v106, v90
	s_waitcnt vmcnt(1)
	v_fmac_f32_e32 v115, v107, v91
	s_waitcnt lgkmcnt(1)
	s_delay_alu instid0(VALU_DEP_1) | instskip(NEXT) | instid1(VALU_DEP_1)
	v_fmac_f32_e32 v115, v108, v92
	v_fmac_f32_e32 v115, v109, v93
	s_delay_alu instid0(VALU_DEP_1) | instskip(SKIP_1) | instid1(VALU_DEP_1)
	v_fmac_f32_e32 v115, v110, v94
	s_waitcnt vmcnt(0)
	v_fmac_f32_e32 v115, v111, v95
	s_delay_alu instid0(VALU_DEP_1) | instskip(NEXT) | instid1(VALU_DEP_1)
	v_fmac_f32_e32 v115, v112, v3
	v_fmac_f32_e32 v115, v113, v4
	s_waitcnt lgkmcnt(0)
	s_delay_alu instid0(VALU_DEP_1) | instskip(NEXT) | instid1(VALU_DEP_1)
	v_fmac_f32_e32 v115, v114, v88
	v_sub_f32_e32 v3, v87, v115
	scratch_store_b32 off, v3, off offset:52
	v_cmpx_lt_u32_e32 12, v0
	s_cbranch_execz .LBB104_229
; %bb.228:
	scratch_load_b32 v3, off, off offset:48
	scratch_store_b32 off, v2, off offset:48
	s_waitcnt vmcnt(0)
	ds_store_b32 v1, v3
.LBB104_229:
	s_or_b32 exec_lo, exec_lo, s0
	s_waitcnt lgkmcnt(0)
	s_waitcnt_vscnt null, 0x0
	s_barrier
	buffer_gl0_inv
	s_clause 0x7
	scratch_load_b128 v[87:90], off, off offset:48
	scratch_load_b128 v[91:94], off, off offset:64
	;; [unrolled: 1-line block ×7, first 2 shown]
	scratch_load_b32 v121, off, off offset:160
	ds_load_2addr_b32 v[3:4], v2 offset0:57 offset1:58
	ds_load_2addr_b32 v[115:116], v2 offset0:59 offset1:60
	;; [unrolled: 1-line block ×4, first 2 shown]
	s_mov_b32 s0, exec_lo
	s_waitcnt vmcnt(7) lgkmcnt(3)
	v_fma_f32 v122, v88, v3, 0
	s_delay_alu instid0(VALU_DEP_1)
	v_fmac_f32_e32 v122, v89, v4
	ds_load_2addr_b32 v[3:4], v2 offset0:65 offset1:66
	ds_load_2addr_b32 v[88:89], v2 offset0:67 offset1:68
	s_waitcnt lgkmcnt(4)
	v_fmac_f32_e32 v122, v90, v115
	s_waitcnt vmcnt(6)
	s_delay_alu instid0(VALU_DEP_1) | instskip(SKIP_1) | instid1(VALU_DEP_1)
	v_fmac_f32_e32 v122, v91, v116
	s_waitcnt lgkmcnt(3)
	v_fmac_f32_e32 v122, v92, v117
	s_delay_alu instid0(VALU_DEP_1)
	v_fmac_f32_e32 v122, v93, v118
	ds_load_2addr_b32 v[90:91], v2 offset0:69 offset1:70
	ds_load_2addr_b32 v[92:93], v2 offset0:71 offset1:72
	s_waitcnt lgkmcnt(4)
	v_fmac_f32_e32 v122, v94, v119
	s_waitcnt vmcnt(5)
	s_delay_alu instid0(VALU_DEP_1) | instskip(SKIP_1) | instid1(VALU_DEP_1)
	v_fmac_f32_e32 v122, v95, v120
	s_waitcnt lgkmcnt(3)
	v_fmac_f32_e32 v122, v96, v3
	s_delay_alu instid0(VALU_DEP_1) | instskip(SKIP_4) | instid1(VALU_DEP_1)
	v_fmac_f32_e32 v122, v97, v4
	ds_load_2addr_b32 v[3:4], v2 offset0:73 offset1:74
	s_waitcnt lgkmcnt(3)
	v_fmac_f32_e32 v122, v98, v88
	s_waitcnt vmcnt(4)
	v_fmac_f32_e32 v122, v99, v89
	ds_load_2addr_b32 v[88:89], v2 offset0:75 offset1:76
	s_waitcnt lgkmcnt(3)
	v_fmac_f32_e32 v122, v100, v90
	s_delay_alu instid0(VALU_DEP_1) | instskip(SKIP_1) | instid1(VALU_DEP_1)
	v_fmac_f32_e32 v122, v101, v91
	s_waitcnt lgkmcnt(2)
	v_fmac_f32_e32 v122, v102, v92
	s_waitcnt vmcnt(3)
	s_delay_alu instid0(VALU_DEP_1) | instskip(SKIP_4) | instid1(VALU_DEP_1)
	v_fmac_f32_e32 v122, v103, v93
	ds_load_2addr_b32 v[90:91], v2 offset0:77 offset1:78
	ds_load_2addr_b32 v[92:93], v2 offset0:79 offset1:80
	s_waitcnt lgkmcnt(3)
	v_fmac_f32_e32 v122, v104, v3
	v_fmac_f32_e32 v122, v105, v4
	ds_load_2addr_b32 v[3:4], v2 offset0:81 offset1:82
	s_waitcnt lgkmcnt(3)
	v_fmac_f32_e32 v122, v106, v88
	s_waitcnt vmcnt(2)
	s_delay_alu instid0(VALU_DEP_1) | instskip(SKIP_3) | instid1(VALU_DEP_1)
	v_fmac_f32_e32 v122, v107, v89
	ds_load_2addr_b32 v[88:89], v2 offset0:83 offset1:84
	s_waitcnt lgkmcnt(3)
	v_fmac_f32_e32 v122, v108, v90
	v_fmac_f32_e32 v122, v109, v91
	s_waitcnt lgkmcnt(2)
	s_delay_alu instid0(VALU_DEP_1) | instskip(SKIP_1) | instid1(VALU_DEP_1)
	v_fmac_f32_e32 v122, v110, v92
	s_waitcnt vmcnt(1)
	v_fmac_f32_e32 v122, v111, v93
	s_waitcnt lgkmcnt(1)
	s_delay_alu instid0(VALU_DEP_1) | instskip(NEXT) | instid1(VALU_DEP_1)
	v_fmac_f32_e32 v122, v112, v3
	v_fmac_f32_e32 v122, v113, v4
	s_waitcnt lgkmcnt(0)
	s_delay_alu instid0(VALU_DEP_1) | instskip(SKIP_1) | instid1(VALU_DEP_1)
	v_fmac_f32_e32 v122, v114, v88
	s_waitcnt vmcnt(0)
	v_fmac_f32_e32 v122, v121, v89
	s_delay_alu instid0(VALU_DEP_1)
	v_sub_f32_e32 v2, v87, v122
	scratch_store_b32 off, v2, off offset:48
	v_cmpx_lt_u32_e32 11, v0
	s_cbranch_execz .LBB104_231
; %bb.230:
	scratch_load_b32 v2, off, off offset:44
	v_mov_b32_e32 v3, 0
	scratch_store_b32 off, v3, off offset:44
	s_waitcnt vmcnt(0)
	ds_store_b32 v1, v2
.LBB104_231:
	s_or_b32 exec_lo, exec_lo, s0
	s_waitcnt lgkmcnt(0)
	s_waitcnt_vscnt null, 0x0
	s_barrier
	buffer_gl0_inv
	s_clause 0x7
	scratch_load_b128 v[87:90], off, off offset:44
	scratch_load_b128 v[91:94], off, off offset:60
	;; [unrolled: 1-line block ×7, first 2 shown]
	scratch_load_b64 v[3:4], off, off offset:156
	v_mov_b32_e32 v2, 0
	ds_load_b128 v[115:118], v2 offset:224
	ds_load_b128 v[119:122], v2 offset:240
	s_mov_b32 s0, exec_lo
	s_waitcnt vmcnt(7) lgkmcnt(1)
	v_fma_f32 v115, v88, v115, 0
	s_delay_alu instid0(VALU_DEP_1) | instskip(NEXT) | instid1(VALU_DEP_1)
	v_fmac_f32_e32 v115, v89, v116
	v_fmac_f32_e32 v115, v90, v117
	s_waitcnt vmcnt(6)
	s_delay_alu instid0(VALU_DEP_1) | instskip(SKIP_3) | instid1(VALU_DEP_1)
	v_fmac_f32_e32 v115, v91, v118
	ds_load_b128 v[88:91], v2 offset:256
	s_waitcnt lgkmcnt(1)
	v_fmac_f32_e32 v115, v92, v119
	v_fmac_f32_e32 v115, v93, v120
	s_delay_alu instid0(VALU_DEP_1) | instskip(SKIP_1) | instid1(VALU_DEP_1)
	v_fmac_f32_e32 v115, v94, v121
	s_waitcnt vmcnt(5)
	v_fmac_f32_e32 v115, v95, v122
	ds_load_b128 v[92:95], v2 offset:272
	s_waitcnt lgkmcnt(1)
	v_fmac_f32_e32 v115, v96, v88
	s_delay_alu instid0(VALU_DEP_1) | instskip(NEXT) | instid1(VALU_DEP_1)
	v_fmac_f32_e32 v115, v97, v89
	v_fmac_f32_e32 v115, v98, v90
	s_waitcnt vmcnt(4)
	s_delay_alu instid0(VALU_DEP_1) | instskip(SKIP_3) | instid1(VALU_DEP_1)
	v_fmac_f32_e32 v115, v99, v91
	ds_load_b128 v[88:91], v2 offset:288
	s_waitcnt lgkmcnt(1)
	v_fmac_f32_e32 v115, v100, v92
	v_fmac_f32_e32 v115, v101, v93
	s_delay_alu instid0(VALU_DEP_1) | instskip(SKIP_1) | instid1(VALU_DEP_1)
	v_fmac_f32_e32 v115, v102, v94
	s_waitcnt vmcnt(3)
	v_fmac_f32_e32 v115, v103, v95
	ds_load_b128 v[92:95], v2 offset:304
	s_waitcnt lgkmcnt(1)
	v_fmac_f32_e32 v115, v104, v88
	s_delay_alu instid0(VALU_DEP_1) | instskip(NEXT) | instid1(VALU_DEP_1)
	v_fmac_f32_e32 v115, v105, v89
	v_fmac_f32_e32 v115, v106, v90
	s_waitcnt vmcnt(2)
	s_delay_alu instid0(VALU_DEP_1)
	v_fmac_f32_e32 v115, v107, v91
	ds_load_b128 v[88:91], v2 offset:320
	s_waitcnt lgkmcnt(1)
	v_fmac_f32_e32 v115, v108, v92
	ds_load_b32 v92, v2 offset:336
	v_fmac_f32_e32 v115, v109, v93
	s_delay_alu instid0(VALU_DEP_1) | instskip(SKIP_1) | instid1(VALU_DEP_1)
	v_fmac_f32_e32 v115, v110, v94
	s_waitcnt vmcnt(1)
	v_fmac_f32_e32 v115, v111, v95
	s_waitcnt lgkmcnt(1)
	s_delay_alu instid0(VALU_DEP_1) | instskip(NEXT) | instid1(VALU_DEP_1)
	v_fmac_f32_e32 v115, v112, v88
	v_fmac_f32_e32 v115, v113, v89
	s_delay_alu instid0(VALU_DEP_1) | instskip(SKIP_1) | instid1(VALU_DEP_1)
	v_fmac_f32_e32 v115, v114, v90
	s_waitcnt vmcnt(0)
	v_fmac_f32_e32 v115, v3, v91
	s_waitcnt lgkmcnt(0)
	s_delay_alu instid0(VALU_DEP_1) | instskip(NEXT) | instid1(VALU_DEP_1)
	v_fmac_f32_e32 v115, v4, v92
	v_sub_f32_e32 v3, v87, v115
	scratch_store_b32 off, v3, off offset:44
	v_cmpx_lt_u32_e32 10, v0
	s_cbranch_execz .LBB104_233
; %bb.232:
	scratch_load_b32 v3, off, off offset:40
	scratch_store_b32 off, v2, off offset:40
	s_waitcnt vmcnt(0)
	ds_store_b32 v1, v3
.LBB104_233:
	s_or_b32 exec_lo, exec_lo, s0
	s_waitcnt lgkmcnt(0)
	s_waitcnt_vscnt null, 0x0
	s_barrier
	buffer_gl0_inv
	s_clause 0x7
	scratch_load_b128 v[87:90], off, off offset:40
	scratch_load_b128 v[91:94], off, off offset:56
	;; [unrolled: 1-line block ×7, first 2 shown]
	scratch_load_b96 v[115:117], off, off offset:152
	ds_load_2addr_b32 v[3:4], v2 offset0:55 offset1:56
	ds_load_2addr_b32 v[118:119], v2 offset0:57 offset1:58
	;; [unrolled: 1-line block ×4, first 2 shown]
	s_mov_b32 s0, exec_lo
	s_waitcnt vmcnt(7) lgkmcnt(3)
	v_fma_f32 v124, v88, v3, 0
	s_delay_alu instid0(VALU_DEP_1)
	v_fmac_f32_e32 v124, v89, v4
	ds_load_2addr_b32 v[3:4], v2 offset0:63 offset1:64
	ds_load_2addr_b32 v[88:89], v2 offset0:65 offset1:66
	s_waitcnt lgkmcnt(4)
	v_fmac_f32_e32 v124, v90, v118
	s_waitcnt vmcnt(6)
	s_delay_alu instid0(VALU_DEP_1) | instskip(SKIP_1) | instid1(VALU_DEP_1)
	v_fmac_f32_e32 v124, v91, v119
	s_waitcnt lgkmcnt(3)
	v_fmac_f32_e32 v124, v92, v120
	s_delay_alu instid0(VALU_DEP_1)
	v_fmac_f32_e32 v124, v93, v121
	ds_load_2addr_b32 v[90:91], v2 offset0:67 offset1:68
	ds_load_2addr_b32 v[92:93], v2 offset0:69 offset1:70
	s_waitcnt lgkmcnt(4)
	v_fmac_f32_e32 v124, v94, v122
	s_waitcnt vmcnt(5)
	s_delay_alu instid0(VALU_DEP_1) | instskip(SKIP_1) | instid1(VALU_DEP_1)
	v_fmac_f32_e32 v124, v95, v123
	s_waitcnt lgkmcnt(3)
	v_fmac_f32_e32 v124, v96, v3
	s_delay_alu instid0(VALU_DEP_1) | instskip(SKIP_4) | instid1(VALU_DEP_1)
	v_fmac_f32_e32 v124, v97, v4
	ds_load_2addr_b32 v[3:4], v2 offset0:71 offset1:72
	s_waitcnt lgkmcnt(3)
	v_fmac_f32_e32 v124, v98, v88
	s_waitcnt vmcnt(4)
	v_fmac_f32_e32 v124, v99, v89
	ds_load_2addr_b32 v[88:89], v2 offset0:73 offset1:74
	s_waitcnt lgkmcnt(3)
	v_fmac_f32_e32 v124, v100, v90
	s_delay_alu instid0(VALU_DEP_1) | instskip(SKIP_1) | instid1(VALU_DEP_1)
	v_fmac_f32_e32 v124, v101, v91
	s_waitcnt lgkmcnt(2)
	v_fmac_f32_e32 v124, v102, v92
	s_waitcnt vmcnt(3)
	s_delay_alu instid0(VALU_DEP_1) | instskip(SKIP_4) | instid1(VALU_DEP_1)
	v_fmac_f32_e32 v124, v103, v93
	ds_load_2addr_b32 v[90:91], v2 offset0:75 offset1:76
	ds_load_2addr_b32 v[92:93], v2 offset0:77 offset1:78
	s_waitcnt lgkmcnt(3)
	v_fmac_f32_e32 v124, v104, v3
	v_fmac_f32_e32 v124, v105, v4
	ds_load_2addr_b32 v[3:4], v2 offset0:79 offset1:80
	s_waitcnt lgkmcnt(3)
	v_fmac_f32_e32 v124, v106, v88
	s_waitcnt vmcnt(2)
	s_delay_alu instid0(VALU_DEP_1) | instskip(SKIP_3) | instid1(VALU_DEP_1)
	v_fmac_f32_e32 v124, v107, v89
	ds_load_2addr_b32 v[88:89], v2 offset0:81 offset1:82
	s_waitcnt lgkmcnt(3)
	v_fmac_f32_e32 v124, v108, v90
	v_fmac_f32_e32 v124, v109, v91
	ds_load_2addr_b32 v[90:91], v2 offset0:83 offset1:84
	s_waitcnt lgkmcnt(3)
	v_fmac_f32_e32 v124, v110, v92
	s_waitcnt vmcnt(1)
	s_delay_alu instid0(VALU_DEP_1) | instskip(SKIP_1) | instid1(VALU_DEP_1)
	v_fmac_f32_e32 v124, v111, v93
	s_waitcnt lgkmcnt(2)
	v_fmac_f32_e32 v124, v112, v3
	s_delay_alu instid0(VALU_DEP_1) | instskip(SKIP_1) | instid1(VALU_DEP_1)
	v_fmac_f32_e32 v124, v113, v4
	s_waitcnt lgkmcnt(1)
	v_fmac_f32_e32 v124, v114, v88
	s_waitcnt vmcnt(0)
	s_delay_alu instid0(VALU_DEP_1) | instskip(SKIP_1) | instid1(VALU_DEP_1)
	v_fmac_f32_e32 v124, v115, v89
	s_waitcnt lgkmcnt(0)
	v_fmac_f32_e32 v124, v116, v90
	s_delay_alu instid0(VALU_DEP_1) | instskip(NEXT) | instid1(VALU_DEP_1)
	v_fmac_f32_e32 v124, v117, v91
	v_sub_f32_e32 v2, v87, v124
	scratch_store_b32 off, v2, off offset:40
	v_cmpx_lt_u32_e32 9, v0
	s_cbranch_execz .LBB104_235
; %bb.234:
	scratch_load_b32 v2, off, off offset:36
	v_mov_b32_e32 v3, 0
	scratch_store_b32 off, v3, off offset:36
	s_waitcnt vmcnt(0)
	ds_store_b32 v1, v2
.LBB104_235:
	s_or_b32 exec_lo, exec_lo, s0
	s_waitcnt lgkmcnt(0)
	s_waitcnt_vscnt null, 0x0
	s_barrier
	buffer_gl0_inv
	s_clause 0x7
	scratch_load_b128 v[87:90], off, off offset:36
	scratch_load_b128 v[91:94], off, off offset:52
	;; [unrolled: 1-line block ×8, first 2 shown]
	v_mov_b32_e32 v2, 0
	ds_load_2addr_b64 v[119:122], v2 offset0:27 offset1:28
	ds_load_2addr_b64 v[123:126], v2 offset0:29 offset1:30
	s_mov_b32 s0, exec_lo
	s_waitcnt vmcnt(7) lgkmcnt(1)
	v_fma_f32 v119, v88, v119, 0
	s_delay_alu instid0(VALU_DEP_1) | instskip(SKIP_3) | instid1(VALU_DEP_1)
	v_fmac_f32_e32 v119, v89, v120
	ds_load_b64 v[3:4], v2 offset:328
	v_fmac_f32_e32 v119, v90, v121
	s_waitcnt vmcnt(6)
	v_fmac_f32_e32 v119, v91, v122
	ds_load_2addr_b64 v[88:91], v2 offset0:31 offset1:32
	s_waitcnt lgkmcnt(2)
	v_fmac_f32_e32 v119, v92, v123
	s_delay_alu instid0(VALU_DEP_1) | instskip(NEXT) | instid1(VALU_DEP_1)
	v_fmac_f32_e32 v119, v93, v124
	v_fmac_f32_e32 v119, v94, v125
	s_waitcnt vmcnt(5)
	s_delay_alu instid0(VALU_DEP_1) | instskip(SKIP_3) | instid1(VALU_DEP_1)
	v_fmac_f32_e32 v119, v95, v126
	ds_load_2addr_b64 v[92:95], v2 offset0:33 offset1:34
	s_waitcnt lgkmcnt(1)
	v_fmac_f32_e32 v119, v96, v88
	v_fmac_f32_e32 v119, v97, v89
	s_delay_alu instid0(VALU_DEP_1) | instskip(SKIP_1) | instid1(VALU_DEP_1)
	v_fmac_f32_e32 v119, v98, v90
	s_waitcnt vmcnt(4)
	v_fmac_f32_e32 v119, v99, v91
	ds_load_2addr_b64 v[88:91], v2 offset0:35 offset1:36
	s_waitcnt lgkmcnt(1)
	v_fmac_f32_e32 v119, v100, v92
	s_delay_alu instid0(VALU_DEP_1) | instskip(NEXT) | instid1(VALU_DEP_1)
	v_fmac_f32_e32 v119, v101, v93
	v_fmac_f32_e32 v119, v102, v94
	s_waitcnt vmcnt(3)
	s_delay_alu instid0(VALU_DEP_1) | instskip(SKIP_3) | instid1(VALU_DEP_1)
	v_fmac_f32_e32 v119, v103, v95
	ds_load_2addr_b64 v[92:95], v2 offset0:37 offset1:38
	s_waitcnt lgkmcnt(1)
	v_fmac_f32_e32 v119, v104, v88
	v_fmac_f32_e32 v119, v105, v89
	s_delay_alu instid0(VALU_DEP_1) | instskip(SKIP_1) | instid1(VALU_DEP_1)
	v_fmac_f32_e32 v119, v106, v90
	s_waitcnt vmcnt(2)
	v_fmac_f32_e32 v119, v107, v91
	ds_load_2addr_b64 v[88:91], v2 offset0:39 offset1:40
	s_waitcnt lgkmcnt(1)
	v_fmac_f32_e32 v119, v108, v92
	s_delay_alu instid0(VALU_DEP_1) | instskip(NEXT) | instid1(VALU_DEP_1)
	v_fmac_f32_e32 v119, v109, v93
	v_fmac_f32_e32 v119, v110, v94
	s_waitcnt vmcnt(1)
	s_delay_alu instid0(VALU_DEP_1) | instskip(SKIP_1) | instid1(VALU_DEP_1)
	v_fmac_f32_e32 v119, v111, v95
	s_waitcnt lgkmcnt(0)
	v_fmac_f32_e32 v119, v112, v88
	ds_load_b32 v88, v2 offset:336
	v_fmac_f32_e32 v119, v113, v89
	s_delay_alu instid0(VALU_DEP_1) | instskip(SKIP_1) | instid1(VALU_DEP_1)
	v_fmac_f32_e32 v119, v114, v90
	s_waitcnt vmcnt(0)
	v_fmac_f32_e32 v119, v115, v91
	s_delay_alu instid0(VALU_DEP_1) | instskip(NEXT) | instid1(VALU_DEP_1)
	v_fmac_f32_e32 v119, v116, v3
	v_fmac_f32_e32 v119, v117, v4
	s_waitcnt lgkmcnt(0)
	s_delay_alu instid0(VALU_DEP_1) | instskip(NEXT) | instid1(VALU_DEP_1)
	v_fmac_f32_e32 v119, v118, v88
	v_sub_f32_e32 v3, v87, v119
	scratch_store_b32 off, v3, off offset:36
	v_cmpx_lt_u32_e32 8, v0
	s_cbranch_execz .LBB104_237
; %bb.236:
	scratch_load_b32 v3, off, off offset:32
	scratch_store_b32 off, v2, off offset:32
	s_waitcnt vmcnt(0)
	ds_store_b32 v1, v3
.LBB104_237:
	s_or_b32 exec_lo, exec_lo, s0
	s_waitcnt lgkmcnt(0)
	s_waitcnt_vscnt null, 0x0
	s_barrier
	buffer_gl0_inv
	s_clause 0x8
	scratch_load_b128 v[87:90], off, off offset:32
	scratch_load_b128 v[91:94], off, off offset:48
	;; [unrolled: 1-line block ×8, first 2 shown]
	scratch_load_b32 v125, off, off offset:160
	ds_load_2addr_b32 v[3:4], v2 offset0:53 offset1:54
	ds_load_2addr_b32 v[119:120], v2 offset0:55 offset1:56
	;; [unrolled: 1-line block ×4, first 2 shown]
	s_mov_b32 s0, exec_lo
	s_waitcnt vmcnt(8) lgkmcnt(3)
	v_fma_f32 v126, v88, v3, 0
	s_delay_alu instid0(VALU_DEP_1)
	v_fmac_f32_e32 v126, v89, v4
	ds_load_2addr_b32 v[3:4], v2 offset0:61 offset1:62
	ds_load_2addr_b32 v[88:89], v2 offset0:63 offset1:64
	s_waitcnt lgkmcnt(4)
	v_fmac_f32_e32 v126, v90, v119
	s_waitcnt vmcnt(7)
	s_delay_alu instid0(VALU_DEP_1) | instskip(SKIP_1) | instid1(VALU_DEP_1)
	v_fmac_f32_e32 v126, v91, v120
	s_waitcnt lgkmcnt(3)
	v_fmac_f32_e32 v126, v92, v121
	s_delay_alu instid0(VALU_DEP_1)
	v_fmac_f32_e32 v126, v93, v122
	ds_load_2addr_b32 v[90:91], v2 offset0:65 offset1:66
	ds_load_2addr_b32 v[92:93], v2 offset0:67 offset1:68
	s_waitcnt lgkmcnt(4)
	v_fmac_f32_e32 v126, v94, v123
	s_waitcnt vmcnt(6)
	s_delay_alu instid0(VALU_DEP_1) | instskip(SKIP_1) | instid1(VALU_DEP_1)
	v_fmac_f32_e32 v126, v95, v124
	s_waitcnt lgkmcnt(3)
	v_fmac_f32_e32 v126, v96, v3
	s_delay_alu instid0(VALU_DEP_1) | instskip(SKIP_4) | instid1(VALU_DEP_1)
	v_fmac_f32_e32 v126, v97, v4
	ds_load_2addr_b32 v[3:4], v2 offset0:69 offset1:70
	s_waitcnt lgkmcnt(3)
	v_fmac_f32_e32 v126, v98, v88
	s_waitcnt vmcnt(5)
	v_fmac_f32_e32 v126, v99, v89
	ds_load_2addr_b32 v[88:89], v2 offset0:71 offset1:72
	s_waitcnt lgkmcnt(3)
	v_fmac_f32_e32 v126, v100, v90
	s_delay_alu instid0(VALU_DEP_1) | instskip(SKIP_1) | instid1(VALU_DEP_1)
	v_fmac_f32_e32 v126, v101, v91
	s_waitcnt lgkmcnt(2)
	v_fmac_f32_e32 v126, v102, v92
	s_waitcnt vmcnt(4)
	s_delay_alu instid0(VALU_DEP_1) | instskip(SKIP_4) | instid1(VALU_DEP_1)
	v_fmac_f32_e32 v126, v103, v93
	ds_load_2addr_b32 v[90:91], v2 offset0:73 offset1:74
	ds_load_2addr_b32 v[92:93], v2 offset0:75 offset1:76
	s_waitcnt lgkmcnt(3)
	v_fmac_f32_e32 v126, v104, v3
	v_fmac_f32_e32 v126, v105, v4
	ds_load_2addr_b32 v[3:4], v2 offset0:77 offset1:78
	s_waitcnt lgkmcnt(3)
	v_fmac_f32_e32 v126, v106, v88
	s_waitcnt vmcnt(3)
	s_delay_alu instid0(VALU_DEP_1) | instskip(SKIP_3) | instid1(VALU_DEP_1)
	v_fmac_f32_e32 v126, v107, v89
	ds_load_2addr_b32 v[88:89], v2 offset0:79 offset1:80
	s_waitcnt lgkmcnt(3)
	v_fmac_f32_e32 v126, v108, v90
	v_fmac_f32_e32 v126, v109, v91
	s_waitcnt lgkmcnt(2)
	s_delay_alu instid0(VALU_DEP_1) | instskip(SKIP_1) | instid1(VALU_DEP_1)
	v_fmac_f32_e32 v126, v110, v92
	s_waitcnt vmcnt(2)
	v_fmac_f32_e32 v126, v111, v93
	ds_load_2addr_b32 v[90:91], v2 offset0:81 offset1:82
	ds_load_2addr_b32 v[92:93], v2 offset0:83 offset1:84
	s_waitcnt lgkmcnt(3)
	v_fmac_f32_e32 v126, v112, v3
	s_delay_alu instid0(VALU_DEP_1) | instskip(SKIP_1) | instid1(VALU_DEP_1)
	v_fmac_f32_e32 v126, v113, v4
	s_waitcnt lgkmcnt(2)
	v_fmac_f32_e32 v126, v114, v88
	s_waitcnt vmcnt(1)
	s_delay_alu instid0(VALU_DEP_1) | instskip(SKIP_1) | instid1(VALU_DEP_1)
	v_fmac_f32_e32 v126, v115, v89
	s_waitcnt lgkmcnt(1)
	v_fmac_f32_e32 v126, v116, v90
	s_delay_alu instid0(VALU_DEP_1) | instskip(SKIP_1) | instid1(VALU_DEP_1)
	v_fmac_f32_e32 v126, v117, v91
	s_waitcnt lgkmcnt(0)
	v_fmac_f32_e32 v126, v118, v92
	s_waitcnt vmcnt(0)
	s_delay_alu instid0(VALU_DEP_1) | instskip(NEXT) | instid1(VALU_DEP_1)
	v_fmac_f32_e32 v126, v125, v93
	v_sub_f32_e32 v2, v87, v126
	scratch_store_b32 off, v2, off offset:32
	v_cmpx_lt_u32_e32 7, v0
	s_cbranch_execz .LBB104_239
; %bb.238:
	scratch_load_b32 v2, off, off offset:28
	v_mov_b32_e32 v3, 0
	scratch_store_b32 off, v3, off offset:28
	s_waitcnt vmcnt(0)
	ds_store_b32 v1, v2
.LBB104_239:
	s_or_b32 exec_lo, exec_lo, s0
	s_waitcnt lgkmcnt(0)
	s_waitcnt_vscnt null, 0x0
	s_barrier
	buffer_gl0_inv
	s_clause 0x8
	scratch_load_b128 v[87:90], off, off offset:28
	scratch_load_b128 v[91:94], off, off offset:44
	;; [unrolled: 1-line block ×8, first 2 shown]
	scratch_load_b64 v[3:4], off, off offset:156
	v_mov_b32_e32 v2, 0
	ds_load_b128 v[119:122], v2 offset:208
	ds_load_b128 v[123:126], v2 offset:224
	s_mov_b32 s0, exec_lo
	s_waitcnt vmcnt(8) lgkmcnt(1)
	v_fma_f32 v119, v88, v119, 0
	s_delay_alu instid0(VALU_DEP_1) | instskip(NEXT) | instid1(VALU_DEP_1)
	v_fmac_f32_e32 v119, v89, v120
	v_fmac_f32_e32 v119, v90, v121
	s_waitcnt vmcnt(7)
	s_delay_alu instid0(VALU_DEP_1) | instskip(SKIP_3) | instid1(VALU_DEP_1)
	v_fmac_f32_e32 v119, v91, v122
	ds_load_b128 v[88:91], v2 offset:240
	s_waitcnt lgkmcnt(1)
	v_fmac_f32_e32 v119, v92, v123
	v_fmac_f32_e32 v119, v93, v124
	s_delay_alu instid0(VALU_DEP_1) | instskip(SKIP_1) | instid1(VALU_DEP_1)
	v_fmac_f32_e32 v119, v94, v125
	s_waitcnt vmcnt(6)
	v_fmac_f32_e32 v119, v95, v126
	ds_load_b128 v[92:95], v2 offset:256
	s_waitcnt lgkmcnt(1)
	v_fmac_f32_e32 v119, v96, v88
	s_delay_alu instid0(VALU_DEP_1) | instskip(NEXT) | instid1(VALU_DEP_1)
	v_fmac_f32_e32 v119, v97, v89
	v_fmac_f32_e32 v119, v98, v90
	s_waitcnt vmcnt(5)
	s_delay_alu instid0(VALU_DEP_1) | instskip(SKIP_3) | instid1(VALU_DEP_1)
	v_fmac_f32_e32 v119, v99, v91
	ds_load_b128 v[88:91], v2 offset:272
	s_waitcnt lgkmcnt(1)
	v_fmac_f32_e32 v119, v100, v92
	v_fmac_f32_e32 v119, v101, v93
	s_delay_alu instid0(VALU_DEP_1) | instskip(SKIP_1) | instid1(VALU_DEP_1)
	v_fmac_f32_e32 v119, v102, v94
	s_waitcnt vmcnt(4)
	v_fmac_f32_e32 v119, v103, v95
	ds_load_b128 v[92:95], v2 offset:288
	s_waitcnt lgkmcnt(1)
	v_fmac_f32_e32 v119, v104, v88
	s_delay_alu instid0(VALU_DEP_1) | instskip(NEXT) | instid1(VALU_DEP_1)
	v_fmac_f32_e32 v119, v105, v89
	v_fmac_f32_e32 v119, v106, v90
	s_waitcnt vmcnt(3)
	s_delay_alu instid0(VALU_DEP_1) | instskip(SKIP_3) | instid1(VALU_DEP_1)
	v_fmac_f32_e32 v119, v107, v91
	ds_load_b128 v[88:91], v2 offset:304
	s_waitcnt lgkmcnt(1)
	v_fmac_f32_e32 v119, v108, v92
	v_fmac_f32_e32 v119, v109, v93
	s_delay_alu instid0(VALU_DEP_1) | instskip(SKIP_1) | instid1(VALU_DEP_1)
	v_fmac_f32_e32 v119, v110, v94
	s_waitcnt vmcnt(2)
	v_fmac_f32_e32 v119, v111, v95
	ds_load_b128 v[92:95], v2 offset:320
	s_waitcnt lgkmcnt(1)
	v_fmac_f32_e32 v119, v112, v88
	ds_load_b32 v88, v2 offset:336
	v_fmac_f32_e32 v119, v113, v89
	s_delay_alu instid0(VALU_DEP_1) | instskip(SKIP_1) | instid1(VALU_DEP_1)
	v_fmac_f32_e32 v119, v114, v90
	s_waitcnt vmcnt(1)
	v_fmac_f32_e32 v119, v115, v91
	s_waitcnt lgkmcnt(1)
	s_delay_alu instid0(VALU_DEP_1) | instskip(NEXT) | instid1(VALU_DEP_1)
	v_fmac_f32_e32 v119, v116, v92
	v_fmac_f32_e32 v119, v117, v93
	s_delay_alu instid0(VALU_DEP_1) | instskip(SKIP_1) | instid1(VALU_DEP_1)
	v_fmac_f32_e32 v119, v118, v94
	s_waitcnt vmcnt(0)
	v_fmac_f32_e32 v119, v3, v95
	s_waitcnt lgkmcnt(0)
	s_delay_alu instid0(VALU_DEP_1) | instskip(NEXT) | instid1(VALU_DEP_1)
	v_fmac_f32_e32 v119, v4, v88
	v_sub_f32_e32 v3, v87, v119
	scratch_store_b32 off, v3, off offset:28
	v_cmpx_lt_u32_e32 6, v0
	s_cbranch_execz .LBB104_241
; %bb.240:
	scratch_load_b32 v3, off, off offset:24
	scratch_store_b32 off, v2, off offset:24
	s_waitcnt vmcnt(0)
	ds_store_b32 v1, v3
.LBB104_241:
	s_or_b32 exec_lo, exec_lo, s0
	s_waitcnt lgkmcnt(0)
	s_waitcnt_vscnt null, 0x0
	s_barrier
	buffer_gl0_inv
	s_clause 0x8
	scratch_load_b128 v[87:90], off, off offset:24
	scratch_load_b128 v[91:94], off, off offset:40
	;; [unrolled: 1-line block ×8, first 2 shown]
	scratch_load_b96 v[119:121], off, off offset:152
	ds_load_2addr_b32 v[3:4], v2 offset0:51 offset1:52
	ds_load_2addr_b32 v[122:123], v2 offset0:53 offset1:54
	;; [unrolled: 1-line block ×4, first 2 shown]
	s_mov_b32 s0, exec_lo
	s_waitcnt vmcnt(8) lgkmcnt(3)
	v_fma_f32 v128, v88, v3, 0
	s_delay_alu instid0(VALU_DEP_1)
	v_fmac_f32_e32 v128, v89, v4
	ds_load_2addr_b32 v[3:4], v2 offset0:59 offset1:60
	ds_load_2addr_b32 v[88:89], v2 offset0:61 offset1:62
	s_waitcnt lgkmcnt(4)
	v_fmac_f32_e32 v128, v90, v122
	s_waitcnt vmcnt(7)
	s_delay_alu instid0(VALU_DEP_1) | instskip(SKIP_1) | instid1(VALU_DEP_1)
	v_fmac_f32_e32 v128, v91, v123
	s_waitcnt lgkmcnt(3)
	v_fmac_f32_e32 v128, v92, v124
	s_delay_alu instid0(VALU_DEP_1)
	v_fmac_f32_e32 v128, v93, v125
	ds_load_2addr_b32 v[90:91], v2 offset0:63 offset1:64
	ds_load_2addr_b32 v[92:93], v2 offset0:65 offset1:66
	s_waitcnt lgkmcnt(4)
	v_fmac_f32_e32 v128, v94, v126
	s_waitcnt vmcnt(6)
	s_delay_alu instid0(VALU_DEP_1) | instskip(SKIP_1) | instid1(VALU_DEP_1)
	v_fmac_f32_e32 v128, v95, v127
	s_waitcnt lgkmcnt(3)
	v_fmac_f32_e32 v128, v96, v3
	s_delay_alu instid0(VALU_DEP_1) | instskip(SKIP_4) | instid1(VALU_DEP_1)
	v_fmac_f32_e32 v128, v97, v4
	ds_load_2addr_b32 v[3:4], v2 offset0:67 offset1:68
	s_waitcnt lgkmcnt(3)
	v_fmac_f32_e32 v128, v98, v88
	s_waitcnt vmcnt(5)
	v_fmac_f32_e32 v128, v99, v89
	ds_load_2addr_b32 v[88:89], v2 offset0:69 offset1:70
	s_waitcnt lgkmcnt(3)
	v_fmac_f32_e32 v128, v100, v90
	s_delay_alu instid0(VALU_DEP_1) | instskip(SKIP_1) | instid1(VALU_DEP_1)
	v_fmac_f32_e32 v128, v101, v91
	s_waitcnt lgkmcnt(2)
	v_fmac_f32_e32 v128, v102, v92
	s_waitcnt vmcnt(4)
	s_delay_alu instid0(VALU_DEP_1) | instskip(SKIP_4) | instid1(VALU_DEP_1)
	v_fmac_f32_e32 v128, v103, v93
	ds_load_2addr_b32 v[90:91], v2 offset0:71 offset1:72
	ds_load_2addr_b32 v[92:93], v2 offset0:73 offset1:74
	s_waitcnt lgkmcnt(3)
	v_fmac_f32_e32 v128, v104, v3
	v_fmac_f32_e32 v128, v105, v4
	ds_load_2addr_b32 v[3:4], v2 offset0:75 offset1:76
	s_waitcnt lgkmcnt(3)
	v_fmac_f32_e32 v128, v106, v88
	s_waitcnt vmcnt(3)
	s_delay_alu instid0(VALU_DEP_1) | instskip(SKIP_3) | instid1(VALU_DEP_1)
	v_fmac_f32_e32 v128, v107, v89
	ds_load_2addr_b32 v[88:89], v2 offset0:77 offset1:78
	s_waitcnt lgkmcnt(3)
	v_fmac_f32_e32 v128, v108, v90
	v_fmac_f32_e32 v128, v109, v91
	s_waitcnt lgkmcnt(2)
	s_delay_alu instid0(VALU_DEP_1) | instskip(SKIP_1) | instid1(VALU_DEP_1)
	v_fmac_f32_e32 v128, v110, v92
	s_waitcnt vmcnt(2)
	v_fmac_f32_e32 v128, v111, v93
	ds_load_2addr_b32 v[90:91], v2 offset0:79 offset1:80
	ds_load_2addr_b32 v[92:93], v2 offset0:81 offset1:82
	s_waitcnt lgkmcnt(3)
	v_fmac_f32_e32 v128, v112, v3
	ds_load_2addr_b32 v[2:3], v2 offset0:83 offset1:84
	v_fmac_f32_e32 v128, v113, v4
	s_waitcnt lgkmcnt(3)
	s_delay_alu instid0(VALU_DEP_1) | instskip(SKIP_1) | instid1(VALU_DEP_1)
	v_fmac_f32_e32 v128, v114, v88
	s_waitcnt vmcnt(1)
	v_fmac_f32_e32 v128, v115, v89
	s_waitcnt lgkmcnt(2)
	s_delay_alu instid0(VALU_DEP_1) | instskip(NEXT) | instid1(VALU_DEP_1)
	v_fmac_f32_e32 v128, v116, v90
	v_fmac_f32_e32 v128, v117, v91
	s_waitcnt lgkmcnt(1)
	s_delay_alu instid0(VALU_DEP_1) | instskip(SKIP_1) | instid1(VALU_DEP_1)
	v_fmac_f32_e32 v128, v118, v92
	s_waitcnt vmcnt(0)
	v_fmac_f32_e32 v128, v119, v93
	s_waitcnt lgkmcnt(0)
	s_delay_alu instid0(VALU_DEP_1) | instskip(NEXT) | instid1(VALU_DEP_1)
	v_fmac_f32_e32 v128, v120, v2
	v_fmac_f32_e32 v128, v121, v3
	s_delay_alu instid0(VALU_DEP_1)
	v_sub_f32_e32 v2, v87, v128
	scratch_store_b32 off, v2, off offset:24
	v_cmpx_lt_u32_e32 5, v0
	s_cbranch_execz .LBB104_243
; %bb.242:
	scratch_load_b32 v2, off, off offset:20
	v_mov_b32_e32 v3, 0
	scratch_store_b32 off, v3, off offset:20
	s_waitcnt vmcnt(0)
	ds_store_b32 v1, v2
.LBB104_243:
	s_or_b32 exec_lo, exec_lo, s0
	s_waitcnt lgkmcnt(0)
	s_waitcnt_vscnt null, 0x0
	s_barrier
	buffer_gl0_inv
	s_clause 0x8
	scratch_load_b128 v[87:90], off, off offset:20
	scratch_load_b128 v[91:94], off, off offset:36
	;; [unrolled: 1-line block ×9, first 2 shown]
	v_mov_b32_e32 v2, 0
	ds_load_2addr_b64 v[123:126], v2 offset0:25 offset1:26
	ds_load_2addr_b64 v[127:130], v2 offset0:27 offset1:28
	s_mov_b32 s0, exec_lo
	s_waitcnt vmcnt(8) lgkmcnt(1)
	v_fma_f32 v123, v88, v123, 0
	s_delay_alu instid0(VALU_DEP_1) | instskip(SKIP_3) | instid1(VALU_DEP_1)
	v_fmac_f32_e32 v123, v89, v124
	ds_load_b64 v[3:4], v2 offset:328
	v_fmac_f32_e32 v123, v90, v125
	s_waitcnt vmcnt(7)
	v_fmac_f32_e32 v123, v91, v126
	ds_load_2addr_b64 v[88:91], v2 offset0:29 offset1:30
	s_waitcnt lgkmcnt(2)
	v_fmac_f32_e32 v123, v92, v127
	s_delay_alu instid0(VALU_DEP_1) | instskip(NEXT) | instid1(VALU_DEP_1)
	v_fmac_f32_e32 v123, v93, v128
	v_fmac_f32_e32 v123, v94, v129
	s_waitcnt vmcnt(6)
	s_delay_alu instid0(VALU_DEP_1) | instskip(SKIP_3) | instid1(VALU_DEP_1)
	v_fmac_f32_e32 v123, v95, v130
	ds_load_2addr_b64 v[92:95], v2 offset0:31 offset1:32
	s_waitcnt lgkmcnt(1)
	v_fmac_f32_e32 v123, v96, v88
	v_fmac_f32_e32 v123, v97, v89
	s_delay_alu instid0(VALU_DEP_1) | instskip(SKIP_1) | instid1(VALU_DEP_1)
	v_fmac_f32_e32 v123, v98, v90
	s_waitcnt vmcnt(5)
	v_fmac_f32_e32 v123, v99, v91
	ds_load_2addr_b64 v[88:91], v2 offset0:33 offset1:34
	s_waitcnt lgkmcnt(1)
	v_fmac_f32_e32 v123, v100, v92
	s_delay_alu instid0(VALU_DEP_1) | instskip(NEXT) | instid1(VALU_DEP_1)
	v_fmac_f32_e32 v123, v101, v93
	v_fmac_f32_e32 v123, v102, v94
	s_waitcnt vmcnt(4)
	s_delay_alu instid0(VALU_DEP_1) | instskip(SKIP_3) | instid1(VALU_DEP_1)
	v_fmac_f32_e32 v123, v103, v95
	ds_load_2addr_b64 v[92:95], v2 offset0:35 offset1:36
	s_waitcnt lgkmcnt(1)
	v_fmac_f32_e32 v123, v104, v88
	v_fmac_f32_e32 v123, v105, v89
	s_delay_alu instid0(VALU_DEP_1) | instskip(SKIP_1) | instid1(VALU_DEP_1)
	v_fmac_f32_e32 v123, v106, v90
	s_waitcnt vmcnt(3)
	v_fmac_f32_e32 v123, v107, v91
	ds_load_2addr_b64 v[88:91], v2 offset0:37 offset1:38
	s_waitcnt lgkmcnt(1)
	v_fmac_f32_e32 v123, v108, v92
	s_delay_alu instid0(VALU_DEP_1) | instskip(NEXT) | instid1(VALU_DEP_1)
	v_fmac_f32_e32 v123, v109, v93
	v_fmac_f32_e32 v123, v110, v94
	s_waitcnt vmcnt(2)
	s_delay_alu instid0(VALU_DEP_1)
	v_fmac_f32_e32 v123, v111, v95
	ds_load_2addr_b64 v[92:95], v2 offset0:39 offset1:40
	s_waitcnt lgkmcnt(1)
	v_fmac_f32_e32 v123, v112, v88
	ds_load_b32 v88, v2 offset:336
	v_fmac_f32_e32 v123, v113, v89
	s_delay_alu instid0(VALU_DEP_1) | instskip(SKIP_1) | instid1(VALU_DEP_1)
	v_fmac_f32_e32 v123, v114, v90
	s_waitcnt vmcnt(1)
	v_fmac_f32_e32 v123, v115, v91
	s_waitcnt lgkmcnt(1)
	s_delay_alu instid0(VALU_DEP_1) | instskip(NEXT) | instid1(VALU_DEP_1)
	v_fmac_f32_e32 v123, v116, v92
	v_fmac_f32_e32 v123, v117, v93
	s_delay_alu instid0(VALU_DEP_1) | instskip(SKIP_1) | instid1(VALU_DEP_1)
	v_fmac_f32_e32 v123, v118, v94
	s_waitcnt vmcnt(0)
	v_fmac_f32_e32 v123, v119, v95
	s_delay_alu instid0(VALU_DEP_1) | instskip(NEXT) | instid1(VALU_DEP_1)
	v_fmac_f32_e32 v123, v120, v3
	v_fmac_f32_e32 v123, v121, v4
	s_waitcnt lgkmcnt(0)
	s_delay_alu instid0(VALU_DEP_1) | instskip(NEXT) | instid1(VALU_DEP_1)
	v_fmac_f32_e32 v123, v122, v88
	v_sub_f32_e32 v3, v87, v123
	scratch_store_b32 off, v3, off offset:20
	v_cmpx_lt_u32_e32 4, v0
	s_cbranch_execz .LBB104_245
; %bb.244:
	scratch_load_b32 v3, off, off offset:16
	scratch_store_b32 off, v2, off offset:16
	s_waitcnt vmcnt(0)
	ds_store_b32 v1, v3
.LBB104_245:
	s_or_b32 exec_lo, exec_lo, s0
	s_waitcnt lgkmcnt(0)
	s_waitcnt_vscnt null, 0x0
	s_barrier
	buffer_gl0_inv
	s_clause 0x9
	scratch_load_b128 v[87:90], off, off offset:16
	scratch_load_b128 v[91:94], off, off offset:32
	;; [unrolled: 1-line block ×9, first 2 shown]
	scratch_load_b32 v129, off, off offset:160
	ds_load_2addr_b32 v[3:4], v2 offset0:49 offset1:50
	ds_load_2addr_b32 v[123:124], v2 offset0:51 offset1:52
	;; [unrolled: 1-line block ×4, first 2 shown]
	s_mov_b32 s0, exec_lo
	s_waitcnt vmcnt(9) lgkmcnt(3)
	v_fma_f32 v130, v88, v3, 0
	s_delay_alu instid0(VALU_DEP_1)
	v_fmac_f32_e32 v130, v89, v4
	ds_load_2addr_b32 v[3:4], v2 offset0:57 offset1:58
	ds_load_2addr_b32 v[88:89], v2 offset0:59 offset1:60
	s_waitcnt lgkmcnt(4)
	v_fmac_f32_e32 v130, v90, v123
	s_waitcnt vmcnt(8)
	s_delay_alu instid0(VALU_DEP_1) | instskip(SKIP_1) | instid1(VALU_DEP_1)
	v_fmac_f32_e32 v130, v91, v124
	s_waitcnt lgkmcnt(3)
	v_fmac_f32_e32 v130, v92, v125
	s_delay_alu instid0(VALU_DEP_1)
	v_fmac_f32_e32 v130, v93, v126
	ds_load_2addr_b32 v[90:91], v2 offset0:61 offset1:62
	ds_load_2addr_b32 v[92:93], v2 offset0:63 offset1:64
	s_waitcnt lgkmcnt(4)
	v_fmac_f32_e32 v130, v94, v127
	s_waitcnt vmcnt(7)
	s_delay_alu instid0(VALU_DEP_1) | instskip(SKIP_1) | instid1(VALU_DEP_1)
	v_fmac_f32_e32 v130, v95, v128
	s_waitcnt lgkmcnt(3)
	v_fmac_f32_e32 v130, v96, v3
	s_delay_alu instid0(VALU_DEP_1) | instskip(SKIP_4) | instid1(VALU_DEP_1)
	v_fmac_f32_e32 v130, v97, v4
	ds_load_2addr_b32 v[3:4], v2 offset0:65 offset1:66
	s_waitcnt lgkmcnt(3)
	v_fmac_f32_e32 v130, v98, v88
	s_waitcnt vmcnt(6)
	v_fmac_f32_e32 v130, v99, v89
	ds_load_2addr_b32 v[88:89], v2 offset0:67 offset1:68
	s_waitcnt lgkmcnt(3)
	v_fmac_f32_e32 v130, v100, v90
	s_delay_alu instid0(VALU_DEP_1) | instskip(SKIP_1) | instid1(VALU_DEP_1)
	v_fmac_f32_e32 v130, v101, v91
	s_waitcnt lgkmcnt(2)
	v_fmac_f32_e32 v130, v102, v92
	s_waitcnt vmcnt(5)
	s_delay_alu instid0(VALU_DEP_1) | instskip(SKIP_4) | instid1(VALU_DEP_1)
	v_fmac_f32_e32 v130, v103, v93
	ds_load_2addr_b32 v[90:91], v2 offset0:69 offset1:70
	ds_load_2addr_b32 v[92:93], v2 offset0:71 offset1:72
	s_waitcnt lgkmcnt(3)
	v_fmac_f32_e32 v130, v104, v3
	v_fmac_f32_e32 v130, v105, v4
	ds_load_2addr_b32 v[3:4], v2 offset0:73 offset1:74
	s_waitcnt lgkmcnt(3)
	v_fmac_f32_e32 v130, v106, v88
	s_waitcnt vmcnt(4)
	s_delay_alu instid0(VALU_DEP_1) | instskip(SKIP_3) | instid1(VALU_DEP_1)
	v_fmac_f32_e32 v130, v107, v89
	ds_load_2addr_b32 v[88:89], v2 offset0:75 offset1:76
	s_waitcnt lgkmcnt(3)
	v_fmac_f32_e32 v130, v108, v90
	v_fmac_f32_e32 v130, v109, v91
	s_waitcnt lgkmcnt(2)
	s_delay_alu instid0(VALU_DEP_1) | instskip(SKIP_1) | instid1(VALU_DEP_1)
	v_fmac_f32_e32 v130, v110, v92
	s_waitcnt vmcnt(3)
	v_fmac_f32_e32 v130, v111, v93
	ds_load_2addr_b32 v[90:91], v2 offset0:77 offset1:78
	ds_load_2addr_b32 v[92:93], v2 offset0:79 offset1:80
	s_waitcnt lgkmcnt(3)
	v_fmac_f32_e32 v130, v112, v3
	s_delay_alu instid0(VALU_DEP_1) | instskip(SKIP_4) | instid1(VALU_DEP_1)
	v_fmac_f32_e32 v130, v113, v4
	ds_load_2addr_b32 v[3:4], v2 offset0:81 offset1:82
	s_waitcnt lgkmcnt(3)
	v_fmac_f32_e32 v130, v114, v88
	s_waitcnt vmcnt(2)
	v_fmac_f32_e32 v130, v115, v89
	ds_load_2addr_b32 v[88:89], v2 offset0:83 offset1:84
	s_waitcnt lgkmcnt(3)
	v_fmac_f32_e32 v130, v116, v90
	s_delay_alu instid0(VALU_DEP_1) | instskip(SKIP_1) | instid1(VALU_DEP_1)
	v_fmac_f32_e32 v130, v117, v91
	s_waitcnt lgkmcnt(2)
	v_fmac_f32_e32 v130, v118, v92
	s_waitcnt vmcnt(1)
	s_delay_alu instid0(VALU_DEP_1) | instskip(SKIP_1) | instid1(VALU_DEP_1)
	v_fmac_f32_e32 v130, v119, v93
	s_waitcnt lgkmcnt(1)
	v_fmac_f32_e32 v130, v120, v3
	s_delay_alu instid0(VALU_DEP_1) | instskip(SKIP_1) | instid1(VALU_DEP_1)
	v_fmac_f32_e32 v130, v121, v4
	s_waitcnt lgkmcnt(0)
	v_fmac_f32_e32 v130, v122, v88
	s_waitcnt vmcnt(0)
	s_delay_alu instid0(VALU_DEP_1) | instskip(NEXT) | instid1(VALU_DEP_1)
	v_fmac_f32_e32 v130, v129, v89
	v_sub_f32_e32 v2, v87, v130
	scratch_store_b32 off, v2, off offset:16
	v_cmpx_lt_u32_e32 3, v0
	s_cbranch_execz .LBB104_247
; %bb.246:
	scratch_load_b32 v2, off, off offset:12
	v_mov_b32_e32 v3, 0
	scratch_store_b32 off, v3, off offset:12
	s_waitcnt vmcnt(0)
	ds_store_b32 v1, v2
.LBB104_247:
	s_or_b32 exec_lo, exec_lo, s0
	s_waitcnt lgkmcnt(0)
	s_waitcnt_vscnt null, 0x0
	s_barrier
	buffer_gl0_inv
	s_clause 0x9
	scratch_load_b128 v[87:90], off, off offset:12
	scratch_load_b128 v[91:94], off, off offset:28
	;; [unrolled: 1-line block ×9, first 2 shown]
	scratch_load_b64 v[3:4], off, off offset:156
	v_mov_b32_e32 v2, 0
	ds_load_b128 v[123:126], v2 offset:192
	ds_load_b128 v[127:130], v2 offset:208
	s_mov_b32 s0, exec_lo
	s_waitcnt vmcnt(9) lgkmcnt(1)
	v_fma_f32 v123, v88, v123, 0
	s_delay_alu instid0(VALU_DEP_1) | instskip(NEXT) | instid1(VALU_DEP_1)
	v_fmac_f32_e32 v123, v89, v124
	v_fmac_f32_e32 v123, v90, v125
	s_waitcnt vmcnt(8)
	s_delay_alu instid0(VALU_DEP_1) | instskip(SKIP_3) | instid1(VALU_DEP_1)
	v_fmac_f32_e32 v123, v91, v126
	ds_load_b128 v[88:91], v2 offset:224
	s_waitcnt lgkmcnt(1)
	v_fmac_f32_e32 v123, v92, v127
	v_fmac_f32_e32 v123, v93, v128
	s_delay_alu instid0(VALU_DEP_1) | instskip(SKIP_1) | instid1(VALU_DEP_1)
	v_fmac_f32_e32 v123, v94, v129
	s_waitcnt vmcnt(7)
	v_fmac_f32_e32 v123, v95, v130
	ds_load_b128 v[92:95], v2 offset:240
	s_waitcnt lgkmcnt(1)
	v_fmac_f32_e32 v123, v96, v88
	s_delay_alu instid0(VALU_DEP_1) | instskip(NEXT) | instid1(VALU_DEP_1)
	v_fmac_f32_e32 v123, v97, v89
	v_fmac_f32_e32 v123, v98, v90
	s_waitcnt vmcnt(6)
	s_delay_alu instid0(VALU_DEP_1) | instskip(SKIP_3) | instid1(VALU_DEP_1)
	v_fmac_f32_e32 v123, v99, v91
	ds_load_b128 v[88:91], v2 offset:256
	s_waitcnt lgkmcnt(1)
	v_fmac_f32_e32 v123, v100, v92
	v_fmac_f32_e32 v123, v101, v93
	s_delay_alu instid0(VALU_DEP_1) | instskip(SKIP_1) | instid1(VALU_DEP_1)
	v_fmac_f32_e32 v123, v102, v94
	s_waitcnt vmcnt(5)
	v_fmac_f32_e32 v123, v103, v95
	ds_load_b128 v[92:95], v2 offset:272
	s_waitcnt lgkmcnt(1)
	v_fmac_f32_e32 v123, v104, v88
	;; [unrolled: 17-line block ×3, first 2 shown]
	s_delay_alu instid0(VALU_DEP_1) | instskip(NEXT) | instid1(VALU_DEP_1)
	v_fmac_f32_e32 v123, v113, v89
	v_fmac_f32_e32 v123, v114, v90
	s_waitcnt vmcnt(2)
	s_delay_alu instid0(VALU_DEP_1)
	v_fmac_f32_e32 v123, v115, v91
	ds_load_b128 v[88:91], v2 offset:320
	s_waitcnt lgkmcnt(1)
	v_fmac_f32_e32 v123, v116, v92
	ds_load_b32 v92, v2 offset:336
	v_fmac_f32_e32 v123, v117, v93
	s_delay_alu instid0(VALU_DEP_1) | instskip(SKIP_1) | instid1(VALU_DEP_1)
	v_fmac_f32_e32 v123, v118, v94
	s_waitcnt vmcnt(1)
	v_fmac_f32_e32 v123, v119, v95
	s_waitcnt lgkmcnt(1)
	s_delay_alu instid0(VALU_DEP_1) | instskip(NEXT) | instid1(VALU_DEP_1)
	v_fmac_f32_e32 v123, v120, v88
	v_fmac_f32_e32 v123, v121, v89
	s_delay_alu instid0(VALU_DEP_1) | instskip(SKIP_1) | instid1(VALU_DEP_1)
	v_fmac_f32_e32 v123, v122, v90
	s_waitcnt vmcnt(0)
	v_fmac_f32_e32 v123, v3, v91
	s_waitcnt lgkmcnt(0)
	s_delay_alu instid0(VALU_DEP_1) | instskip(NEXT) | instid1(VALU_DEP_1)
	v_fmac_f32_e32 v123, v4, v92
	v_sub_f32_e32 v3, v87, v123
	scratch_store_b32 off, v3, off offset:12
	v_cmpx_lt_u32_e32 2, v0
	s_cbranch_execz .LBB104_249
; %bb.248:
	scratch_load_b32 v3, off, off offset:8
	scratch_store_b32 off, v2, off offset:8
	s_waitcnt vmcnt(0)
	ds_store_b32 v1, v3
.LBB104_249:
	s_or_b32 exec_lo, exec_lo, s0
	s_waitcnt lgkmcnt(0)
	s_waitcnt_vscnt null, 0x0
	s_barrier
	buffer_gl0_inv
	s_clause 0x9
	scratch_load_b128 v[87:90], off, off offset:8
	scratch_load_b128 v[91:94], off, off offset:24
	;; [unrolled: 1-line block ×9, first 2 shown]
	scratch_load_b96 v[123:125], off, off offset:152
	ds_load_2addr_b32 v[3:4], v2 offset0:47 offset1:48
	ds_load_2addr_b32 v[126:127], v2 offset0:49 offset1:50
	;; [unrolled: 1-line block ×4, first 2 shown]
	s_mov_b32 s0, exec_lo
	s_waitcnt vmcnt(9) lgkmcnt(3)
	v_fma_f32 v132, v88, v3, 0
	s_delay_alu instid0(VALU_DEP_1)
	v_fmac_f32_e32 v132, v89, v4
	ds_load_2addr_b32 v[3:4], v2 offset0:55 offset1:56
	ds_load_2addr_b32 v[88:89], v2 offset0:57 offset1:58
	s_waitcnt lgkmcnt(4)
	v_fmac_f32_e32 v132, v90, v126
	s_waitcnt vmcnt(8)
	s_delay_alu instid0(VALU_DEP_1) | instskip(SKIP_1) | instid1(VALU_DEP_1)
	v_fmac_f32_e32 v132, v91, v127
	s_waitcnt lgkmcnt(3)
	v_fmac_f32_e32 v132, v92, v128
	s_delay_alu instid0(VALU_DEP_1)
	v_fmac_f32_e32 v132, v93, v129
	ds_load_2addr_b32 v[90:91], v2 offset0:59 offset1:60
	ds_load_2addr_b32 v[92:93], v2 offset0:61 offset1:62
	s_waitcnt lgkmcnt(4)
	v_fmac_f32_e32 v132, v94, v130
	s_waitcnt vmcnt(7)
	s_delay_alu instid0(VALU_DEP_1) | instskip(SKIP_1) | instid1(VALU_DEP_1)
	v_fmac_f32_e32 v132, v95, v131
	s_waitcnt lgkmcnt(3)
	v_fmac_f32_e32 v132, v96, v3
	s_delay_alu instid0(VALU_DEP_1) | instskip(SKIP_4) | instid1(VALU_DEP_1)
	v_fmac_f32_e32 v132, v97, v4
	ds_load_2addr_b32 v[3:4], v2 offset0:63 offset1:64
	s_waitcnt lgkmcnt(3)
	v_fmac_f32_e32 v132, v98, v88
	s_waitcnt vmcnt(6)
	v_fmac_f32_e32 v132, v99, v89
	ds_load_2addr_b32 v[88:89], v2 offset0:65 offset1:66
	s_waitcnt lgkmcnt(3)
	v_fmac_f32_e32 v132, v100, v90
	s_delay_alu instid0(VALU_DEP_1) | instskip(SKIP_1) | instid1(VALU_DEP_1)
	v_fmac_f32_e32 v132, v101, v91
	s_waitcnt lgkmcnt(2)
	v_fmac_f32_e32 v132, v102, v92
	s_waitcnt vmcnt(5)
	s_delay_alu instid0(VALU_DEP_1) | instskip(SKIP_4) | instid1(VALU_DEP_1)
	v_fmac_f32_e32 v132, v103, v93
	ds_load_2addr_b32 v[90:91], v2 offset0:67 offset1:68
	ds_load_2addr_b32 v[92:93], v2 offset0:69 offset1:70
	s_waitcnt lgkmcnt(3)
	v_fmac_f32_e32 v132, v104, v3
	v_fmac_f32_e32 v132, v105, v4
	ds_load_2addr_b32 v[3:4], v2 offset0:71 offset1:72
	s_waitcnt lgkmcnt(3)
	v_fmac_f32_e32 v132, v106, v88
	s_waitcnt vmcnt(4)
	s_delay_alu instid0(VALU_DEP_1) | instskip(SKIP_3) | instid1(VALU_DEP_1)
	v_fmac_f32_e32 v132, v107, v89
	ds_load_2addr_b32 v[88:89], v2 offset0:73 offset1:74
	s_waitcnt lgkmcnt(3)
	v_fmac_f32_e32 v132, v108, v90
	v_fmac_f32_e32 v132, v109, v91
	s_waitcnt lgkmcnt(2)
	s_delay_alu instid0(VALU_DEP_1) | instskip(SKIP_1) | instid1(VALU_DEP_1)
	v_fmac_f32_e32 v132, v110, v92
	s_waitcnt vmcnt(3)
	v_fmac_f32_e32 v132, v111, v93
	ds_load_2addr_b32 v[90:91], v2 offset0:75 offset1:76
	ds_load_2addr_b32 v[92:93], v2 offset0:77 offset1:78
	s_waitcnt lgkmcnt(3)
	v_fmac_f32_e32 v132, v112, v3
	s_delay_alu instid0(VALU_DEP_1) | instskip(SKIP_4) | instid1(VALU_DEP_1)
	v_fmac_f32_e32 v132, v113, v4
	ds_load_2addr_b32 v[3:4], v2 offset0:79 offset1:80
	s_waitcnt lgkmcnt(3)
	v_fmac_f32_e32 v132, v114, v88
	s_waitcnt vmcnt(2)
	v_fmac_f32_e32 v132, v115, v89
	ds_load_2addr_b32 v[88:89], v2 offset0:81 offset1:82
	s_waitcnt lgkmcnt(3)
	v_fmac_f32_e32 v132, v116, v90
	s_delay_alu instid0(VALU_DEP_1) | instskip(SKIP_4) | instid1(VALU_DEP_1)
	v_fmac_f32_e32 v132, v117, v91
	ds_load_2addr_b32 v[90:91], v2 offset0:83 offset1:84
	s_waitcnt lgkmcnt(3)
	v_fmac_f32_e32 v132, v118, v92
	s_waitcnt vmcnt(1)
	v_fmac_f32_e32 v132, v119, v93
	s_waitcnt lgkmcnt(2)
	s_delay_alu instid0(VALU_DEP_1) | instskip(NEXT) | instid1(VALU_DEP_1)
	v_fmac_f32_e32 v132, v120, v3
	v_fmac_f32_e32 v132, v121, v4
	s_waitcnt lgkmcnt(1)
	s_delay_alu instid0(VALU_DEP_1) | instskip(SKIP_1) | instid1(VALU_DEP_1)
	v_fmac_f32_e32 v132, v122, v88
	s_waitcnt vmcnt(0)
	v_fmac_f32_e32 v132, v123, v89
	s_waitcnt lgkmcnt(0)
	s_delay_alu instid0(VALU_DEP_1) | instskip(NEXT) | instid1(VALU_DEP_1)
	v_fmac_f32_e32 v132, v124, v90
	v_fmac_f32_e32 v132, v125, v91
	s_delay_alu instid0(VALU_DEP_1)
	v_sub_f32_e32 v2, v87, v132
	scratch_store_b32 off, v2, off offset:8
	v_cmpx_lt_u32_e32 1, v0
	s_cbranch_execz .LBB104_251
; %bb.250:
	scratch_load_b32 v2, off, off offset:4
	v_mov_b32_e32 v3, 0
	scratch_store_b32 off, v3, off offset:4
	s_waitcnt vmcnt(0)
	ds_store_b32 v1, v2
.LBB104_251:
	s_or_b32 exec_lo, exec_lo, s0
	s_waitcnt lgkmcnt(0)
	s_waitcnt_vscnt null, 0x0
	s_barrier
	buffer_gl0_inv
	s_clause 0x9
	scratch_load_b128 v[87:90], off, off offset:4
	scratch_load_b128 v[91:94], off, off offset:20
	;; [unrolled: 1-line block ×10, first 2 shown]
	v_mov_b32_e32 v4, 0
	ds_load_2addr_b64 v[127:130], v4 offset0:23 offset1:24
	ds_load_2addr_b64 v[131:134], v4 offset0:25 offset1:26
	s_mov_b32 s0, exec_lo
	s_waitcnt vmcnt(9) lgkmcnt(1)
	v_fma_f32 v127, v88, v127, 0
	s_delay_alu instid0(VALU_DEP_1) | instskip(SKIP_3) | instid1(VALU_DEP_1)
	v_fmac_f32_e32 v127, v89, v128
	ds_load_b64 v[2:3], v4 offset:328
	v_fmac_f32_e32 v127, v90, v129
	s_waitcnt vmcnt(8)
	v_fmac_f32_e32 v127, v91, v130
	ds_load_2addr_b64 v[88:91], v4 offset0:27 offset1:28
	s_waitcnt lgkmcnt(2)
	v_fmac_f32_e32 v127, v92, v131
	s_delay_alu instid0(VALU_DEP_1) | instskip(NEXT) | instid1(VALU_DEP_1)
	v_fmac_f32_e32 v127, v93, v132
	v_fmac_f32_e32 v127, v94, v133
	s_waitcnt vmcnt(7)
	s_delay_alu instid0(VALU_DEP_1) | instskip(SKIP_3) | instid1(VALU_DEP_1)
	v_fmac_f32_e32 v127, v95, v134
	ds_load_2addr_b64 v[92:95], v4 offset0:29 offset1:30
	s_waitcnt lgkmcnt(1)
	v_fmac_f32_e32 v127, v96, v88
	v_fmac_f32_e32 v127, v97, v89
	s_delay_alu instid0(VALU_DEP_1) | instskip(SKIP_1) | instid1(VALU_DEP_1)
	v_fmac_f32_e32 v127, v98, v90
	s_waitcnt vmcnt(6)
	v_fmac_f32_e32 v127, v99, v91
	ds_load_2addr_b64 v[88:91], v4 offset0:31 offset1:32
	s_waitcnt lgkmcnt(1)
	v_fmac_f32_e32 v127, v100, v92
	s_delay_alu instid0(VALU_DEP_1) | instskip(NEXT) | instid1(VALU_DEP_1)
	v_fmac_f32_e32 v127, v101, v93
	v_fmac_f32_e32 v127, v102, v94
	s_waitcnt vmcnt(5)
	s_delay_alu instid0(VALU_DEP_1) | instskip(SKIP_3) | instid1(VALU_DEP_1)
	v_fmac_f32_e32 v127, v103, v95
	ds_load_2addr_b64 v[92:95], v4 offset0:33 offset1:34
	s_waitcnt lgkmcnt(1)
	v_fmac_f32_e32 v127, v104, v88
	v_fmac_f32_e32 v127, v105, v89
	s_delay_alu instid0(VALU_DEP_1) | instskip(SKIP_1) | instid1(VALU_DEP_1)
	;; [unrolled: 17-line block ×3, first 2 shown]
	v_fmac_f32_e32 v127, v114, v90
	s_waitcnt vmcnt(2)
	v_fmac_f32_e32 v127, v115, v91
	ds_load_2addr_b64 v[88:91], v4 offset0:39 offset1:40
	s_waitcnt lgkmcnt(1)
	v_fmac_f32_e32 v127, v116, v92
	s_delay_alu instid0(VALU_DEP_1) | instskip(NEXT) | instid1(VALU_DEP_1)
	v_fmac_f32_e32 v127, v117, v93
	v_fmac_f32_e32 v127, v118, v94
	s_waitcnt vmcnt(1)
	s_delay_alu instid0(VALU_DEP_1) | instskip(SKIP_1) | instid1(VALU_DEP_1)
	v_fmac_f32_e32 v127, v119, v95
	s_waitcnt lgkmcnt(0)
	v_fmac_f32_e32 v127, v120, v88
	ds_load_b32 v88, v4 offset:336
	v_fmac_f32_e32 v127, v121, v89
	s_delay_alu instid0(VALU_DEP_1) | instskip(SKIP_1) | instid1(VALU_DEP_1)
	v_fmac_f32_e32 v127, v122, v90
	s_waitcnt vmcnt(0)
	v_fmac_f32_e32 v127, v123, v91
	s_delay_alu instid0(VALU_DEP_1) | instskip(NEXT) | instid1(VALU_DEP_1)
	v_fmac_f32_e32 v127, v124, v2
	v_fmac_f32_e32 v127, v125, v3
	s_waitcnt lgkmcnt(0)
	s_delay_alu instid0(VALU_DEP_1) | instskip(NEXT) | instid1(VALU_DEP_1)
	v_fmac_f32_e32 v127, v126, v88
	v_sub_f32_e32 v2, v87, v127
	scratch_store_b32 off, v2, off offset:4
	v_cmpx_ne_u32_e32 0, v0
	s_cbranch_execz .LBB104_253
; %bb.252:
	scratch_load_b32 v0, off, off
	scratch_store_b32 off, v4, off
	s_waitcnt vmcnt(0)
	ds_store_b32 v1, v0
.LBB104_253:
	s_or_b32 exec_lo, exec_lo, s0
	s_waitcnt lgkmcnt(0)
	s_waitcnt_vscnt null, 0x0
	s_barrier
	buffer_gl0_inv
	s_clause 0xa
	scratch_load_b128 v[87:90], off, off
	scratch_load_b128 v[91:94], off, off offset:16
	scratch_load_b128 v[95:98], off, off offset:32
	;; [unrolled: 1-line block ×9, first 2 shown]
	scratch_load_b32 v131, off, off offset:160
	ds_load_2addr_b32 v[123:124], v4 offset0:45 offset1:46
	ds_load_2addr_b32 v[125:126], v4 offset0:47 offset1:48
	;; [unrolled: 1-line block ×4, first 2 shown]
	s_and_b32 vcc_lo, exec_lo, s12
	s_waitcnt vmcnt(10) lgkmcnt(3)
	v_fma_f32 v123, v88, v123, 0
	s_delay_alu instid0(VALU_DEP_1) | instskip(SKIP_4) | instid1(VALU_DEP_1)
	v_fmac_f32_e32 v123, v89, v124
	ds_load_2addr_b32 v[88:89], v4 offset0:53 offset1:54
	s_waitcnt lgkmcnt(3)
	v_fmac_f32_e32 v123, v90, v125
	s_waitcnt vmcnt(9)
	v_fmac_f32_e32 v123, v91, v126
	ds_load_2addr_b32 v[90:91], v4 offset0:55 offset1:56
	s_waitcnt lgkmcnt(3)
	v_fmac_f32_e32 v123, v92, v127
	s_delay_alu instid0(VALU_DEP_1) | instskip(SKIP_1) | instid1(VALU_DEP_1)
	v_fmac_f32_e32 v123, v93, v128
	s_waitcnt lgkmcnt(2)
	v_fmac_f32_e32 v123, v94, v129
	s_waitcnt vmcnt(8)
	s_delay_alu instid0(VALU_DEP_1) | instskip(SKIP_4) | instid1(VALU_DEP_1)
	v_fmac_f32_e32 v123, v95, v130
	ds_load_2addr_b32 v[92:93], v4 offset0:57 offset1:58
	ds_load_2addr_b32 v[94:95], v4 offset0:59 offset1:60
	s_waitcnt lgkmcnt(3)
	v_fmac_f32_e32 v123, v96, v88
	v_fmac_f32_e32 v123, v97, v89
	ds_load_2addr_b32 v[88:89], v4 offset0:61 offset1:62
	s_waitcnt lgkmcnt(3)
	v_fmac_f32_e32 v123, v98, v90
	s_waitcnt vmcnt(7)
	s_delay_alu instid0(VALU_DEP_1) | instskip(SKIP_3) | instid1(VALU_DEP_1)
	v_fmac_f32_e32 v123, v99, v91
	ds_load_2addr_b32 v[90:91], v4 offset0:63 offset1:64
	s_waitcnt lgkmcnt(3)
	v_fmac_f32_e32 v123, v100, v92
	v_fmac_f32_e32 v123, v101, v93
	s_waitcnt lgkmcnt(2)
	s_delay_alu instid0(VALU_DEP_1) | instskip(SKIP_1) | instid1(VALU_DEP_1)
	v_fmac_f32_e32 v123, v102, v94
	s_waitcnt vmcnt(6)
	v_fmac_f32_e32 v123, v103, v95
	ds_load_2addr_b32 v[92:93], v4 offset0:65 offset1:66
	ds_load_2addr_b32 v[94:95], v4 offset0:67 offset1:68
	s_waitcnt lgkmcnt(3)
	v_fmac_f32_e32 v123, v104, v88
	s_delay_alu instid0(VALU_DEP_1) | instskip(SKIP_4) | instid1(VALU_DEP_1)
	v_fmac_f32_e32 v123, v105, v89
	ds_load_2addr_b32 v[88:89], v4 offset0:69 offset1:70
	s_waitcnt lgkmcnt(3)
	v_fmac_f32_e32 v123, v106, v90
	s_waitcnt vmcnt(5)
	v_fmac_f32_e32 v123, v107, v91
	ds_load_2addr_b32 v[90:91], v4 offset0:71 offset1:72
	s_waitcnt lgkmcnt(3)
	v_fmac_f32_e32 v123, v108, v92
	s_delay_alu instid0(VALU_DEP_1) | instskip(SKIP_1) | instid1(VALU_DEP_1)
	v_fmac_f32_e32 v123, v109, v93
	s_waitcnt lgkmcnt(2)
	v_fmac_f32_e32 v123, v110, v94
	s_waitcnt vmcnt(4)
	s_delay_alu instid0(VALU_DEP_1) | instskip(SKIP_4) | instid1(VALU_DEP_1)
	v_fmac_f32_e32 v123, v111, v95
	ds_load_2addr_b32 v[92:93], v4 offset0:73 offset1:74
	ds_load_2addr_b32 v[94:95], v4 offset0:75 offset1:76
	s_waitcnt lgkmcnt(3)
	v_fmac_f32_e32 v123, v112, v88
	v_fmac_f32_e32 v123, v113, v89
	ds_load_2addr_b32 v[88:89], v4 offset0:77 offset1:78
	s_waitcnt lgkmcnt(3)
	v_fmac_f32_e32 v123, v114, v90
	s_waitcnt vmcnt(3)
	s_delay_alu instid0(VALU_DEP_1) | instskip(SKIP_3) | instid1(VALU_DEP_1)
	v_fmac_f32_e32 v123, v115, v91
	ds_load_2addr_b32 v[90:91], v4 offset0:79 offset1:80
	s_waitcnt lgkmcnt(3)
	v_fmac_f32_e32 v123, v116, v92
	v_fmac_f32_e32 v123, v117, v93
	s_waitcnt lgkmcnt(2)
	s_delay_alu instid0(VALU_DEP_1) | instskip(SKIP_1) | instid1(VALU_DEP_1)
	v_fmac_f32_e32 v123, v118, v94
	s_waitcnt vmcnt(2)
	v_fmac_f32_e32 v123, v119, v95
	ds_load_2addr_b32 v[92:93], v4 offset0:81 offset1:82
	ds_load_2addr_b32 v[94:95], v4 offset0:83 offset1:84
	s_waitcnt lgkmcnt(3)
	v_fmac_f32_e32 v123, v120, v88
	s_delay_alu instid0(VALU_DEP_1) | instskip(SKIP_1) | instid1(VALU_DEP_1)
	v_fmac_f32_e32 v123, v121, v89
	s_waitcnt lgkmcnt(2)
	v_fmac_f32_e32 v123, v122, v90
	s_waitcnt vmcnt(1)
	s_delay_alu instid0(VALU_DEP_1) | instskip(SKIP_1) | instid1(VALU_DEP_1)
	v_fmac_f32_e32 v123, v0, v91
	s_waitcnt lgkmcnt(1)
	v_fmac_f32_e32 v123, v1, v92
	s_delay_alu instid0(VALU_DEP_1) | instskip(SKIP_1) | instid1(VALU_DEP_1)
	v_fmac_f32_e32 v123, v2, v93
	s_waitcnt lgkmcnt(0)
	v_fmac_f32_e32 v123, v3, v94
	s_waitcnt vmcnt(0)
	s_delay_alu instid0(VALU_DEP_1) | instskip(NEXT) | instid1(VALU_DEP_1)
	v_fmac_f32_e32 v123, v131, v95
	v_sub_f32_e32 v0, v87, v123
	scratch_store_b32 off, v0, off
	s_cbranch_vccz .LBB104_335
; %bb.254:
	v_dual_mov_b32 v0, s2 :: v_dual_mov_b32 v1, s3
	s_mov_b32 s0, exec_lo
	flat_load_b32 v0, v[0:1] offset:156
	s_waitcnt vmcnt(0) lgkmcnt(0)
	v_cmpx_ne_u32_e32 40, v0
	s_cbranch_execz .LBB104_256
; %bb.255:
	v_lshl_add_u32 v0, v0, 2, 0
	scratch_load_b32 v1, v0, off offset:-4
	s_waitcnt vmcnt(0)
	scratch_store_b32 off, v1, off offset:156
	scratch_store_b32 v0, v3, off offset:-4
.LBB104_256:
	s_or_b32 exec_lo, exec_lo, s0
	v_dual_mov_b32 v0, s2 :: v_dual_mov_b32 v1, s3
	s_mov_b32 s0, exec_lo
	flat_load_b32 v0, v[0:1] offset:152
	s_waitcnt vmcnt(0) lgkmcnt(0)
	v_cmpx_ne_u32_e32 39, v0
	s_cbranch_execz .LBB104_258
; %bb.257:
	v_lshl_add_u32 v0, v0, 2, 0
	scratch_load_b32 v1, v0, off offset:-4
	scratch_load_b32 v2, off, off offset:152
	s_waitcnt vmcnt(1)
	scratch_store_b32 off, v1, off offset:152
	s_waitcnt vmcnt(0)
	scratch_store_b32 v0, v2, off offset:-4
.LBB104_258:
	s_or_b32 exec_lo, exec_lo, s0
	v_dual_mov_b32 v0, s2 :: v_dual_mov_b32 v1, s3
	s_mov_b32 s0, exec_lo
	flat_load_b32 v0, v[0:1] offset:148
	s_waitcnt vmcnt(0) lgkmcnt(0)
	v_cmpx_ne_u32_e32 38, v0
	s_cbranch_execz .LBB104_260
; %bb.259:
	v_lshl_add_u32 v0, v0, 2, 0
	scratch_load_b32 v1, v0, off offset:-4
	scratch_load_b32 v2, off, off offset:148
	s_waitcnt vmcnt(1)
	scratch_store_b32 off, v1, off offset:148
	s_waitcnt vmcnt(0)
	scratch_store_b32 v0, v2, off offset:-4
.LBB104_260:
	;; [unrolled: 16-line block ×38, first 2 shown]
	s_or_b32 exec_lo, exec_lo, s0
	v_dual_mov_b32 v0, s2 :: v_dual_mov_b32 v1, s3
	s_mov_b32 s0, exec_lo
	flat_load_b32 v1, v[0:1]
	scratch_load_b32 v0, off, off
	s_waitcnt vmcnt(1) lgkmcnt(0)
	v_cmpx_ne_u32_e32 1, v1
	s_cbranch_execz .LBB104_334
; %bb.333:
	v_lshl_add_u32 v1, v1, 2, 0
	scratch_load_b32 v2, v1, off offset:-4
	s_waitcnt vmcnt(0)
	scratch_store_b32 off, v2, off
	scratch_store_b32 v1, v0, off offset:-4
	scratch_load_b32 v0, off, off
.LBB104_334:
	s_or_b32 exec_lo, exec_lo, s0
.LBB104_335:
	s_clause 0x9
	scratch_load_b128 v[1:4], off, off offset:4
	scratch_load_b128 v[87:90], off, off offset:20
	;; [unrolled: 1-line block ×10, first 2 shown]
	s_waitcnt vmcnt(10)
	global_store_b32 v[5:6], v0, off
	s_waitcnt vmcnt(9)
	s_clause 0x3
	global_store_b32 v[7:8], v1, off
	global_store_b32 v[9:10], v2, off
	global_store_b32 v[11:12], v3, off
	global_store_b32 v[13:14], v4, off
	s_waitcnt vmcnt(8)
	s_clause 0x3
	global_store_b32 v[15:16], v87, off
	global_store_b32 v[17:18], v88, off
	global_store_b32 v[19:20], v89, off
	global_store_b32 v[21:22], v90, off
	s_waitcnt vmcnt(7)
	s_clause 0x3
	global_store_b32 v[23:24], v91, off
	global_store_b32 v[25:26], v92, off
	global_store_b32 v[27:28], v93, off
	global_store_b32 v[29:30], v94, off
	s_waitcnt vmcnt(6)
	s_clause 0x3
	global_store_b32 v[31:32], v95, off
	global_store_b32 v[33:34], v96, off
	global_store_b32 v[35:36], v97, off
	global_store_b32 v[37:38], v98, off
	s_waitcnt vmcnt(5)
	s_clause 0x3
	global_store_b32 v[39:40], v99, off
	global_store_b32 v[41:42], v100, off
	global_store_b32 v[43:44], v101, off
	global_store_b32 v[45:46], v102, off
	s_waitcnt vmcnt(4)
	s_clause 0x3
	global_store_b32 v[47:48], v103, off
	global_store_b32 v[49:50], v104, off
	global_store_b32 v[51:52], v105, off
	global_store_b32 v[53:54], v106, off
	s_waitcnt vmcnt(3)
	s_clause 0x3
	global_store_b32 v[55:56], v107, off
	global_store_b32 v[57:58], v108, off
	global_store_b32 v[59:60], v109, off
	global_store_b32 v[61:62], v110, off
	s_waitcnt vmcnt(2)
	s_clause 0x3
	global_store_b32 v[63:64], v111, off
	global_store_b32 v[65:66], v112, off
	global_store_b32 v[67:68], v113, off
	global_store_b32 v[69:70], v114, off
	s_waitcnt vmcnt(1)
	s_clause 0x3
	global_store_b32 v[71:72], v115, off
	global_store_b32 v[73:74], v116, off
	global_store_b32 v[75:76], v117, off
	global_store_b32 v[77:78], v118, off
	s_waitcnt vmcnt(0)
	s_clause 0x3
	global_store_b32 v[79:80], v119, off
	global_store_b32 v[81:82], v120, off
	global_store_b32 v[83:84], v121, off
	global_store_b32 v[85:86], v122, off
	s_endpgm
	.section	.rodata,"a",@progbits
	.p2align	6, 0x0
	.amdhsa_kernel _ZN9rocsolver6v33100L18getri_kernel_smallILi41EfPKPfEEvT1_iilPiilS6_bb
		.amdhsa_group_segment_fixed_size 340
		.amdhsa_private_segment_fixed_size 176
		.amdhsa_kernarg_size 60
		.amdhsa_user_sgpr_count 15
		.amdhsa_user_sgpr_dispatch_ptr 0
		.amdhsa_user_sgpr_queue_ptr 0
		.amdhsa_user_sgpr_kernarg_segment_ptr 1
		.amdhsa_user_sgpr_dispatch_id 0
		.amdhsa_user_sgpr_private_segment_size 0
		.amdhsa_wavefront_size32 1
		.amdhsa_uses_dynamic_stack 0
		.amdhsa_enable_private_segment 1
		.amdhsa_system_sgpr_workgroup_id_x 1
		.amdhsa_system_sgpr_workgroup_id_y 0
		.amdhsa_system_sgpr_workgroup_id_z 0
		.amdhsa_system_sgpr_workgroup_info 0
		.amdhsa_system_vgpr_workitem_id 0
		.amdhsa_next_free_vgpr 135
		.amdhsa_next_free_sgpr 17
		.amdhsa_reserve_vcc 1
		.amdhsa_float_round_mode_32 0
		.amdhsa_float_round_mode_16_64 0
		.amdhsa_float_denorm_mode_32 3
		.amdhsa_float_denorm_mode_16_64 3
		.amdhsa_dx10_clamp 1
		.amdhsa_ieee_mode 1
		.amdhsa_fp16_overflow 0
		.amdhsa_workgroup_processor_mode 1
		.amdhsa_memory_ordered 1
		.amdhsa_forward_progress 0
		.amdhsa_shared_vgpr_count 0
		.amdhsa_exception_fp_ieee_invalid_op 0
		.amdhsa_exception_fp_denorm_src 0
		.amdhsa_exception_fp_ieee_div_zero 0
		.amdhsa_exception_fp_ieee_overflow 0
		.amdhsa_exception_fp_ieee_underflow 0
		.amdhsa_exception_fp_ieee_inexact 0
		.amdhsa_exception_int_div_zero 0
	.end_amdhsa_kernel
	.section	.text._ZN9rocsolver6v33100L18getri_kernel_smallILi41EfPKPfEEvT1_iilPiilS6_bb,"axG",@progbits,_ZN9rocsolver6v33100L18getri_kernel_smallILi41EfPKPfEEvT1_iilPiilS6_bb,comdat
.Lfunc_end104:
	.size	_ZN9rocsolver6v33100L18getri_kernel_smallILi41EfPKPfEEvT1_iilPiilS6_bb, .Lfunc_end104-_ZN9rocsolver6v33100L18getri_kernel_smallILi41EfPKPfEEvT1_iilPiilS6_bb
                                        ; -- End function
	.section	.AMDGPU.csdata,"",@progbits
; Kernel info:
; codeLenInByte = 28064
; NumSgprs: 19
; NumVgprs: 135
; ScratchSize: 176
; MemoryBound: 0
; FloatMode: 240
; IeeeMode: 1
; LDSByteSize: 340 bytes/workgroup (compile time only)
; SGPRBlocks: 2
; VGPRBlocks: 16
; NumSGPRsForWavesPerEU: 19
; NumVGPRsForWavesPerEU: 135
; Occupancy: 10
; WaveLimiterHint : 1
; COMPUTE_PGM_RSRC2:SCRATCH_EN: 1
; COMPUTE_PGM_RSRC2:USER_SGPR: 15
; COMPUTE_PGM_RSRC2:TRAP_HANDLER: 0
; COMPUTE_PGM_RSRC2:TGID_X_EN: 1
; COMPUTE_PGM_RSRC2:TGID_Y_EN: 0
; COMPUTE_PGM_RSRC2:TGID_Z_EN: 0
; COMPUTE_PGM_RSRC2:TIDIG_COMP_CNT: 0
	.section	.text._ZN9rocsolver6v33100L18getri_kernel_smallILi42EfPKPfEEvT1_iilPiilS6_bb,"axG",@progbits,_ZN9rocsolver6v33100L18getri_kernel_smallILi42EfPKPfEEvT1_iilPiilS6_bb,comdat
	.globl	_ZN9rocsolver6v33100L18getri_kernel_smallILi42EfPKPfEEvT1_iilPiilS6_bb ; -- Begin function _ZN9rocsolver6v33100L18getri_kernel_smallILi42EfPKPfEEvT1_iilPiilS6_bb
	.p2align	8
	.type	_ZN9rocsolver6v33100L18getri_kernel_smallILi42EfPKPfEEvT1_iilPiilS6_bb,@function
_ZN9rocsolver6v33100L18getri_kernel_smallILi42EfPKPfEEvT1_iilPiilS6_bb: ; @_ZN9rocsolver6v33100L18getri_kernel_smallILi42EfPKPfEEvT1_iilPiilS6_bb
; %bb.0:
	s_mov_b32 s2, exec_lo
	v_cmpx_gt_u32_e32 42, v0
	s_cbranch_execz .LBB105_176
; %bb.1:
	s_clause 0x1
	s_load_b32 s13, s[0:1], 0x38
	s_load_b64 s[2:3], s[0:1], 0x0
	s_mov_b32 s8, s15
	s_load_b128 s[4:7], s[0:1], 0x28
	s_waitcnt lgkmcnt(0)
	s_bitcmp1_b32 s13, 8
	s_cselect_b32 s12, -1, 0
	s_ashr_i32 s9, s15, 31
	s_delay_alu instid0(SALU_CYCLE_1) | instskip(NEXT) | instid1(SALU_CYCLE_1)
	s_lshl_b64 s[10:11], s[8:9], 3
	s_add_u32 s2, s2, s10
	s_addc_u32 s3, s3, s11
	s_load_b64 s[10:11], s[2:3], 0x0
	s_bfe_u32 s2, s13, 0x10008
	s_delay_alu instid0(SALU_CYCLE_1)
	s_cmp_eq_u32 s2, 0
                                        ; implicit-def: $sgpr2_sgpr3
	s_cbranch_scc1 .LBB105_3
; %bb.2:
	s_clause 0x1
	s_load_b32 s2, s[0:1], 0x20
	s_load_b64 s[14:15], s[0:1], 0x18
	s_mul_i32 s3, s8, s5
	s_mul_hi_u32 s5, s8, s4
	s_mul_i32 s16, s9, s4
	s_add_i32 s3, s5, s3
	s_mul_i32 s4, s8, s4
	s_add_i32 s5, s3, s16
	s_delay_alu instid0(SALU_CYCLE_1)
	s_lshl_b64 s[4:5], s[4:5], 2
	s_waitcnt lgkmcnt(0)
	s_ashr_i32 s3, s2, 31
	s_add_u32 s4, s14, s4
	s_addc_u32 s5, s15, s5
	s_lshl_b64 s[2:3], s[2:3], 2
	s_delay_alu instid0(SALU_CYCLE_1)
	s_add_u32 s2, s4, s2
	s_addc_u32 s3, s5, s3
.LBB105_3:
	s_load_b64 s[0:1], s[0:1], 0x8
	v_lshlrev_b32_e32 v85, 2, v0
	s_waitcnt lgkmcnt(0)
	v_add3_u32 v3, s1, s1, v0
	s_ashr_i32 s5, s0, 31
	s_mov_b32 s4, s0
	s_mov_b32 s14, s1
	s_lshl_b64 s[4:5], s[4:5], 2
	v_add_nc_u32_e32 v5, s1, v3
	v_ashrrev_i32_e32 v4, 31, v3
	s_add_u32 s4, s10, s4
	s_addc_u32 s5, s11, s5
	v_add_co_u32 v1, s0, s4, v85
	v_add_nc_u32_e32 v7, s1, v5
	v_ashrrev_i32_e32 v6, 31, v5
	s_ashr_i32 s15, s1, 31
	v_add_co_ci_u32_e64 v2, null, s5, 0, s0
	s_delay_alu instid0(VALU_DEP_3)
	v_add_nc_u32_e32 v9, s1, v7
	v_lshlrev_b64 v[32:33], 2, v[3:4]
	s_lshl_b64 s[10:11], s[14:15], 2
	v_lshlrev_b64 v[35:36], 2, v[5:6]
	v_add_co_u32 v3, vcc_lo, v1, s10
	v_add_nc_u32_e32 v11, s1, v9
	v_ashrrev_i32_e32 v8, 31, v7
	v_add_co_ci_u32_e32 v4, vcc_lo, s11, v2, vcc_lo
	v_add_co_u32 v5, vcc_lo, s4, v32
	s_delay_alu instid0(VALU_DEP_4) | instskip(SKIP_3) | instid1(VALU_DEP_4)
	v_add_nc_u32_e32 v13, s1, v11
	v_ashrrev_i32_e32 v10, 31, v9
	v_add_co_ci_u32_e32 v6, vcc_lo, s5, v33, vcc_lo
	v_lshlrev_b64 v[32:33], 2, v[7:8]
	v_add_nc_u32_e32 v15, s1, v13
	v_add_co_u32 v7, vcc_lo, s4, v35
	v_add_co_ci_u32_e32 v8, vcc_lo, s5, v36, vcc_lo
	s_delay_alu instid0(VALU_DEP_3) | instskip(SKIP_3) | instid1(VALU_DEP_4)
	v_add_nc_u32_e32 v17, s1, v15
	v_lshlrev_b64 v[35:36], 2, v[9:10]
	v_ashrrev_i32_e32 v12, 31, v11
	v_add_co_u32 v9, vcc_lo, s4, v32
	v_add_nc_u32_e32 v19, s1, v17
	v_ashrrev_i32_e32 v14, 31, v13
	v_add_co_ci_u32_e32 v10, vcc_lo, s5, v33, vcc_lo
	v_lshlrev_b64 v[32:33], 2, v[11:12]
	s_delay_alu instid0(VALU_DEP_4) | instskip(SKIP_2) | instid1(VALU_DEP_3)
	v_add_nc_u32_e32 v21, s1, v19
	v_add_co_u32 v11, vcc_lo, s4, v35
	v_add_co_ci_u32_e32 v12, vcc_lo, s5, v36, vcc_lo
	v_add_nc_u32_e32 v23, s1, v21
	v_lshlrev_b64 v[35:36], 2, v[13:14]
	v_ashrrev_i32_e32 v16, 31, v15
	v_add_co_u32 v13, vcc_lo, s4, v32
	s_delay_alu instid0(VALU_DEP_4) | instskip(SKIP_3) | instid1(VALU_DEP_4)
	v_add_nc_u32_e32 v25, s1, v23
	v_ashrrev_i32_e32 v18, 31, v17
	v_add_co_ci_u32_e32 v14, vcc_lo, s5, v33, vcc_lo
	v_lshlrev_b64 v[32:33], 2, v[15:16]
	v_add_nc_u32_e32 v27, s1, v25
	v_add_co_u32 v15, vcc_lo, s4, v35
	v_add_co_ci_u32_e32 v16, vcc_lo, s5, v36, vcc_lo
	s_delay_alu instid0(VALU_DEP_3) | instskip(SKIP_3) | instid1(VALU_DEP_4)
	v_add_nc_u32_e32 v29, s1, v27
	v_lshlrev_b64 v[35:36], 2, v[17:18]
	v_ashrrev_i32_e32 v20, 31, v19
	v_add_co_u32 v17, vcc_lo, s4, v32
	v_add_nc_u32_e32 v31, s1, v29
	v_ashrrev_i32_e32 v22, 31, v21
	v_add_co_ci_u32_e32 v18, vcc_lo, s5, v33, vcc_lo
	v_lshlrev_b64 v[32:33], 2, v[19:20]
	s_delay_alu instid0(VALU_DEP_4) | instskip(SKIP_2) | instid1(VALU_DEP_3)
	v_add_nc_u32_e32 v34, s1, v31
	v_add_co_u32 v19, vcc_lo, s4, v35
	v_add_co_ci_u32_e32 v20, vcc_lo, s5, v36, vcc_lo
	v_add_nc_u32_e32 v37, s1, v34
	v_lshlrev_b64 v[35:36], 2, v[21:22]
	v_ashrrev_i32_e32 v24, 31, v23
	v_add_co_u32 v21, vcc_lo, s4, v32
	s_delay_alu instid0(VALU_DEP_4) | instskip(SKIP_3) | instid1(VALU_DEP_4)
	v_add_nc_u32_e32 v39, s1, v37
	v_ashrrev_i32_e32 v26, 31, v25
	v_add_co_ci_u32_e32 v22, vcc_lo, s5, v33, vcc_lo
	v_lshlrev_b64 v[32:33], 2, v[23:24]
	v_add_nc_u32_e32 v41, s1, v39
	v_add_co_u32 v23, vcc_lo, s4, v35
	v_ashrrev_i32_e32 v28, 31, v27
	v_add_co_ci_u32_e32 v24, vcc_lo, s5, v36, vcc_lo
	s_delay_alu instid0(VALU_DEP_4) | instskip(SKIP_3) | instid1(VALU_DEP_4)
	v_add_nc_u32_e32 v43, s1, v41
	v_lshlrev_b64 v[35:36], 2, v[25:26]
	v_add_co_u32 v25, vcc_lo, s4, v32
	v_lshlrev_b64 v[60:61], 2, v[27:28]
	v_add_nc_u32_e32 v45, s1, v43
	v_ashrrev_i32_e32 v30, 31, v29
	v_add_co_ci_u32_e32 v26, vcc_lo, s5, v33, vcc_lo
	v_add_co_u32 v27, vcc_lo, s4, v35
	s_delay_alu instid0(VALU_DEP_4) | instskip(SKIP_3) | instid1(VALU_DEP_4)
	v_add_nc_u32_e32 v47, s1, v45
	v_ashrrev_i32_e32 v32, 31, v31
	v_add_co_ci_u32_e32 v28, vcc_lo, s5, v36, vcc_lo
	v_lshlrev_b64 v[63:64], 2, v[29:30]
	v_add_nc_u32_e32 v49, s1, v47
	v_add_co_u32 v29, vcc_lo, s4, v60
	v_ashrrev_i32_e32 v35, 31, v34
	v_add_co_ci_u32_e32 v30, vcc_lo, s5, v61, vcc_lo
	s_delay_alu instid0(VALU_DEP_4) | instskip(SKIP_3) | instid1(VALU_DEP_4)
	v_add_nc_u32_e32 v51, s1, v49
	v_lshlrev_b64 v[60:61], 2, v[31:32]
	v_ashrrev_i32_e32 v38, 31, v37
	v_add_co_u32 v31, vcc_lo, s4, v63
	v_add_nc_u32_e32 v53, s1, v51
	v_lshlrev_b64 v[35:36], 2, v[34:35]
	v_ashrrev_i32_e32 v40, 31, v39
	v_add_co_ci_u32_e32 v32, vcc_lo, s5, v64, vcc_lo
	s_delay_alu instid0(VALU_DEP_4) | instskip(SKIP_3) | instid1(VALU_DEP_4)
	v_add_nc_u32_e32 v55, s1, v53
	v_add_co_u32 v33, vcc_lo, s4, v60
	v_lshlrev_b64 v[37:38], 2, v[37:38]
	v_ashrrev_i32_e32 v42, 31, v41
	v_add_nc_u32_e32 v57, s1, v55
	v_add_co_ci_u32_e32 v34, vcc_lo, s5, v61, vcc_lo
	v_add_co_u32 v35, vcc_lo, s4, v35
	s_delay_alu instid0(VALU_DEP_3) | instskip(SKIP_3) | instid1(VALU_DEP_4)
	v_add_nc_u32_e32 v59, s1, v57
	v_lshlrev_b64 v[39:40], 2, v[39:40]
	v_ashrrev_i32_e32 v44, 31, v43
	v_add_co_ci_u32_e32 v36, vcc_lo, s5, v36, vcc_lo
	v_add_nc_u32_e32 v62, s1, v59
	v_add_co_u32 v37, vcc_lo, s4, v37
	v_lshlrev_b64 v[41:42], 2, v[41:42]
	v_ashrrev_i32_e32 v46, 31, v45
	s_delay_alu instid0(VALU_DEP_4) | instskip(SKIP_2) | instid1(VALU_DEP_3)
	v_add_nc_u32_e32 v65, s1, v62
	v_add_co_ci_u32_e32 v38, vcc_lo, s5, v38, vcc_lo
	v_add_co_u32 v39, vcc_lo, s4, v39
	v_add_nc_u32_e32 v67, s1, v65
	v_lshlrev_b64 v[43:44], 2, v[43:44]
	v_ashrrev_i32_e32 v48, 31, v47
	v_add_co_ci_u32_e32 v40, vcc_lo, s5, v40, vcc_lo
	s_delay_alu instid0(VALU_DEP_4) | instskip(SKIP_3) | instid1(VALU_DEP_4)
	v_add_nc_u32_e32 v69, s1, v67
	v_add_co_u32 v41, vcc_lo, s4, v41
	v_lshlrev_b64 v[45:46], 2, v[45:46]
	v_ashrrev_i32_e32 v50, 31, v49
	v_add_nc_u32_e32 v71, s1, v69
	v_add_co_ci_u32_e32 v42, vcc_lo, s5, v42, vcc_lo
	v_add_co_u32 v43, vcc_lo, s4, v43
	s_delay_alu instid0(VALU_DEP_3) | instskip(SKIP_3) | instid1(VALU_DEP_4)
	v_add_nc_u32_e32 v73, s1, v71
	v_lshlrev_b64 v[47:48], 2, v[47:48]
	v_add_co_ci_u32_e32 v44, vcc_lo, s5, v44, vcc_lo
	v_add_co_u32 v45, vcc_lo, s4, v45
	v_add_nc_u32_e32 v75, s1, v73
	v_lshlrev_b64 v[49:50], 2, v[49:50]
	v_ashrrev_i32_e32 v52, 31, v51
	v_add_co_ci_u32_e32 v46, vcc_lo, s5, v46, vcc_lo
	s_delay_alu instid0(VALU_DEP_4) | instskip(SKIP_2) | instid1(VALU_DEP_3)
	v_add_nc_u32_e32 v77, s1, v75
	v_add_co_u32 v47, vcc_lo, s4, v47
	v_add_co_ci_u32_e32 v48, vcc_lo, s5, v48, vcc_lo
	v_add_nc_u32_e32 v79, s1, v77
	v_lshlrev_b64 v[63:64], 2, v[51:52]
	v_add_co_u32 v51, vcc_lo, s4, v49
	v_add_co_ci_u32_e32 v52, vcc_lo, s5, v50, vcc_lo
	s_delay_alu instid0(VALU_DEP_4)
	v_add_nc_u32_e32 v81, s1, v79
	v_ashrrev_i32_e32 v54, 31, v53
	v_ashrrev_i32_e32 v56, 31, v55
	;; [unrolled: 1-line block ×4, first 2 shown]
	v_add_nc_u32_e32 v83, s1, v81
	v_lshlrev_b64 v[111:112], 2, v[53:54]
	v_ashrrev_i32_e32 v68, 31, v67
	v_ashrrev_i32_e32 v70, 31, v69
	v_lshlrev_b64 v[65:66], 2, v[65:66]
	v_add_nc_u32_e32 v60, s1, v83
	v_ashrrev_i32_e32 v72, 31, v71
	v_lshlrev_b64 v[67:68], 2, v[67:68]
	v_lshlrev_b64 v[69:70], 2, v[69:70]
	v_ashrrev_i32_e32 v74, 31, v73
	v_ashrrev_i32_e32 v61, 31, v60
	v_lshlrev_b64 v[71:72], 2, v[71:72]
	v_ashrrev_i32_e32 v76, 31, v75
	v_ashrrev_i32_e32 v78, 31, v77
	v_lshlrev_b64 v[73:74], 2, v[73:74]
	v_lshlrev_b64 v[49:50], 2, v[60:61]
	v_ashrrev_i32_e32 v60, 31, v59
	v_lshlrev_b64 v[75:76], 2, v[75:76]
	v_ashrrev_i32_e32 v80, 31, v79
	;; [unrolled: 2-line block ×3, first 2 shown]
	v_add_co_u32 v49, vcc_lo, s4, v49
	v_add_co_ci_u32_e32 v50, vcc_lo, s5, v50, vcc_lo
	v_add_co_u32 v53, vcc_lo, s4, v63
	v_add_co_ci_u32_e32 v54, vcc_lo, s5, v64, vcc_lo
	v_lshlrev_b64 v[63:64], 2, v[55:56]
	v_add_co_u32 v55, vcc_lo, s4, v111
	v_add_co_ci_u32_e32 v56, vcc_lo, s5, v112, vcc_lo
	v_lshlrev_b64 v[111:112], 2, v[57:58]
	s_delay_alu instid0(VALU_DEP_4) | instskip(SKIP_4) | instid1(VALU_DEP_4)
	v_add_co_u32 v57, vcc_lo, s4, v63
	v_ashrrev_i32_e32 v63, 31, v62
	v_lshlrev_b64 v[113:114], 2, v[59:60]
	v_add_co_ci_u32_e32 v58, vcc_lo, s5, v64, vcc_lo
	v_add_co_u32 v59, vcc_lo, s4, v111
	v_lshlrev_b64 v[63:64], 2, v[62:63]
	v_add_co_ci_u32_e32 v60, vcc_lo, s5, v112, vcc_lo
	v_add_co_u32 v61, vcc_lo, s4, v113
	v_add_co_ci_u32_e32 v62, vcc_lo, s5, v114, vcc_lo
	s_delay_alu instid0(VALU_DEP_4)
	v_add_co_u32 v63, vcc_lo, s4, v63
	v_add_co_ci_u32_e32 v64, vcc_lo, s5, v64, vcc_lo
	v_add_co_u32 v65, vcc_lo, s4, v65
	v_add_co_ci_u32_e32 v66, vcc_lo, s5, v66, vcc_lo
	;; [unrolled: 2-line block ×6, first 2 shown]
	v_add_co_u32 v75, vcc_lo, s4, v75
	v_lshlrev_b64 v[79:80], 2, v[79:80]
	v_ashrrev_i32_e32 v84, 31, v83
	v_add_co_ci_u32_e32 v76, vcc_lo, s5, v76, vcc_lo
	v_add_co_u32 v77, vcc_lo, s4, v77
	v_lshlrev_b64 v[81:82], 2, v[81:82]
	v_add_co_ci_u32_e32 v78, vcc_lo, s5, v78, vcc_lo
	v_add_co_u32 v79, vcc_lo, s4, v79
	v_lshlrev_b64 v[83:84], 2, v[83:84]
	v_add_co_ci_u32_e32 v80, vcc_lo, s5, v80, vcc_lo
	v_add_co_u32 v81, vcc_lo, s4, v81
	v_add_co_ci_u32_e32 v82, vcc_lo, s5, v82, vcc_lo
	s_delay_alu instid0(VALU_DEP_4)
	v_add_co_u32 v83, vcc_lo, s4, v83
	s_clause 0x1f
	global_load_b32 v86, v85, s[4:5]
	global_load_b32 v87, v[3:4], off
	global_load_b32 v88, v[5:6], off
	;; [unrolled: 1-line block ×32, first 2 shown]
	v_add_co_ci_u32_e32 v84, vcc_lo, s5, v84, vcc_lo
	s_clause 0x8
	global_load_b32 v119, v[69:70], off
	global_load_b32 v120, v[71:72], off
	;; [unrolled: 1-line block ×9, first 2 shown]
	s_bitcmp0_b32 s13, 0
	s_mov_b32 s1, -1
	s_waitcnt vmcnt(38)
	scratch_store_b128 off, v[86:89], off
	s_waitcnt vmcnt(34)
	scratch_store_b128 off, v[90:93], off offset:16
	s_waitcnt vmcnt(30)
	scratch_store_b128 off, v[94:97], off offset:32
	;; [unrolled: 2-line block ×9, first 2 shown]
	s_waitcnt vmcnt(0)
	scratch_store_b64 off, v[126:127], off offset:160
	s_cbranch_scc1 .LBB105_174
; %bb.4:
	v_cmp_eq_u32_e64 s0, 0, v0
	s_delay_alu instid0(VALU_DEP_1)
	s_and_saveexec_b32 s1, s0
	s_cbranch_execz .LBB105_6
; %bb.5:
	v_mov_b32_e32 v86, 0
	ds_store_b32 v86, v86 offset:168
.LBB105_6:
	s_or_b32 exec_lo, exec_lo, s1
	s_waitcnt lgkmcnt(0)
	s_waitcnt_vscnt null, 0x0
	s_barrier
	buffer_gl0_inv
	scratch_load_b32 v86, v85, off
	s_mov_b32 s4, exec_lo
	s_waitcnt vmcnt(0)
	v_cmpx_eq_f32_e32 0, v86
	s_cbranch_execz .LBB105_10
; %bb.7:
	v_mov_b32_e32 v86, 0
	s_mov_b32 s5, 0
	ds_load_b32 v87, v86 offset:168
	s_waitcnt lgkmcnt(0)
	v_readfirstlane_b32 s1, v87
	v_add_nc_u32_e32 v87, 1, v0
	s_delay_alu instid0(VALU_DEP_2) | instskip(NEXT) | instid1(VALU_DEP_1)
	s_cmp_eq_u32 s1, 0
	v_cmp_gt_i32_e32 vcc_lo, s1, v87
	s_cselect_b32 s10, -1, 0
	s_delay_alu instid0(SALU_CYCLE_1) | instskip(NEXT) | instid1(SALU_CYCLE_1)
	s_or_b32 s10, s10, vcc_lo
	s_and_b32 exec_lo, exec_lo, s10
	s_cbranch_execz .LBB105_10
; %bb.8:
	v_mov_b32_e32 v88, s1
.LBB105_9:                              ; =>This Inner Loop Header: Depth=1
	ds_cmpstore_rtn_b32 v88, v86, v87, v88 offset:168
	s_waitcnt lgkmcnt(0)
	v_cmp_ne_u32_e32 vcc_lo, 0, v88
	v_cmp_le_i32_e64 s1, v88, v87
	s_delay_alu instid0(VALU_DEP_1) | instskip(NEXT) | instid1(SALU_CYCLE_1)
	s_and_b32 s1, vcc_lo, s1
	s_and_b32 s1, exec_lo, s1
	s_delay_alu instid0(SALU_CYCLE_1) | instskip(NEXT) | instid1(SALU_CYCLE_1)
	s_or_b32 s5, s1, s5
	s_and_not1_b32 exec_lo, exec_lo, s5
	s_cbranch_execnz .LBB105_9
.LBB105_10:
	s_or_b32 exec_lo, exec_lo, s4
	v_mov_b32_e32 v86, 0
	s_barrier
	buffer_gl0_inv
	ds_load_b32 v87, v86 offset:168
	s_and_saveexec_b32 s1, s0
	s_cbranch_execz .LBB105_12
; %bb.11:
	s_lshl_b64 s[4:5], s[8:9], 2
	s_delay_alu instid0(SALU_CYCLE_1)
	s_add_u32 s4, s6, s4
	s_addc_u32 s5, s7, s5
	s_waitcnt lgkmcnt(0)
	global_store_b32 v86, v87, s[4:5]
.LBB105_12:
	s_or_b32 exec_lo, exec_lo, s1
	s_waitcnt lgkmcnt(0)
	v_cmp_ne_u32_e32 vcc_lo, 0, v87
	s_mov_b32 s1, 0
	s_cbranch_vccnz .LBB105_174
; %bb.13:
	v_add_nc_u32_e32 v86, 0, v85
	scratch_load_b32 v87, v86, off
	s_waitcnt vmcnt(0)
	v_div_scale_f32 v88, null, v87, v87, 1.0
	v_div_scale_f32 v91, vcc_lo, 1.0, v87, 1.0
	s_delay_alu instid0(VALU_DEP_2) | instskip(SKIP_2) | instid1(VALU_DEP_1)
	v_rcp_f32_e32 v89, v88
	s_waitcnt_depctr 0xfff
	v_fma_f32 v90, -v88, v89, 1.0
	v_fmac_f32_e32 v89, v90, v89
	s_delay_alu instid0(VALU_DEP_1) | instskip(NEXT) | instid1(VALU_DEP_1)
	v_mul_f32_e32 v90, v91, v89
	v_fma_f32 v92, -v88, v90, v91
	s_delay_alu instid0(VALU_DEP_1) | instskip(NEXT) | instid1(VALU_DEP_1)
	v_fmac_f32_e32 v90, v92, v89
	v_fma_f32 v88, -v88, v90, v91
	s_delay_alu instid0(VALU_DEP_1) | instskip(NEXT) | instid1(VALU_DEP_1)
	v_div_fmas_f32 v88, v88, v89, v90
	v_div_fixup_f32 v87, v88, v87, 1.0
	scratch_store_b32 v86, v87, off
	scratch_load_b32 v88, off, off offset:4
	v_xor_b32_e32 v89, 0x80000000, v87
	v_add_nc_u32_e32 v87, 0xb0, v85
	s_waitcnt vmcnt(0)
	ds_store_2addr_b32 v85, v89, v88 offset1:44
	s_waitcnt lgkmcnt(0)
	s_waitcnt_vscnt null, 0x0
	s_barrier
	buffer_gl0_inv
	s_and_saveexec_b32 s1, s0
	s_cbranch_execz .LBB105_15
; %bb.14:
	scratch_load_b32 v88, v86, off
	ds_load_b32 v89, v87
	v_mov_b32_e32 v90, 0
	ds_load_b32 v90, v90 offset:4
	s_waitcnt vmcnt(0) lgkmcnt(1)
	v_fma_f32 v88, v88, v89, 0
	s_waitcnt lgkmcnt(0)
	s_delay_alu instid0(VALU_DEP_1)
	v_mul_f32_e32 v88, v88, v90
	scratch_store_b32 off, v88, off offset:4
.LBB105_15:
	s_or_b32 exec_lo, exec_lo, s1
	s_waitcnt_vscnt null, 0x0
	s_barrier
	buffer_gl0_inv
	scratch_load_b32 v88, off, off offset:8
	s_mov_b32 s1, exec_lo
	s_waitcnt vmcnt(0)
	ds_store_b32 v87, v88
	s_waitcnt lgkmcnt(0)
	s_barrier
	buffer_gl0_inv
	v_cmpx_gt_u32_e32 2, v0
	s_cbranch_execz .LBB105_17
; %bb.16:
	scratch_load_b32 v90, v86, off
	scratch_load_b32 v91, off, off offset:4
	ds_load_b32 v92, v87
	v_mov_b32_e32 v88, 0
	ds_load_2addr_b32 v[88:89], v88 offset0:2 offset1:45
	s_waitcnt vmcnt(1) lgkmcnt(1)
	v_fma_f32 v90, v90, v92, 0
	s_waitcnt vmcnt(0) lgkmcnt(0)
	s_delay_alu instid0(VALU_DEP_1) | instskip(NEXT) | instid1(VALU_DEP_1)
	v_fma_f32 v89, v91, v89, v90
	v_cndmask_b32_e64 v89, v90, v89, s0
	s_delay_alu instid0(VALU_DEP_1)
	v_mul_f32_e32 v88, v89, v88
	scratch_store_b32 off, v88, off offset:8
.LBB105_17:
	s_or_b32 exec_lo, exec_lo, s1
	s_waitcnt_vscnt null, 0x0
	s_barrier
	buffer_gl0_inv
	scratch_load_b32 v89, off, off offset:12
	v_add_nc_u32_e32 v88, -1, v0
	s_mov_b32 s0, exec_lo
	s_waitcnt vmcnt(0)
	ds_store_b32 v87, v89
	s_waitcnt lgkmcnt(0)
	s_barrier
	buffer_gl0_inv
	v_cmpx_gt_u32_e32 3, v0
	s_cbranch_execz .LBB105_21
; %bb.18:
	v_dual_mov_b32 v89, 0 :: v_dual_add_nc_u32 v90, -1, v0
	v_add_nc_u32_e32 v91, 0xb0, v85
	v_add_nc_u32_e32 v92, 0, v85
	s_mov_b32 s1, 0
.LBB105_19:                             ; =>This Inner Loop Header: Depth=1
	scratch_load_b32 v93, v92, off
	ds_load_b32 v94, v91
	v_add_nc_u32_e32 v90, 1, v90
	v_add_nc_u32_e32 v91, 4, v91
	v_add_nc_u32_e32 v92, 4, v92
	s_delay_alu instid0(VALU_DEP_3)
	v_cmp_lt_u32_e32 vcc_lo, 1, v90
	s_or_b32 s1, vcc_lo, s1
	s_waitcnt vmcnt(0) lgkmcnt(0)
	v_fmac_f32_e32 v89, v93, v94
	s_and_not1_b32 exec_lo, exec_lo, s1
	s_cbranch_execnz .LBB105_19
; %bb.20:
	s_or_b32 exec_lo, exec_lo, s1
	v_mov_b32_e32 v90, 0
	ds_load_b32 v90, v90 offset:12
	s_waitcnt lgkmcnt(0)
	v_mul_f32_e32 v89, v89, v90
	scratch_store_b32 off, v89, off offset:12
.LBB105_21:
	s_or_b32 exec_lo, exec_lo, s0
	s_waitcnt_vscnt null, 0x0
	s_barrier
	buffer_gl0_inv
	scratch_load_b32 v89, off, off offset:16
	s_mov_b32 s0, exec_lo
	s_waitcnt vmcnt(0)
	ds_store_b32 v87, v89
	s_waitcnt lgkmcnt(0)
	s_barrier
	buffer_gl0_inv
	v_cmpx_gt_u32_e32 4, v0
	s_cbranch_execz .LBB105_25
; %bb.22:
	v_dual_mov_b32 v89, 0 :: v_dual_add_nc_u32 v90, -1, v0
	v_add_nc_u32_e32 v91, 0xb0, v85
	v_add_nc_u32_e32 v92, 0, v85
	s_mov_b32 s1, 0
.LBB105_23:                             ; =>This Inner Loop Header: Depth=1
	scratch_load_b32 v93, v92, off
	ds_load_b32 v94, v91
	v_add_nc_u32_e32 v90, 1, v90
	v_add_nc_u32_e32 v91, 4, v91
	v_add_nc_u32_e32 v92, 4, v92
	s_delay_alu instid0(VALU_DEP_3)
	v_cmp_lt_u32_e32 vcc_lo, 2, v90
	s_or_b32 s1, vcc_lo, s1
	s_waitcnt vmcnt(0) lgkmcnt(0)
	v_fmac_f32_e32 v89, v93, v94
	s_and_not1_b32 exec_lo, exec_lo, s1
	s_cbranch_execnz .LBB105_23
; %bb.24:
	s_or_b32 exec_lo, exec_lo, s1
	v_mov_b32_e32 v90, 0
	ds_load_b32 v90, v90 offset:16
	s_waitcnt lgkmcnt(0)
	v_mul_f32_e32 v89, v89, v90
	scratch_store_b32 off, v89, off offset:16
.LBB105_25:
	s_or_b32 exec_lo, exec_lo, s0
	s_waitcnt_vscnt null, 0x0
	s_barrier
	buffer_gl0_inv
	scratch_load_b32 v89, off, off offset:20
	;; [unrolled: 39-line block ×21, first 2 shown]
	s_mov_b32 s0, exec_lo
	s_waitcnt vmcnt(0)
	ds_store_b32 v87, v89
	s_waitcnt lgkmcnt(0)
	s_barrier
	buffer_gl0_inv
	v_cmpx_gt_u32_e32 24, v0
	s_cbranch_execz .LBB105_105
; %bb.102:
	v_dual_mov_b32 v89, 0 :: v_dual_add_nc_u32 v90, -1, v0
	v_add_nc_u32_e32 v91, 0xb0, v85
	v_add_nc_u32_e32 v92, 0, v85
	s_mov_b32 s1, 0
.LBB105_103:                            ; =>This Inner Loop Header: Depth=1
	scratch_load_b32 v93, v92, off
	ds_load_b32 v94, v91
	v_add_nc_u32_e32 v90, 1, v90
	v_add_nc_u32_e32 v91, 4, v91
	v_add_nc_u32_e32 v92, 4, v92
	s_delay_alu instid0(VALU_DEP_3)
	v_cmp_lt_u32_e32 vcc_lo, 22, v90
	s_or_b32 s1, vcc_lo, s1
	s_waitcnt vmcnt(0) lgkmcnt(0)
	v_fmac_f32_e32 v89, v93, v94
	s_and_not1_b32 exec_lo, exec_lo, s1
	s_cbranch_execnz .LBB105_103
; %bb.104:
	s_or_b32 exec_lo, exec_lo, s1
	v_mov_b32_e32 v90, 0
	ds_load_b32 v90, v90 offset:96
	s_waitcnt lgkmcnt(0)
	v_mul_f32_e32 v89, v89, v90
	scratch_store_b32 off, v89, off offset:96
.LBB105_105:
	s_or_b32 exec_lo, exec_lo, s0
	s_waitcnt_vscnt null, 0x0
	s_barrier
	buffer_gl0_inv
	scratch_load_b32 v89, off, off offset:100
	s_mov_b32 s0, exec_lo
	s_waitcnt vmcnt(0)
	ds_store_b32 v87, v89
	s_waitcnt lgkmcnt(0)
	s_barrier
	buffer_gl0_inv
	v_cmpx_gt_u32_e32 25, v0
	s_cbranch_execz .LBB105_109
; %bb.106:
	v_dual_mov_b32 v89, 0 :: v_dual_add_nc_u32 v90, -1, v0
	v_add_nc_u32_e32 v91, 0xb0, v85
	v_add_nc_u32_e32 v92, 0, v85
	s_mov_b32 s1, 0
.LBB105_107:                            ; =>This Inner Loop Header: Depth=1
	scratch_load_b32 v93, v92, off
	ds_load_b32 v94, v91
	v_add_nc_u32_e32 v90, 1, v90
	v_add_nc_u32_e32 v91, 4, v91
	v_add_nc_u32_e32 v92, 4, v92
	s_delay_alu instid0(VALU_DEP_3)
	v_cmp_lt_u32_e32 vcc_lo, 23, v90
	s_or_b32 s1, vcc_lo, s1
	s_waitcnt vmcnt(0) lgkmcnt(0)
	v_fmac_f32_e32 v89, v93, v94
	s_and_not1_b32 exec_lo, exec_lo, s1
	s_cbranch_execnz .LBB105_107
; %bb.108:
	s_or_b32 exec_lo, exec_lo, s1
	v_mov_b32_e32 v90, 0
	ds_load_b32 v90, v90 offset:100
	s_waitcnt lgkmcnt(0)
	v_mul_f32_e32 v89, v89, v90
	scratch_store_b32 off, v89, off offset:100
.LBB105_109:
	s_or_b32 exec_lo, exec_lo, s0
	s_waitcnt_vscnt null, 0x0
	s_barrier
	buffer_gl0_inv
	scratch_load_b32 v89, off, off offset:104
	;; [unrolled: 39-line block ×16, first 2 shown]
	s_mov_b32 s0, exec_lo
	s_waitcnt vmcnt(0)
	ds_store_b32 v87, v89
	s_waitcnt lgkmcnt(0)
	s_barrier
	buffer_gl0_inv
	v_cmpx_gt_u32_e32 40, v0
	s_cbranch_execz .LBB105_169
; %bb.166:
	v_add_nc_u32_e32 v89, -1, v0
	v_add_nc_u32_e32 v90, 0xb0, v85
	v_add_nc_u32_e32 v91, 0, v85
	v_mov_b32_e32 v85, 0
	s_mov_b32 s1, 0
.LBB105_167:                            ; =>This Inner Loop Header: Depth=1
	scratch_load_b32 v92, v91, off
	ds_load_b32 v93, v90
	v_add_nc_u32_e32 v89, 1, v89
	v_add_nc_u32_e32 v90, 4, v90
	;; [unrolled: 1-line block ×3, first 2 shown]
	s_delay_alu instid0(VALU_DEP_3)
	v_cmp_lt_u32_e32 vcc_lo, 38, v89
	s_or_b32 s1, vcc_lo, s1
	s_waitcnt vmcnt(0) lgkmcnt(0)
	v_fmac_f32_e32 v85, v92, v93
	s_and_not1_b32 exec_lo, exec_lo, s1
	s_cbranch_execnz .LBB105_167
; %bb.168:
	s_or_b32 exec_lo, exec_lo, s1
	v_mov_b32_e32 v89, 0
	ds_load_b32 v89, v89 offset:160
	s_waitcnt lgkmcnt(0)
	v_mul_f32_e32 v85, v85, v89
	scratch_store_b32 off, v85, off offset:160
.LBB105_169:
	s_or_b32 exec_lo, exec_lo, s0
	s_waitcnt_vscnt null, 0x0
	s_barrier
	buffer_gl0_inv
	scratch_load_b32 v85, off, off offset:164
	s_mov_b32 s0, exec_lo
	s_waitcnt vmcnt(0)
	ds_store_b32 v87, v85
	s_waitcnt lgkmcnt(0)
	s_barrier
	buffer_gl0_inv
	v_cmpx_ne_u32_e32 41, v0
	s_cbranch_execz .LBB105_173
; %bb.170:
	v_mov_b32_e32 v85, 0
	s_mov_b32 s1, 0
.LBB105_171:                            ; =>This Inner Loop Header: Depth=1
	scratch_load_b32 v89, v86, off
	ds_load_b32 v90, v87
	v_add_nc_u32_e32 v88, 1, v88
	v_add_nc_u32_e32 v87, 4, v87
	;; [unrolled: 1-line block ×3, first 2 shown]
	s_waitcnt vmcnt(0) lgkmcnt(0)
	v_fmac_f32_e32 v85, v89, v90
	v_cmp_lt_u32_e32 vcc_lo, 39, v88
	s_or_b32 s1, vcc_lo, s1
	s_delay_alu instid0(SALU_CYCLE_1)
	s_and_not1_b32 exec_lo, exec_lo, s1
	s_cbranch_execnz .LBB105_171
; %bb.172:
	s_or_b32 exec_lo, exec_lo, s1
	v_mov_b32_e32 v86, 0
	ds_load_b32 v86, v86 offset:164
	s_waitcnt lgkmcnt(0)
	v_mul_f32_e32 v85, v85, v86
	scratch_store_b32 off, v85, off offset:164
.LBB105_173:
	s_or_b32 exec_lo, exec_lo, s0
	s_mov_b32 s1, -1
	s_waitcnt_vscnt null, 0x0
	s_barrier
	buffer_gl0_inv
.LBB105_174:
	s_and_b32 vcc_lo, exec_lo, s1
	s_cbranch_vccz .LBB105_176
; %bb.175:
	s_lshl_b64 s[0:1], s[8:9], 2
	v_mov_b32_e32 v85, 0
	s_add_u32 s0, s6, s0
	s_addc_u32 s1, s7, s1
	global_load_b32 v85, v85, s[0:1]
	s_waitcnt vmcnt(0)
	v_cmp_ne_u32_e32 vcc_lo, 0, v85
	s_cbranch_vccz .LBB105_177
.LBB105_176:
	s_endpgm
.LBB105_177:
	v_lshl_add_u32 v85, v0, 2, 0xb0
	s_mov_b32 s0, exec_lo
	v_cmpx_eq_u32_e32 41, v0
	s_cbranch_execz .LBB105_179
; %bb.178:
	scratch_load_b32 v86, off, off offset:160
	v_mov_b32_e32 v87, 0
	scratch_store_b32 off, v87, off offset:160
	s_waitcnt vmcnt(0)
	ds_store_b32 v85, v86
.LBB105_179:
	s_or_b32 exec_lo, exec_lo, s0
	s_waitcnt lgkmcnt(0)
	s_waitcnt_vscnt null, 0x0
	s_barrier
	buffer_gl0_inv
	scratch_load_b64 v[87:88], off, off offset:160
	v_mov_b32_e32 v86, 0
	s_mov_b32 s0, exec_lo
	ds_load_b32 v89, v86 offset:340
	s_waitcnt vmcnt(0) lgkmcnt(0)
	v_fma_f32 v88, v88, v89, 0
	s_delay_alu instid0(VALU_DEP_1)
	v_sub_f32_e32 v87, v87, v88
	scratch_store_b32 off, v87, off offset:160
	v_cmpx_lt_u32_e32 39, v0
	s_cbranch_execz .LBB105_181
; %bb.180:
	scratch_load_b32 v87, off, off offset:156
	scratch_store_b32 off, v86, off offset:156
	s_waitcnt vmcnt(0)
	ds_store_b32 v85, v87
.LBB105_181:
	s_or_b32 exec_lo, exec_lo, s0
	s_waitcnt lgkmcnt(0)
	s_waitcnt_vscnt null, 0x0
	s_barrier
	buffer_gl0_inv
	scratch_load_b96 v[87:89], off, off offset:156
	ds_load_b64 v[90:91], v86 offset:336
	s_mov_b32 s0, exec_lo
	s_waitcnt vmcnt(0) lgkmcnt(0)
	v_fma_f32 v86, v88, v90, 0
	s_delay_alu instid0(VALU_DEP_1) | instskip(NEXT) | instid1(VALU_DEP_1)
	v_fmac_f32_e32 v86, v89, v91
	v_sub_f32_e32 v86, v87, v86
	scratch_store_b32 off, v86, off offset:156
	v_cmpx_lt_u32_e32 38, v0
	s_cbranch_execz .LBB105_183
; %bb.182:
	scratch_load_b32 v86, off, off offset:152
	v_mov_b32_e32 v87, 0
	scratch_store_b32 off, v87, off offset:152
	s_waitcnt vmcnt(0)
	ds_store_b32 v85, v86
.LBB105_183:
	s_or_b32 exec_lo, exec_lo, s0
	s_waitcnt lgkmcnt(0)
	s_waitcnt_vscnt null, 0x0
	s_barrier
	buffer_gl0_inv
	scratch_load_b128 v[87:90], off, off offset:152
	v_mov_b32_e32 v86, 0
	ds_load_2addr_b32 v[91:92], v86 offset0:83 offset1:84
	ds_load_b32 v93, v86 offset:340
	s_mov_b32 s0, exec_lo
	s_waitcnt vmcnt(0) lgkmcnt(1)
	v_fma_f32 v88, v88, v91, 0
	s_delay_alu instid0(VALU_DEP_1) | instskip(SKIP_1) | instid1(VALU_DEP_1)
	v_fmac_f32_e32 v88, v89, v92
	s_waitcnt lgkmcnt(0)
	v_fmac_f32_e32 v88, v90, v93
	s_delay_alu instid0(VALU_DEP_1)
	v_sub_f32_e32 v87, v87, v88
	scratch_store_b32 off, v87, off offset:152
	v_cmpx_lt_u32_e32 37, v0
	s_cbranch_execz .LBB105_185
; %bb.184:
	scratch_load_b32 v87, off, off offset:148
	scratch_store_b32 off, v86, off offset:148
	s_waitcnt vmcnt(0)
	ds_store_b32 v85, v87
.LBB105_185:
	s_or_b32 exec_lo, exec_lo, s0
	s_waitcnt lgkmcnt(0)
	s_waitcnt_vscnt null, 0x0
	s_barrier
	buffer_gl0_inv
	s_clause 0x1
	scratch_load_b128 v[87:90], off, off offset:148
	scratch_load_b32 v95, off, off offset:164
	ds_load_2addr_b64 v[91:94], v86 offset0:41 offset1:42
	s_mov_b32 s0, exec_lo
	s_waitcnt vmcnt(1) lgkmcnt(0)
	v_fma_f32 v86, v88, v91, 0
	s_delay_alu instid0(VALU_DEP_1) | instskip(NEXT) | instid1(VALU_DEP_1)
	v_fmac_f32_e32 v86, v89, v92
	v_fmac_f32_e32 v86, v90, v93
	s_waitcnt vmcnt(0)
	s_delay_alu instid0(VALU_DEP_1) | instskip(NEXT) | instid1(VALU_DEP_1)
	v_fmac_f32_e32 v86, v95, v94
	v_sub_f32_e32 v86, v87, v86
	scratch_store_b32 off, v86, off offset:148
	v_cmpx_lt_u32_e32 36, v0
	s_cbranch_execz .LBB105_187
; %bb.186:
	scratch_load_b32 v86, off, off offset:144
	v_mov_b32_e32 v87, 0
	scratch_store_b32 off, v87, off offset:144
	s_waitcnt vmcnt(0)
	ds_store_b32 v85, v86
.LBB105_187:
	s_or_b32 exec_lo, exec_lo, s0
	s_waitcnt lgkmcnt(0)
	s_waitcnt_vscnt null, 0x0
	s_barrier
	buffer_gl0_inv
	s_clause 0x1
	scratch_load_b128 v[87:90], off, off offset:144
	scratch_load_b64 v[91:92], off, off offset:160
	v_mov_b32_e32 v86, 0
	ds_load_2addr_b32 v[93:94], v86 offset0:81 offset1:82
	ds_load_2addr_b32 v[95:96], v86 offset0:83 offset1:84
	ds_load_b32 v97, v86 offset:340
	s_mov_b32 s0, exec_lo
	s_waitcnt vmcnt(1) lgkmcnt(2)
	v_fma_f32 v88, v88, v93, 0
	s_delay_alu instid0(VALU_DEP_1) | instskip(SKIP_1) | instid1(VALU_DEP_1)
	v_fmac_f32_e32 v88, v89, v94
	s_waitcnt lgkmcnt(1)
	v_fmac_f32_e32 v88, v90, v95
	s_waitcnt vmcnt(0)
	s_delay_alu instid0(VALU_DEP_1) | instskip(SKIP_1) | instid1(VALU_DEP_1)
	v_fmac_f32_e32 v88, v91, v96
	s_waitcnt lgkmcnt(0)
	v_fmac_f32_e32 v88, v92, v97
	s_delay_alu instid0(VALU_DEP_1)
	v_sub_f32_e32 v87, v87, v88
	scratch_store_b32 off, v87, off offset:144
	v_cmpx_lt_u32_e32 35, v0
	s_cbranch_execz .LBB105_189
; %bb.188:
	scratch_load_b32 v87, off, off offset:140
	scratch_store_b32 off, v86, off offset:140
	s_waitcnt vmcnt(0)
	ds_store_b32 v85, v87
.LBB105_189:
	s_or_b32 exec_lo, exec_lo, s0
	s_waitcnt lgkmcnt(0)
	s_waitcnt_vscnt null, 0x0
	s_barrier
	buffer_gl0_inv
	s_clause 0x1
	scratch_load_b128 v[87:90], off, off offset:140
	scratch_load_b96 v[95:97], off, off offset:156
	ds_load_b128 v[91:94], v86 offset:320
	ds_load_b64 v[98:99], v86 offset:336
	s_mov_b32 s0, exec_lo
	s_waitcnt vmcnt(1) lgkmcnt(1)
	v_fma_f32 v86, v88, v91, 0
	s_delay_alu instid0(VALU_DEP_1) | instskip(NEXT) | instid1(VALU_DEP_1)
	v_fmac_f32_e32 v86, v89, v92
	v_fmac_f32_e32 v86, v90, v93
	s_waitcnt vmcnt(0)
	s_delay_alu instid0(VALU_DEP_1) | instskip(SKIP_1) | instid1(VALU_DEP_1)
	v_fmac_f32_e32 v86, v95, v94
	s_waitcnt lgkmcnt(0)
	v_fmac_f32_e32 v86, v96, v98
	s_delay_alu instid0(VALU_DEP_1) | instskip(NEXT) | instid1(VALU_DEP_1)
	v_fmac_f32_e32 v86, v97, v99
	v_sub_f32_e32 v86, v87, v86
	scratch_store_b32 off, v86, off offset:140
	v_cmpx_lt_u32_e32 34, v0
	s_cbranch_execz .LBB105_191
; %bb.190:
	scratch_load_b32 v86, off, off offset:136
	v_mov_b32_e32 v87, 0
	scratch_store_b32 off, v87, off offset:136
	s_waitcnt vmcnt(0)
	ds_store_b32 v85, v86
.LBB105_191:
	s_or_b32 exec_lo, exec_lo, s0
	s_waitcnt lgkmcnt(0)
	s_waitcnt_vscnt null, 0x0
	s_barrier
	buffer_gl0_inv
	s_clause 0x1
	scratch_load_b128 v[87:90], off, off offset:136
	scratch_load_b128 v[91:94], off, off offset:152
	v_mov_b32_e32 v86, 0
	ds_load_2addr_b32 v[95:96], v86 offset0:79 offset1:80
	ds_load_2addr_b32 v[97:98], v86 offset0:81 offset1:82
	;; [unrolled: 1-line block ×3, first 2 shown]
	ds_load_b32 v101, v86 offset:340
	s_mov_b32 s0, exec_lo
	s_waitcnt vmcnt(1) lgkmcnt(3)
	v_fma_f32 v88, v88, v95, 0
	s_delay_alu instid0(VALU_DEP_1) | instskip(SKIP_1) | instid1(VALU_DEP_1)
	v_fmac_f32_e32 v88, v89, v96
	s_waitcnt lgkmcnt(2)
	v_fmac_f32_e32 v88, v90, v97
	s_waitcnt vmcnt(0)
	s_delay_alu instid0(VALU_DEP_1) | instskip(SKIP_1) | instid1(VALU_DEP_1)
	v_fmac_f32_e32 v88, v91, v98
	s_waitcnt lgkmcnt(1)
	v_fmac_f32_e32 v88, v92, v99
	s_delay_alu instid0(VALU_DEP_1) | instskip(SKIP_1) | instid1(VALU_DEP_1)
	v_fmac_f32_e32 v88, v93, v100
	s_waitcnt lgkmcnt(0)
	v_fmac_f32_e32 v88, v94, v101
	s_delay_alu instid0(VALU_DEP_1)
	v_sub_f32_e32 v87, v87, v88
	scratch_store_b32 off, v87, off offset:136
	v_cmpx_lt_u32_e32 33, v0
	s_cbranch_execz .LBB105_193
; %bb.192:
	scratch_load_b32 v87, off, off offset:132
	scratch_store_b32 off, v86, off offset:132
	s_waitcnt vmcnt(0)
	ds_store_b32 v85, v87
.LBB105_193:
	s_or_b32 exec_lo, exec_lo, s0
	s_waitcnt lgkmcnt(0)
	s_waitcnt_vscnt null, 0x0
	s_barrier
	buffer_gl0_inv
	s_clause 0x2
	scratch_load_b128 v[87:90], off, off offset:132
	scratch_load_b128 v[91:94], off, off offset:148
	scratch_load_b32 v103, off, off offset:164
	ds_load_2addr_b64 v[95:98], v86 offset0:39 offset1:40
	ds_load_2addr_b64 v[99:102], v86 offset0:41 offset1:42
	s_mov_b32 s0, exec_lo
	s_waitcnt vmcnt(2) lgkmcnt(1)
	v_fma_f32 v86, v88, v95, 0
	s_delay_alu instid0(VALU_DEP_1) | instskip(NEXT) | instid1(VALU_DEP_1)
	v_fmac_f32_e32 v86, v89, v96
	v_fmac_f32_e32 v86, v90, v97
	s_waitcnt vmcnt(1)
	s_delay_alu instid0(VALU_DEP_1) | instskip(SKIP_1) | instid1(VALU_DEP_1)
	v_fmac_f32_e32 v86, v91, v98
	s_waitcnt lgkmcnt(0)
	v_fmac_f32_e32 v86, v92, v99
	s_delay_alu instid0(VALU_DEP_1) | instskip(NEXT) | instid1(VALU_DEP_1)
	v_fmac_f32_e32 v86, v93, v100
	v_fmac_f32_e32 v86, v94, v101
	s_waitcnt vmcnt(0)
	s_delay_alu instid0(VALU_DEP_1) | instskip(NEXT) | instid1(VALU_DEP_1)
	v_fmac_f32_e32 v86, v103, v102
	v_sub_f32_e32 v86, v87, v86
	scratch_store_b32 off, v86, off offset:132
	v_cmpx_lt_u32_e32 32, v0
	s_cbranch_execz .LBB105_195
; %bb.194:
	scratch_load_b32 v86, off, off offset:128
	v_mov_b32_e32 v87, 0
	scratch_store_b32 off, v87, off offset:128
	s_waitcnt vmcnt(0)
	ds_store_b32 v85, v86
.LBB105_195:
	s_or_b32 exec_lo, exec_lo, s0
	s_waitcnt lgkmcnt(0)
	s_waitcnt_vscnt null, 0x0
	s_barrier
	buffer_gl0_inv
	s_clause 0x2
	scratch_load_b128 v[87:90], off, off offset:128
	scratch_load_b128 v[91:94], off, off offset:144
	scratch_load_b64 v[95:96], off, off offset:160
	v_mov_b32_e32 v86, 0
	ds_load_2addr_b32 v[97:98], v86 offset0:77 offset1:78
	ds_load_2addr_b32 v[99:100], v86 offset0:79 offset1:80
	;; [unrolled: 1-line block ×4, first 2 shown]
	s_mov_b32 s0, exec_lo
	s_waitcnt vmcnt(2) lgkmcnt(3)
	v_fma_f32 v88, v88, v97, 0
	s_delay_alu instid0(VALU_DEP_1) | instskip(SKIP_4) | instid1(VALU_DEP_1)
	v_fmac_f32_e32 v88, v89, v98
	ds_load_b32 v89, v86 offset:340
	s_waitcnt lgkmcnt(3)
	v_fmac_f32_e32 v88, v90, v99
	s_waitcnt vmcnt(1)
	v_fmac_f32_e32 v88, v91, v100
	s_waitcnt lgkmcnt(2)
	s_delay_alu instid0(VALU_DEP_1) | instskip(NEXT) | instid1(VALU_DEP_1)
	v_fmac_f32_e32 v88, v92, v101
	v_fmac_f32_e32 v88, v93, v102
	s_waitcnt lgkmcnt(1)
	s_delay_alu instid0(VALU_DEP_1) | instskip(SKIP_1) | instid1(VALU_DEP_1)
	v_fmac_f32_e32 v88, v94, v103
	s_waitcnt vmcnt(0)
	v_fmac_f32_e32 v88, v95, v104
	s_waitcnt lgkmcnt(0)
	s_delay_alu instid0(VALU_DEP_1) | instskip(NEXT) | instid1(VALU_DEP_1)
	v_fmac_f32_e32 v88, v96, v89
	v_sub_f32_e32 v87, v87, v88
	scratch_store_b32 off, v87, off offset:128
	v_cmpx_lt_u32_e32 31, v0
	s_cbranch_execz .LBB105_197
; %bb.196:
	scratch_load_b32 v87, off, off offset:124
	scratch_store_b32 off, v86, off offset:124
	s_waitcnt vmcnt(0)
	ds_store_b32 v85, v87
.LBB105_197:
	s_or_b32 exec_lo, exec_lo, s0
	s_waitcnt lgkmcnt(0)
	s_waitcnt_vscnt null, 0x0
	s_barrier
	buffer_gl0_inv
	s_clause 0x2
	scratch_load_b128 v[87:90], off, off offset:124
	scratch_load_b128 v[91:94], off, off offset:140
	scratch_load_b96 v[103:105], off, off offset:156
	ds_load_b128 v[95:98], v86 offset:304
	ds_load_b128 v[99:102], v86 offset:320
	s_mov_b32 s0, exec_lo
	s_waitcnt vmcnt(2) lgkmcnt(1)
	v_fma_f32 v95, v88, v95, 0
	s_delay_alu instid0(VALU_DEP_1) | instskip(SKIP_3) | instid1(VALU_DEP_1)
	v_fmac_f32_e32 v95, v89, v96
	ds_load_b64 v[88:89], v86 offset:336
	v_fmac_f32_e32 v95, v90, v97
	s_waitcnt vmcnt(1)
	v_fmac_f32_e32 v95, v91, v98
	s_waitcnt lgkmcnt(1)
	s_delay_alu instid0(VALU_DEP_1) | instskip(NEXT) | instid1(VALU_DEP_1)
	v_fmac_f32_e32 v95, v92, v99
	v_fmac_f32_e32 v95, v93, v100
	s_delay_alu instid0(VALU_DEP_1) | instskip(SKIP_1) | instid1(VALU_DEP_1)
	v_fmac_f32_e32 v95, v94, v101
	s_waitcnt vmcnt(0)
	v_fmac_f32_e32 v95, v103, v102
	s_waitcnt lgkmcnt(0)
	s_delay_alu instid0(VALU_DEP_1) | instskip(NEXT) | instid1(VALU_DEP_1)
	v_fmac_f32_e32 v95, v104, v88
	v_fmac_f32_e32 v95, v105, v89
	s_delay_alu instid0(VALU_DEP_1)
	v_sub_f32_e32 v86, v87, v95
	scratch_store_b32 off, v86, off offset:124
	v_cmpx_lt_u32_e32 30, v0
	s_cbranch_execz .LBB105_199
; %bb.198:
	scratch_load_b32 v86, off, off offset:120
	v_mov_b32_e32 v87, 0
	scratch_store_b32 off, v87, off offset:120
	s_waitcnt vmcnt(0)
	ds_store_b32 v85, v86
.LBB105_199:
	s_or_b32 exec_lo, exec_lo, s0
	s_waitcnt lgkmcnt(0)
	s_waitcnt_vscnt null, 0x0
	s_barrier
	buffer_gl0_inv
	s_clause 0x2
	scratch_load_b128 v[87:90], off, off offset:120
	scratch_load_b128 v[91:94], off, off offset:136
	;; [unrolled: 1-line block ×3, first 2 shown]
	v_mov_b32_e32 v86, 0
	ds_load_2addr_b32 v[99:100], v86 offset0:75 offset1:76
	ds_load_2addr_b32 v[101:102], v86 offset0:77 offset1:78
	;; [unrolled: 1-line block ×4, first 2 shown]
	s_mov_b32 s0, exec_lo
	s_waitcnt vmcnt(2) lgkmcnt(3)
	v_fma_f32 v99, v88, v99, 0
	s_delay_alu instid0(VALU_DEP_1)
	v_fmac_f32_e32 v99, v89, v100
	ds_load_2addr_b32 v[88:89], v86 offset0:83 offset1:84
	s_waitcnt lgkmcnt(3)
	v_fmac_f32_e32 v99, v90, v101
	ds_load_b32 v90, v86 offset:340
	s_waitcnt vmcnt(1)
	v_fmac_f32_e32 v99, v91, v102
	s_waitcnt lgkmcnt(3)
	s_delay_alu instid0(VALU_DEP_1) | instskip(NEXT) | instid1(VALU_DEP_1)
	v_fmac_f32_e32 v99, v92, v103
	v_fmac_f32_e32 v99, v93, v104
	s_waitcnt lgkmcnt(2)
	s_delay_alu instid0(VALU_DEP_1) | instskip(SKIP_1) | instid1(VALU_DEP_1)
	v_fmac_f32_e32 v99, v94, v105
	s_waitcnt vmcnt(0)
	v_fmac_f32_e32 v99, v95, v106
	s_waitcnt lgkmcnt(1)
	s_delay_alu instid0(VALU_DEP_1) | instskip(NEXT) | instid1(VALU_DEP_1)
	v_fmac_f32_e32 v99, v96, v88
	v_fmac_f32_e32 v99, v97, v89
	s_waitcnt lgkmcnt(0)
	s_delay_alu instid0(VALU_DEP_1) | instskip(NEXT) | instid1(VALU_DEP_1)
	v_fmac_f32_e32 v99, v98, v90
	v_sub_f32_e32 v87, v87, v99
	scratch_store_b32 off, v87, off offset:120
	v_cmpx_lt_u32_e32 29, v0
	s_cbranch_execz .LBB105_201
; %bb.200:
	scratch_load_b32 v87, off, off offset:116
	scratch_store_b32 off, v86, off offset:116
	s_waitcnt vmcnt(0)
	ds_store_b32 v85, v87
.LBB105_201:
	s_or_b32 exec_lo, exec_lo, s0
	s_waitcnt lgkmcnt(0)
	s_waitcnt_vscnt null, 0x0
	s_barrier
	buffer_gl0_inv
	s_clause 0x3
	scratch_load_b128 v[87:90], off, off offset:116
	scratch_load_b128 v[91:94], off, off offset:132
	;; [unrolled: 1-line block ×3, first 2 shown]
	scratch_load_b32 v107, off, off offset:164
	ds_load_2addr_b64 v[99:102], v86 offset0:37 offset1:38
	ds_load_2addr_b64 v[103:106], v86 offset0:39 offset1:40
	s_mov_b32 s0, exec_lo
	s_waitcnt vmcnt(3) lgkmcnt(1)
	v_fma_f32 v99, v88, v99, 0
	s_delay_alu instid0(VALU_DEP_1) | instskip(NEXT) | instid1(VALU_DEP_1)
	v_fmac_f32_e32 v99, v89, v100
	v_fmac_f32_e32 v99, v90, v101
	s_waitcnt vmcnt(2)
	s_delay_alu instid0(VALU_DEP_1) | instskip(SKIP_3) | instid1(VALU_DEP_1)
	v_fmac_f32_e32 v99, v91, v102
	ds_load_2addr_b64 v[88:91], v86 offset0:41 offset1:42
	s_waitcnt lgkmcnt(1)
	v_fmac_f32_e32 v99, v92, v103
	v_fmac_f32_e32 v99, v93, v104
	s_delay_alu instid0(VALU_DEP_1) | instskip(SKIP_1) | instid1(VALU_DEP_1)
	v_fmac_f32_e32 v99, v94, v105
	s_waitcnt vmcnt(1)
	v_fmac_f32_e32 v99, v95, v106
	s_waitcnt lgkmcnt(0)
	s_delay_alu instid0(VALU_DEP_1) | instskip(NEXT) | instid1(VALU_DEP_1)
	v_fmac_f32_e32 v99, v96, v88
	v_fmac_f32_e32 v99, v97, v89
	s_delay_alu instid0(VALU_DEP_1) | instskip(SKIP_1) | instid1(VALU_DEP_1)
	v_fmac_f32_e32 v99, v98, v90
	s_waitcnt vmcnt(0)
	v_fmac_f32_e32 v99, v107, v91
	s_delay_alu instid0(VALU_DEP_1)
	v_sub_f32_e32 v86, v87, v99
	scratch_store_b32 off, v86, off offset:116
	v_cmpx_lt_u32_e32 28, v0
	s_cbranch_execz .LBB105_203
; %bb.202:
	scratch_load_b32 v86, off, off offset:112
	v_mov_b32_e32 v87, 0
	scratch_store_b32 off, v87, off offset:112
	s_waitcnt vmcnt(0)
	ds_store_b32 v85, v86
.LBB105_203:
	s_or_b32 exec_lo, exec_lo, s0
	s_waitcnt lgkmcnt(0)
	s_waitcnt_vscnt null, 0x0
	s_barrier
	buffer_gl0_inv
	s_clause 0x3
	scratch_load_b128 v[87:90], off, off offset:112
	scratch_load_b128 v[91:94], off, off offset:128
	;; [unrolled: 1-line block ×3, first 2 shown]
	scratch_load_b64 v[99:100], off, off offset:160
	v_mov_b32_e32 v86, 0
	ds_load_2addr_b32 v[101:102], v86 offset0:73 offset1:74
	ds_load_2addr_b32 v[103:104], v86 offset0:75 offset1:76
	;; [unrolled: 1-line block ×4, first 2 shown]
	s_mov_b32 s0, exec_lo
	s_waitcnt vmcnt(3) lgkmcnt(3)
	v_fma_f32 v101, v88, v101, 0
	s_delay_alu instid0(VALU_DEP_1) | instskip(SKIP_4) | instid1(VALU_DEP_1)
	v_fmac_f32_e32 v101, v89, v102
	ds_load_2addr_b32 v[88:89], v86 offset0:81 offset1:82
	s_waitcnt lgkmcnt(3)
	v_fmac_f32_e32 v101, v90, v103
	s_waitcnt vmcnt(2)
	v_fmac_f32_e32 v101, v91, v104
	ds_load_2addr_b32 v[90:91], v86 offset0:83 offset1:84
	s_waitcnt lgkmcnt(3)
	v_fmac_f32_e32 v101, v92, v105
	ds_load_b32 v92, v86 offset:340
	v_fmac_f32_e32 v101, v93, v106
	s_waitcnt lgkmcnt(3)
	s_delay_alu instid0(VALU_DEP_1) | instskip(SKIP_1) | instid1(VALU_DEP_1)
	v_fmac_f32_e32 v101, v94, v107
	s_waitcnt vmcnt(1)
	v_fmac_f32_e32 v101, v95, v108
	s_waitcnt lgkmcnt(2)
	s_delay_alu instid0(VALU_DEP_1) | instskip(NEXT) | instid1(VALU_DEP_1)
	v_fmac_f32_e32 v101, v96, v88
	v_fmac_f32_e32 v101, v97, v89
	s_waitcnt lgkmcnt(1)
	s_delay_alu instid0(VALU_DEP_1) | instskip(SKIP_1) | instid1(VALU_DEP_1)
	v_fmac_f32_e32 v101, v98, v90
	s_waitcnt vmcnt(0)
	v_fmac_f32_e32 v101, v99, v91
	s_waitcnt lgkmcnt(0)
	s_delay_alu instid0(VALU_DEP_1) | instskip(NEXT) | instid1(VALU_DEP_1)
	v_fmac_f32_e32 v101, v100, v92
	v_sub_f32_e32 v87, v87, v101
	scratch_store_b32 off, v87, off offset:112
	v_cmpx_lt_u32_e32 27, v0
	s_cbranch_execz .LBB105_205
; %bb.204:
	scratch_load_b32 v87, off, off offset:108
	scratch_store_b32 off, v86, off offset:108
	s_waitcnt vmcnt(0)
	ds_store_b32 v85, v87
.LBB105_205:
	s_or_b32 exec_lo, exec_lo, s0
	s_waitcnt lgkmcnt(0)
	s_waitcnt_vscnt null, 0x0
	s_barrier
	buffer_gl0_inv
	s_clause 0x3
	scratch_load_b128 v[87:90], off, off offset:108
	scratch_load_b128 v[91:94], off, off offset:124
	;; [unrolled: 1-line block ×3, first 2 shown]
	scratch_load_b96 v[107:109], off, off offset:156
	ds_load_b128 v[99:102], v86 offset:288
	ds_load_b128 v[103:106], v86 offset:304
	s_mov_b32 s0, exec_lo
	s_waitcnt vmcnt(3) lgkmcnt(1)
	v_fma_f32 v99, v88, v99, 0
	s_delay_alu instid0(VALU_DEP_1) | instskip(NEXT) | instid1(VALU_DEP_1)
	v_fmac_f32_e32 v99, v89, v100
	v_fmac_f32_e32 v99, v90, v101
	s_waitcnt vmcnt(2)
	s_delay_alu instid0(VALU_DEP_1) | instskip(SKIP_3) | instid1(VALU_DEP_1)
	v_fmac_f32_e32 v99, v91, v102
	ds_load_b128 v[88:91], v86 offset:320
	s_waitcnt lgkmcnt(1)
	v_fmac_f32_e32 v99, v92, v103
	v_fmac_f32_e32 v99, v93, v104
	ds_load_b64 v[92:93], v86 offset:336
	v_fmac_f32_e32 v99, v94, v105
	s_waitcnt vmcnt(1)
	s_delay_alu instid0(VALU_DEP_1) | instskip(SKIP_1) | instid1(VALU_DEP_1)
	v_fmac_f32_e32 v99, v95, v106
	s_waitcnt lgkmcnt(1)
	v_fmac_f32_e32 v99, v96, v88
	s_delay_alu instid0(VALU_DEP_1) | instskip(NEXT) | instid1(VALU_DEP_1)
	v_fmac_f32_e32 v99, v97, v89
	v_fmac_f32_e32 v99, v98, v90
	s_waitcnt vmcnt(0)
	s_delay_alu instid0(VALU_DEP_1) | instskip(SKIP_1) | instid1(VALU_DEP_1)
	v_fmac_f32_e32 v99, v107, v91
	s_waitcnt lgkmcnt(0)
	v_fmac_f32_e32 v99, v108, v92
	s_delay_alu instid0(VALU_DEP_1) | instskip(NEXT) | instid1(VALU_DEP_1)
	v_fmac_f32_e32 v99, v109, v93
	v_sub_f32_e32 v86, v87, v99
	scratch_store_b32 off, v86, off offset:108
	v_cmpx_lt_u32_e32 26, v0
	s_cbranch_execz .LBB105_207
; %bb.206:
	scratch_load_b32 v86, off, off offset:104
	v_mov_b32_e32 v87, 0
	scratch_store_b32 off, v87, off offset:104
	s_waitcnt vmcnt(0)
	ds_store_b32 v85, v86
.LBB105_207:
	s_or_b32 exec_lo, exec_lo, s0
	s_waitcnt lgkmcnt(0)
	s_waitcnt_vscnt null, 0x0
	s_barrier
	buffer_gl0_inv
	s_clause 0x3
	scratch_load_b128 v[87:90], off, off offset:104
	scratch_load_b128 v[91:94], off, off offset:120
	;; [unrolled: 1-line block ×4, first 2 shown]
	v_mov_b32_e32 v86, 0
	ds_load_2addr_b32 v[103:104], v86 offset0:71 offset1:72
	ds_load_2addr_b32 v[105:106], v86 offset0:73 offset1:74
	;; [unrolled: 1-line block ×4, first 2 shown]
	s_mov_b32 s0, exec_lo
	s_waitcnt vmcnt(3) lgkmcnt(3)
	v_fma_f32 v103, v88, v103, 0
	s_delay_alu instid0(VALU_DEP_1) | instskip(SKIP_4) | instid1(VALU_DEP_1)
	v_fmac_f32_e32 v103, v89, v104
	ds_load_2addr_b32 v[88:89], v86 offset0:79 offset1:80
	s_waitcnt lgkmcnt(3)
	v_fmac_f32_e32 v103, v90, v105
	s_waitcnt vmcnt(2)
	v_fmac_f32_e32 v103, v91, v106
	ds_load_2addr_b32 v[90:91], v86 offset0:81 offset1:82
	s_waitcnt lgkmcnt(3)
	v_fmac_f32_e32 v103, v92, v107
	s_delay_alu instid0(VALU_DEP_1) | instskip(SKIP_1) | instid1(VALU_DEP_1)
	v_fmac_f32_e32 v103, v93, v108
	s_waitcnt lgkmcnt(2)
	v_fmac_f32_e32 v103, v94, v109
	ds_load_2addr_b32 v[92:93], v86 offset0:83 offset1:84
	ds_load_b32 v94, v86 offset:340
	s_waitcnt vmcnt(1)
	v_fmac_f32_e32 v103, v95, v110
	s_waitcnt lgkmcnt(3)
	s_delay_alu instid0(VALU_DEP_1) | instskip(NEXT) | instid1(VALU_DEP_1)
	v_fmac_f32_e32 v103, v96, v88
	v_fmac_f32_e32 v103, v97, v89
	s_waitcnt lgkmcnt(2)
	s_delay_alu instid0(VALU_DEP_1) | instskip(SKIP_1) | instid1(VALU_DEP_1)
	v_fmac_f32_e32 v103, v98, v90
	s_waitcnt vmcnt(0)
	v_fmac_f32_e32 v103, v99, v91
	s_waitcnt lgkmcnt(1)
	s_delay_alu instid0(VALU_DEP_1) | instskip(NEXT) | instid1(VALU_DEP_1)
	v_fmac_f32_e32 v103, v100, v92
	v_fmac_f32_e32 v103, v101, v93
	s_waitcnt lgkmcnt(0)
	s_delay_alu instid0(VALU_DEP_1) | instskip(NEXT) | instid1(VALU_DEP_1)
	v_fmac_f32_e32 v103, v102, v94
	v_sub_f32_e32 v87, v87, v103
	scratch_store_b32 off, v87, off offset:104
	v_cmpx_lt_u32_e32 25, v0
	s_cbranch_execz .LBB105_209
; %bb.208:
	scratch_load_b32 v87, off, off offset:100
	scratch_store_b32 off, v86, off offset:100
	s_waitcnt vmcnt(0)
	ds_store_b32 v85, v87
.LBB105_209:
	s_or_b32 exec_lo, exec_lo, s0
	s_waitcnt lgkmcnt(0)
	s_waitcnt_vscnt null, 0x0
	s_barrier
	buffer_gl0_inv
	s_clause 0x4
	scratch_load_b128 v[87:90], off, off offset:100
	scratch_load_b128 v[91:94], off, off offset:116
	;; [unrolled: 1-line block ×4, first 2 shown]
	scratch_load_b32 v111, off, off offset:164
	ds_load_2addr_b64 v[103:106], v86 offset0:35 offset1:36
	ds_load_2addr_b64 v[107:110], v86 offset0:37 offset1:38
	s_mov_b32 s0, exec_lo
	s_waitcnt vmcnt(4) lgkmcnt(1)
	v_fma_f32 v103, v88, v103, 0
	s_delay_alu instid0(VALU_DEP_1) | instskip(NEXT) | instid1(VALU_DEP_1)
	v_fmac_f32_e32 v103, v89, v104
	v_fmac_f32_e32 v103, v90, v105
	s_waitcnt vmcnt(3)
	s_delay_alu instid0(VALU_DEP_1) | instskip(SKIP_3) | instid1(VALU_DEP_1)
	v_fmac_f32_e32 v103, v91, v106
	ds_load_2addr_b64 v[88:91], v86 offset0:39 offset1:40
	s_waitcnt lgkmcnt(1)
	v_fmac_f32_e32 v103, v92, v107
	v_fmac_f32_e32 v103, v93, v108
	s_delay_alu instid0(VALU_DEP_1) | instskip(SKIP_1) | instid1(VALU_DEP_1)
	v_fmac_f32_e32 v103, v94, v109
	s_waitcnt vmcnt(2)
	v_fmac_f32_e32 v103, v95, v110
	ds_load_2addr_b64 v[92:95], v86 offset0:41 offset1:42
	s_waitcnt lgkmcnt(1)
	v_fmac_f32_e32 v103, v96, v88
	s_delay_alu instid0(VALU_DEP_1) | instskip(NEXT) | instid1(VALU_DEP_1)
	v_fmac_f32_e32 v103, v97, v89
	v_fmac_f32_e32 v103, v98, v90
	s_waitcnt vmcnt(1)
	s_delay_alu instid0(VALU_DEP_1) | instskip(SKIP_1) | instid1(VALU_DEP_1)
	v_fmac_f32_e32 v103, v99, v91
	s_waitcnt lgkmcnt(0)
	v_fmac_f32_e32 v103, v100, v92
	s_delay_alu instid0(VALU_DEP_1) | instskip(NEXT) | instid1(VALU_DEP_1)
	v_fmac_f32_e32 v103, v101, v93
	v_fmac_f32_e32 v103, v102, v94
	s_waitcnt vmcnt(0)
	s_delay_alu instid0(VALU_DEP_1) | instskip(NEXT) | instid1(VALU_DEP_1)
	v_fmac_f32_e32 v103, v111, v95
	v_sub_f32_e32 v86, v87, v103
	scratch_store_b32 off, v86, off offset:100
	v_cmpx_lt_u32_e32 24, v0
	s_cbranch_execz .LBB105_211
; %bb.210:
	scratch_load_b32 v86, off, off offset:96
	v_mov_b32_e32 v87, 0
	scratch_store_b32 off, v87, off offset:96
	s_waitcnt vmcnt(0)
	ds_store_b32 v85, v86
.LBB105_211:
	s_or_b32 exec_lo, exec_lo, s0
	s_waitcnt lgkmcnt(0)
	s_waitcnt_vscnt null, 0x0
	s_barrier
	buffer_gl0_inv
	s_clause 0x4
	scratch_load_b128 v[87:90], off, off offset:96
	scratch_load_b128 v[91:94], off, off offset:112
	;; [unrolled: 1-line block ×4, first 2 shown]
	scratch_load_b64 v[103:104], off, off offset:160
	v_mov_b32_e32 v86, 0
	ds_load_2addr_b32 v[105:106], v86 offset0:69 offset1:70
	ds_load_2addr_b32 v[107:108], v86 offset0:71 offset1:72
	;; [unrolled: 1-line block ×4, first 2 shown]
	s_mov_b32 s0, exec_lo
	s_waitcnt vmcnt(4) lgkmcnt(3)
	v_fma_f32 v105, v88, v105, 0
	s_delay_alu instid0(VALU_DEP_1) | instskip(SKIP_4) | instid1(VALU_DEP_1)
	v_fmac_f32_e32 v105, v89, v106
	ds_load_2addr_b32 v[88:89], v86 offset0:77 offset1:78
	s_waitcnt lgkmcnt(3)
	v_fmac_f32_e32 v105, v90, v107
	s_waitcnt vmcnt(3)
	v_fmac_f32_e32 v105, v91, v108
	ds_load_2addr_b32 v[90:91], v86 offset0:79 offset1:80
	s_waitcnt lgkmcnt(3)
	v_fmac_f32_e32 v105, v92, v109
	s_delay_alu instid0(VALU_DEP_1) | instskip(SKIP_1) | instid1(VALU_DEP_1)
	v_fmac_f32_e32 v105, v93, v110
	s_waitcnt lgkmcnt(2)
	v_fmac_f32_e32 v105, v94, v111
	s_waitcnt vmcnt(2)
	s_delay_alu instid0(VALU_DEP_1)
	v_fmac_f32_e32 v105, v95, v112
	ds_load_2addr_b32 v[92:93], v86 offset0:81 offset1:82
	ds_load_2addr_b32 v[94:95], v86 offset0:83 offset1:84
	s_waitcnt lgkmcnt(3)
	v_fmac_f32_e32 v105, v96, v88
	ds_load_b32 v88, v86 offset:340
	v_fmac_f32_e32 v105, v97, v89
	s_waitcnt lgkmcnt(3)
	s_delay_alu instid0(VALU_DEP_1) | instskip(SKIP_1) | instid1(VALU_DEP_1)
	v_fmac_f32_e32 v105, v98, v90
	s_waitcnt vmcnt(1)
	v_fmac_f32_e32 v105, v99, v91
	s_waitcnt lgkmcnt(2)
	s_delay_alu instid0(VALU_DEP_1) | instskip(NEXT) | instid1(VALU_DEP_1)
	v_fmac_f32_e32 v105, v100, v92
	v_fmac_f32_e32 v105, v101, v93
	s_waitcnt lgkmcnt(1)
	s_delay_alu instid0(VALU_DEP_1) | instskip(SKIP_1) | instid1(VALU_DEP_1)
	v_fmac_f32_e32 v105, v102, v94
	s_waitcnt vmcnt(0)
	v_fmac_f32_e32 v105, v103, v95
	s_waitcnt lgkmcnt(0)
	s_delay_alu instid0(VALU_DEP_1) | instskip(NEXT) | instid1(VALU_DEP_1)
	v_fmac_f32_e32 v105, v104, v88
	v_sub_f32_e32 v87, v87, v105
	scratch_store_b32 off, v87, off offset:96
	v_cmpx_lt_u32_e32 23, v0
	s_cbranch_execz .LBB105_213
; %bb.212:
	scratch_load_b32 v87, off, off offset:92
	scratch_store_b32 off, v86, off offset:92
	s_waitcnt vmcnt(0)
	ds_store_b32 v85, v87
.LBB105_213:
	s_or_b32 exec_lo, exec_lo, s0
	s_waitcnt lgkmcnt(0)
	s_waitcnt_vscnt null, 0x0
	s_barrier
	buffer_gl0_inv
	s_clause 0x4
	scratch_load_b128 v[87:90], off, off offset:92
	scratch_load_b128 v[91:94], off, off offset:108
	;; [unrolled: 1-line block ×4, first 2 shown]
	scratch_load_b96 v[111:113], off, off offset:156
	ds_load_b128 v[103:106], v86 offset:272
	ds_load_b128 v[107:110], v86 offset:288
	s_mov_b32 s0, exec_lo
	s_waitcnt vmcnt(4) lgkmcnt(1)
	v_fma_f32 v103, v88, v103, 0
	s_delay_alu instid0(VALU_DEP_1) | instskip(NEXT) | instid1(VALU_DEP_1)
	v_fmac_f32_e32 v103, v89, v104
	v_fmac_f32_e32 v103, v90, v105
	s_waitcnt vmcnt(3)
	s_delay_alu instid0(VALU_DEP_1) | instskip(SKIP_3) | instid1(VALU_DEP_1)
	v_fmac_f32_e32 v103, v91, v106
	ds_load_b128 v[88:91], v86 offset:304
	s_waitcnt lgkmcnt(1)
	v_fmac_f32_e32 v103, v92, v107
	v_fmac_f32_e32 v103, v93, v108
	s_delay_alu instid0(VALU_DEP_1) | instskip(SKIP_1) | instid1(VALU_DEP_1)
	v_fmac_f32_e32 v103, v94, v109
	s_waitcnt vmcnt(2)
	v_fmac_f32_e32 v103, v95, v110
	ds_load_b128 v[92:95], v86 offset:320
	s_waitcnt lgkmcnt(1)
	v_fmac_f32_e32 v103, v96, v88
	s_delay_alu instid0(VALU_DEP_1) | instskip(SKIP_3) | instid1(VALU_DEP_1)
	v_fmac_f32_e32 v103, v97, v89
	ds_load_b64 v[88:89], v86 offset:336
	v_fmac_f32_e32 v103, v98, v90
	s_waitcnt vmcnt(1)
	v_fmac_f32_e32 v103, v99, v91
	s_waitcnt lgkmcnt(1)
	s_delay_alu instid0(VALU_DEP_1) | instskip(NEXT) | instid1(VALU_DEP_1)
	v_fmac_f32_e32 v103, v100, v92
	v_fmac_f32_e32 v103, v101, v93
	s_delay_alu instid0(VALU_DEP_1) | instskip(SKIP_1) | instid1(VALU_DEP_1)
	v_fmac_f32_e32 v103, v102, v94
	s_waitcnt vmcnt(0)
	v_fmac_f32_e32 v103, v111, v95
	s_waitcnt lgkmcnt(0)
	s_delay_alu instid0(VALU_DEP_1) | instskip(NEXT) | instid1(VALU_DEP_1)
	v_fmac_f32_e32 v103, v112, v88
	v_fmac_f32_e32 v103, v113, v89
	s_delay_alu instid0(VALU_DEP_1)
	v_sub_f32_e32 v86, v87, v103
	scratch_store_b32 off, v86, off offset:92
	v_cmpx_lt_u32_e32 22, v0
	s_cbranch_execz .LBB105_215
; %bb.214:
	scratch_load_b32 v86, off, off offset:88
	v_mov_b32_e32 v87, 0
	scratch_store_b32 off, v87, off offset:88
	s_waitcnt vmcnt(0)
	ds_store_b32 v85, v86
.LBB105_215:
	s_or_b32 exec_lo, exec_lo, s0
	s_waitcnt lgkmcnt(0)
	s_waitcnt_vscnt null, 0x0
	s_barrier
	buffer_gl0_inv
	s_clause 0x4
	scratch_load_b128 v[87:90], off, off offset:88
	scratch_load_b128 v[91:94], off, off offset:104
	;; [unrolled: 1-line block ×5, first 2 shown]
	v_mov_b32_e32 v86, 0
	ds_load_2addr_b32 v[107:108], v86 offset0:67 offset1:68
	ds_load_2addr_b32 v[109:110], v86 offset0:69 offset1:70
	;; [unrolled: 1-line block ×4, first 2 shown]
	s_mov_b32 s0, exec_lo
	s_waitcnt vmcnt(4) lgkmcnt(3)
	v_fma_f32 v107, v88, v107, 0
	s_delay_alu instid0(VALU_DEP_1) | instskip(SKIP_4) | instid1(VALU_DEP_1)
	v_fmac_f32_e32 v107, v89, v108
	ds_load_2addr_b32 v[88:89], v86 offset0:75 offset1:76
	s_waitcnt lgkmcnt(3)
	v_fmac_f32_e32 v107, v90, v109
	s_waitcnt vmcnt(3)
	v_fmac_f32_e32 v107, v91, v110
	ds_load_2addr_b32 v[90:91], v86 offset0:77 offset1:78
	s_waitcnt lgkmcnt(3)
	v_fmac_f32_e32 v107, v92, v111
	s_delay_alu instid0(VALU_DEP_1) | instskip(SKIP_1) | instid1(VALU_DEP_1)
	v_fmac_f32_e32 v107, v93, v112
	s_waitcnt lgkmcnt(2)
	v_fmac_f32_e32 v107, v94, v113
	s_waitcnt vmcnt(2)
	s_delay_alu instid0(VALU_DEP_1) | instskip(SKIP_4) | instid1(VALU_DEP_1)
	v_fmac_f32_e32 v107, v95, v114
	ds_load_2addr_b32 v[92:93], v86 offset0:79 offset1:80
	ds_load_2addr_b32 v[94:95], v86 offset0:81 offset1:82
	s_waitcnt lgkmcnt(3)
	v_fmac_f32_e32 v107, v96, v88
	v_fmac_f32_e32 v107, v97, v89
	ds_load_2addr_b32 v[88:89], v86 offset0:83 offset1:84
	s_waitcnt lgkmcnt(3)
	v_fmac_f32_e32 v107, v98, v90
	ds_load_b32 v90, v86 offset:340
	s_waitcnt vmcnt(1)
	v_fmac_f32_e32 v107, v99, v91
	s_waitcnt lgkmcnt(3)
	s_delay_alu instid0(VALU_DEP_1) | instskip(NEXT) | instid1(VALU_DEP_1)
	v_fmac_f32_e32 v107, v100, v92
	v_fmac_f32_e32 v107, v101, v93
	s_waitcnt lgkmcnt(2)
	s_delay_alu instid0(VALU_DEP_1) | instskip(SKIP_1) | instid1(VALU_DEP_1)
	v_fmac_f32_e32 v107, v102, v94
	s_waitcnt vmcnt(0)
	v_fmac_f32_e32 v107, v103, v95
	s_waitcnt lgkmcnt(1)
	s_delay_alu instid0(VALU_DEP_1) | instskip(NEXT) | instid1(VALU_DEP_1)
	v_fmac_f32_e32 v107, v104, v88
	v_fmac_f32_e32 v107, v105, v89
	s_waitcnt lgkmcnt(0)
	s_delay_alu instid0(VALU_DEP_1) | instskip(NEXT) | instid1(VALU_DEP_1)
	v_fmac_f32_e32 v107, v106, v90
	v_sub_f32_e32 v87, v87, v107
	scratch_store_b32 off, v87, off offset:88
	v_cmpx_lt_u32_e32 21, v0
	s_cbranch_execz .LBB105_217
; %bb.216:
	scratch_load_b32 v87, off, off offset:84
	scratch_store_b32 off, v86, off offset:84
	s_waitcnt vmcnt(0)
	ds_store_b32 v85, v87
.LBB105_217:
	s_or_b32 exec_lo, exec_lo, s0
	s_waitcnt lgkmcnt(0)
	s_waitcnt_vscnt null, 0x0
	s_barrier
	buffer_gl0_inv
	s_clause 0x5
	scratch_load_b128 v[87:90], off, off offset:84
	scratch_load_b128 v[91:94], off, off offset:100
	;; [unrolled: 1-line block ×5, first 2 shown]
	scratch_load_b32 v115, off, off offset:164
	ds_load_2addr_b64 v[107:110], v86 offset0:33 offset1:34
	ds_load_2addr_b64 v[111:114], v86 offset0:35 offset1:36
	s_mov_b32 s0, exec_lo
	s_waitcnt vmcnt(5) lgkmcnt(1)
	v_fma_f32 v107, v88, v107, 0
	s_delay_alu instid0(VALU_DEP_1) | instskip(NEXT) | instid1(VALU_DEP_1)
	v_fmac_f32_e32 v107, v89, v108
	v_fmac_f32_e32 v107, v90, v109
	s_waitcnt vmcnt(4)
	s_delay_alu instid0(VALU_DEP_1) | instskip(SKIP_3) | instid1(VALU_DEP_1)
	v_fmac_f32_e32 v107, v91, v110
	ds_load_2addr_b64 v[88:91], v86 offset0:37 offset1:38
	s_waitcnt lgkmcnt(1)
	v_fmac_f32_e32 v107, v92, v111
	v_fmac_f32_e32 v107, v93, v112
	s_delay_alu instid0(VALU_DEP_1) | instskip(SKIP_1) | instid1(VALU_DEP_1)
	v_fmac_f32_e32 v107, v94, v113
	s_waitcnt vmcnt(3)
	v_fmac_f32_e32 v107, v95, v114
	ds_load_2addr_b64 v[92:95], v86 offset0:39 offset1:40
	s_waitcnt lgkmcnt(1)
	v_fmac_f32_e32 v107, v96, v88
	s_delay_alu instid0(VALU_DEP_1) | instskip(NEXT) | instid1(VALU_DEP_1)
	v_fmac_f32_e32 v107, v97, v89
	v_fmac_f32_e32 v107, v98, v90
	s_waitcnt vmcnt(2)
	s_delay_alu instid0(VALU_DEP_1) | instskip(SKIP_3) | instid1(VALU_DEP_1)
	v_fmac_f32_e32 v107, v99, v91
	ds_load_2addr_b64 v[88:91], v86 offset0:41 offset1:42
	s_waitcnt lgkmcnt(1)
	v_fmac_f32_e32 v107, v100, v92
	v_fmac_f32_e32 v107, v101, v93
	s_delay_alu instid0(VALU_DEP_1) | instskip(SKIP_1) | instid1(VALU_DEP_1)
	v_fmac_f32_e32 v107, v102, v94
	s_waitcnt vmcnt(1)
	v_fmac_f32_e32 v107, v103, v95
	s_waitcnt lgkmcnt(0)
	s_delay_alu instid0(VALU_DEP_1) | instskip(NEXT) | instid1(VALU_DEP_1)
	v_fmac_f32_e32 v107, v104, v88
	v_fmac_f32_e32 v107, v105, v89
	s_delay_alu instid0(VALU_DEP_1) | instskip(SKIP_1) | instid1(VALU_DEP_1)
	v_fmac_f32_e32 v107, v106, v90
	s_waitcnt vmcnt(0)
	v_fmac_f32_e32 v107, v115, v91
	s_delay_alu instid0(VALU_DEP_1)
	v_sub_f32_e32 v86, v87, v107
	scratch_store_b32 off, v86, off offset:84
	v_cmpx_lt_u32_e32 20, v0
	s_cbranch_execz .LBB105_219
; %bb.218:
	scratch_load_b32 v86, off, off offset:80
	v_mov_b32_e32 v87, 0
	scratch_store_b32 off, v87, off offset:80
	s_waitcnt vmcnt(0)
	ds_store_b32 v85, v86
.LBB105_219:
	s_or_b32 exec_lo, exec_lo, s0
	s_waitcnt lgkmcnt(0)
	s_waitcnt_vscnt null, 0x0
	s_barrier
	buffer_gl0_inv
	s_clause 0x5
	scratch_load_b128 v[87:90], off, off offset:80
	scratch_load_b128 v[91:94], off, off offset:96
	;; [unrolled: 1-line block ×5, first 2 shown]
	scratch_load_b64 v[107:108], off, off offset:160
	v_mov_b32_e32 v86, 0
	ds_load_2addr_b32 v[109:110], v86 offset0:65 offset1:66
	ds_load_2addr_b32 v[111:112], v86 offset0:67 offset1:68
	;; [unrolled: 1-line block ×4, first 2 shown]
	s_mov_b32 s0, exec_lo
	s_waitcnt vmcnt(5) lgkmcnt(3)
	v_fma_f32 v109, v88, v109, 0
	s_delay_alu instid0(VALU_DEP_1) | instskip(SKIP_4) | instid1(VALU_DEP_1)
	v_fmac_f32_e32 v109, v89, v110
	ds_load_2addr_b32 v[88:89], v86 offset0:73 offset1:74
	s_waitcnt lgkmcnt(3)
	v_fmac_f32_e32 v109, v90, v111
	s_waitcnt vmcnt(4)
	v_fmac_f32_e32 v109, v91, v112
	ds_load_2addr_b32 v[90:91], v86 offset0:75 offset1:76
	s_waitcnt lgkmcnt(3)
	v_fmac_f32_e32 v109, v92, v113
	s_delay_alu instid0(VALU_DEP_1) | instskip(SKIP_1) | instid1(VALU_DEP_1)
	v_fmac_f32_e32 v109, v93, v114
	s_waitcnt lgkmcnt(2)
	v_fmac_f32_e32 v109, v94, v115
	s_waitcnt vmcnt(3)
	s_delay_alu instid0(VALU_DEP_1) | instskip(SKIP_4) | instid1(VALU_DEP_1)
	v_fmac_f32_e32 v109, v95, v116
	ds_load_2addr_b32 v[92:93], v86 offset0:77 offset1:78
	ds_load_2addr_b32 v[94:95], v86 offset0:79 offset1:80
	s_waitcnt lgkmcnt(3)
	v_fmac_f32_e32 v109, v96, v88
	v_fmac_f32_e32 v109, v97, v89
	ds_load_2addr_b32 v[88:89], v86 offset0:81 offset1:82
	s_waitcnt lgkmcnt(3)
	v_fmac_f32_e32 v109, v98, v90
	s_waitcnt vmcnt(2)
	s_delay_alu instid0(VALU_DEP_1)
	v_fmac_f32_e32 v109, v99, v91
	ds_load_2addr_b32 v[90:91], v86 offset0:83 offset1:84
	s_waitcnt lgkmcnt(3)
	v_fmac_f32_e32 v109, v100, v92
	ds_load_b32 v92, v86 offset:340
	v_fmac_f32_e32 v109, v101, v93
	s_waitcnt lgkmcnt(3)
	s_delay_alu instid0(VALU_DEP_1) | instskip(SKIP_1) | instid1(VALU_DEP_1)
	v_fmac_f32_e32 v109, v102, v94
	s_waitcnt vmcnt(1)
	v_fmac_f32_e32 v109, v103, v95
	s_waitcnt lgkmcnt(2)
	s_delay_alu instid0(VALU_DEP_1) | instskip(NEXT) | instid1(VALU_DEP_1)
	v_fmac_f32_e32 v109, v104, v88
	v_fmac_f32_e32 v109, v105, v89
	s_waitcnt lgkmcnt(1)
	s_delay_alu instid0(VALU_DEP_1) | instskip(SKIP_1) | instid1(VALU_DEP_1)
	v_fmac_f32_e32 v109, v106, v90
	s_waitcnt vmcnt(0)
	v_fmac_f32_e32 v109, v107, v91
	s_waitcnt lgkmcnt(0)
	s_delay_alu instid0(VALU_DEP_1) | instskip(NEXT) | instid1(VALU_DEP_1)
	v_fmac_f32_e32 v109, v108, v92
	v_sub_f32_e32 v87, v87, v109
	scratch_store_b32 off, v87, off offset:80
	v_cmpx_lt_u32_e32 19, v0
	s_cbranch_execz .LBB105_221
; %bb.220:
	scratch_load_b32 v87, off, off offset:76
	scratch_store_b32 off, v86, off offset:76
	s_waitcnt vmcnt(0)
	ds_store_b32 v85, v87
.LBB105_221:
	s_or_b32 exec_lo, exec_lo, s0
	s_waitcnt lgkmcnt(0)
	s_waitcnt_vscnt null, 0x0
	s_barrier
	buffer_gl0_inv
	s_clause 0x5
	scratch_load_b128 v[87:90], off, off offset:76
	scratch_load_b128 v[91:94], off, off offset:92
	;; [unrolled: 1-line block ×5, first 2 shown]
	scratch_load_b96 v[115:117], off, off offset:156
	ds_load_b128 v[107:110], v86 offset:256
	ds_load_b128 v[111:114], v86 offset:272
	s_mov_b32 s0, exec_lo
	s_waitcnt vmcnt(5) lgkmcnt(1)
	v_fma_f32 v107, v88, v107, 0
	s_delay_alu instid0(VALU_DEP_1) | instskip(NEXT) | instid1(VALU_DEP_1)
	v_fmac_f32_e32 v107, v89, v108
	v_fmac_f32_e32 v107, v90, v109
	s_waitcnt vmcnt(4)
	s_delay_alu instid0(VALU_DEP_1) | instskip(SKIP_3) | instid1(VALU_DEP_1)
	v_fmac_f32_e32 v107, v91, v110
	ds_load_b128 v[88:91], v86 offset:288
	s_waitcnt lgkmcnt(1)
	v_fmac_f32_e32 v107, v92, v111
	v_fmac_f32_e32 v107, v93, v112
	s_delay_alu instid0(VALU_DEP_1) | instskip(SKIP_1) | instid1(VALU_DEP_1)
	v_fmac_f32_e32 v107, v94, v113
	s_waitcnt vmcnt(3)
	v_fmac_f32_e32 v107, v95, v114
	ds_load_b128 v[92:95], v86 offset:304
	s_waitcnt lgkmcnt(1)
	v_fmac_f32_e32 v107, v96, v88
	s_delay_alu instid0(VALU_DEP_1) | instskip(NEXT) | instid1(VALU_DEP_1)
	v_fmac_f32_e32 v107, v97, v89
	v_fmac_f32_e32 v107, v98, v90
	s_waitcnt vmcnt(2)
	s_delay_alu instid0(VALU_DEP_1) | instskip(SKIP_3) | instid1(VALU_DEP_1)
	v_fmac_f32_e32 v107, v99, v91
	ds_load_b128 v[88:91], v86 offset:320
	s_waitcnt lgkmcnt(1)
	v_fmac_f32_e32 v107, v100, v92
	v_fmac_f32_e32 v107, v101, v93
	ds_load_b64 v[92:93], v86 offset:336
	v_fmac_f32_e32 v107, v102, v94
	s_waitcnt vmcnt(1)
	s_delay_alu instid0(VALU_DEP_1) | instskip(SKIP_1) | instid1(VALU_DEP_1)
	v_fmac_f32_e32 v107, v103, v95
	s_waitcnt lgkmcnt(1)
	v_fmac_f32_e32 v107, v104, v88
	s_delay_alu instid0(VALU_DEP_1) | instskip(NEXT) | instid1(VALU_DEP_1)
	v_fmac_f32_e32 v107, v105, v89
	v_fmac_f32_e32 v107, v106, v90
	s_waitcnt vmcnt(0)
	s_delay_alu instid0(VALU_DEP_1) | instskip(SKIP_1) | instid1(VALU_DEP_1)
	v_fmac_f32_e32 v107, v115, v91
	s_waitcnt lgkmcnt(0)
	v_fmac_f32_e32 v107, v116, v92
	s_delay_alu instid0(VALU_DEP_1) | instskip(NEXT) | instid1(VALU_DEP_1)
	v_fmac_f32_e32 v107, v117, v93
	v_sub_f32_e32 v86, v87, v107
	scratch_store_b32 off, v86, off offset:76
	v_cmpx_lt_u32_e32 18, v0
	s_cbranch_execz .LBB105_223
; %bb.222:
	scratch_load_b32 v86, off, off offset:72
	v_mov_b32_e32 v87, 0
	scratch_store_b32 off, v87, off offset:72
	s_waitcnt vmcnt(0)
	ds_store_b32 v85, v86
.LBB105_223:
	s_or_b32 exec_lo, exec_lo, s0
	s_waitcnt lgkmcnt(0)
	s_waitcnt_vscnt null, 0x0
	s_barrier
	buffer_gl0_inv
	s_clause 0x5
	scratch_load_b128 v[87:90], off, off offset:72
	scratch_load_b128 v[91:94], off, off offset:88
	;; [unrolled: 1-line block ×6, first 2 shown]
	v_mov_b32_e32 v86, 0
	ds_load_2addr_b32 v[111:112], v86 offset0:63 offset1:64
	ds_load_2addr_b32 v[113:114], v86 offset0:65 offset1:66
	;; [unrolled: 1-line block ×4, first 2 shown]
	s_mov_b32 s0, exec_lo
	s_waitcnt vmcnt(5) lgkmcnt(3)
	v_fma_f32 v111, v88, v111, 0
	s_delay_alu instid0(VALU_DEP_1) | instskip(SKIP_4) | instid1(VALU_DEP_1)
	v_fmac_f32_e32 v111, v89, v112
	ds_load_2addr_b32 v[88:89], v86 offset0:71 offset1:72
	s_waitcnt lgkmcnt(3)
	v_fmac_f32_e32 v111, v90, v113
	s_waitcnt vmcnt(4)
	v_fmac_f32_e32 v111, v91, v114
	ds_load_2addr_b32 v[90:91], v86 offset0:73 offset1:74
	s_waitcnt lgkmcnt(3)
	v_fmac_f32_e32 v111, v92, v115
	s_delay_alu instid0(VALU_DEP_1) | instskip(SKIP_1) | instid1(VALU_DEP_1)
	v_fmac_f32_e32 v111, v93, v116
	s_waitcnt lgkmcnt(2)
	v_fmac_f32_e32 v111, v94, v117
	s_waitcnt vmcnt(3)
	s_delay_alu instid0(VALU_DEP_1) | instskip(SKIP_4) | instid1(VALU_DEP_1)
	v_fmac_f32_e32 v111, v95, v118
	ds_load_2addr_b32 v[92:93], v86 offset0:75 offset1:76
	ds_load_2addr_b32 v[94:95], v86 offset0:77 offset1:78
	s_waitcnt lgkmcnt(3)
	v_fmac_f32_e32 v111, v96, v88
	v_fmac_f32_e32 v111, v97, v89
	ds_load_2addr_b32 v[88:89], v86 offset0:79 offset1:80
	s_waitcnt lgkmcnt(3)
	v_fmac_f32_e32 v111, v98, v90
	s_waitcnt vmcnt(2)
	s_delay_alu instid0(VALU_DEP_1) | instskip(SKIP_3) | instid1(VALU_DEP_1)
	v_fmac_f32_e32 v111, v99, v91
	ds_load_2addr_b32 v[90:91], v86 offset0:81 offset1:82
	s_waitcnt lgkmcnt(3)
	v_fmac_f32_e32 v111, v100, v92
	v_fmac_f32_e32 v111, v101, v93
	s_waitcnt lgkmcnt(2)
	s_delay_alu instid0(VALU_DEP_1)
	v_fmac_f32_e32 v111, v102, v94
	ds_load_2addr_b32 v[92:93], v86 offset0:83 offset1:84
	ds_load_b32 v94, v86 offset:340
	s_waitcnt vmcnt(1)
	v_fmac_f32_e32 v111, v103, v95
	s_waitcnt lgkmcnt(3)
	s_delay_alu instid0(VALU_DEP_1) | instskip(NEXT) | instid1(VALU_DEP_1)
	v_fmac_f32_e32 v111, v104, v88
	v_fmac_f32_e32 v111, v105, v89
	s_waitcnt lgkmcnt(2)
	s_delay_alu instid0(VALU_DEP_1) | instskip(SKIP_1) | instid1(VALU_DEP_1)
	v_fmac_f32_e32 v111, v106, v90
	s_waitcnt vmcnt(0)
	v_fmac_f32_e32 v111, v107, v91
	s_waitcnt lgkmcnt(1)
	s_delay_alu instid0(VALU_DEP_1) | instskip(NEXT) | instid1(VALU_DEP_1)
	v_fmac_f32_e32 v111, v108, v92
	v_fmac_f32_e32 v111, v109, v93
	s_waitcnt lgkmcnt(0)
	s_delay_alu instid0(VALU_DEP_1) | instskip(NEXT) | instid1(VALU_DEP_1)
	v_fmac_f32_e32 v111, v110, v94
	v_sub_f32_e32 v87, v87, v111
	scratch_store_b32 off, v87, off offset:72
	v_cmpx_lt_u32_e32 17, v0
	s_cbranch_execz .LBB105_225
; %bb.224:
	scratch_load_b32 v87, off, off offset:68
	scratch_store_b32 off, v86, off offset:68
	s_waitcnt vmcnt(0)
	ds_store_b32 v85, v87
.LBB105_225:
	s_or_b32 exec_lo, exec_lo, s0
	s_waitcnt lgkmcnt(0)
	s_waitcnt_vscnt null, 0x0
	s_barrier
	buffer_gl0_inv
	s_clause 0x6
	scratch_load_b128 v[87:90], off, off offset:68
	scratch_load_b128 v[91:94], off, off offset:84
	;; [unrolled: 1-line block ×6, first 2 shown]
	scratch_load_b32 v119, off, off offset:164
	ds_load_2addr_b64 v[111:114], v86 offset0:31 offset1:32
	ds_load_2addr_b64 v[115:118], v86 offset0:33 offset1:34
	s_mov_b32 s0, exec_lo
	s_waitcnt vmcnt(6) lgkmcnt(1)
	v_fma_f32 v111, v88, v111, 0
	s_delay_alu instid0(VALU_DEP_1) | instskip(NEXT) | instid1(VALU_DEP_1)
	v_fmac_f32_e32 v111, v89, v112
	v_fmac_f32_e32 v111, v90, v113
	s_waitcnt vmcnt(5)
	s_delay_alu instid0(VALU_DEP_1) | instskip(SKIP_3) | instid1(VALU_DEP_1)
	v_fmac_f32_e32 v111, v91, v114
	ds_load_2addr_b64 v[88:91], v86 offset0:35 offset1:36
	s_waitcnt lgkmcnt(1)
	v_fmac_f32_e32 v111, v92, v115
	v_fmac_f32_e32 v111, v93, v116
	s_delay_alu instid0(VALU_DEP_1) | instskip(SKIP_1) | instid1(VALU_DEP_1)
	v_fmac_f32_e32 v111, v94, v117
	s_waitcnt vmcnt(4)
	v_fmac_f32_e32 v111, v95, v118
	ds_load_2addr_b64 v[92:95], v86 offset0:37 offset1:38
	s_waitcnt lgkmcnt(1)
	v_fmac_f32_e32 v111, v96, v88
	s_delay_alu instid0(VALU_DEP_1) | instskip(NEXT) | instid1(VALU_DEP_1)
	v_fmac_f32_e32 v111, v97, v89
	v_fmac_f32_e32 v111, v98, v90
	s_waitcnt vmcnt(3)
	s_delay_alu instid0(VALU_DEP_1) | instskip(SKIP_3) | instid1(VALU_DEP_1)
	v_fmac_f32_e32 v111, v99, v91
	ds_load_2addr_b64 v[88:91], v86 offset0:39 offset1:40
	s_waitcnt lgkmcnt(1)
	v_fmac_f32_e32 v111, v100, v92
	v_fmac_f32_e32 v111, v101, v93
	s_delay_alu instid0(VALU_DEP_1) | instskip(SKIP_1) | instid1(VALU_DEP_1)
	v_fmac_f32_e32 v111, v102, v94
	s_waitcnt vmcnt(2)
	v_fmac_f32_e32 v111, v103, v95
	ds_load_2addr_b64 v[92:95], v86 offset0:41 offset1:42
	s_waitcnt lgkmcnt(1)
	v_fmac_f32_e32 v111, v104, v88
	s_delay_alu instid0(VALU_DEP_1) | instskip(NEXT) | instid1(VALU_DEP_1)
	v_fmac_f32_e32 v111, v105, v89
	v_fmac_f32_e32 v111, v106, v90
	s_waitcnt vmcnt(1)
	s_delay_alu instid0(VALU_DEP_1) | instskip(SKIP_1) | instid1(VALU_DEP_1)
	v_fmac_f32_e32 v111, v107, v91
	s_waitcnt lgkmcnt(0)
	v_fmac_f32_e32 v111, v108, v92
	s_delay_alu instid0(VALU_DEP_1) | instskip(NEXT) | instid1(VALU_DEP_1)
	v_fmac_f32_e32 v111, v109, v93
	v_fmac_f32_e32 v111, v110, v94
	s_waitcnt vmcnt(0)
	s_delay_alu instid0(VALU_DEP_1) | instskip(NEXT) | instid1(VALU_DEP_1)
	v_fmac_f32_e32 v111, v119, v95
	v_sub_f32_e32 v86, v87, v111
	scratch_store_b32 off, v86, off offset:68
	v_cmpx_lt_u32_e32 16, v0
	s_cbranch_execz .LBB105_227
; %bb.226:
	scratch_load_b32 v86, off, off offset:64
	v_mov_b32_e32 v87, 0
	scratch_store_b32 off, v87, off offset:64
	s_waitcnt vmcnt(0)
	ds_store_b32 v85, v86
.LBB105_227:
	s_or_b32 exec_lo, exec_lo, s0
	s_waitcnt lgkmcnt(0)
	s_waitcnt_vscnt null, 0x0
	s_barrier
	buffer_gl0_inv
	s_clause 0x6
	scratch_load_b128 v[87:90], off, off offset:64
	scratch_load_b128 v[91:94], off, off offset:80
	;; [unrolled: 1-line block ×6, first 2 shown]
	scratch_load_b64 v[111:112], off, off offset:160
	v_mov_b32_e32 v86, 0
	ds_load_2addr_b32 v[113:114], v86 offset0:61 offset1:62
	ds_load_2addr_b32 v[115:116], v86 offset0:63 offset1:64
	;; [unrolled: 1-line block ×4, first 2 shown]
	s_mov_b32 s0, exec_lo
	s_waitcnt vmcnt(6) lgkmcnt(3)
	v_fma_f32 v113, v88, v113, 0
	s_delay_alu instid0(VALU_DEP_1) | instskip(SKIP_4) | instid1(VALU_DEP_1)
	v_fmac_f32_e32 v113, v89, v114
	ds_load_2addr_b32 v[88:89], v86 offset0:69 offset1:70
	s_waitcnt lgkmcnt(3)
	v_fmac_f32_e32 v113, v90, v115
	s_waitcnt vmcnt(5)
	v_fmac_f32_e32 v113, v91, v116
	ds_load_2addr_b32 v[90:91], v86 offset0:71 offset1:72
	s_waitcnt lgkmcnt(3)
	v_fmac_f32_e32 v113, v92, v117
	s_delay_alu instid0(VALU_DEP_1) | instskip(SKIP_1) | instid1(VALU_DEP_1)
	v_fmac_f32_e32 v113, v93, v118
	s_waitcnt lgkmcnt(2)
	v_fmac_f32_e32 v113, v94, v119
	s_waitcnt vmcnt(4)
	s_delay_alu instid0(VALU_DEP_1) | instskip(SKIP_4) | instid1(VALU_DEP_1)
	v_fmac_f32_e32 v113, v95, v120
	ds_load_2addr_b32 v[92:93], v86 offset0:73 offset1:74
	ds_load_2addr_b32 v[94:95], v86 offset0:75 offset1:76
	s_waitcnt lgkmcnt(3)
	v_fmac_f32_e32 v113, v96, v88
	v_fmac_f32_e32 v113, v97, v89
	ds_load_2addr_b32 v[88:89], v86 offset0:77 offset1:78
	s_waitcnt lgkmcnt(3)
	v_fmac_f32_e32 v113, v98, v90
	s_waitcnt vmcnt(3)
	s_delay_alu instid0(VALU_DEP_1) | instskip(SKIP_3) | instid1(VALU_DEP_1)
	v_fmac_f32_e32 v113, v99, v91
	ds_load_2addr_b32 v[90:91], v86 offset0:79 offset1:80
	s_waitcnt lgkmcnt(3)
	v_fmac_f32_e32 v113, v100, v92
	v_fmac_f32_e32 v113, v101, v93
	s_waitcnt lgkmcnt(2)
	s_delay_alu instid0(VALU_DEP_1) | instskip(SKIP_1) | instid1(VALU_DEP_1)
	v_fmac_f32_e32 v113, v102, v94
	s_waitcnt vmcnt(2)
	v_fmac_f32_e32 v113, v103, v95
	ds_load_2addr_b32 v[92:93], v86 offset0:81 offset1:82
	ds_load_2addr_b32 v[94:95], v86 offset0:83 offset1:84
	s_waitcnt lgkmcnt(3)
	v_fmac_f32_e32 v113, v104, v88
	ds_load_b32 v88, v86 offset:340
	v_fmac_f32_e32 v113, v105, v89
	s_waitcnt lgkmcnt(3)
	s_delay_alu instid0(VALU_DEP_1) | instskip(SKIP_1) | instid1(VALU_DEP_1)
	v_fmac_f32_e32 v113, v106, v90
	s_waitcnt vmcnt(1)
	v_fmac_f32_e32 v113, v107, v91
	s_waitcnt lgkmcnt(2)
	s_delay_alu instid0(VALU_DEP_1) | instskip(NEXT) | instid1(VALU_DEP_1)
	v_fmac_f32_e32 v113, v108, v92
	v_fmac_f32_e32 v113, v109, v93
	s_waitcnt lgkmcnt(1)
	s_delay_alu instid0(VALU_DEP_1) | instskip(SKIP_1) | instid1(VALU_DEP_1)
	v_fmac_f32_e32 v113, v110, v94
	s_waitcnt vmcnt(0)
	v_fmac_f32_e32 v113, v111, v95
	s_waitcnt lgkmcnt(0)
	s_delay_alu instid0(VALU_DEP_1) | instskip(NEXT) | instid1(VALU_DEP_1)
	v_fmac_f32_e32 v113, v112, v88
	v_sub_f32_e32 v87, v87, v113
	scratch_store_b32 off, v87, off offset:64
	v_cmpx_lt_u32_e32 15, v0
	s_cbranch_execz .LBB105_229
; %bb.228:
	scratch_load_b32 v87, off, off offset:60
	scratch_store_b32 off, v86, off offset:60
	s_waitcnt vmcnt(0)
	ds_store_b32 v85, v87
.LBB105_229:
	s_or_b32 exec_lo, exec_lo, s0
	s_waitcnt lgkmcnt(0)
	s_waitcnt_vscnt null, 0x0
	s_barrier
	buffer_gl0_inv
	s_clause 0x6
	scratch_load_b128 v[87:90], off, off offset:60
	scratch_load_b128 v[91:94], off, off offset:76
	;; [unrolled: 1-line block ×6, first 2 shown]
	scratch_load_b96 v[119:121], off, off offset:156
	ds_load_b128 v[111:114], v86 offset:240
	ds_load_b128 v[115:118], v86 offset:256
	s_mov_b32 s0, exec_lo
	s_waitcnt vmcnt(6) lgkmcnt(1)
	v_fma_f32 v111, v88, v111, 0
	s_delay_alu instid0(VALU_DEP_1) | instskip(NEXT) | instid1(VALU_DEP_1)
	v_fmac_f32_e32 v111, v89, v112
	v_fmac_f32_e32 v111, v90, v113
	s_waitcnt vmcnt(5)
	s_delay_alu instid0(VALU_DEP_1) | instskip(SKIP_3) | instid1(VALU_DEP_1)
	v_fmac_f32_e32 v111, v91, v114
	ds_load_b128 v[88:91], v86 offset:272
	s_waitcnt lgkmcnt(1)
	v_fmac_f32_e32 v111, v92, v115
	v_fmac_f32_e32 v111, v93, v116
	s_delay_alu instid0(VALU_DEP_1) | instskip(SKIP_1) | instid1(VALU_DEP_1)
	v_fmac_f32_e32 v111, v94, v117
	s_waitcnt vmcnt(4)
	v_fmac_f32_e32 v111, v95, v118
	ds_load_b128 v[92:95], v86 offset:288
	s_waitcnt lgkmcnt(1)
	v_fmac_f32_e32 v111, v96, v88
	s_delay_alu instid0(VALU_DEP_1) | instskip(NEXT) | instid1(VALU_DEP_1)
	v_fmac_f32_e32 v111, v97, v89
	v_fmac_f32_e32 v111, v98, v90
	s_waitcnt vmcnt(3)
	s_delay_alu instid0(VALU_DEP_1) | instskip(SKIP_3) | instid1(VALU_DEP_1)
	v_fmac_f32_e32 v111, v99, v91
	ds_load_b128 v[88:91], v86 offset:304
	s_waitcnt lgkmcnt(1)
	v_fmac_f32_e32 v111, v100, v92
	v_fmac_f32_e32 v111, v101, v93
	s_delay_alu instid0(VALU_DEP_1) | instskip(SKIP_1) | instid1(VALU_DEP_1)
	v_fmac_f32_e32 v111, v102, v94
	s_waitcnt vmcnt(2)
	v_fmac_f32_e32 v111, v103, v95
	ds_load_b128 v[92:95], v86 offset:320
	s_waitcnt lgkmcnt(1)
	v_fmac_f32_e32 v111, v104, v88
	s_delay_alu instid0(VALU_DEP_1) | instskip(SKIP_3) | instid1(VALU_DEP_1)
	v_fmac_f32_e32 v111, v105, v89
	ds_load_b64 v[88:89], v86 offset:336
	v_fmac_f32_e32 v111, v106, v90
	s_waitcnt vmcnt(1)
	v_fmac_f32_e32 v111, v107, v91
	s_waitcnt lgkmcnt(1)
	s_delay_alu instid0(VALU_DEP_1) | instskip(NEXT) | instid1(VALU_DEP_1)
	v_fmac_f32_e32 v111, v108, v92
	v_fmac_f32_e32 v111, v109, v93
	s_delay_alu instid0(VALU_DEP_1) | instskip(SKIP_1) | instid1(VALU_DEP_1)
	v_fmac_f32_e32 v111, v110, v94
	s_waitcnt vmcnt(0)
	v_fmac_f32_e32 v111, v119, v95
	s_waitcnt lgkmcnt(0)
	s_delay_alu instid0(VALU_DEP_1) | instskip(NEXT) | instid1(VALU_DEP_1)
	v_fmac_f32_e32 v111, v120, v88
	v_fmac_f32_e32 v111, v121, v89
	s_delay_alu instid0(VALU_DEP_1)
	v_sub_f32_e32 v86, v87, v111
	scratch_store_b32 off, v86, off offset:60
	v_cmpx_lt_u32_e32 14, v0
	s_cbranch_execz .LBB105_231
; %bb.230:
	scratch_load_b32 v86, off, off offset:56
	v_mov_b32_e32 v87, 0
	scratch_store_b32 off, v87, off offset:56
	s_waitcnt vmcnt(0)
	ds_store_b32 v85, v86
.LBB105_231:
	s_or_b32 exec_lo, exec_lo, s0
	s_waitcnt lgkmcnt(0)
	s_waitcnt_vscnt null, 0x0
	s_barrier
	buffer_gl0_inv
	s_clause 0x6
	scratch_load_b128 v[87:90], off, off offset:56
	scratch_load_b128 v[91:94], off, off offset:72
	;; [unrolled: 1-line block ×7, first 2 shown]
	v_mov_b32_e32 v86, 0
	ds_load_2addr_b32 v[115:116], v86 offset0:59 offset1:60
	ds_load_2addr_b32 v[117:118], v86 offset0:61 offset1:62
	;; [unrolled: 1-line block ×4, first 2 shown]
	s_mov_b32 s0, exec_lo
	s_waitcnt vmcnt(6) lgkmcnt(3)
	v_fma_f32 v115, v88, v115, 0
	s_delay_alu instid0(VALU_DEP_1) | instskip(SKIP_4) | instid1(VALU_DEP_1)
	v_fmac_f32_e32 v115, v89, v116
	ds_load_2addr_b32 v[88:89], v86 offset0:67 offset1:68
	s_waitcnt lgkmcnt(3)
	v_fmac_f32_e32 v115, v90, v117
	s_waitcnt vmcnt(5)
	v_fmac_f32_e32 v115, v91, v118
	ds_load_2addr_b32 v[90:91], v86 offset0:69 offset1:70
	s_waitcnt lgkmcnt(3)
	v_fmac_f32_e32 v115, v92, v119
	s_delay_alu instid0(VALU_DEP_1) | instskip(SKIP_1) | instid1(VALU_DEP_1)
	v_fmac_f32_e32 v115, v93, v120
	s_waitcnt lgkmcnt(2)
	v_fmac_f32_e32 v115, v94, v121
	s_waitcnt vmcnt(4)
	s_delay_alu instid0(VALU_DEP_1) | instskip(SKIP_4) | instid1(VALU_DEP_1)
	v_fmac_f32_e32 v115, v95, v122
	ds_load_2addr_b32 v[92:93], v86 offset0:71 offset1:72
	ds_load_2addr_b32 v[94:95], v86 offset0:73 offset1:74
	s_waitcnt lgkmcnt(3)
	v_fmac_f32_e32 v115, v96, v88
	v_fmac_f32_e32 v115, v97, v89
	ds_load_2addr_b32 v[88:89], v86 offset0:75 offset1:76
	s_waitcnt lgkmcnt(3)
	v_fmac_f32_e32 v115, v98, v90
	s_waitcnt vmcnt(3)
	s_delay_alu instid0(VALU_DEP_1) | instskip(SKIP_3) | instid1(VALU_DEP_1)
	v_fmac_f32_e32 v115, v99, v91
	ds_load_2addr_b32 v[90:91], v86 offset0:77 offset1:78
	s_waitcnt lgkmcnt(3)
	v_fmac_f32_e32 v115, v100, v92
	v_fmac_f32_e32 v115, v101, v93
	s_waitcnt lgkmcnt(2)
	s_delay_alu instid0(VALU_DEP_1) | instskip(SKIP_1) | instid1(VALU_DEP_1)
	v_fmac_f32_e32 v115, v102, v94
	s_waitcnt vmcnt(2)
	v_fmac_f32_e32 v115, v103, v95
	ds_load_2addr_b32 v[92:93], v86 offset0:79 offset1:80
	ds_load_2addr_b32 v[94:95], v86 offset0:81 offset1:82
	s_waitcnt lgkmcnt(3)
	v_fmac_f32_e32 v115, v104, v88
	s_delay_alu instid0(VALU_DEP_1)
	v_fmac_f32_e32 v115, v105, v89
	ds_load_2addr_b32 v[88:89], v86 offset0:83 offset1:84
	s_waitcnt lgkmcnt(3)
	v_fmac_f32_e32 v115, v106, v90
	ds_load_b32 v90, v86 offset:340
	s_waitcnt vmcnt(1)
	v_fmac_f32_e32 v115, v107, v91
	s_waitcnt lgkmcnt(3)
	s_delay_alu instid0(VALU_DEP_1) | instskip(NEXT) | instid1(VALU_DEP_1)
	v_fmac_f32_e32 v115, v108, v92
	v_fmac_f32_e32 v115, v109, v93
	s_waitcnt lgkmcnt(2)
	s_delay_alu instid0(VALU_DEP_1) | instskip(SKIP_1) | instid1(VALU_DEP_1)
	v_fmac_f32_e32 v115, v110, v94
	s_waitcnt vmcnt(0)
	v_fmac_f32_e32 v115, v111, v95
	s_waitcnt lgkmcnt(1)
	s_delay_alu instid0(VALU_DEP_1) | instskip(NEXT) | instid1(VALU_DEP_1)
	v_fmac_f32_e32 v115, v112, v88
	v_fmac_f32_e32 v115, v113, v89
	s_waitcnt lgkmcnt(0)
	s_delay_alu instid0(VALU_DEP_1) | instskip(NEXT) | instid1(VALU_DEP_1)
	v_fmac_f32_e32 v115, v114, v90
	v_sub_f32_e32 v87, v87, v115
	scratch_store_b32 off, v87, off offset:56
	v_cmpx_lt_u32_e32 13, v0
	s_cbranch_execz .LBB105_233
; %bb.232:
	scratch_load_b32 v87, off, off offset:52
	scratch_store_b32 off, v86, off offset:52
	s_waitcnt vmcnt(0)
	ds_store_b32 v85, v87
.LBB105_233:
	s_or_b32 exec_lo, exec_lo, s0
	s_waitcnt lgkmcnt(0)
	s_waitcnt_vscnt null, 0x0
	s_barrier
	buffer_gl0_inv
	s_clause 0x7
	scratch_load_b128 v[87:90], off, off offset:52
	scratch_load_b128 v[91:94], off, off offset:68
	;; [unrolled: 1-line block ×7, first 2 shown]
	scratch_load_b32 v123, off, off offset:164
	ds_load_2addr_b64 v[115:118], v86 offset0:29 offset1:30
	ds_load_2addr_b64 v[119:122], v86 offset0:31 offset1:32
	s_mov_b32 s0, exec_lo
	s_waitcnt vmcnt(7) lgkmcnt(1)
	v_fma_f32 v115, v88, v115, 0
	s_delay_alu instid0(VALU_DEP_1) | instskip(NEXT) | instid1(VALU_DEP_1)
	v_fmac_f32_e32 v115, v89, v116
	v_fmac_f32_e32 v115, v90, v117
	s_waitcnt vmcnt(6)
	s_delay_alu instid0(VALU_DEP_1) | instskip(SKIP_3) | instid1(VALU_DEP_1)
	v_fmac_f32_e32 v115, v91, v118
	ds_load_2addr_b64 v[88:91], v86 offset0:33 offset1:34
	s_waitcnt lgkmcnt(1)
	v_fmac_f32_e32 v115, v92, v119
	v_fmac_f32_e32 v115, v93, v120
	s_delay_alu instid0(VALU_DEP_1) | instskip(SKIP_1) | instid1(VALU_DEP_1)
	v_fmac_f32_e32 v115, v94, v121
	s_waitcnt vmcnt(5)
	v_fmac_f32_e32 v115, v95, v122
	ds_load_2addr_b64 v[92:95], v86 offset0:35 offset1:36
	s_waitcnt lgkmcnt(1)
	v_fmac_f32_e32 v115, v96, v88
	s_delay_alu instid0(VALU_DEP_1) | instskip(NEXT) | instid1(VALU_DEP_1)
	v_fmac_f32_e32 v115, v97, v89
	v_fmac_f32_e32 v115, v98, v90
	s_waitcnt vmcnt(4)
	s_delay_alu instid0(VALU_DEP_1) | instskip(SKIP_3) | instid1(VALU_DEP_1)
	v_fmac_f32_e32 v115, v99, v91
	ds_load_2addr_b64 v[88:91], v86 offset0:37 offset1:38
	s_waitcnt lgkmcnt(1)
	v_fmac_f32_e32 v115, v100, v92
	v_fmac_f32_e32 v115, v101, v93
	s_delay_alu instid0(VALU_DEP_1) | instskip(SKIP_1) | instid1(VALU_DEP_1)
	v_fmac_f32_e32 v115, v102, v94
	s_waitcnt vmcnt(3)
	v_fmac_f32_e32 v115, v103, v95
	ds_load_2addr_b64 v[92:95], v86 offset0:39 offset1:40
	s_waitcnt lgkmcnt(1)
	v_fmac_f32_e32 v115, v104, v88
	s_delay_alu instid0(VALU_DEP_1) | instskip(NEXT) | instid1(VALU_DEP_1)
	v_fmac_f32_e32 v115, v105, v89
	v_fmac_f32_e32 v115, v106, v90
	s_waitcnt vmcnt(2)
	s_delay_alu instid0(VALU_DEP_1) | instskip(SKIP_3) | instid1(VALU_DEP_1)
	v_fmac_f32_e32 v115, v107, v91
	ds_load_2addr_b64 v[88:91], v86 offset0:41 offset1:42
	s_waitcnt lgkmcnt(1)
	v_fmac_f32_e32 v115, v108, v92
	v_fmac_f32_e32 v115, v109, v93
	s_delay_alu instid0(VALU_DEP_1) | instskip(SKIP_1) | instid1(VALU_DEP_1)
	v_fmac_f32_e32 v115, v110, v94
	s_waitcnt vmcnt(1)
	v_fmac_f32_e32 v115, v111, v95
	s_waitcnt lgkmcnt(0)
	s_delay_alu instid0(VALU_DEP_1) | instskip(NEXT) | instid1(VALU_DEP_1)
	v_fmac_f32_e32 v115, v112, v88
	v_fmac_f32_e32 v115, v113, v89
	s_delay_alu instid0(VALU_DEP_1) | instskip(SKIP_1) | instid1(VALU_DEP_1)
	v_fmac_f32_e32 v115, v114, v90
	s_waitcnt vmcnt(0)
	v_fmac_f32_e32 v115, v123, v91
	s_delay_alu instid0(VALU_DEP_1)
	v_sub_f32_e32 v86, v87, v115
	scratch_store_b32 off, v86, off offset:52
	v_cmpx_lt_u32_e32 12, v0
	s_cbranch_execz .LBB105_235
; %bb.234:
	scratch_load_b32 v86, off, off offset:48
	v_mov_b32_e32 v87, 0
	scratch_store_b32 off, v87, off offset:48
	s_waitcnt vmcnt(0)
	ds_store_b32 v85, v86
.LBB105_235:
	s_or_b32 exec_lo, exec_lo, s0
	s_waitcnt lgkmcnt(0)
	s_waitcnt_vscnt null, 0x0
	s_barrier
	buffer_gl0_inv
	s_clause 0x7
	scratch_load_b128 v[87:90], off, off offset:48
	scratch_load_b128 v[91:94], off, off offset:64
	;; [unrolled: 1-line block ×7, first 2 shown]
	scratch_load_b64 v[115:116], off, off offset:160
	v_mov_b32_e32 v86, 0
	ds_load_2addr_b32 v[117:118], v86 offset0:57 offset1:58
	ds_load_2addr_b32 v[119:120], v86 offset0:59 offset1:60
	;; [unrolled: 1-line block ×4, first 2 shown]
	s_mov_b32 s0, exec_lo
	s_waitcnt vmcnt(7) lgkmcnt(3)
	v_fma_f32 v117, v88, v117, 0
	s_delay_alu instid0(VALU_DEP_1) | instskip(SKIP_4) | instid1(VALU_DEP_1)
	v_fmac_f32_e32 v117, v89, v118
	ds_load_2addr_b32 v[88:89], v86 offset0:65 offset1:66
	s_waitcnt lgkmcnt(3)
	v_fmac_f32_e32 v117, v90, v119
	s_waitcnt vmcnt(6)
	v_fmac_f32_e32 v117, v91, v120
	ds_load_2addr_b32 v[90:91], v86 offset0:67 offset1:68
	s_waitcnt lgkmcnt(3)
	v_fmac_f32_e32 v117, v92, v121
	s_delay_alu instid0(VALU_DEP_1) | instskip(SKIP_1) | instid1(VALU_DEP_1)
	v_fmac_f32_e32 v117, v93, v122
	s_waitcnt lgkmcnt(2)
	v_fmac_f32_e32 v117, v94, v123
	s_waitcnt vmcnt(5)
	s_delay_alu instid0(VALU_DEP_1) | instskip(SKIP_4) | instid1(VALU_DEP_1)
	v_fmac_f32_e32 v117, v95, v124
	ds_load_2addr_b32 v[92:93], v86 offset0:69 offset1:70
	ds_load_2addr_b32 v[94:95], v86 offset0:71 offset1:72
	s_waitcnt lgkmcnt(3)
	v_fmac_f32_e32 v117, v96, v88
	v_fmac_f32_e32 v117, v97, v89
	ds_load_2addr_b32 v[88:89], v86 offset0:73 offset1:74
	s_waitcnt lgkmcnt(3)
	v_fmac_f32_e32 v117, v98, v90
	s_waitcnt vmcnt(4)
	s_delay_alu instid0(VALU_DEP_1) | instskip(SKIP_3) | instid1(VALU_DEP_1)
	v_fmac_f32_e32 v117, v99, v91
	ds_load_2addr_b32 v[90:91], v86 offset0:75 offset1:76
	s_waitcnt lgkmcnt(3)
	v_fmac_f32_e32 v117, v100, v92
	v_fmac_f32_e32 v117, v101, v93
	s_waitcnt lgkmcnt(2)
	s_delay_alu instid0(VALU_DEP_1) | instskip(SKIP_1) | instid1(VALU_DEP_1)
	v_fmac_f32_e32 v117, v102, v94
	s_waitcnt vmcnt(3)
	v_fmac_f32_e32 v117, v103, v95
	ds_load_2addr_b32 v[92:93], v86 offset0:77 offset1:78
	ds_load_2addr_b32 v[94:95], v86 offset0:79 offset1:80
	s_waitcnt lgkmcnt(3)
	v_fmac_f32_e32 v117, v104, v88
	s_delay_alu instid0(VALU_DEP_1) | instskip(SKIP_4) | instid1(VALU_DEP_1)
	v_fmac_f32_e32 v117, v105, v89
	ds_load_2addr_b32 v[88:89], v86 offset0:81 offset1:82
	s_waitcnt lgkmcnt(3)
	v_fmac_f32_e32 v117, v106, v90
	s_waitcnt vmcnt(2)
	v_fmac_f32_e32 v117, v107, v91
	ds_load_2addr_b32 v[90:91], v86 offset0:83 offset1:84
	s_waitcnt lgkmcnt(3)
	v_fmac_f32_e32 v117, v108, v92
	ds_load_b32 v92, v86 offset:340
	v_fmac_f32_e32 v117, v109, v93
	s_waitcnt lgkmcnt(3)
	s_delay_alu instid0(VALU_DEP_1) | instskip(SKIP_1) | instid1(VALU_DEP_1)
	v_fmac_f32_e32 v117, v110, v94
	s_waitcnt vmcnt(1)
	v_fmac_f32_e32 v117, v111, v95
	s_waitcnt lgkmcnt(2)
	s_delay_alu instid0(VALU_DEP_1) | instskip(NEXT) | instid1(VALU_DEP_1)
	v_fmac_f32_e32 v117, v112, v88
	v_fmac_f32_e32 v117, v113, v89
	s_waitcnt lgkmcnt(1)
	s_delay_alu instid0(VALU_DEP_1) | instskip(SKIP_1) | instid1(VALU_DEP_1)
	v_fmac_f32_e32 v117, v114, v90
	s_waitcnt vmcnt(0)
	v_fmac_f32_e32 v117, v115, v91
	s_waitcnt lgkmcnt(0)
	s_delay_alu instid0(VALU_DEP_1) | instskip(NEXT) | instid1(VALU_DEP_1)
	v_fmac_f32_e32 v117, v116, v92
	v_sub_f32_e32 v87, v87, v117
	scratch_store_b32 off, v87, off offset:48
	v_cmpx_lt_u32_e32 11, v0
	s_cbranch_execz .LBB105_237
; %bb.236:
	scratch_load_b32 v87, off, off offset:44
	scratch_store_b32 off, v86, off offset:44
	s_waitcnt vmcnt(0)
	ds_store_b32 v85, v87
.LBB105_237:
	s_or_b32 exec_lo, exec_lo, s0
	s_waitcnt lgkmcnt(0)
	s_waitcnt_vscnt null, 0x0
	s_barrier
	buffer_gl0_inv
	s_clause 0x7
	scratch_load_b128 v[87:90], off, off offset:44
	scratch_load_b128 v[91:94], off, off offset:60
	;; [unrolled: 1-line block ×7, first 2 shown]
	scratch_load_b96 v[123:125], off, off offset:156
	ds_load_b128 v[115:118], v86 offset:224
	ds_load_b128 v[119:122], v86 offset:240
	s_mov_b32 s0, exec_lo
	s_waitcnt vmcnt(7) lgkmcnt(1)
	v_fma_f32 v115, v88, v115, 0
	s_delay_alu instid0(VALU_DEP_1) | instskip(NEXT) | instid1(VALU_DEP_1)
	v_fmac_f32_e32 v115, v89, v116
	v_fmac_f32_e32 v115, v90, v117
	s_waitcnt vmcnt(6)
	s_delay_alu instid0(VALU_DEP_1) | instskip(SKIP_3) | instid1(VALU_DEP_1)
	v_fmac_f32_e32 v115, v91, v118
	ds_load_b128 v[88:91], v86 offset:256
	s_waitcnt lgkmcnt(1)
	v_fmac_f32_e32 v115, v92, v119
	v_fmac_f32_e32 v115, v93, v120
	s_delay_alu instid0(VALU_DEP_1) | instskip(SKIP_1) | instid1(VALU_DEP_1)
	v_fmac_f32_e32 v115, v94, v121
	s_waitcnt vmcnt(5)
	v_fmac_f32_e32 v115, v95, v122
	ds_load_b128 v[92:95], v86 offset:272
	s_waitcnt lgkmcnt(1)
	v_fmac_f32_e32 v115, v96, v88
	s_delay_alu instid0(VALU_DEP_1) | instskip(NEXT) | instid1(VALU_DEP_1)
	v_fmac_f32_e32 v115, v97, v89
	v_fmac_f32_e32 v115, v98, v90
	s_waitcnt vmcnt(4)
	s_delay_alu instid0(VALU_DEP_1) | instskip(SKIP_3) | instid1(VALU_DEP_1)
	v_fmac_f32_e32 v115, v99, v91
	ds_load_b128 v[88:91], v86 offset:288
	s_waitcnt lgkmcnt(1)
	v_fmac_f32_e32 v115, v100, v92
	v_fmac_f32_e32 v115, v101, v93
	s_delay_alu instid0(VALU_DEP_1) | instskip(SKIP_1) | instid1(VALU_DEP_1)
	v_fmac_f32_e32 v115, v102, v94
	s_waitcnt vmcnt(3)
	v_fmac_f32_e32 v115, v103, v95
	ds_load_b128 v[92:95], v86 offset:304
	s_waitcnt lgkmcnt(1)
	v_fmac_f32_e32 v115, v104, v88
	s_delay_alu instid0(VALU_DEP_1) | instskip(NEXT) | instid1(VALU_DEP_1)
	v_fmac_f32_e32 v115, v105, v89
	v_fmac_f32_e32 v115, v106, v90
	s_waitcnt vmcnt(2)
	s_delay_alu instid0(VALU_DEP_1) | instskip(SKIP_3) | instid1(VALU_DEP_1)
	v_fmac_f32_e32 v115, v107, v91
	ds_load_b128 v[88:91], v86 offset:320
	s_waitcnt lgkmcnt(1)
	v_fmac_f32_e32 v115, v108, v92
	v_fmac_f32_e32 v115, v109, v93
	ds_load_b64 v[92:93], v86 offset:336
	v_fmac_f32_e32 v115, v110, v94
	s_waitcnt vmcnt(1)
	s_delay_alu instid0(VALU_DEP_1) | instskip(SKIP_1) | instid1(VALU_DEP_1)
	v_fmac_f32_e32 v115, v111, v95
	s_waitcnt lgkmcnt(1)
	v_fmac_f32_e32 v115, v112, v88
	s_delay_alu instid0(VALU_DEP_1) | instskip(NEXT) | instid1(VALU_DEP_1)
	v_fmac_f32_e32 v115, v113, v89
	v_fmac_f32_e32 v115, v114, v90
	s_waitcnt vmcnt(0)
	s_delay_alu instid0(VALU_DEP_1) | instskip(SKIP_1) | instid1(VALU_DEP_1)
	v_fmac_f32_e32 v115, v123, v91
	s_waitcnt lgkmcnt(0)
	v_fmac_f32_e32 v115, v124, v92
	s_delay_alu instid0(VALU_DEP_1) | instskip(NEXT) | instid1(VALU_DEP_1)
	v_fmac_f32_e32 v115, v125, v93
	v_sub_f32_e32 v86, v87, v115
	scratch_store_b32 off, v86, off offset:44
	v_cmpx_lt_u32_e32 10, v0
	s_cbranch_execz .LBB105_239
; %bb.238:
	scratch_load_b32 v86, off, off offset:40
	v_mov_b32_e32 v87, 0
	scratch_store_b32 off, v87, off offset:40
	s_waitcnt vmcnt(0)
	ds_store_b32 v85, v86
.LBB105_239:
	s_or_b32 exec_lo, exec_lo, s0
	s_waitcnt lgkmcnt(0)
	s_waitcnt_vscnt null, 0x0
	s_barrier
	buffer_gl0_inv
	s_clause 0x7
	scratch_load_b128 v[87:90], off, off offset:40
	scratch_load_b128 v[91:94], off, off offset:56
	;; [unrolled: 1-line block ×8, first 2 shown]
	v_mov_b32_e32 v86, 0
	ds_load_2addr_b32 v[119:120], v86 offset0:55 offset1:56
	ds_load_2addr_b32 v[121:122], v86 offset0:57 offset1:58
	;; [unrolled: 1-line block ×4, first 2 shown]
	s_mov_b32 s0, exec_lo
	s_waitcnt vmcnt(7) lgkmcnt(3)
	v_fma_f32 v119, v88, v119, 0
	s_delay_alu instid0(VALU_DEP_1) | instskip(SKIP_4) | instid1(VALU_DEP_1)
	v_fmac_f32_e32 v119, v89, v120
	ds_load_2addr_b32 v[88:89], v86 offset0:63 offset1:64
	s_waitcnt lgkmcnt(3)
	v_fmac_f32_e32 v119, v90, v121
	s_waitcnt vmcnt(6)
	v_fmac_f32_e32 v119, v91, v122
	ds_load_2addr_b32 v[90:91], v86 offset0:65 offset1:66
	s_waitcnt lgkmcnt(3)
	v_fmac_f32_e32 v119, v92, v123
	s_delay_alu instid0(VALU_DEP_1) | instskip(SKIP_1) | instid1(VALU_DEP_1)
	v_fmac_f32_e32 v119, v93, v124
	s_waitcnt lgkmcnt(2)
	v_fmac_f32_e32 v119, v94, v125
	s_waitcnt vmcnt(5)
	s_delay_alu instid0(VALU_DEP_1) | instskip(SKIP_4) | instid1(VALU_DEP_1)
	v_fmac_f32_e32 v119, v95, v126
	ds_load_2addr_b32 v[92:93], v86 offset0:67 offset1:68
	ds_load_2addr_b32 v[94:95], v86 offset0:69 offset1:70
	s_waitcnt lgkmcnt(3)
	v_fmac_f32_e32 v119, v96, v88
	v_fmac_f32_e32 v119, v97, v89
	ds_load_2addr_b32 v[88:89], v86 offset0:71 offset1:72
	s_waitcnt lgkmcnt(3)
	v_fmac_f32_e32 v119, v98, v90
	s_waitcnt vmcnt(4)
	s_delay_alu instid0(VALU_DEP_1) | instskip(SKIP_3) | instid1(VALU_DEP_1)
	v_fmac_f32_e32 v119, v99, v91
	ds_load_2addr_b32 v[90:91], v86 offset0:73 offset1:74
	s_waitcnt lgkmcnt(3)
	v_fmac_f32_e32 v119, v100, v92
	v_fmac_f32_e32 v119, v101, v93
	s_waitcnt lgkmcnt(2)
	s_delay_alu instid0(VALU_DEP_1) | instskip(SKIP_1) | instid1(VALU_DEP_1)
	v_fmac_f32_e32 v119, v102, v94
	s_waitcnt vmcnt(3)
	v_fmac_f32_e32 v119, v103, v95
	ds_load_2addr_b32 v[92:93], v86 offset0:75 offset1:76
	ds_load_2addr_b32 v[94:95], v86 offset0:77 offset1:78
	s_waitcnt lgkmcnt(3)
	v_fmac_f32_e32 v119, v104, v88
	s_delay_alu instid0(VALU_DEP_1) | instskip(SKIP_4) | instid1(VALU_DEP_1)
	v_fmac_f32_e32 v119, v105, v89
	ds_load_2addr_b32 v[88:89], v86 offset0:79 offset1:80
	s_waitcnt lgkmcnt(3)
	v_fmac_f32_e32 v119, v106, v90
	s_waitcnt vmcnt(2)
	v_fmac_f32_e32 v119, v107, v91
	ds_load_2addr_b32 v[90:91], v86 offset0:81 offset1:82
	s_waitcnt lgkmcnt(3)
	v_fmac_f32_e32 v119, v108, v92
	s_delay_alu instid0(VALU_DEP_1) | instskip(SKIP_1) | instid1(VALU_DEP_1)
	v_fmac_f32_e32 v119, v109, v93
	s_waitcnt lgkmcnt(2)
	v_fmac_f32_e32 v119, v110, v94
	ds_load_2addr_b32 v[92:93], v86 offset0:83 offset1:84
	ds_load_b32 v94, v86 offset:340
	s_waitcnt vmcnt(1)
	v_fmac_f32_e32 v119, v111, v95
	s_waitcnt lgkmcnt(3)
	s_delay_alu instid0(VALU_DEP_1) | instskip(NEXT) | instid1(VALU_DEP_1)
	v_fmac_f32_e32 v119, v112, v88
	v_fmac_f32_e32 v119, v113, v89
	s_waitcnt lgkmcnt(2)
	s_delay_alu instid0(VALU_DEP_1) | instskip(SKIP_1) | instid1(VALU_DEP_1)
	v_fmac_f32_e32 v119, v114, v90
	s_waitcnt vmcnt(0)
	v_fmac_f32_e32 v119, v115, v91
	s_waitcnt lgkmcnt(1)
	s_delay_alu instid0(VALU_DEP_1) | instskip(NEXT) | instid1(VALU_DEP_1)
	v_fmac_f32_e32 v119, v116, v92
	v_fmac_f32_e32 v119, v117, v93
	s_waitcnt lgkmcnt(0)
	s_delay_alu instid0(VALU_DEP_1) | instskip(NEXT) | instid1(VALU_DEP_1)
	v_fmac_f32_e32 v119, v118, v94
	v_sub_f32_e32 v87, v87, v119
	scratch_store_b32 off, v87, off offset:40
	v_cmpx_lt_u32_e32 9, v0
	s_cbranch_execz .LBB105_241
; %bb.240:
	scratch_load_b32 v87, off, off offset:36
	scratch_store_b32 off, v86, off offset:36
	s_waitcnt vmcnt(0)
	ds_store_b32 v85, v87
.LBB105_241:
	s_or_b32 exec_lo, exec_lo, s0
	s_waitcnt lgkmcnt(0)
	s_waitcnt_vscnt null, 0x0
	s_barrier
	buffer_gl0_inv
	s_clause 0x8
	scratch_load_b128 v[87:90], off, off offset:36
	scratch_load_b128 v[91:94], off, off offset:52
	;; [unrolled: 1-line block ×8, first 2 shown]
	scratch_load_b32 v127, off, off offset:164
	ds_load_2addr_b64 v[119:122], v86 offset0:27 offset1:28
	ds_load_2addr_b64 v[123:126], v86 offset0:29 offset1:30
	s_mov_b32 s0, exec_lo
	s_waitcnt vmcnt(8) lgkmcnt(1)
	v_fma_f32 v119, v88, v119, 0
	s_delay_alu instid0(VALU_DEP_1) | instskip(NEXT) | instid1(VALU_DEP_1)
	v_fmac_f32_e32 v119, v89, v120
	v_fmac_f32_e32 v119, v90, v121
	s_waitcnt vmcnt(7)
	s_delay_alu instid0(VALU_DEP_1) | instskip(SKIP_3) | instid1(VALU_DEP_1)
	v_fmac_f32_e32 v119, v91, v122
	ds_load_2addr_b64 v[88:91], v86 offset0:31 offset1:32
	s_waitcnt lgkmcnt(1)
	v_fmac_f32_e32 v119, v92, v123
	v_fmac_f32_e32 v119, v93, v124
	s_delay_alu instid0(VALU_DEP_1) | instskip(SKIP_1) | instid1(VALU_DEP_1)
	v_fmac_f32_e32 v119, v94, v125
	s_waitcnt vmcnt(6)
	v_fmac_f32_e32 v119, v95, v126
	ds_load_2addr_b64 v[92:95], v86 offset0:33 offset1:34
	s_waitcnt lgkmcnt(1)
	v_fmac_f32_e32 v119, v96, v88
	s_delay_alu instid0(VALU_DEP_1) | instskip(NEXT) | instid1(VALU_DEP_1)
	v_fmac_f32_e32 v119, v97, v89
	v_fmac_f32_e32 v119, v98, v90
	s_waitcnt vmcnt(5)
	s_delay_alu instid0(VALU_DEP_1) | instskip(SKIP_3) | instid1(VALU_DEP_1)
	v_fmac_f32_e32 v119, v99, v91
	ds_load_2addr_b64 v[88:91], v86 offset0:35 offset1:36
	s_waitcnt lgkmcnt(1)
	v_fmac_f32_e32 v119, v100, v92
	v_fmac_f32_e32 v119, v101, v93
	s_delay_alu instid0(VALU_DEP_1) | instskip(SKIP_1) | instid1(VALU_DEP_1)
	v_fmac_f32_e32 v119, v102, v94
	s_waitcnt vmcnt(4)
	v_fmac_f32_e32 v119, v103, v95
	ds_load_2addr_b64 v[92:95], v86 offset0:37 offset1:38
	s_waitcnt lgkmcnt(1)
	v_fmac_f32_e32 v119, v104, v88
	;; [unrolled: 17-line block ×3, first 2 shown]
	s_delay_alu instid0(VALU_DEP_1) | instskip(NEXT) | instid1(VALU_DEP_1)
	v_fmac_f32_e32 v119, v113, v89
	v_fmac_f32_e32 v119, v114, v90
	s_waitcnt vmcnt(1)
	s_delay_alu instid0(VALU_DEP_1) | instskip(SKIP_1) | instid1(VALU_DEP_1)
	v_fmac_f32_e32 v119, v115, v91
	s_waitcnt lgkmcnt(0)
	v_fmac_f32_e32 v119, v116, v92
	s_delay_alu instid0(VALU_DEP_1) | instskip(NEXT) | instid1(VALU_DEP_1)
	v_fmac_f32_e32 v119, v117, v93
	v_fmac_f32_e32 v119, v118, v94
	s_waitcnt vmcnt(0)
	s_delay_alu instid0(VALU_DEP_1) | instskip(NEXT) | instid1(VALU_DEP_1)
	v_fmac_f32_e32 v119, v127, v95
	v_sub_f32_e32 v86, v87, v119
	scratch_store_b32 off, v86, off offset:36
	v_cmpx_lt_u32_e32 8, v0
	s_cbranch_execz .LBB105_243
; %bb.242:
	scratch_load_b32 v86, off, off offset:32
	v_mov_b32_e32 v87, 0
	scratch_store_b32 off, v87, off offset:32
	s_waitcnt vmcnt(0)
	ds_store_b32 v85, v86
.LBB105_243:
	s_or_b32 exec_lo, exec_lo, s0
	s_waitcnt lgkmcnt(0)
	s_waitcnt_vscnt null, 0x0
	s_barrier
	buffer_gl0_inv
	s_clause 0x8
	scratch_load_b128 v[87:90], off, off offset:32
	scratch_load_b128 v[91:94], off, off offset:48
	;; [unrolled: 1-line block ×8, first 2 shown]
	scratch_load_b64 v[119:120], off, off offset:160
	v_mov_b32_e32 v86, 0
	ds_load_2addr_b32 v[121:122], v86 offset0:53 offset1:54
	ds_load_2addr_b32 v[123:124], v86 offset0:55 offset1:56
	;; [unrolled: 1-line block ×4, first 2 shown]
	s_mov_b32 s0, exec_lo
	s_waitcnt vmcnt(8) lgkmcnt(3)
	v_fma_f32 v121, v88, v121, 0
	s_delay_alu instid0(VALU_DEP_1) | instskip(SKIP_4) | instid1(VALU_DEP_1)
	v_fmac_f32_e32 v121, v89, v122
	ds_load_2addr_b32 v[88:89], v86 offset0:61 offset1:62
	s_waitcnt lgkmcnt(3)
	v_fmac_f32_e32 v121, v90, v123
	s_waitcnt vmcnt(7)
	v_fmac_f32_e32 v121, v91, v124
	ds_load_2addr_b32 v[90:91], v86 offset0:63 offset1:64
	s_waitcnt lgkmcnt(3)
	v_fmac_f32_e32 v121, v92, v125
	s_delay_alu instid0(VALU_DEP_1) | instskip(SKIP_1) | instid1(VALU_DEP_1)
	v_fmac_f32_e32 v121, v93, v126
	s_waitcnt lgkmcnt(2)
	v_fmac_f32_e32 v121, v94, v127
	s_waitcnt vmcnt(6)
	s_delay_alu instid0(VALU_DEP_1) | instskip(SKIP_4) | instid1(VALU_DEP_1)
	v_fmac_f32_e32 v121, v95, v128
	ds_load_2addr_b32 v[92:93], v86 offset0:65 offset1:66
	ds_load_2addr_b32 v[94:95], v86 offset0:67 offset1:68
	s_waitcnt lgkmcnt(3)
	v_fmac_f32_e32 v121, v96, v88
	v_fmac_f32_e32 v121, v97, v89
	ds_load_2addr_b32 v[88:89], v86 offset0:69 offset1:70
	s_waitcnt lgkmcnt(3)
	v_fmac_f32_e32 v121, v98, v90
	s_waitcnt vmcnt(5)
	s_delay_alu instid0(VALU_DEP_1) | instskip(SKIP_3) | instid1(VALU_DEP_1)
	v_fmac_f32_e32 v121, v99, v91
	ds_load_2addr_b32 v[90:91], v86 offset0:71 offset1:72
	s_waitcnt lgkmcnt(3)
	v_fmac_f32_e32 v121, v100, v92
	v_fmac_f32_e32 v121, v101, v93
	s_waitcnt lgkmcnt(2)
	s_delay_alu instid0(VALU_DEP_1) | instskip(SKIP_1) | instid1(VALU_DEP_1)
	v_fmac_f32_e32 v121, v102, v94
	s_waitcnt vmcnt(4)
	v_fmac_f32_e32 v121, v103, v95
	ds_load_2addr_b32 v[92:93], v86 offset0:73 offset1:74
	ds_load_2addr_b32 v[94:95], v86 offset0:75 offset1:76
	s_waitcnt lgkmcnt(3)
	v_fmac_f32_e32 v121, v104, v88
	s_delay_alu instid0(VALU_DEP_1) | instskip(SKIP_4) | instid1(VALU_DEP_1)
	v_fmac_f32_e32 v121, v105, v89
	ds_load_2addr_b32 v[88:89], v86 offset0:77 offset1:78
	s_waitcnt lgkmcnt(3)
	v_fmac_f32_e32 v121, v106, v90
	s_waitcnt vmcnt(3)
	v_fmac_f32_e32 v121, v107, v91
	ds_load_2addr_b32 v[90:91], v86 offset0:79 offset1:80
	s_waitcnt lgkmcnt(3)
	v_fmac_f32_e32 v121, v108, v92
	s_delay_alu instid0(VALU_DEP_1) | instskip(SKIP_1) | instid1(VALU_DEP_1)
	v_fmac_f32_e32 v121, v109, v93
	s_waitcnt lgkmcnt(2)
	v_fmac_f32_e32 v121, v110, v94
	s_waitcnt vmcnt(2)
	s_delay_alu instid0(VALU_DEP_1)
	v_fmac_f32_e32 v121, v111, v95
	ds_load_2addr_b32 v[92:93], v86 offset0:81 offset1:82
	ds_load_2addr_b32 v[94:95], v86 offset0:83 offset1:84
	s_waitcnt lgkmcnt(3)
	v_fmac_f32_e32 v121, v112, v88
	ds_load_b32 v88, v86 offset:340
	v_fmac_f32_e32 v121, v113, v89
	s_waitcnt lgkmcnt(3)
	s_delay_alu instid0(VALU_DEP_1) | instskip(SKIP_1) | instid1(VALU_DEP_1)
	v_fmac_f32_e32 v121, v114, v90
	s_waitcnt vmcnt(1)
	v_fmac_f32_e32 v121, v115, v91
	s_waitcnt lgkmcnt(2)
	s_delay_alu instid0(VALU_DEP_1) | instskip(NEXT) | instid1(VALU_DEP_1)
	v_fmac_f32_e32 v121, v116, v92
	v_fmac_f32_e32 v121, v117, v93
	s_waitcnt lgkmcnt(1)
	s_delay_alu instid0(VALU_DEP_1) | instskip(SKIP_1) | instid1(VALU_DEP_1)
	v_fmac_f32_e32 v121, v118, v94
	s_waitcnt vmcnt(0)
	v_fmac_f32_e32 v121, v119, v95
	s_waitcnt lgkmcnt(0)
	s_delay_alu instid0(VALU_DEP_1) | instskip(NEXT) | instid1(VALU_DEP_1)
	v_fmac_f32_e32 v121, v120, v88
	v_sub_f32_e32 v87, v87, v121
	scratch_store_b32 off, v87, off offset:32
	v_cmpx_lt_u32_e32 7, v0
	s_cbranch_execz .LBB105_245
; %bb.244:
	scratch_load_b32 v87, off, off offset:28
	scratch_store_b32 off, v86, off offset:28
	s_waitcnt vmcnt(0)
	ds_store_b32 v85, v87
.LBB105_245:
	s_or_b32 exec_lo, exec_lo, s0
	s_waitcnt lgkmcnt(0)
	s_waitcnt_vscnt null, 0x0
	s_barrier
	buffer_gl0_inv
	s_clause 0x8
	scratch_load_b128 v[87:90], off, off offset:28
	scratch_load_b128 v[91:94], off, off offset:44
	;; [unrolled: 1-line block ×8, first 2 shown]
	scratch_load_b96 v[127:129], off, off offset:156
	ds_load_b128 v[119:122], v86 offset:208
	ds_load_b128 v[123:126], v86 offset:224
	s_mov_b32 s0, exec_lo
	s_waitcnt vmcnt(8) lgkmcnt(1)
	v_fma_f32 v119, v88, v119, 0
	s_delay_alu instid0(VALU_DEP_1) | instskip(NEXT) | instid1(VALU_DEP_1)
	v_fmac_f32_e32 v119, v89, v120
	v_fmac_f32_e32 v119, v90, v121
	s_waitcnt vmcnt(7)
	s_delay_alu instid0(VALU_DEP_1) | instskip(SKIP_3) | instid1(VALU_DEP_1)
	v_fmac_f32_e32 v119, v91, v122
	ds_load_b128 v[88:91], v86 offset:240
	s_waitcnt lgkmcnt(1)
	v_fmac_f32_e32 v119, v92, v123
	v_fmac_f32_e32 v119, v93, v124
	s_delay_alu instid0(VALU_DEP_1) | instskip(SKIP_1) | instid1(VALU_DEP_1)
	v_fmac_f32_e32 v119, v94, v125
	s_waitcnt vmcnt(6)
	v_fmac_f32_e32 v119, v95, v126
	ds_load_b128 v[92:95], v86 offset:256
	s_waitcnt lgkmcnt(1)
	v_fmac_f32_e32 v119, v96, v88
	s_delay_alu instid0(VALU_DEP_1) | instskip(NEXT) | instid1(VALU_DEP_1)
	v_fmac_f32_e32 v119, v97, v89
	v_fmac_f32_e32 v119, v98, v90
	s_waitcnt vmcnt(5)
	s_delay_alu instid0(VALU_DEP_1) | instskip(SKIP_3) | instid1(VALU_DEP_1)
	v_fmac_f32_e32 v119, v99, v91
	ds_load_b128 v[88:91], v86 offset:272
	s_waitcnt lgkmcnt(1)
	v_fmac_f32_e32 v119, v100, v92
	v_fmac_f32_e32 v119, v101, v93
	s_delay_alu instid0(VALU_DEP_1) | instskip(SKIP_1) | instid1(VALU_DEP_1)
	v_fmac_f32_e32 v119, v102, v94
	s_waitcnt vmcnt(4)
	v_fmac_f32_e32 v119, v103, v95
	ds_load_b128 v[92:95], v86 offset:288
	s_waitcnt lgkmcnt(1)
	v_fmac_f32_e32 v119, v104, v88
	;; [unrolled: 17-line block ×3, first 2 shown]
	s_delay_alu instid0(VALU_DEP_1) | instskip(SKIP_3) | instid1(VALU_DEP_1)
	v_fmac_f32_e32 v119, v113, v89
	ds_load_b64 v[88:89], v86 offset:336
	v_fmac_f32_e32 v119, v114, v90
	s_waitcnt vmcnt(1)
	v_fmac_f32_e32 v119, v115, v91
	s_waitcnt lgkmcnt(1)
	s_delay_alu instid0(VALU_DEP_1) | instskip(NEXT) | instid1(VALU_DEP_1)
	v_fmac_f32_e32 v119, v116, v92
	v_fmac_f32_e32 v119, v117, v93
	s_delay_alu instid0(VALU_DEP_1) | instskip(SKIP_1) | instid1(VALU_DEP_1)
	v_fmac_f32_e32 v119, v118, v94
	s_waitcnt vmcnt(0)
	v_fmac_f32_e32 v119, v127, v95
	s_waitcnt lgkmcnt(0)
	s_delay_alu instid0(VALU_DEP_1) | instskip(NEXT) | instid1(VALU_DEP_1)
	v_fmac_f32_e32 v119, v128, v88
	v_fmac_f32_e32 v119, v129, v89
	s_delay_alu instid0(VALU_DEP_1)
	v_sub_f32_e32 v86, v87, v119
	scratch_store_b32 off, v86, off offset:28
	v_cmpx_lt_u32_e32 6, v0
	s_cbranch_execz .LBB105_247
; %bb.246:
	scratch_load_b32 v86, off, off offset:24
	v_mov_b32_e32 v87, 0
	scratch_store_b32 off, v87, off offset:24
	s_waitcnt vmcnt(0)
	ds_store_b32 v85, v86
.LBB105_247:
	s_or_b32 exec_lo, exec_lo, s0
	s_waitcnt lgkmcnt(0)
	s_waitcnt_vscnt null, 0x0
	s_barrier
	buffer_gl0_inv
	s_clause 0x8
	scratch_load_b128 v[87:90], off, off offset:24
	scratch_load_b128 v[91:94], off, off offset:40
	;; [unrolled: 1-line block ×9, first 2 shown]
	v_mov_b32_e32 v86, 0
	ds_load_2addr_b32 v[123:124], v86 offset0:51 offset1:52
	ds_load_2addr_b32 v[125:126], v86 offset0:53 offset1:54
	;; [unrolled: 1-line block ×4, first 2 shown]
	s_mov_b32 s0, exec_lo
	s_waitcnt vmcnt(8) lgkmcnt(3)
	v_fma_f32 v123, v88, v123, 0
	s_delay_alu instid0(VALU_DEP_1) | instskip(SKIP_4) | instid1(VALU_DEP_1)
	v_fmac_f32_e32 v123, v89, v124
	ds_load_2addr_b32 v[88:89], v86 offset0:59 offset1:60
	s_waitcnt lgkmcnt(3)
	v_fmac_f32_e32 v123, v90, v125
	s_waitcnt vmcnt(7)
	v_fmac_f32_e32 v123, v91, v126
	ds_load_2addr_b32 v[90:91], v86 offset0:61 offset1:62
	s_waitcnt lgkmcnt(3)
	v_fmac_f32_e32 v123, v92, v127
	s_delay_alu instid0(VALU_DEP_1) | instskip(SKIP_1) | instid1(VALU_DEP_1)
	v_fmac_f32_e32 v123, v93, v128
	s_waitcnt lgkmcnt(2)
	v_fmac_f32_e32 v123, v94, v129
	s_waitcnt vmcnt(6)
	s_delay_alu instid0(VALU_DEP_1) | instskip(SKIP_4) | instid1(VALU_DEP_1)
	v_fmac_f32_e32 v123, v95, v130
	ds_load_2addr_b32 v[92:93], v86 offset0:63 offset1:64
	ds_load_2addr_b32 v[94:95], v86 offset0:65 offset1:66
	s_waitcnt lgkmcnt(3)
	v_fmac_f32_e32 v123, v96, v88
	v_fmac_f32_e32 v123, v97, v89
	ds_load_2addr_b32 v[88:89], v86 offset0:67 offset1:68
	s_waitcnt lgkmcnt(3)
	v_fmac_f32_e32 v123, v98, v90
	s_waitcnt vmcnt(5)
	s_delay_alu instid0(VALU_DEP_1) | instskip(SKIP_3) | instid1(VALU_DEP_1)
	v_fmac_f32_e32 v123, v99, v91
	ds_load_2addr_b32 v[90:91], v86 offset0:69 offset1:70
	s_waitcnt lgkmcnt(3)
	v_fmac_f32_e32 v123, v100, v92
	v_fmac_f32_e32 v123, v101, v93
	s_waitcnt lgkmcnt(2)
	s_delay_alu instid0(VALU_DEP_1) | instskip(SKIP_1) | instid1(VALU_DEP_1)
	v_fmac_f32_e32 v123, v102, v94
	s_waitcnt vmcnt(4)
	v_fmac_f32_e32 v123, v103, v95
	ds_load_2addr_b32 v[92:93], v86 offset0:71 offset1:72
	ds_load_2addr_b32 v[94:95], v86 offset0:73 offset1:74
	s_waitcnt lgkmcnt(3)
	v_fmac_f32_e32 v123, v104, v88
	s_delay_alu instid0(VALU_DEP_1) | instskip(SKIP_4) | instid1(VALU_DEP_1)
	v_fmac_f32_e32 v123, v105, v89
	ds_load_2addr_b32 v[88:89], v86 offset0:75 offset1:76
	s_waitcnt lgkmcnt(3)
	v_fmac_f32_e32 v123, v106, v90
	s_waitcnt vmcnt(3)
	v_fmac_f32_e32 v123, v107, v91
	ds_load_2addr_b32 v[90:91], v86 offset0:77 offset1:78
	s_waitcnt lgkmcnt(3)
	v_fmac_f32_e32 v123, v108, v92
	s_delay_alu instid0(VALU_DEP_1) | instskip(SKIP_1) | instid1(VALU_DEP_1)
	v_fmac_f32_e32 v123, v109, v93
	s_waitcnt lgkmcnt(2)
	v_fmac_f32_e32 v123, v110, v94
	s_waitcnt vmcnt(2)
	s_delay_alu instid0(VALU_DEP_1) | instskip(SKIP_4) | instid1(VALU_DEP_1)
	v_fmac_f32_e32 v123, v111, v95
	ds_load_2addr_b32 v[92:93], v86 offset0:79 offset1:80
	ds_load_2addr_b32 v[94:95], v86 offset0:81 offset1:82
	s_waitcnt lgkmcnt(3)
	v_fmac_f32_e32 v123, v112, v88
	v_fmac_f32_e32 v123, v113, v89
	ds_load_2addr_b32 v[88:89], v86 offset0:83 offset1:84
	s_waitcnt lgkmcnt(3)
	v_fmac_f32_e32 v123, v114, v90
	ds_load_b32 v90, v86 offset:340
	s_waitcnt vmcnt(1)
	v_fmac_f32_e32 v123, v115, v91
	s_waitcnt lgkmcnt(3)
	s_delay_alu instid0(VALU_DEP_1) | instskip(NEXT) | instid1(VALU_DEP_1)
	v_fmac_f32_e32 v123, v116, v92
	v_fmac_f32_e32 v123, v117, v93
	s_waitcnt lgkmcnt(2)
	s_delay_alu instid0(VALU_DEP_1) | instskip(SKIP_1) | instid1(VALU_DEP_1)
	v_fmac_f32_e32 v123, v118, v94
	s_waitcnt vmcnt(0)
	v_fmac_f32_e32 v123, v119, v95
	s_waitcnt lgkmcnt(1)
	s_delay_alu instid0(VALU_DEP_1) | instskip(NEXT) | instid1(VALU_DEP_1)
	v_fmac_f32_e32 v123, v120, v88
	v_fmac_f32_e32 v123, v121, v89
	s_waitcnt lgkmcnt(0)
	s_delay_alu instid0(VALU_DEP_1) | instskip(NEXT) | instid1(VALU_DEP_1)
	v_fmac_f32_e32 v123, v122, v90
	v_sub_f32_e32 v87, v87, v123
	scratch_store_b32 off, v87, off offset:24
	v_cmpx_lt_u32_e32 5, v0
	s_cbranch_execz .LBB105_249
; %bb.248:
	scratch_load_b32 v87, off, off offset:20
	scratch_store_b32 off, v86, off offset:20
	s_waitcnt vmcnt(0)
	ds_store_b32 v85, v87
.LBB105_249:
	s_or_b32 exec_lo, exec_lo, s0
	s_waitcnt lgkmcnt(0)
	s_waitcnt_vscnt null, 0x0
	s_barrier
	buffer_gl0_inv
	s_clause 0x9
	scratch_load_b128 v[87:90], off, off offset:20
	scratch_load_b128 v[91:94], off, off offset:36
	;; [unrolled: 1-line block ×9, first 2 shown]
	scratch_load_b32 v131, off, off offset:164
	ds_load_2addr_b64 v[123:126], v86 offset0:25 offset1:26
	ds_load_2addr_b64 v[127:130], v86 offset0:27 offset1:28
	s_mov_b32 s0, exec_lo
	s_waitcnt vmcnt(9) lgkmcnt(1)
	v_fma_f32 v123, v88, v123, 0
	s_delay_alu instid0(VALU_DEP_1) | instskip(NEXT) | instid1(VALU_DEP_1)
	v_fmac_f32_e32 v123, v89, v124
	v_fmac_f32_e32 v123, v90, v125
	s_waitcnt vmcnt(8)
	s_delay_alu instid0(VALU_DEP_1) | instskip(SKIP_3) | instid1(VALU_DEP_1)
	v_fmac_f32_e32 v123, v91, v126
	ds_load_2addr_b64 v[88:91], v86 offset0:29 offset1:30
	s_waitcnt lgkmcnt(1)
	v_fmac_f32_e32 v123, v92, v127
	v_fmac_f32_e32 v123, v93, v128
	s_delay_alu instid0(VALU_DEP_1) | instskip(SKIP_1) | instid1(VALU_DEP_1)
	v_fmac_f32_e32 v123, v94, v129
	s_waitcnt vmcnt(7)
	v_fmac_f32_e32 v123, v95, v130
	ds_load_2addr_b64 v[92:95], v86 offset0:31 offset1:32
	s_waitcnt lgkmcnt(1)
	v_fmac_f32_e32 v123, v96, v88
	s_delay_alu instid0(VALU_DEP_1) | instskip(NEXT) | instid1(VALU_DEP_1)
	v_fmac_f32_e32 v123, v97, v89
	v_fmac_f32_e32 v123, v98, v90
	s_waitcnt vmcnt(6)
	s_delay_alu instid0(VALU_DEP_1) | instskip(SKIP_3) | instid1(VALU_DEP_1)
	v_fmac_f32_e32 v123, v99, v91
	ds_load_2addr_b64 v[88:91], v86 offset0:33 offset1:34
	s_waitcnt lgkmcnt(1)
	v_fmac_f32_e32 v123, v100, v92
	v_fmac_f32_e32 v123, v101, v93
	s_delay_alu instid0(VALU_DEP_1) | instskip(SKIP_1) | instid1(VALU_DEP_1)
	v_fmac_f32_e32 v123, v102, v94
	s_waitcnt vmcnt(5)
	v_fmac_f32_e32 v123, v103, v95
	ds_load_2addr_b64 v[92:95], v86 offset0:35 offset1:36
	s_waitcnt lgkmcnt(1)
	v_fmac_f32_e32 v123, v104, v88
	;; [unrolled: 17-line block ×3, first 2 shown]
	s_delay_alu instid0(VALU_DEP_1) | instskip(NEXT) | instid1(VALU_DEP_1)
	v_fmac_f32_e32 v123, v113, v89
	v_fmac_f32_e32 v123, v114, v90
	s_waitcnt vmcnt(2)
	s_delay_alu instid0(VALU_DEP_1) | instskip(SKIP_3) | instid1(VALU_DEP_1)
	v_fmac_f32_e32 v123, v115, v91
	ds_load_2addr_b64 v[88:91], v86 offset0:41 offset1:42
	s_waitcnt lgkmcnt(1)
	v_fmac_f32_e32 v123, v116, v92
	v_fmac_f32_e32 v123, v117, v93
	s_delay_alu instid0(VALU_DEP_1) | instskip(SKIP_1) | instid1(VALU_DEP_1)
	v_fmac_f32_e32 v123, v118, v94
	s_waitcnt vmcnt(1)
	v_fmac_f32_e32 v123, v119, v95
	s_waitcnt lgkmcnt(0)
	s_delay_alu instid0(VALU_DEP_1) | instskip(NEXT) | instid1(VALU_DEP_1)
	v_fmac_f32_e32 v123, v120, v88
	v_fmac_f32_e32 v123, v121, v89
	s_delay_alu instid0(VALU_DEP_1) | instskip(SKIP_1) | instid1(VALU_DEP_1)
	v_fmac_f32_e32 v123, v122, v90
	s_waitcnt vmcnt(0)
	v_fmac_f32_e32 v123, v131, v91
	s_delay_alu instid0(VALU_DEP_1)
	v_sub_f32_e32 v86, v87, v123
	scratch_store_b32 off, v86, off offset:20
	v_cmpx_lt_u32_e32 4, v0
	s_cbranch_execz .LBB105_251
; %bb.250:
	scratch_load_b32 v86, off, off offset:16
	v_mov_b32_e32 v87, 0
	scratch_store_b32 off, v87, off offset:16
	s_waitcnt vmcnt(0)
	ds_store_b32 v85, v86
.LBB105_251:
	s_or_b32 exec_lo, exec_lo, s0
	s_waitcnt lgkmcnt(0)
	s_waitcnt_vscnt null, 0x0
	s_barrier
	buffer_gl0_inv
	s_clause 0x9
	scratch_load_b128 v[87:90], off, off offset:16
	scratch_load_b128 v[91:94], off, off offset:32
	;; [unrolled: 1-line block ×9, first 2 shown]
	scratch_load_b64 v[123:124], off, off offset:160
	v_mov_b32_e32 v86, 0
	ds_load_2addr_b32 v[125:126], v86 offset0:49 offset1:50
	ds_load_2addr_b32 v[127:128], v86 offset0:51 offset1:52
	;; [unrolled: 1-line block ×4, first 2 shown]
	s_mov_b32 s0, exec_lo
	s_waitcnt vmcnt(9) lgkmcnt(3)
	v_fma_f32 v125, v88, v125, 0
	s_delay_alu instid0(VALU_DEP_1) | instskip(SKIP_4) | instid1(VALU_DEP_1)
	v_fmac_f32_e32 v125, v89, v126
	ds_load_2addr_b32 v[88:89], v86 offset0:57 offset1:58
	s_waitcnt lgkmcnt(3)
	v_fmac_f32_e32 v125, v90, v127
	s_waitcnt vmcnt(8)
	v_fmac_f32_e32 v125, v91, v128
	ds_load_2addr_b32 v[90:91], v86 offset0:59 offset1:60
	s_waitcnt lgkmcnt(3)
	v_fmac_f32_e32 v125, v92, v129
	s_delay_alu instid0(VALU_DEP_1) | instskip(SKIP_1) | instid1(VALU_DEP_1)
	v_fmac_f32_e32 v125, v93, v130
	s_waitcnt lgkmcnt(2)
	v_fmac_f32_e32 v125, v94, v131
	s_waitcnt vmcnt(7)
	s_delay_alu instid0(VALU_DEP_1) | instskip(SKIP_4) | instid1(VALU_DEP_1)
	v_fmac_f32_e32 v125, v95, v132
	ds_load_2addr_b32 v[92:93], v86 offset0:61 offset1:62
	ds_load_2addr_b32 v[94:95], v86 offset0:63 offset1:64
	s_waitcnt lgkmcnt(3)
	v_fmac_f32_e32 v125, v96, v88
	v_fmac_f32_e32 v125, v97, v89
	ds_load_2addr_b32 v[88:89], v86 offset0:65 offset1:66
	s_waitcnt lgkmcnt(3)
	v_fmac_f32_e32 v125, v98, v90
	s_waitcnt vmcnt(6)
	s_delay_alu instid0(VALU_DEP_1) | instskip(SKIP_3) | instid1(VALU_DEP_1)
	v_fmac_f32_e32 v125, v99, v91
	ds_load_2addr_b32 v[90:91], v86 offset0:67 offset1:68
	s_waitcnt lgkmcnt(3)
	v_fmac_f32_e32 v125, v100, v92
	v_fmac_f32_e32 v125, v101, v93
	s_waitcnt lgkmcnt(2)
	s_delay_alu instid0(VALU_DEP_1) | instskip(SKIP_1) | instid1(VALU_DEP_1)
	v_fmac_f32_e32 v125, v102, v94
	s_waitcnt vmcnt(5)
	v_fmac_f32_e32 v125, v103, v95
	ds_load_2addr_b32 v[92:93], v86 offset0:69 offset1:70
	ds_load_2addr_b32 v[94:95], v86 offset0:71 offset1:72
	s_waitcnt lgkmcnt(3)
	v_fmac_f32_e32 v125, v104, v88
	s_delay_alu instid0(VALU_DEP_1) | instskip(SKIP_4) | instid1(VALU_DEP_1)
	v_fmac_f32_e32 v125, v105, v89
	ds_load_2addr_b32 v[88:89], v86 offset0:73 offset1:74
	s_waitcnt lgkmcnt(3)
	v_fmac_f32_e32 v125, v106, v90
	s_waitcnt vmcnt(4)
	v_fmac_f32_e32 v125, v107, v91
	ds_load_2addr_b32 v[90:91], v86 offset0:75 offset1:76
	s_waitcnt lgkmcnt(3)
	v_fmac_f32_e32 v125, v108, v92
	s_delay_alu instid0(VALU_DEP_1) | instskip(SKIP_1) | instid1(VALU_DEP_1)
	v_fmac_f32_e32 v125, v109, v93
	s_waitcnt lgkmcnt(2)
	v_fmac_f32_e32 v125, v110, v94
	s_waitcnt vmcnt(3)
	s_delay_alu instid0(VALU_DEP_1) | instskip(SKIP_4) | instid1(VALU_DEP_1)
	v_fmac_f32_e32 v125, v111, v95
	ds_load_2addr_b32 v[92:93], v86 offset0:77 offset1:78
	ds_load_2addr_b32 v[94:95], v86 offset0:79 offset1:80
	s_waitcnt lgkmcnt(3)
	v_fmac_f32_e32 v125, v112, v88
	v_fmac_f32_e32 v125, v113, v89
	ds_load_2addr_b32 v[88:89], v86 offset0:81 offset1:82
	s_waitcnt lgkmcnt(3)
	v_fmac_f32_e32 v125, v114, v90
	s_waitcnt vmcnt(2)
	s_delay_alu instid0(VALU_DEP_1)
	v_fmac_f32_e32 v125, v115, v91
	ds_load_2addr_b32 v[90:91], v86 offset0:83 offset1:84
	s_waitcnt lgkmcnt(3)
	v_fmac_f32_e32 v125, v116, v92
	ds_load_b32 v92, v86 offset:340
	v_fmac_f32_e32 v125, v117, v93
	s_waitcnt lgkmcnt(3)
	s_delay_alu instid0(VALU_DEP_1) | instskip(SKIP_1) | instid1(VALU_DEP_1)
	v_fmac_f32_e32 v125, v118, v94
	s_waitcnt vmcnt(1)
	v_fmac_f32_e32 v125, v119, v95
	s_waitcnt lgkmcnt(2)
	s_delay_alu instid0(VALU_DEP_1) | instskip(NEXT) | instid1(VALU_DEP_1)
	v_fmac_f32_e32 v125, v120, v88
	v_fmac_f32_e32 v125, v121, v89
	s_waitcnt lgkmcnt(1)
	s_delay_alu instid0(VALU_DEP_1) | instskip(SKIP_1) | instid1(VALU_DEP_1)
	v_fmac_f32_e32 v125, v122, v90
	s_waitcnt vmcnt(0)
	v_fmac_f32_e32 v125, v123, v91
	s_waitcnt lgkmcnt(0)
	s_delay_alu instid0(VALU_DEP_1) | instskip(NEXT) | instid1(VALU_DEP_1)
	v_fmac_f32_e32 v125, v124, v92
	v_sub_f32_e32 v87, v87, v125
	scratch_store_b32 off, v87, off offset:16
	v_cmpx_lt_u32_e32 3, v0
	s_cbranch_execz .LBB105_253
; %bb.252:
	scratch_load_b32 v87, off, off offset:12
	scratch_store_b32 off, v86, off offset:12
	s_waitcnt vmcnt(0)
	ds_store_b32 v85, v87
.LBB105_253:
	s_or_b32 exec_lo, exec_lo, s0
	s_waitcnt lgkmcnt(0)
	s_waitcnt_vscnt null, 0x0
	s_barrier
	buffer_gl0_inv
	s_clause 0x9
	scratch_load_b128 v[87:90], off, off offset:12
	scratch_load_b128 v[91:94], off, off offset:28
	scratch_load_b128 v[95:98], off, off offset:44
	scratch_load_b128 v[99:102], off, off offset:60
	scratch_load_b128 v[103:106], off, off offset:76
	scratch_load_b128 v[107:110], off, off offset:92
	scratch_load_b128 v[111:114], off, off offset:108
	scratch_load_b128 v[115:118], off, off offset:124
	scratch_load_b128 v[119:122], off, off offset:140
	scratch_load_b96 v[131:133], off, off offset:156
	ds_load_b128 v[123:126], v86 offset:192
	ds_load_b128 v[127:130], v86 offset:208
	s_mov_b32 s0, exec_lo
	s_waitcnt vmcnt(9) lgkmcnt(1)
	v_fma_f32 v123, v88, v123, 0
	s_delay_alu instid0(VALU_DEP_1) | instskip(NEXT) | instid1(VALU_DEP_1)
	v_fmac_f32_e32 v123, v89, v124
	v_fmac_f32_e32 v123, v90, v125
	s_waitcnt vmcnt(8)
	s_delay_alu instid0(VALU_DEP_1) | instskip(SKIP_3) | instid1(VALU_DEP_1)
	v_fmac_f32_e32 v123, v91, v126
	ds_load_b128 v[88:91], v86 offset:224
	s_waitcnt lgkmcnt(1)
	v_fmac_f32_e32 v123, v92, v127
	v_fmac_f32_e32 v123, v93, v128
	s_delay_alu instid0(VALU_DEP_1) | instskip(SKIP_1) | instid1(VALU_DEP_1)
	v_fmac_f32_e32 v123, v94, v129
	s_waitcnt vmcnt(7)
	v_fmac_f32_e32 v123, v95, v130
	ds_load_b128 v[92:95], v86 offset:240
	s_waitcnt lgkmcnt(1)
	v_fmac_f32_e32 v123, v96, v88
	s_delay_alu instid0(VALU_DEP_1) | instskip(NEXT) | instid1(VALU_DEP_1)
	v_fmac_f32_e32 v123, v97, v89
	v_fmac_f32_e32 v123, v98, v90
	s_waitcnt vmcnt(6)
	s_delay_alu instid0(VALU_DEP_1) | instskip(SKIP_3) | instid1(VALU_DEP_1)
	v_fmac_f32_e32 v123, v99, v91
	ds_load_b128 v[88:91], v86 offset:256
	s_waitcnt lgkmcnt(1)
	v_fmac_f32_e32 v123, v100, v92
	v_fmac_f32_e32 v123, v101, v93
	s_delay_alu instid0(VALU_DEP_1) | instskip(SKIP_1) | instid1(VALU_DEP_1)
	v_fmac_f32_e32 v123, v102, v94
	s_waitcnt vmcnt(5)
	v_fmac_f32_e32 v123, v103, v95
	ds_load_b128 v[92:95], v86 offset:272
	s_waitcnt lgkmcnt(1)
	v_fmac_f32_e32 v123, v104, v88
	;; [unrolled: 17-line block ×3, first 2 shown]
	s_delay_alu instid0(VALU_DEP_1) | instskip(NEXT) | instid1(VALU_DEP_1)
	v_fmac_f32_e32 v123, v113, v89
	v_fmac_f32_e32 v123, v114, v90
	s_waitcnt vmcnt(2)
	s_delay_alu instid0(VALU_DEP_1) | instskip(SKIP_3) | instid1(VALU_DEP_1)
	v_fmac_f32_e32 v123, v115, v91
	ds_load_b128 v[88:91], v86 offset:320
	s_waitcnt lgkmcnt(1)
	v_fmac_f32_e32 v123, v116, v92
	v_fmac_f32_e32 v123, v117, v93
	ds_load_b64 v[92:93], v86 offset:336
	v_fmac_f32_e32 v123, v118, v94
	s_waitcnt vmcnt(1)
	s_delay_alu instid0(VALU_DEP_1) | instskip(SKIP_1) | instid1(VALU_DEP_1)
	v_fmac_f32_e32 v123, v119, v95
	s_waitcnt lgkmcnt(1)
	v_fmac_f32_e32 v123, v120, v88
	s_delay_alu instid0(VALU_DEP_1) | instskip(NEXT) | instid1(VALU_DEP_1)
	v_fmac_f32_e32 v123, v121, v89
	v_fmac_f32_e32 v123, v122, v90
	s_waitcnt vmcnt(0)
	s_delay_alu instid0(VALU_DEP_1) | instskip(SKIP_1) | instid1(VALU_DEP_1)
	v_fmac_f32_e32 v123, v131, v91
	s_waitcnt lgkmcnt(0)
	v_fmac_f32_e32 v123, v132, v92
	s_delay_alu instid0(VALU_DEP_1) | instskip(NEXT) | instid1(VALU_DEP_1)
	v_fmac_f32_e32 v123, v133, v93
	v_sub_f32_e32 v86, v87, v123
	scratch_store_b32 off, v86, off offset:12
	v_cmpx_lt_u32_e32 2, v0
	s_cbranch_execz .LBB105_255
; %bb.254:
	scratch_load_b32 v86, off, off offset:8
	v_mov_b32_e32 v87, 0
	scratch_store_b32 off, v87, off offset:8
	s_waitcnt vmcnt(0)
	ds_store_b32 v85, v86
.LBB105_255:
	s_or_b32 exec_lo, exec_lo, s0
	s_waitcnt lgkmcnt(0)
	s_waitcnt_vscnt null, 0x0
	s_barrier
	buffer_gl0_inv
	s_clause 0x9
	scratch_load_b128 v[87:90], off, off offset:8
	scratch_load_b128 v[91:94], off, off offset:24
	;; [unrolled: 1-line block ×10, first 2 shown]
	v_mov_b32_e32 v86, 0
	ds_load_2addr_b32 v[127:128], v86 offset0:47 offset1:48
	ds_load_2addr_b32 v[129:130], v86 offset0:49 offset1:50
	;; [unrolled: 1-line block ×4, first 2 shown]
	s_mov_b32 s0, exec_lo
	s_waitcnt vmcnt(9) lgkmcnt(3)
	v_fma_f32 v127, v88, v127, 0
	s_delay_alu instid0(VALU_DEP_1) | instskip(SKIP_4) | instid1(VALU_DEP_1)
	v_fmac_f32_e32 v127, v89, v128
	ds_load_2addr_b32 v[88:89], v86 offset0:55 offset1:56
	s_waitcnt lgkmcnt(3)
	v_fmac_f32_e32 v127, v90, v129
	s_waitcnt vmcnt(8)
	v_fmac_f32_e32 v127, v91, v130
	ds_load_2addr_b32 v[90:91], v86 offset0:57 offset1:58
	s_waitcnt lgkmcnt(3)
	v_fmac_f32_e32 v127, v92, v131
	s_delay_alu instid0(VALU_DEP_1) | instskip(SKIP_1) | instid1(VALU_DEP_1)
	v_fmac_f32_e32 v127, v93, v132
	s_waitcnt lgkmcnt(2)
	v_fmac_f32_e32 v127, v94, v133
	s_waitcnt vmcnt(7)
	s_delay_alu instid0(VALU_DEP_1) | instskip(SKIP_4) | instid1(VALU_DEP_1)
	v_fmac_f32_e32 v127, v95, v134
	ds_load_2addr_b32 v[92:93], v86 offset0:59 offset1:60
	ds_load_2addr_b32 v[94:95], v86 offset0:61 offset1:62
	s_waitcnt lgkmcnt(3)
	v_fmac_f32_e32 v127, v96, v88
	v_fmac_f32_e32 v127, v97, v89
	ds_load_2addr_b32 v[88:89], v86 offset0:63 offset1:64
	s_waitcnt lgkmcnt(3)
	v_fmac_f32_e32 v127, v98, v90
	s_waitcnt vmcnt(6)
	s_delay_alu instid0(VALU_DEP_1) | instskip(SKIP_3) | instid1(VALU_DEP_1)
	v_fmac_f32_e32 v127, v99, v91
	ds_load_2addr_b32 v[90:91], v86 offset0:65 offset1:66
	s_waitcnt lgkmcnt(3)
	v_fmac_f32_e32 v127, v100, v92
	v_fmac_f32_e32 v127, v101, v93
	s_waitcnt lgkmcnt(2)
	s_delay_alu instid0(VALU_DEP_1) | instskip(SKIP_1) | instid1(VALU_DEP_1)
	v_fmac_f32_e32 v127, v102, v94
	s_waitcnt vmcnt(5)
	v_fmac_f32_e32 v127, v103, v95
	ds_load_2addr_b32 v[92:93], v86 offset0:67 offset1:68
	ds_load_2addr_b32 v[94:95], v86 offset0:69 offset1:70
	s_waitcnt lgkmcnt(3)
	v_fmac_f32_e32 v127, v104, v88
	s_delay_alu instid0(VALU_DEP_1) | instskip(SKIP_4) | instid1(VALU_DEP_1)
	v_fmac_f32_e32 v127, v105, v89
	ds_load_2addr_b32 v[88:89], v86 offset0:71 offset1:72
	s_waitcnt lgkmcnt(3)
	v_fmac_f32_e32 v127, v106, v90
	s_waitcnt vmcnt(4)
	v_fmac_f32_e32 v127, v107, v91
	ds_load_2addr_b32 v[90:91], v86 offset0:73 offset1:74
	s_waitcnt lgkmcnt(3)
	v_fmac_f32_e32 v127, v108, v92
	s_delay_alu instid0(VALU_DEP_1) | instskip(SKIP_1) | instid1(VALU_DEP_1)
	v_fmac_f32_e32 v127, v109, v93
	s_waitcnt lgkmcnt(2)
	v_fmac_f32_e32 v127, v110, v94
	s_waitcnt vmcnt(3)
	s_delay_alu instid0(VALU_DEP_1) | instskip(SKIP_4) | instid1(VALU_DEP_1)
	v_fmac_f32_e32 v127, v111, v95
	ds_load_2addr_b32 v[92:93], v86 offset0:75 offset1:76
	ds_load_2addr_b32 v[94:95], v86 offset0:77 offset1:78
	s_waitcnt lgkmcnt(3)
	v_fmac_f32_e32 v127, v112, v88
	v_fmac_f32_e32 v127, v113, v89
	ds_load_2addr_b32 v[88:89], v86 offset0:79 offset1:80
	s_waitcnt lgkmcnt(3)
	v_fmac_f32_e32 v127, v114, v90
	s_waitcnt vmcnt(2)
	s_delay_alu instid0(VALU_DEP_1) | instskip(SKIP_3) | instid1(VALU_DEP_1)
	v_fmac_f32_e32 v127, v115, v91
	ds_load_2addr_b32 v[90:91], v86 offset0:81 offset1:82
	s_waitcnt lgkmcnt(3)
	v_fmac_f32_e32 v127, v116, v92
	v_fmac_f32_e32 v127, v117, v93
	s_waitcnt lgkmcnt(2)
	s_delay_alu instid0(VALU_DEP_1)
	v_fmac_f32_e32 v127, v118, v94
	ds_load_2addr_b32 v[92:93], v86 offset0:83 offset1:84
	ds_load_b32 v94, v86 offset:340
	s_waitcnt vmcnt(1)
	v_fmac_f32_e32 v127, v119, v95
	s_waitcnt lgkmcnt(3)
	s_delay_alu instid0(VALU_DEP_1) | instskip(NEXT) | instid1(VALU_DEP_1)
	v_fmac_f32_e32 v127, v120, v88
	v_fmac_f32_e32 v127, v121, v89
	s_waitcnt lgkmcnt(2)
	s_delay_alu instid0(VALU_DEP_1) | instskip(SKIP_1) | instid1(VALU_DEP_1)
	v_fmac_f32_e32 v127, v122, v90
	s_waitcnt vmcnt(0)
	v_fmac_f32_e32 v127, v123, v91
	s_waitcnt lgkmcnt(1)
	s_delay_alu instid0(VALU_DEP_1) | instskip(NEXT) | instid1(VALU_DEP_1)
	v_fmac_f32_e32 v127, v124, v92
	v_fmac_f32_e32 v127, v125, v93
	s_waitcnt lgkmcnt(0)
	s_delay_alu instid0(VALU_DEP_1) | instskip(NEXT) | instid1(VALU_DEP_1)
	v_fmac_f32_e32 v127, v126, v94
	v_sub_f32_e32 v87, v87, v127
	scratch_store_b32 off, v87, off offset:8
	v_cmpx_lt_u32_e32 1, v0
	s_cbranch_execz .LBB105_257
; %bb.256:
	scratch_load_b32 v87, off, off offset:4
	scratch_store_b32 off, v86, off offset:4
	s_waitcnt vmcnt(0)
	ds_store_b32 v85, v87
.LBB105_257:
	s_or_b32 exec_lo, exec_lo, s0
	s_waitcnt lgkmcnt(0)
	s_waitcnt_vscnt null, 0x0
	s_barrier
	buffer_gl0_inv
	s_clause 0xa
	scratch_load_b128 v[87:90], off, off offset:4
	scratch_load_b128 v[91:94], off, off offset:20
	scratch_load_b128 v[95:98], off, off offset:36
	scratch_load_b128 v[99:102], off, off offset:52
	scratch_load_b128 v[103:106], off, off offset:68
	scratch_load_b128 v[107:110], off, off offset:84
	scratch_load_b128 v[111:114], off, off offset:100
	scratch_load_b128 v[115:118], off, off offset:116
	scratch_load_b128 v[119:122], off, off offset:132
	scratch_load_b128 v[123:126], off, off offset:148
	scratch_load_b32 v135, off, off offset:164
	ds_load_2addr_b64 v[127:130], v86 offset0:23 offset1:24
	ds_load_2addr_b64 v[131:134], v86 offset0:25 offset1:26
	s_mov_b32 s0, exec_lo
	s_waitcnt vmcnt(10) lgkmcnt(1)
	v_fma_f32 v127, v88, v127, 0
	s_delay_alu instid0(VALU_DEP_1) | instskip(NEXT) | instid1(VALU_DEP_1)
	v_fmac_f32_e32 v127, v89, v128
	v_fmac_f32_e32 v127, v90, v129
	s_waitcnt vmcnt(9)
	s_delay_alu instid0(VALU_DEP_1) | instskip(SKIP_3) | instid1(VALU_DEP_1)
	v_fmac_f32_e32 v127, v91, v130
	ds_load_2addr_b64 v[88:91], v86 offset0:27 offset1:28
	s_waitcnt lgkmcnt(1)
	v_fmac_f32_e32 v127, v92, v131
	v_fmac_f32_e32 v127, v93, v132
	s_delay_alu instid0(VALU_DEP_1) | instskip(SKIP_1) | instid1(VALU_DEP_1)
	v_fmac_f32_e32 v127, v94, v133
	s_waitcnt vmcnt(8)
	v_fmac_f32_e32 v127, v95, v134
	ds_load_2addr_b64 v[92:95], v86 offset0:29 offset1:30
	s_waitcnt lgkmcnt(1)
	v_fmac_f32_e32 v127, v96, v88
	s_delay_alu instid0(VALU_DEP_1) | instskip(NEXT) | instid1(VALU_DEP_1)
	v_fmac_f32_e32 v127, v97, v89
	v_fmac_f32_e32 v127, v98, v90
	s_waitcnt vmcnt(7)
	s_delay_alu instid0(VALU_DEP_1) | instskip(SKIP_3) | instid1(VALU_DEP_1)
	v_fmac_f32_e32 v127, v99, v91
	ds_load_2addr_b64 v[88:91], v86 offset0:31 offset1:32
	s_waitcnt lgkmcnt(1)
	v_fmac_f32_e32 v127, v100, v92
	v_fmac_f32_e32 v127, v101, v93
	s_delay_alu instid0(VALU_DEP_1) | instskip(SKIP_1) | instid1(VALU_DEP_1)
	v_fmac_f32_e32 v127, v102, v94
	s_waitcnt vmcnt(6)
	v_fmac_f32_e32 v127, v103, v95
	ds_load_2addr_b64 v[92:95], v86 offset0:33 offset1:34
	s_waitcnt lgkmcnt(1)
	v_fmac_f32_e32 v127, v104, v88
	;; [unrolled: 17-line block ×4, first 2 shown]
	s_delay_alu instid0(VALU_DEP_1) | instskip(NEXT) | instid1(VALU_DEP_1)
	v_fmac_f32_e32 v127, v121, v89
	v_fmac_f32_e32 v127, v122, v90
	s_waitcnt vmcnt(1)
	s_delay_alu instid0(VALU_DEP_1) | instskip(SKIP_1) | instid1(VALU_DEP_1)
	v_fmac_f32_e32 v127, v123, v91
	s_waitcnt lgkmcnt(0)
	v_fmac_f32_e32 v127, v124, v92
	s_delay_alu instid0(VALU_DEP_1) | instskip(NEXT) | instid1(VALU_DEP_1)
	v_fmac_f32_e32 v127, v125, v93
	v_fmac_f32_e32 v127, v126, v94
	s_waitcnt vmcnt(0)
	s_delay_alu instid0(VALU_DEP_1) | instskip(NEXT) | instid1(VALU_DEP_1)
	v_fmac_f32_e32 v127, v135, v95
	v_sub_f32_e32 v86, v87, v127
	scratch_store_b32 off, v86, off offset:4
	v_cmpx_ne_u32_e32 0, v0
	s_cbranch_execz .LBB105_259
; %bb.258:
	scratch_load_b32 v0, off, off
	v_mov_b32_e32 v86, 0
	scratch_store_b32 off, v86, off
	s_waitcnt vmcnt(0)
	ds_store_b32 v85, v0
.LBB105_259:
	s_or_b32 exec_lo, exec_lo, s0
	s_waitcnt lgkmcnt(0)
	s_waitcnt_vscnt null, 0x0
	s_barrier
	buffer_gl0_inv
	s_clause 0xa
	scratch_load_b128 v[87:90], off, off
	scratch_load_b128 v[91:94], off, off offset:16
	scratch_load_b128 v[95:98], off, off offset:32
	;; [unrolled: 1-line block ×9, first 2 shown]
	scratch_load_b64 v[85:86], off, off offset:160
	v_mov_b32_e32 v0, 0
	ds_load_2addr_b32 v[127:128], v0 offset0:45 offset1:46
	ds_load_2addr_b32 v[129:130], v0 offset0:47 offset1:48
	;; [unrolled: 1-line block ×4, first 2 shown]
	s_and_b32 vcc_lo, exec_lo, s12
	s_waitcnt vmcnt(10) lgkmcnt(3)
	v_fma_f32 v127, v88, v127, 0
	s_delay_alu instid0(VALU_DEP_1) | instskip(SKIP_4) | instid1(VALU_DEP_1)
	v_fmac_f32_e32 v127, v89, v128
	ds_load_2addr_b32 v[88:89], v0 offset0:53 offset1:54
	s_waitcnt lgkmcnt(3)
	v_fmac_f32_e32 v127, v90, v129
	s_waitcnt vmcnt(9)
	v_fmac_f32_e32 v127, v91, v130
	ds_load_2addr_b32 v[90:91], v0 offset0:55 offset1:56
	s_waitcnt lgkmcnt(3)
	v_fmac_f32_e32 v127, v92, v131
	s_delay_alu instid0(VALU_DEP_1) | instskip(SKIP_1) | instid1(VALU_DEP_1)
	v_fmac_f32_e32 v127, v93, v132
	s_waitcnt lgkmcnt(2)
	v_fmac_f32_e32 v127, v94, v133
	s_waitcnt vmcnt(8)
	s_delay_alu instid0(VALU_DEP_1) | instskip(SKIP_4) | instid1(VALU_DEP_1)
	v_fmac_f32_e32 v127, v95, v134
	ds_load_2addr_b32 v[92:93], v0 offset0:57 offset1:58
	ds_load_2addr_b32 v[94:95], v0 offset0:59 offset1:60
	s_waitcnt lgkmcnt(3)
	v_fmac_f32_e32 v127, v96, v88
	v_fmac_f32_e32 v127, v97, v89
	ds_load_2addr_b32 v[88:89], v0 offset0:61 offset1:62
	s_waitcnt lgkmcnt(3)
	v_fmac_f32_e32 v127, v98, v90
	s_waitcnt vmcnt(7)
	s_delay_alu instid0(VALU_DEP_1) | instskip(SKIP_3) | instid1(VALU_DEP_1)
	v_fmac_f32_e32 v127, v99, v91
	ds_load_2addr_b32 v[90:91], v0 offset0:63 offset1:64
	s_waitcnt lgkmcnt(3)
	v_fmac_f32_e32 v127, v100, v92
	v_fmac_f32_e32 v127, v101, v93
	s_waitcnt lgkmcnt(2)
	s_delay_alu instid0(VALU_DEP_1) | instskip(SKIP_1) | instid1(VALU_DEP_1)
	v_fmac_f32_e32 v127, v102, v94
	s_waitcnt vmcnt(6)
	v_fmac_f32_e32 v127, v103, v95
	ds_load_2addr_b32 v[92:93], v0 offset0:65 offset1:66
	ds_load_2addr_b32 v[94:95], v0 offset0:67 offset1:68
	s_waitcnt lgkmcnt(3)
	v_fmac_f32_e32 v127, v104, v88
	s_delay_alu instid0(VALU_DEP_1) | instskip(SKIP_4) | instid1(VALU_DEP_1)
	v_fmac_f32_e32 v127, v105, v89
	ds_load_2addr_b32 v[88:89], v0 offset0:69 offset1:70
	s_waitcnt lgkmcnt(3)
	v_fmac_f32_e32 v127, v106, v90
	s_waitcnt vmcnt(5)
	v_fmac_f32_e32 v127, v107, v91
	ds_load_2addr_b32 v[90:91], v0 offset0:71 offset1:72
	s_waitcnt lgkmcnt(3)
	v_fmac_f32_e32 v127, v108, v92
	s_delay_alu instid0(VALU_DEP_1) | instskip(SKIP_1) | instid1(VALU_DEP_1)
	v_fmac_f32_e32 v127, v109, v93
	s_waitcnt lgkmcnt(2)
	v_fmac_f32_e32 v127, v110, v94
	s_waitcnt vmcnt(4)
	s_delay_alu instid0(VALU_DEP_1) | instskip(SKIP_4) | instid1(VALU_DEP_1)
	v_fmac_f32_e32 v127, v111, v95
	ds_load_2addr_b32 v[92:93], v0 offset0:73 offset1:74
	ds_load_2addr_b32 v[94:95], v0 offset0:75 offset1:76
	s_waitcnt lgkmcnt(3)
	v_fmac_f32_e32 v127, v112, v88
	v_fmac_f32_e32 v127, v113, v89
	ds_load_2addr_b32 v[88:89], v0 offset0:77 offset1:78
	s_waitcnt lgkmcnt(3)
	v_fmac_f32_e32 v127, v114, v90
	s_waitcnt vmcnt(3)
	s_delay_alu instid0(VALU_DEP_1) | instskip(SKIP_3) | instid1(VALU_DEP_1)
	v_fmac_f32_e32 v127, v115, v91
	ds_load_2addr_b32 v[90:91], v0 offset0:79 offset1:80
	s_waitcnt lgkmcnt(3)
	v_fmac_f32_e32 v127, v116, v92
	v_fmac_f32_e32 v127, v117, v93
	s_waitcnt lgkmcnt(2)
	s_delay_alu instid0(VALU_DEP_1) | instskip(SKIP_1) | instid1(VALU_DEP_1)
	v_fmac_f32_e32 v127, v118, v94
	s_waitcnt vmcnt(2)
	v_fmac_f32_e32 v127, v119, v95
	ds_load_2addr_b32 v[92:93], v0 offset0:81 offset1:82
	ds_load_2addr_b32 v[94:95], v0 offset0:83 offset1:84
	ds_load_b32 v0, v0 offset:340
	s_waitcnt lgkmcnt(4)
	v_fmac_f32_e32 v127, v120, v88
	s_delay_alu instid0(VALU_DEP_1) | instskip(SKIP_1) | instid1(VALU_DEP_1)
	v_fmac_f32_e32 v127, v121, v89
	s_waitcnt lgkmcnt(3)
	v_fmac_f32_e32 v127, v122, v90
	s_waitcnt vmcnt(1)
	s_delay_alu instid0(VALU_DEP_1) | instskip(SKIP_1) | instid1(VALU_DEP_1)
	v_fmac_f32_e32 v127, v123, v91
	s_waitcnt lgkmcnt(2)
	v_fmac_f32_e32 v127, v124, v92
	s_delay_alu instid0(VALU_DEP_1) | instskip(SKIP_1) | instid1(VALU_DEP_1)
	v_fmac_f32_e32 v127, v125, v93
	s_waitcnt lgkmcnt(1)
	v_fmac_f32_e32 v127, v126, v94
	s_waitcnt vmcnt(0)
	s_delay_alu instid0(VALU_DEP_1) | instskip(SKIP_1) | instid1(VALU_DEP_1)
	v_fmac_f32_e32 v127, v85, v95
	s_waitcnt lgkmcnt(0)
	v_fmac_f32_e32 v127, v86, v0
	s_delay_alu instid0(VALU_DEP_1)
	v_sub_f32_e32 v0, v87, v127
	scratch_store_b32 off, v0, off
	s_cbranch_vccz .LBB105_343
; %bb.260:
	v_dual_mov_b32 v87, s3 :: v_dual_mov_b32 v86, s2
	s_mov_b32 s0, exec_lo
	flat_load_b32 v0, v[86:87] offset:160
	s_waitcnt vmcnt(0) lgkmcnt(0)
	v_cmpx_ne_u32_e32 41, v0
	s_cbranch_execz .LBB105_262
; %bb.261:
	v_lshl_add_u32 v0, v0, 2, 0
	scratch_load_b32 v86, v0, off offset:-4
	s_waitcnt vmcnt(0)
	scratch_store_b32 off, v86, off offset:160
	scratch_store_b32 v0, v85, off offset:-4
.LBB105_262:
	s_or_b32 exec_lo, exec_lo, s0
	v_dual_mov_b32 v86, s3 :: v_dual_mov_b32 v85, s2
	s_mov_b32 s0, exec_lo
	flat_load_b32 v0, v[85:86] offset:156
	s_waitcnt vmcnt(0) lgkmcnt(0)
	v_cmpx_ne_u32_e32 40, v0
	s_cbranch_execz .LBB105_264
; %bb.263:
	v_lshl_add_u32 v0, v0, 2, 0
	scratch_load_b32 v85, v0, off offset:-4
	scratch_load_b32 v86, off, off offset:156
	s_waitcnt vmcnt(1)
	scratch_store_b32 off, v85, off offset:156
	s_waitcnt vmcnt(0)
	scratch_store_b32 v0, v86, off offset:-4
.LBB105_264:
	s_or_b32 exec_lo, exec_lo, s0
	v_dual_mov_b32 v86, s3 :: v_dual_mov_b32 v85, s2
	s_mov_b32 s0, exec_lo
	flat_load_b32 v0, v[85:86] offset:152
	s_waitcnt vmcnt(0) lgkmcnt(0)
	v_cmpx_ne_u32_e32 39, v0
	s_cbranch_execz .LBB105_266
; %bb.265:
	v_lshl_add_u32 v0, v0, 2, 0
	scratch_load_b32 v85, v0, off offset:-4
	scratch_load_b32 v86, off, off offset:152
	s_waitcnt vmcnt(1)
	scratch_store_b32 off, v85, off offset:152
	s_waitcnt vmcnt(0)
	scratch_store_b32 v0, v86, off offset:-4
.LBB105_266:
	;; [unrolled: 16-line block ×39, first 2 shown]
	s_or_b32 exec_lo, exec_lo, s0
	v_dual_mov_b32 v86, s3 :: v_dual_mov_b32 v85, s2
	s_mov_b32 s0, exec_lo
	flat_load_b32 v85, v[85:86]
	scratch_load_b32 v0, off, off
	s_waitcnt vmcnt(1) lgkmcnt(0)
	v_cmpx_ne_u32_e32 1, v85
	s_cbranch_execz .LBB105_342
; %bb.341:
	v_lshl_add_u32 v85, v85, 2, 0
	scratch_load_b32 v86, v85, off offset:-4
	s_waitcnt vmcnt(0)
	scratch_store_b32 off, v86, off
	scratch_store_b32 v85, v0, off offset:-4
	scratch_load_b32 v0, off, off
.LBB105_342:
	s_or_b32 exec_lo, exec_lo, s0
.LBB105_343:
	s_clause 0xa
	scratch_load_b128 v[85:88], off, off offset:4
	scratch_load_b128 v[89:92], off, off offset:20
	;; [unrolled: 1-line block ×10, first 2 shown]
	scratch_load_b32 v125, off, off offset:164
	s_waitcnt vmcnt(11)
	global_store_b32 v[1:2], v0, off
	s_waitcnt vmcnt(10)
	s_clause 0x3
	global_store_b32 v[3:4], v85, off
	global_store_b32 v[5:6], v86, off
	global_store_b32 v[7:8], v87, off
	global_store_b32 v[9:10], v88, off
	s_waitcnt vmcnt(9)
	s_clause 0x3
	global_store_b32 v[11:12], v89, off
	global_store_b32 v[13:14], v90, off
	global_store_b32 v[15:16], v91, off
	;; [unrolled: 6-line block ×10, first 2 shown]
	global_store_b32 v[83:84], v124, off
	s_waitcnt vmcnt(0)
	global_store_b32 v[49:50], v125, off
	s_endpgm
	.section	.rodata,"a",@progbits
	.p2align	6, 0x0
	.amdhsa_kernel _ZN9rocsolver6v33100L18getri_kernel_smallILi42EfPKPfEEvT1_iilPiilS6_bb
		.amdhsa_group_segment_fixed_size 344
		.amdhsa_private_segment_fixed_size 176
		.amdhsa_kernarg_size 60
		.amdhsa_user_sgpr_count 15
		.amdhsa_user_sgpr_dispatch_ptr 0
		.amdhsa_user_sgpr_queue_ptr 0
		.amdhsa_user_sgpr_kernarg_segment_ptr 1
		.amdhsa_user_sgpr_dispatch_id 0
		.amdhsa_user_sgpr_private_segment_size 0
		.amdhsa_wavefront_size32 1
		.amdhsa_uses_dynamic_stack 0
		.amdhsa_enable_private_segment 1
		.amdhsa_system_sgpr_workgroup_id_x 1
		.amdhsa_system_sgpr_workgroup_id_y 0
		.amdhsa_system_sgpr_workgroup_id_z 0
		.amdhsa_system_sgpr_workgroup_info 0
		.amdhsa_system_vgpr_workitem_id 0
		.amdhsa_next_free_vgpr 136
		.amdhsa_next_free_sgpr 17
		.amdhsa_reserve_vcc 1
		.amdhsa_float_round_mode_32 0
		.amdhsa_float_round_mode_16_64 0
		.amdhsa_float_denorm_mode_32 3
		.amdhsa_float_denorm_mode_16_64 3
		.amdhsa_dx10_clamp 1
		.amdhsa_ieee_mode 1
		.amdhsa_fp16_overflow 0
		.amdhsa_workgroup_processor_mode 1
		.amdhsa_memory_ordered 1
		.amdhsa_forward_progress 0
		.amdhsa_shared_vgpr_count 0
		.amdhsa_exception_fp_ieee_invalid_op 0
		.amdhsa_exception_fp_denorm_src 0
		.amdhsa_exception_fp_ieee_div_zero 0
		.amdhsa_exception_fp_ieee_overflow 0
		.amdhsa_exception_fp_ieee_underflow 0
		.amdhsa_exception_fp_ieee_inexact 0
		.amdhsa_exception_int_div_zero 0
	.end_amdhsa_kernel
	.section	.text._ZN9rocsolver6v33100L18getri_kernel_smallILi42EfPKPfEEvT1_iilPiilS6_bb,"axG",@progbits,_ZN9rocsolver6v33100L18getri_kernel_smallILi42EfPKPfEEvT1_iilPiilS6_bb,comdat
.Lfunc_end105:
	.size	_ZN9rocsolver6v33100L18getri_kernel_smallILi42EfPKPfEEvT1_iilPiilS6_bb, .Lfunc_end105-_ZN9rocsolver6v33100L18getri_kernel_smallILi42EfPKPfEEvT1_iilPiilS6_bb
                                        ; -- End function
	.section	.AMDGPU.csdata,"",@progbits
; Kernel info:
; codeLenInByte = 28936
; NumSgprs: 19
; NumVgprs: 136
; ScratchSize: 176
; MemoryBound: 0
; FloatMode: 240
; IeeeMode: 1
; LDSByteSize: 344 bytes/workgroup (compile time only)
; SGPRBlocks: 2
; VGPRBlocks: 16
; NumSGPRsForWavesPerEU: 19
; NumVGPRsForWavesPerEU: 136
; Occupancy: 10
; WaveLimiterHint : 1
; COMPUTE_PGM_RSRC2:SCRATCH_EN: 1
; COMPUTE_PGM_RSRC2:USER_SGPR: 15
; COMPUTE_PGM_RSRC2:TRAP_HANDLER: 0
; COMPUTE_PGM_RSRC2:TGID_X_EN: 1
; COMPUTE_PGM_RSRC2:TGID_Y_EN: 0
; COMPUTE_PGM_RSRC2:TGID_Z_EN: 0
; COMPUTE_PGM_RSRC2:TIDIG_COMP_CNT: 0
	.section	.text._ZN9rocsolver6v33100L18getri_kernel_smallILi43EfPKPfEEvT1_iilPiilS6_bb,"axG",@progbits,_ZN9rocsolver6v33100L18getri_kernel_smallILi43EfPKPfEEvT1_iilPiilS6_bb,comdat
	.globl	_ZN9rocsolver6v33100L18getri_kernel_smallILi43EfPKPfEEvT1_iilPiilS6_bb ; -- Begin function _ZN9rocsolver6v33100L18getri_kernel_smallILi43EfPKPfEEvT1_iilPiilS6_bb
	.p2align	8
	.type	_ZN9rocsolver6v33100L18getri_kernel_smallILi43EfPKPfEEvT1_iilPiilS6_bb,@function
_ZN9rocsolver6v33100L18getri_kernel_smallILi43EfPKPfEEvT1_iilPiilS6_bb: ; @_ZN9rocsolver6v33100L18getri_kernel_smallILi43EfPKPfEEvT1_iilPiilS6_bb
; %bb.0:
	s_mov_b32 s2, exec_lo
	v_cmpx_gt_u32_e32 43, v0
	s_cbranch_execz .LBB106_180
; %bb.1:
	s_clause 0x1
	s_load_b32 s13, s[0:1], 0x38
	s_load_b64 s[2:3], s[0:1], 0x0
	s_mov_b32 s8, s15
	s_load_b128 s[4:7], s[0:1], 0x28
	s_waitcnt lgkmcnt(0)
	s_bitcmp1_b32 s13, 8
	s_cselect_b32 s12, -1, 0
	s_ashr_i32 s9, s15, 31
	s_delay_alu instid0(SALU_CYCLE_1) | instskip(NEXT) | instid1(SALU_CYCLE_1)
	s_lshl_b64 s[10:11], s[8:9], 3
	s_add_u32 s2, s2, s10
	s_addc_u32 s3, s3, s11
	s_load_b64 s[10:11], s[2:3], 0x0
	s_bfe_u32 s2, s13, 0x10008
	s_delay_alu instid0(SALU_CYCLE_1)
	s_cmp_eq_u32 s2, 0
                                        ; implicit-def: $sgpr2_sgpr3
	s_cbranch_scc1 .LBB106_3
; %bb.2:
	s_clause 0x1
	s_load_b32 s2, s[0:1], 0x20
	s_load_b64 s[14:15], s[0:1], 0x18
	s_mul_i32 s3, s8, s5
	s_mul_hi_u32 s5, s8, s4
	s_mul_i32 s16, s9, s4
	s_add_i32 s3, s5, s3
	s_mul_i32 s4, s8, s4
	s_add_i32 s5, s3, s16
	s_delay_alu instid0(SALU_CYCLE_1)
	s_lshl_b64 s[4:5], s[4:5], 2
	s_waitcnt lgkmcnt(0)
	s_ashr_i32 s3, s2, 31
	s_add_u32 s4, s14, s4
	s_addc_u32 s5, s15, s5
	s_lshl_b64 s[2:3], s[2:3], 2
	s_delay_alu instid0(SALU_CYCLE_1)
	s_add_u32 s2, s4, s2
	s_addc_u32 s3, s5, s3
.LBB106_3:
	s_load_b64 s[0:1], s[0:1], 0x8
	v_lshlrev_b32_e32 v1, 2, v0
	s_waitcnt lgkmcnt(0)
	v_add3_u32 v5, s1, s1, v0
	s_ashr_i32 s5, s0, 31
	s_mov_b32 s4, s0
	s_mov_b32 s14, s1
	s_lshl_b64 s[4:5], s[4:5], 2
	v_add_nc_u32_e32 v7, s1, v5
	v_ashrrev_i32_e32 v6, 31, v5
	s_add_u32 s4, s10, s4
	s_addc_u32 s5, s11, s5
	v_add_co_u32 v3, s0, s4, v1
	v_add_nc_u32_e32 v9, s1, v7
	v_ashrrev_i32_e32 v8, 31, v7
	s_ashr_i32 s15, s1, 31
	v_add_co_ci_u32_e64 v4, null, s5, 0, s0
	s_delay_alu instid0(VALU_DEP_3)
	v_add_nc_u32_e32 v11, s1, v9
	v_lshlrev_b64 v[34:35], 2, v[5:6]
	s_lshl_b64 s[10:11], s[14:15], 2
	v_lshlrev_b64 v[37:38], 2, v[7:8]
	v_add_co_u32 v5, vcc_lo, v3, s10
	v_add_nc_u32_e32 v13, s1, v11
	v_ashrrev_i32_e32 v10, 31, v9
	v_add_co_ci_u32_e32 v6, vcc_lo, s11, v4, vcc_lo
	v_add_co_u32 v7, vcc_lo, s4, v34
	s_delay_alu instid0(VALU_DEP_4) | instskip(SKIP_3) | instid1(VALU_DEP_4)
	v_add_nc_u32_e32 v15, s1, v13
	v_ashrrev_i32_e32 v12, 31, v11
	v_add_co_ci_u32_e32 v8, vcc_lo, s5, v35, vcc_lo
	v_lshlrev_b64 v[34:35], 2, v[9:10]
	v_add_nc_u32_e32 v17, s1, v15
	v_add_co_u32 v9, vcc_lo, s4, v37
	v_add_co_ci_u32_e32 v10, vcc_lo, s5, v38, vcc_lo
	s_delay_alu instid0(VALU_DEP_3) | instskip(SKIP_3) | instid1(VALU_DEP_4)
	v_add_nc_u32_e32 v19, s1, v17
	v_lshlrev_b64 v[37:38], 2, v[11:12]
	v_ashrrev_i32_e32 v14, 31, v13
	v_add_co_u32 v11, vcc_lo, s4, v34
	v_add_nc_u32_e32 v21, s1, v19
	v_ashrrev_i32_e32 v16, 31, v15
	v_add_co_ci_u32_e32 v12, vcc_lo, s5, v35, vcc_lo
	v_lshlrev_b64 v[34:35], 2, v[13:14]
	s_delay_alu instid0(VALU_DEP_4) | instskip(SKIP_2) | instid1(VALU_DEP_3)
	v_add_nc_u32_e32 v23, s1, v21
	v_add_co_u32 v13, vcc_lo, s4, v37
	v_add_co_ci_u32_e32 v14, vcc_lo, s5, v38, vcc_lo
	v_add_nc_u32_e32 v25, s1, v23
	v_lshlrev_b64 v[37:38], 2, v[15:16]
	v_ashrrev_i32_e32 v18, 31, v17
	v_add_co_u32 v15, vcc_lo, s4, v34
	s_delay_alu instid0(VALU_DEP_4) | instskip(SKIP_3) | instid1(VALU_DEP_4)
	v_add_nc_u32_e32 v27, s1, v25
	v_ashrrev_i32_e32 v20, 31, v19
	v_add_co_ci_u32_e32 v16, vcc_lo, s5, v35, vcc_lo
	v_lshlrev_b64 v[34:35], 2, v[17:18]
	v_add_nc_u32_e32 v29, s1, v27
	v_add_co_u32 v17, vcc_lo, s4, v37
	v_add_co_ci_u32_e32 v18, vcc_lo, s5, v38, vcc_lo
	s_delay_alu instid0(VALU_DEP_3) | instskip(SKIP_3) | instid1(VALU_DEP_4)
	v_add_nc_u32_e32 v31, s1, v29
	v_lshlrev_b64 v[37:38], 2, v[19:20]
	v_ashrrev_i32_e32 v22, 31, v21
	v_add_co_u32 v19, vcc_lo, s4, v34
	v_add_nc_u32_e32 v33, s1, v31
	v_ashrrev_i32_e32 v24, 31, v23
	v_add_co_ci_u32_e32 v20, vcc_lo, s5, v35, vcc_lo
	v_lshlrev_b64 v[34:35], 2, v[21:22]
	s_delay_alu instid0(VALU_DEP_4) | instskip(SKIP_2) | instid1(VALU_DEP_3)
	v_add_nc_u32_e32 v36, s1, v33
	v_add_co_u32 v21, vcc_lo, s4, v37
	v_add_co_ci_u32_e32 v22, vcc_lo, s5, v38, vcc_lo
	v_add_nc_u32_e32 v39, s1, v36
	v_lshlrev_b64 v[37:38], 2, v[23:24]
	v_ashrrev_i32_e32 v26, 31, v25
	v_add_co_u32 v23, vcc_lo, s4, v34
	s_delay_alu instid0(VALU_DEP_4) | instskip(SKIP_3) | instid1(VALU_DEP_4)
	v_add_nc_u32_e32 v41, s1, v39
	v_ashrrev_i32_e32 v28, 31, v27
	v_add_co_ci_u32_e32 v24, vcc_lo, s5, v35, vcc_lo
	v_lshlrev_b64 v[34:35], 2, v[25:26]
	v_add_nc_u32_e32 v43, s1, v41
	v_add_co_u32 v25, vcc_lo, s4, v37
	v_ashrrev_i32_e32 v30, 31, v29
	v_add_co_ci_u32_e32 v26, vcc_lo, s5, v38, vcc_lo
	s_delay_alu instid0(VALU_DEP_4) | instskip(SKIP_3) | instid1(VALU_DEP_4)
	v_add_nc_u32_e32 v45, s1, v43
	v_lshlrev_b64 v[37:38], 2, v[27:28]
	v_add_co_u32 v27, vcc_lo, s4, v34
	v_lshlrev_b64 v[62:63], 2, v[29:30]
	v_add_nc_u32_e32 v47, s1, v45
	v_ashrrev_i32_e32 v32, 31, v31
	v_add_co_ci_u32_e32 v28, vcc_lo, s5, v35, vcc_lo
	v_add_co_u32 v29, vcc_lo, s4, v37
	s_delay_alu instid0(VALU_DEP_4) | instskip(SKIP_3) | instid1(VALU_DEP_4)
	v_add_nc_u32_e32 v49, s1, v47
	v_ashrrev_i32_e32 v34, 31, v33
	v_add_co_ci_u32_e32 v30, vcc_lo, s5, v38, vcc_lo
	v_lshlrev_b64 v[65:66], 2, v[31:32]
	v_add_nc_u32_e32 v51, s1, v49
	v_add_co_u32 v31, vcc_lo, s4, v62
	v_ashrrev_i32_e32 v37, 31, v36
	v_add_co_ci_u32_e32 v32, vcc_lo, s5, v63, vcc_lo
	s_delay_alu instid0(VALU_DEP_4) | instskip(SKIP_3) | instid1(VALU_DEP_4)
	v_add_nc_u32_e32 v53, s1, v51
	v_lshlrev_b64 v[62:63], 2, v[33:34]
	v_ashrrev_i32_e32 v40, 31, v39
	v_add_co_u32 v33, vcc_lo, s4, v65
	v_add_nc_u32_e32 v55, s1, v53
	v_lshlrev_b64 v[37:38], 2, v[36:37]
	v_ashrrev_i32_e32 v42, 31, v41
	v_add_co_ci_u32_e32 v34, vcc_lo, s5, v66, vcc_lo
	s_delay_alu instid0(VALU_DEP_4) | instskip(SKIP_3) | instid1(VALU_DEP_4)
	v_add_nc_u32_e32 v57, s1, v55
	v_add_co_u32 v35, vcc_lo, s4, v62
	v_lshlrev_b64 v[39:40], 2, v[39:40]
	v_ashrrev_i32_e32 v44, 31, v43
	v_add_nc_u32_e32 v59, s1, v57
	v_add_co_ci_u32_e32 v36, vcc_lo, s5, v63, vcc_lo
	v_add_co_u32 v37, vcc_lo, s4, v37
	s_delay_alu instid0(VALU_DEP_3) | instskip(SKIP_3) | instid1(VALU_DEP_4)
	v_add_nc_u32_e32 v61, s1, v59
	v_lshlrev_b64 v[41:42], 2, v[41:42]
	v_ashrrev_i32_e32 v46, 31, v45
	v_add_co_ci_u32_e32 v38, vcc_lo, s5, v38, vcc_lo
	v_add_nc_u32_e32 v64, s1, v61
	v_add_co_u32 v39, vcc_lo, s4, v39
	v_lshlrev_b64 v[43:44], 2, v[43:44]
	v_ashrrev_i32_e32 v48, 31, v47
	s_delay_alu instid0(VALU_DEP_4) | instskip(SKIP_2) | instid1(VALU_DEP_3)
	v_add_nc_u32_e32 v67, s1, v64
	v_add_co_ci_u32_e32 v40, vcc_lo, s5, v40, vcc_lo
	v_add_co_u32 v41, vcc_lo, s4, v41
	v_add_nc_u32_e32 v69, s1, v67
	v_lshlrev_b64 v[45:46], 2, v[45:46]
	v_ashrrev_i32_e32 v50, 31, v49
	v_add_co_ci_u32_e32 v42, vcc_lo, s5, v42, vcc_lo
	s_delay_alu instid0(VALU_DEP_4) | instskip(SKIP_3) | instid1(VALU_DEP_4)
	v_add_nc_u32_e32 v71, s1, v69
	v_add_co_u32 v43, vcc_lo, s4, v43
	v_lshlrev_b64 v[47:48], 2, v[47:48]
	v_ashrrev_i32_e32 v52, 31, v51
	v_add_nc_u32_e32 v73, s1, v71
	v_add_co_ci_u32_e32 v44, vcc_lo, s5, v44, vcc_lo
	v_add_co_u32 v45, vcc_lo, s4, v45
	s_delay_alu instid0(VALU_DEP_3) | instskip(SKIP_3) | instid1(VALU_DEP_4)
	v_add_nc_u32_e32 v75, s1, v73
	v_lshlrev_b64 v[49:50], 2, v[49:50]
	v_ashrrev_i32_e32 v54, 31, v53
	v_add_co_ci_u32_e32 v46, vcc_lo, s5, v46, vcc_lo
	v_add_nc_u32_e32 v77, s1, v75
	v_add_co_u32 v47, vcc_lo, s4, v47
	v_lshlrev_b64 v[51:52], 2, v[51:52]
	v_add_co_ci_u32_e32 v48, vcc_lo, s5, v48, vcc_lo
	s_delay_alu instid0(VALU_DEP_4) | instskip(SKIP_3) | instid1(VALU_DEP_4)
	v_add_nc_u32_e32 v79, s1, v77
	v_add_co_u32 v49, vcc_lo, s4, v49
	v_lshlrev_b64 v[53:54], 2, v[53:54]
	v_ashrrev_i32_e32 v56, 31, v55
	v_add_nc_u32_e32 v81, s1, v79
	v_add_co_ci_u32_e32 v50, vcc_lo, s5, v50, vcc_lo
	v_add_co_u32 v51, vcc_lo, s4, v51
	s_delay_alu instid0(VALU_DEP_3) | instskip(SKIP_3) | instid1(VALU_DEP_4)
	v_add_nc_u32_e32 v83, s1, v81
	v_ashrrev_i32_e32 v58, 31, v57
	v_add_co_ci_u32_e32 v52, vcc_lo, s5, v52, vcc_lo
	v_lshlrev_b64 v[65:66], 2, v[55:56]
	v_add_nc_u32_e32 v85, s1, v83
	v_add_co_u32 v55, vcc_lo, s4, v53
	v_add_co_ci_u32_e32 v56, vcc_lo, s5, v54, vcc_lo
	s_delay_alu instid0(VALU_DEP_3)
	v_add_nc_u32_e32 v87, s1, v85
	v_lshlrev_b64 v[114:115], 2, v[57:58]
	v_ashrrev_i32_e32 v60, 31, v59
	v_ashrrev_i32_e32 v68, 31, v67
	;; [unrolled: 1-line block ×3, first 2 shown]
	v_add_nc_u32_e32 v62, s1, v87
	v_ashrrev_i32_e32 v72, 31, v71
	v_lshlrev_b64 v[116:117], 2, v[59:60]
	v_lshlrev_b64 v[67:68], 2, v[67:68]
	;; [unrolled: 1-line block ×3, first 2 shown]
	v_ashrrev_i32_e32 v63, 31, v62
	v_ashrrev_i32_e32 v74, 31, v73
	v_lshlrev_b64 v[71:72], 2, v[71:72]
	v_ashrrev_i32_e32 v76, 31, v75
	v_ashrrev_i32_e32 v78, 31, v77
	v_lshlrev_b64 v[62:63], 2, v[62:63]
	v_lshlrev_b64 v[73:74], 2, v[73:74]
	v_ashrrev_i32_e32 v80, 31, v79
	v_lshlrev_b64 v[75:76], 2, v[75:76]
	v_lshlrev_b64 v[77:78], 2, v[77:78]
	v_ashrrev_i32_e32 v82, 31, v81
	v_add_co_u32 v53, vcc_lo, s4, v62
	v_add_co_ci_u32_e32 v54, vcc_lo, s5, v63, vcc_lo
	v_add_co_u32 v57, vcc_lo, s4, v65
	v_ashrrev_i32_e32 v62, 31, v61
	v_add_co_ci_u32_e32 v58, vcc_lo, s5, v66, vcc_lo
	v_add_co_u32 v59, vcc_lo, s4, v114
	v_ashrrev_i32_e32 v65, 31, v64
	v_add_co_ci_u32_e32 v60, vcc_lo, s5, v115, vcc_lo
	v_lshlrev_b64 v[114:115], 2, v[61:62]
	v_add_co_u32 v61, vcc_lo, s4, v116
	s_delay_alu instid0(VALU_DEP_4) | instskip(SKIP_1) | instid1(VALU_DEP_4)
	v_lshlrev_b64 v[65:66], 2, v[64:65]
	v_add_co_ci_u32_e32 v62, vcc_lo, s5, v117, vcc_lo
	v_add_co_u32 v63, vcc_lo, s4, v114
	v_add_co_ci_u32_e32 v64, vcc_lo, s5, v115, vcc_lo
	s_delay_alu instid0(VALU_DEP_4)
	v_add_co_u32 v65, vcc_lo, s4, v65
	v_add_co_ci_u32_e32 v66, vcc_lo, s5, v66, vcc_lo
	v_add_co_u32 v67, vcc_lo, s4, v67
	v_add_co_ci_u32_e32 v68, vcc_lo, s5, v68, vcc_lo
	;; [unrolled: 2-line block ×5, first 2 shown]
	v_add_co_u32 v75, vcc_lo, s4, v75
	v_lshlrev_b64 v[79:80], 2, v[79:80]
	v_ashrrev_i32_e32 v84, 31, v83
	v_add_co_ci_u32_e32 v76, vcc_lo, s5, v76, vcc_lo
	v_add_co_u32 v77, vcc_lo, s4, v77
	v_lshlrev_b64 v[81:82], 2, v[81:82]
	v_ashrrev_i32_e32 v86, 31, v85
	v_add_co_ci_u32_e32 v78, vcc_lo, s5, v78, vcc_lo
	;; [unrolled: 4-line block ×3, first 2 shown]
	v_add_co_u32 v81, vcc_lo, s4, v81
	v_lshlrev_b64 v[85:86], 2, v[85:86]
	v_add_co_ci_u32_e32 v82, vcc_lo, s5, v82, vcc_lo
	v_add_co_u32 v83, vcc_lo, s4, v83
	v_lshlrev_b64 v[87:88], 2, v[87:88]
	v_add_co_ci_u32_e32 v84, vcc_lo, s5, v84, vcc_lo
	v_add_co_u32 v85, vcc_lo, s4, v85
	v_add_co_ci_u32_e32 v86, vcc_lo, s5, v86, vcc_lo
	s_delay_alu instid0(VALU_DEP_4)
	v_add_co_u32 v87, vcc_lo, s4, v87
	s_clause 0x1f
	global_load_b32 v89, v1, s[4:5]
	global_load_b32 v90, v[5:6], off
	global_load_b32 v91, v[7:8], off
	;; [unrolled: 1-line block ×32, first 2 shown]
	v_add_co_ci_u32_e32 v88, vcc_lo, s5, v88, vcc_lo
	s_clause 0x9
	global_load_b32 v122, v[71:72], off
	global_load_b32 v123, v[73:74], off
	;; [unrolled: 1-line block ×10, first 2 shown]
	s_bitcmp0_b32 s13, 0
	s_mov_b32 s1, -1
	s_waitcnt vmcnt(39)
	scratch_store_b128 off, v[89:92], off
	s_waitcnt vmcnt(35)
	scratch_store_b128 off, v[93:96], off offset:16
	s_waitcnt vmcnt(31)
	scratch_store_b128 off, v[97:100], off offset:32
	s_waitcnt vmcnt(27)
	scratch_store_b128 off, v[101:104], off offset:48
	s_waitcnt vmcnt(23)
	scratch_store_b128 off, v[105:108], off offset:64
	s_waitcnt vmcnt(19)
	scratch_store_b128 off, v[109:112], off offset:80
	s_waitcnt vmcnt(15)
	scratch_store_b128 off, v[113:116], off offset:96
	s_waitcnt vmcnt(11)
	scratch_store_b128 off, v[117:120], off offset:112
	s_waitcnt vmcnt(7)
	scratch_store_b128 off, v[121:124], off offset:128
	s_waitcnt vmcnt(3)
	scratch_store_b128 off, v[125:128], off offset:144
	s_waitcnt vmcnt(0)
	scratch_store_b96 off, v[129:131], off offset:160
	s_cbranch_scc1 .LBB106_178
; %bb.4:
	v_cmp_eq_u32_e64 s0, 0, v0
	s_delay_alu instid0(VALU_DEP_1)
	s_and_saveexec_b32 s1, s0
	s_cbranch_execz .LBB106_6
; %bb.5:
	v_mov_b32_e32 v2, 0
	ds_store_b32 v2, v2 offset:172
.LBB106_6:
	s_or_b32 exec_lo, exec_lo, s1
	s_waitcnt lgkmcnt(0)
	s_waitcnt_vscnt null, 0x0
	s_barrier
	buffer_gl0_inv
	scratch_load_b32 v2, v1, off
	s_mov_b32 s4, exec_lo
	s_waitcnt vmcnt(0)
	v_cmpx_eq_f32_e32 0, v2
	s_cbranch_execz .LBB106_10
; %bb.7:
	v_mov_b32_e32 v2, 0
	s_mov_b32 s5, 0
	ds_load_b32 v89, v2 offset:172
	s_waitcnt lgkmcnt(0)
	v_readfirstlane_b32 s1, v89
	v_add_nc_u32_e32 v89, 1, v0
	s_delay_alu instid0(VALU_DEP_2) | instskip(NEXT) | instid1(VALU_DEP_1)
	s_cmp_eq_u32 s1, 0
	v_cmp_gt_i32_e32 vcc_lo, s1, v89
	s_cselect_b32 s10, -1, 0
	s_delay_alu instid0(SALU_CYCLE_1) | instskip(NEXT) | instid1(SALU_CYCLE_1)
	s_or_b32 s10, s10, vcc_lo
	s_and_b32 exec_lo, exec_lo, s10
	s_cbranch_execz .LBB106_10
; %bb.8:
	v_mov_b32_e32 v90, s1
.LBB106_9:                              ; =>This Inner Loop Header: Depth=1
	ds_cmpstore_rtn_b32 v90, v2, v89, v90 offset:172
	s_waitcnt lgkmcnt(0)
	v_cmp_ne_u32_e32 vcc_lo, 0, v90
	v_cmp_le_i32_e64 s1, v90, v89
	s_delay_alu instid0(VALU_DEP_1) | instskip(NEXT) | instid1(SALU_CYCLE_1)
	s_and_b32 s1, vcc_lo, s1
	s_and_b32 s1, exec_lo, s1
	s_delay_alu instid0(SALU_CYCLE_1) | instskip(NEXT) | instid1(SALU_CYCLE_1)
	s_or_b32 s5, s1, s5
	s_and_not1_b32 exec_lo, exec_lo, s5
	s_cbranch_execnz .LBB106_9
.LBB106_10:
	s_or_b32 exec_lo, exec_lo, s4
	v_mov_b32_e32 v2, 0
	s_barrier
	buffer_gl0_inv
	ds_load_b32 v89, v2 offset:172
	s_and_saveexec_b32 s1, s0
	s_cbranch_execz .LBB106_12
; %bb.11:
	s_lshl_b64 s[4:5], s[8:9], 2
	s_delay_alu instid0(SALU_CYCLE_1)
	s_add_u32 s4, s6, s4
	s_addc_u32 s5, s7, s5
	s_waitcnt lgkmcnt(0)
	global_store_b32 v2, v89, s[4:5]
.LBB106_12:
	s_or_b32 exec_lo, exec_lo, s1
	s_waitcnt lgkmcnt(0)
	v_cmp_ne_u32_e32 vcc_lo, 0, v89
	s_mov_b32 s1, 0
	s_cbranch_vccnz .LBB106_178
; %bb.13:
	v_add_nc_u32_e32 v2, 0, v1
	scratch_load_b32 v89, v2, off
	s_waitcnt vmcnt(0)
	v_div_scale_f32 v90, null, v89, v89, 1.0
	v_div_scale_f32 v93, vcc_lo, 1.0, v89, 1.0
	s_delay_alu instid0(VALU_DEP_2) | instskip(SKIP_2) | instid1(VALU_DEP_1)
	v_rcp_f32_e32 v91, v90
	s_waitcnt_depctr 0xfff
	v_fma_f32 v92, -v90, v91, 1.0
	v_fmac_f32_e32 v91, v92, v91
	s_delay_alu instid0(VALU_DEP_1) | instskip(NEXT) | instid1(VALU_DEP_1)
	v_mul_f32_e32 v92, v93, v91
	v_fma_f32 v94, -v90, v92, v93
	s_delay_alu instid0(VALU_DEP_1) | instskip(NEXT) | instid1(VALU_DEP_1)
	v_fmac_f32_e32 v92, v94, v91
	v_fma_f32 v90, -v90, v92, v93
	s_delay_alu instid0(VALU_DEP_1) | instskip(NEXT) | instid1(VALU_DEP_1)
	v_div_fmas_f32 v90, v90, v91, v92
	v_div_fixup_f32 v89, v90, v89, 1.0
	scratch_store_b32 v2, v89, off
	scratch_load_b32 v90, off, off offset:4
	v_xor_b32_e32 v91, 0x80000000, v89
	v_add_nc_u32_e32 v89, 0xb0, v1
	s_waitcnt vmcnt(0)
	ds_store_2addr_b32 v1, v91, v90 offset1:44
	s_waitcnt lgkmcnt(0)
	s_waitcnt_vscnt null, 0x0
	s_barrier
	buffer_gl0_inv
	s_and_saveexec_b32 s1, s0
	s_cbranch_execz .LBB106_15
; %bb.14:
	scratch_load_b32 v90, v2, off
	ds_load_b32 v91, v89
	v_mov_b32_e32 v92, 0
	ds_load_b32 v92, v92 offset:4
	s_waitcnt vmcnt(0) lgkmcnt(1)
	v_fma_f32 v90, v90, v91, 0
	s_waitcnt lgkmcnt(0)
	s_delay_alu instid0(VALU_DEP_1)
	v_mul_f32_e32 v90, v90, v92
	scratch_store_b32 off, v90, off offset:4
.LBB106_15:
	s_or_b32 exec_lo, exec_lo, s1
	s_waitcnt_vscnt null, 0x0
	s_barrier
	buffer_gl0_inv
	scratch_load_b32 v90, off, off offset:8
	s_mov_b32 s1, exec_lo
	s_waitcnt vmcnt(0)
	ds_store_b32 v89, v90
	s_waitcnt lgkmcnt(0)
	s_barrier
	buffer_gl0_inv
	v_cmpx_gt_u32_e32 2, v0
	s_cbranch_execz .LBB106_17
; %bb.16:
	scratch_load_b32 v92, v2, off
	scratch_load_b32 v93, off, off offset:4
	ds_load_b32 v94, v89
	v_mov_b32_e32 v90, 0
	ds_load_2addr_b32 v[90:91], v90 offset0:2 offset1:45
	s_waitcnt vmcnt(1) lgkmcnt(1)
	v_fma_f32 v92, v92, v94, 0
	s_waitcnt vmcnt(0) lgkmcnt(0)
	s_delay_alu instid0(VALU_DEP_1) | instskip(NEXT) | instid1(VALU_DEP_1)
	v_fma_f32 v91, v93, v91, v92
	v_cndmask_b32_e64 v91, v92, v91, s0
	s_delay_alu instid0(VALU_DEP_1)
	v_mul_f32_e32 v90, v91, v90
	scratch_store_b32 off, v90, off offset:8
.LBB106_17:
	s_or_b32 exec_lo, exec_lo, s1
	s_waitcnt_vscnt null, 0x0
	s_barrier
	buffer_gl0_inv
	scratch_load_b32 v91, off, off offset:12
	v_add_nc_u32_e32 v90, -1, v0
	s_mov_b32 s0, exec_lo
	s_waitcnt vmcnt(0)
	ds_store_b32 v89, v91
	s_waitcnt lgkmcnt(0)
	s_barrier
	buffer_gl0_inv
	v_cmpx_gt_u32_e32 3, v0
	s_cbranch_execz .LBB106_21
; %bb.18:
	v_dual_mov_b32 v91, 0 :: v_dual_add_nc_u32 v92, -1, v0
	v_add_nc_u32_e32 v93, 0xb0, v1
	v_add_nc_u32_e32 v94, 0, v1
	s_mov_b32 s1, 0
.LBB106_19:                             ; =>This Inner Loop Header: Depth=1
	scratch_load_b32 v95, v94, off
	ds_load_b32 v96, v93
	v_add_nc_u32_e32 v92, 1, v92
	v_add_nc_u32_e32 v93, 4, v93
	v_add_nc_u32_e32 v94, 4, v94
	s_delay_alu instid0(VALU_DEP_3)
	v_cmp_lt_u32_e32 vcc_lo, 1, v92
	s_or_b32 s1, vcc_lo, s1
	s_waitcnt vmcnt(0) lgkmcnt(0)
	v_fmac_f32_e32 v91, v95, v96
	s_and_not1_b32 exec_lo, exec_lo, s1
	s_cbranch_execnz .LBB106_19
; %bb.20:
	s_or_b32 exec_lo, exec_lo, s1
	v_mov_b32_e32 v92, 0
	ds_load_b32 v92, v92 offset:12
	s_waitcnt lgkmcnt(0)
	v_mul_f32_e32 v91, v91, v92
	scratch_store_b32 off, v91, off offset:12
.LBB106_21:
	s_or_b32 exec_lo, exec_lo, s0
	s_waitcnt_vscnt null, 0x0
	s_barrier
	buffer_gl0_inv
	scratch_load_b32 v91, off, off offset:16
	s_mov_b32 s0, exec_lo
	s_waitcnt vmcnt(0)
	ds_store_b32 v89, v91
	s_waitcnt lgkmcnt(0)
	s_barrier
	buffer_gl0_inv
	v_cmpx_gt_u32_e32 4, v0
	s_cbranch_execz .LBB106_25
; %bb.22:
	v_dual_mov_b32 v91, 0 :: v_dual_add_nc_u32 v92, -1, v0
	v_add_nc_u32_e32 v93, 0xb0, v1
	v_add_nc_u32_e32 v94, 0, v1
	s_mov_b32 s1, 0
.LBB106_23:                             ; =>This Inner Loop Header: Depth=1
	scratch_load_b32 v95, v94, off
	ds_load_b32 v96, v93
	v_add_nc_u32_e32 v92, 1, v92
	v_add_nc_u32_e32 v93, 4, v93
	v_add_nc_u32_e32 v94, 4, v94
	s_delay_alu instid0(VALU_DEP_3)
	v_cmp_lt_u32_e32 vcc_lo, 2, v92
	s_or_b32 s1, vcc_lo, s1
	s_waitcnt vmcnt(0) lgkmcnt(0)
	v_fmac_f32_e32 v91, v95, v96
	s_and_not1_b32 exec_lo, exec_lo, s1
	s_cbranch_execnz .LBB106_23
; %bb.24:
	s_or_b32 exec_lo, exec_lo, s1
	v_mov_b32_e32 v92, 0
	ds_load_b32 v92, v92 offset:16
	s_waitcnt lgkmcnt(0)
	v_mul_f32_e32 v91, v91, v92
	scratch_store_b32 off, v91, off offset:16
.LBB106_25:
	s_or_b32 exec_lo, exec_lo, s0
	s_waitcnt_vscnt null, 0x0
	s_barrier
	buffer_gl0_inv
	scratch_load_b32 v91, off, off offset:20
	;; [unrolled: 39-line block ×21, first 2 shown]
	s_mov_b32 s0, exec_lo
	s_waitcnt vmcnt(0)
	ds_store_b32 v89, v91
	s_waitcnt lgkmcnt(0)
	s_barrier
	buffer_gl0_inv
	v_cmpx_gt_u32_e32 24, v0
	s_cbranch_execz .LBB106_105
; %bb.102:
	v_dual_mov_b32 v91, 0 :: v_dual_add_nc_u32 v92, -1, v0
	v_add_nc_u32_e32 v93, 0xb0, v1
	v_add_nc_u32_e32 v94, 0, v1
	s_mov_b32 s1, 0
.LBB106_103:                            ; =>This Inner Loop Header: Depth=1
	scratch_load_b32 v95, v94, off
	ds_load_b32 v96, v93
	v_add_nc_u32_e32 v92, 1, v92
	v_add_nc_u32_e32 v93, 4, v93
	v_add_nc_u32_e32 v94, 4, v94
	s_delay_alu instid0(VALU_DEP_3)
	v_cmp_lt_u32_e32 vcc_lo, 22, v92
	s_or_b32 s1, vcc_lo, s1
	s_waitcnt vmcnt(0) lgkmcnt(0)
	v_fmac_f32_e32 v91, v95, v96
	s_and_not1_b32 exec_lo, exec_lo, s1
	s_cbranch_execnz .LBB106_103
; %bb.104:
	s_or_b32 exec_lo, exec_lo, s1
	v_mov_b32_e32 v92, 0
	ds_load_b32 v92, v92 offset:96
	s_waitcnt lgkmcnt(0)
	v_mul_f32_e32 v91, v91, v92
	scratch_store_b32 off, v91, off offset:96
.LBB106_105:
	s_or_b32 exec_lo, exec_lo, s0
	s_waitcnt_vscnt null, 0x0
	s_barrier
	buffer_gl0_inv
	scratch_load_b32 v91, off, off offset:100
	s_mov_b32 s0, exec_lo
	s_waitcnt vmcnt(0)
	ds_store_b32 v89, v91
	s_waitcnt lgkmcnt(0)
	s_barrier
	buffer_gl0_inv
	v_cmpx_gt_u32_e32 25, v0
	s_cbranch_execz .LBB106_109
; %bb.106:
	v_dual_mov_b32 v91, 0 :: v_dual_add_nc_u32 v92, -1, v0
	v_add_nc_u32_e32 v93, 0xb0, v1
	v_add_nc_u32_e32 v94, 0, v1
	s_mov_b32 s1, 0
.LBB106_107:                            ; =>This Inner Loop Header: Depth=1
	scratch_load_b32 v95, v94, off
	ds_load_b32 v96, v93
	v_add_nc_u32_e32 v92, 1, v92
	v_add_nc_u32_e32 v93, 4, v93
	v_add_nc_u32_e32 v94, 4, v94
	s_delay_alu instid0(VALU_DEP_3)
	v_cmp_lt_u32_e32 vcc_lo, 23, v92
	s_or_b32 s1, vcc_lo, s1
	s_waitcnt vmcnt(0) lgkmcnt(0)
	v_fmac_f32_e32 v91, v95, v96
	s_and_not1_b32 exec_lo, exec_lo, s1
	s_cbranch_execnz .LBB106_107
; %bb.108:
	s_or_b32 exec_lo, exec_lo, s1
	v_mov_b32_e32 v92, 0
	ds_load_b32 v92, v92 offset:100
	s_waitcnt lgkmcnt(0)
	v_mul_f32_e32 v91, v91, v92
	scratch_store_b32 off, v91, off offset:100
.LBB106_109:
	s_or_b32 exec_lo, exec_lo, s0
	s_waitcnt_vscnt null, 0x0
	s_barrier
	buffer_gl0_inv
	scratch_load_b32 v91, off, off offset:104
	;; [unrolled: 39-line block ×17, first 2 shown]
	s_mov_b32 s0, exec_lo
	s_waitcnt vmcnt(0)
	ds_store_b32 v89, v91
	s_waitcnt lgkmcnt(0)
	s_barrier
	buffer_gl0_inv
	v_cmpx_gt_u32_e32 41, v0
	s_cbranch_execz .LBB106_173
; %bb.170:
	v_add_nc_u32_e32 v91, -1, v0
	v_add_nc_u32_e32 v92, 0xb0, v1
	v_add_nc_u32_e32 v93, 0, v1
	v_mov_b32_e32 v1, 0
	s_mov_b32 s1, 0
.LBB106_171:                            ; =>This Inner Loop Header: Depth=1
	scratch_load_b32 v94, v93, off
	ds_load_b32 v95, v92
	v_add_nc_u32_e32 v91, 1, v91
	v_add_nc_u32_e32 v92, 4, v92
	;; [unrolled: 1-line block ×3, first 2 shown]
	s_delay_alu instid0(VALU_DEP_3)
	v_cmp_lt_u32_e32 vcc_lo, 39, v91
	s_or_b32 s1, vcc_lo, s1
	s_waitcnt vmcnt(0) lgkmcnt(0)
	v_fmac_f32_e32 v1, v94, v95
	s_and_not1_b32 exec_lo, exec_lo, s1
	s_cbranch_execnz .LBB106_171
; %bb.172:
	s_or_b32 exec_lo, exec_lo, s1
	v_mov_b32_e32 v91, 0
	ds_load_b32 v91, v91 offset:164
	s_waitcnt lgkmcnt(0)
	v_mul_f32_e32 v1, v1, v91
	scratch_store_b32 off, v1, off offset:164
.LBB106_173:
	s_or_b32 exec_lo, exec_lo, s0
	s_waitcnt_vscnt null, 0x0
	s_barrier
	buffer_gl0_inv
	scratch_load_b32 v1, off, off offset:168
	s_mov_b32 s0, exec_lo
	s_waitcnt vmcnt(0)
	ds_store_b32 v89, v1
	s_waitcnt lgkmcnt(0)
	s_barrier
	buffer_gl0_inv
	v_cmpx_ne_u32_e32 42, v0
	s_cbranch_execz .LBB106_177
; %bb.174:
	v_mov_b32_e32 v1, 0
	s_mov_b32 s1, 0
.LBB106_175:                            ; =>This Inner Loop Header: Depth=1
	scratch_load_b32 v91, v2, off
	ds_load_b32 v92, v89
	v_add_nc_u32_e32 v90, 1, v90
	v_add_nc_u32_e32 v89, 4, v89
	s_waitcnt vmcnt(0) lgkmcnt(0)
	v_dual_fmac_f32 v1, v91, v92 :: v_dual_add_nc_u32 v2, 4, v2
	s_delay_alu instid0(VALU_DEP_3) | instskip(SKIP_1) | instid1(SALU_CYCLE_1)
	v_cmp_lt_u32_e32 vcc_lo, 40, v90
	s_or_b32 s1, vcc_lo, s1
	s_and_not1_b32 exec_lo, exec_lo, s1
	s_cbranch_execnz .LBB106_175
; %bb.176:
	s_or_b32 exec_lo, exec_lo, s1
	v_mov_b32_e32 v2, 0
	ds_load_b32 v2, v2 offset:168
	s_waitcnt lgkmcnt(0)
	v_mul_f32_e32 v1, v1, v2
	scratch_store_b32 off, v1, off offset:168
.LBB106_177:
	s_or_b32 exec_lo, exec_lo, s0
	s_mov_b32 s1, -1
	s_waitcnt_vscnt null, 0x0
	s_barrier
	buffer_gl0_inv
.LBB106_178:
	s_and_b32 vcc_lo, exec_lo, s1
	s_cbranch_vccz .LBB106_180
; %bb.179:
	s_lshl_b64 s[0:1], s[8:9], 2
	v_mov_b32_e32 v1, 0
	s_add_u32 s0, s6, s0
	s_addc_u32 s1, s7, s1
	global_load_b32 v1, v1, s[0:1]
	s_waitcnt vmcnt(0)
	v_cmp_ne_u32_e32 vcc_lo, 0, v1
	s_cbranch_vccz .LBB106_181
.LBB106_180:
	s_endpgm
.LBB106_181:
	v_lshl_add_u32 v1, v0, 2, 0xb0
	s_mov_b32 s0, exec_lo
	v_cmpx_eq_u32_e32 42, v0
	s_cbranch_execz .LBB106_183
; %bb.182:
	scratch_load_b32 v2, off, off offset:164
	v_mov_b32_e32 v89, 0
	scratch_store_b32 off, v89, off offset:164
	s_waitcnt vmcnt(0)
	ds_store_b32 v1, v2
.LBB106_183:
	s_or_b32 exec_lo, exec_lo, s0
	s_waitcnt lgkmcnt(0)
	s_waitcnt_vscnt null, 0x0
	s_barrier
	buffer_gl0_inv
	scratch_load_b64 v[89:90], off, off offset:164
	v_mov_b32_e32 v2, 0
	s_mov_b32 s0, exec_lo
	ds_load_b32 v91, v2 offset:344
	s_waitcnt vmcnt(0) lgkmcnt(0)
	v_fma_f32 v90, v90, v91, 0
	s_delay_alu instid0(VALU_DEP_1)
	v_sub_f32_e32 v89, v89, v90
	scratch_store_b32 off, v89, off offset:164
	v_cmpx_lt_u32_e32 40, v0
	s_cbranch_execz .LBB106_185
; %bb.184:
	scratch_load_b32 v89, off, off offset:160
	scratch_store_b32 off, v2, off offset:160
	s_waitcnt vmcnt(0)
	ds_store_b32 v1, v89
.LBB106_185:
	s_or_b32 exec_lo, exec_lo, s0
	s_waitcnt lgkmcnt(0)
	s_waitcnt_vscnt null, 0x0
	s_barrier
	buffer_gl0_inv
	scratch_load_b96 v[89:91], off, off offset:160
	ds_load_2addr_b32 v[92:93], v2 offset0:85 offset1:86
	s_mov_b32 s0, exec_lo
	s_waitcnt vmcnt(0) lgkmcnt(0)
	v_fma_f32 v2, v90, v92, 0
	s_delay_alu instid0(VALU_DEP_1) | instskip(NEXT) | instid1(VALU_DEP_1)
	v_fmac_f32_e32 v2, v91, v93
	v_sub_f32_e32 v2, v89, v2
	scratch_store_b32 off, v2, off offset:160
	v_cmpx_lt_u32_e32 39, v0
	s_cbranch_execz .LBB106_187
; %bb.186:
	scratch_load_b32 v2, off, off offset:156
	v_mov_b32_e32 v89, 0
	scratch_store_b32 off, v89, off offset:156
	s_waitcnt vmcnt(0)
	ds_store_b32 v1, v2
.LBB106_187:
	s_or_b32 exec_lo, exec_lo, s0
	s_waitcnt lgkmcnt(0)
	s_waitcnt_vscnt null, 0x0
	s_barrier
	buffer_gl0_inv
	scratch_load_b128 v[89:92], off, off offset:156
	v_mov_b32_e32 v2, 0
	s_mov_b32 s0, exec_lo
	ds_load_b96 v[93:95], v2 offset:336
	s_waitcnt vmcnt(0) lgkmcnt(0)
	v_fma_f32 v90, v90, v93, 0
	s_delay_alu instid0(VALU_DEP_1) | instskip(NEXT) | instid1(VALU_DEP_1)
	v_fmac_f32_e32 v90, v91, v94
	v_fmac_f32_e32 v90, v92, v95
	s_delay_alu instid0(VALU_DEP_1)
	v_sub_f32_e32 v89, v89, v90
	scratch_store_b32 off, v89, off offset:156
	v_cmpx_lt_u32_e32 38, v0
	s_cbranch_execz .LBB106_189
; %bb.188:
	scratch_load_b32 v89, off, off offset:152
	scratch_store_b32 off, v2, off offset:152
	s_waitcnt vmcnt(0)
	ds_store_b32 v1, v89
.LBB106_189:
	s_or_b32 exec_lo, exec_lo, s0
	s_waitcnt lgkmcnt(0)
	s_waitcnt_vscnt null, 0x0
	s_barrier
	buffer_gl0_inv
	s_clause 0x1
	scratch_load_b128 v[89:92], off, off offset:152
	scratch_load_b32 v97, off, off offset:168
	ds_load_2addr_b32 v[93:94], v2 offset0:83 offset1:84
	ds_load_2addr_b32 v[95:96], v2 offset0:85 offset1:86
	s_mov_b32 s0, exec_lo
	s_waitcnt vmcnt(1) lgkmcnt(1)
	v_fma_f32 v2, v90, v93, 0
	s_delay_alu instid0(VALU_DEP_1) | instskip(SKIP_1) | instid1(VALU_DEP_1)
	v_fmac_f32_e32 v2, v91, v94
	s_waitcnt lgkmcnt(0)
	v_fmac_f32_e32 v2, v92, v95
	s_waitcnt vmcnt(0)
	s_delay_alu instid0(VALU_DEP_1) | instskip(NEXT) | instid1(VALU_DEP_1)
	v_fmac_f32_e32 v2, v97, v96
	v_sub_f32_e32 v2, v89, v2
	scratch_store_b32 off, v2, off offset:152
	v_cmpx_lt_u32_e32 37, v0
	s_cbranch_execz .LBB106_191
; %bb.190:
	scratch_load_b32 v2, off, off offset:148
	v_mov_b32_e32 v89, 0
	scratch_store_b32 off, v89, off offset:148
	s_waitcnt vmcnt(0)
	ds_store_b32 v1, v2
.LBB106_191:
	s_or_b32 exec_lo, exec_lo, s0
	s_waitcnt lgkmcnt(0)
	s_waitcnt_vscnt null, 0x0
	s_barrier
	buffer_gl0_inv
	s_clause 0x1
	scratch_load_b128 v[89:92], off, off offset:148
	scratch_load_b64 v[97:98], off, off offset:164
	v_mov_b32_e32 v2, 0
	ds_load_2addr_b64 v[93:96], v2 offset0:41 offset1:42
	ds_load_b32 v99, v2 offset:344
	s_mov_b32 s0, exec_lo
	s_waitcnt vmcnt(1) lgkmcnt(1)
	v_fma_f32 v90, v90, v93, 0
	s_delay_alu instid0(VALU_DEP_1) | instskip(NEXT) | instid1(VALU_DEP_1)
	v_fmac_f32_e32 v90, v91, v94
	v_fmac_f32_e32 v90, v92, v95
	s_waitcnt vmcnt(0)
	s_delay_alu instid0(VALU_DEP_1) | instskip(SKIP_1) | instid1(VALU_DEP_1)
	v_fmac_f32_e32 v90, v97, v96
	s_waitcnt lgkmcnt(0)
	v_fmac_f32_e32 v90, v98, v99
	s_delay_alu instid0(VALU_DEP_1)
	v_sub_f32_e32 v89, v89, v90
	scratch_store_b32 off, v89, off offset:148
	v_cmpx_lt_u32_e32 36, v0
	s_cbranch_execz .LBB106_193
; %bb.192:
	scratch_load_b32 v89, off, off offset:144
	scratch_store_b32 off, v2, off offset:144
	s_waitcnt vmcnt(0)
	ds_store_b32 v1, v89
.LBB106_193:
	s_or_b32 exec_lo, exec_lo, s0
	s_waitcnt lgkmcnt(0)
	s_waitcnt_vscnt null, 0x0
	s_barrier
	buffer_gl0_inv
	s_clause 0x1
	scratch_load_b128 v[89:92], off, off offset:144
	scratch_load_b96 v[93:95], off, off offset:160
	ds_load_2addr_b32 v[96:97], v2 offset0:81 offset1:82
	ds_load_2addr_b32 v[98:99], v2 offset0:83 offset1:84
	ds_load_2addr_b32 v[100:101], v2 offset0:85 offset1:86
	s_mov_b32 s0, exec_lo
	s_waitcnt vmcnt(1) lgkmcnt(2)
	v_fma_f32 v2, v90, v96, 0
	s_delay_alu instid0(VALU_DEP_1) | instskip(SKIP_1) | instid1(VALU_DEP_1)
	v_fmac_f32_e32 v2, v91, v97
	s_waitcnt lgkmcnt(1)
	v_fmac_f32_e32 v2, v92, v98
	s_waitcnt vmcnt(0)
	s_delay_alu instid0(VALU_DEP_1) | instskip(SKIP_1) | instid1(VALU_DEP_1)
	v_fmac_f32_e32 v2, v93, v99
	s_waitcnt lgkmcnt(0)
	v_fmac_f32_e32 v2, v94, v100
	s_delay_alu instid0(VALU_DEP_1) | instskip(NEXT) | instid1(VALU_DEP_1)
	v_fmac_f32_e32 v2, v95, v101
	v_sub_f32_e32 v2, v89, v2
	scratch_store_b32 off, v2, off offset:144
	v_cmpx_lt_u32_e32 35, v0
	s_cbranch_execz .LBB106_195
; %bb.194:
	scratch_load_b32 v2, off, off offset:140
	v_mov_b32_e32 v89, 0
	scratch_store_b32 off, v89, off offset:140
	s_waitcnt vmcnt(0)
	ds_store_b32 v1, v2
.LBB106_195:
	s_or_b32 exec_lo, exec_lo, s0
	s_waitcnt lgkmcnt(0)
	s_waitcnt_vscnt null, 0x0
	s_barrier
	buffer_gl0_inv
	s_clause 0x1
	scratch_load_b128 v[89:92], off, off offset:140
	scratch_load_b128 v[93:96], off, off offset:156
	v_mov_b32_e32 v2, 0
	ds_load_b128 v[97:100], v2 offset:320
	ds_load_b96 v[101:103], v2 offset:336
	s_mov_b32 s0, exec_lo
	s_waitcnt vmcnt(1) lgkmcnt(1)
	v_fma_f32 v90, v90, v97, 0
	s_delay_alu instid0(VALU_DEP_1) | instskip(NEXT) | instid1(VALU_DEP_1)
	v_fmac_f32_e32 v90, v91, v98
	v_fmac_f32_e32 v90, v92, v99
	s_waitcnt vmcnt(0)
	s_delay_alu instid0(VALU_DEP_1) | instskip(SKIP_1) | instid1(VALU_DEP_1)
	v_fmac_f32_e32 v90, v93, v100
	s_waitcnt lgkmcnt(0)
	v_fmac_f32_e32 v90, v94, v101
	s_delay_alu instid0(VALU_DEP_1) | instskip(NEXT) | instid1(VALU_DEP_1)
	v_fmac_f32_e32 v90, v95, v102
	v_fmac_f32_e32 v90, v96, v103
	s_delay_alu instid0(VALU_DEP_1)
	v_sub_f32_e32 v89, v89, v90
	scratch_store_b32 off, v89, off offset:140
	v_cmpx_lt_u32_e32 34, v0
	s_cbranch_execz .LBB106_197
; %bb.196:
	scratch_load_b32 v89, off, off offset:136
	scratch_store_b32 off, v2, off offset:136
	s_waitcnt vmcnt(0)
	ds_store_b32 v1, v89
.LBB106_197:
	s_or_b32 exec_lo, exec_lo, s0
	s_waitcnt lgkmcnt(0)
	s_waitcnt_vscnt null, 0x0
	s_barrier
	buffer_gl0_inv
	s_clause 0x2
	scratch_load_b128 v[89:92], off, off offset:136
	scratch_load_b128 v[93:96], off, off offset:152
	scratch_load_b32 v105, off, off offset:168
	ds_load_2addr_b32 v[97:98], v2 offset0:79 offset1:80
	ds_load_2addr_b32 v[99:100], v2 offset0:81 offset1:82
	;; [unrolled: 1-line block ×4, first 2 shown]
	s_mov_b32 s0, exec_lo
	s_waitcnt vmcnt(2) lgkmcnt(3)
	v_fma_f32 v2, v90, v97, 0
	s_delay_alu instid0(VALU_DEP_1) | instskip(SKIP_1) | instid1(VALU_DEP_1)
	v_fmac_f32_e32 v2, v91, v98
	s_waitcnt lgkmcnt(2)
	v_fmac_f32_e32 v2, v92, v99
	s_waitcnt vmcnt(1)
	s_delay_alu instid0(VALU_DEP_1) | instskip(SKIP_1) | instid1(VALU_DEP_1)
	v_fmac_f32_e32 v2, v93, v100
	s_waitcnt lgkmcnt(1)
	v_fmac_f32_e32 v2, v94, v101
	s_delay_alu instid0(VALU_DEP_1) | instskip(SKIP_1) | instid1(VALU_DEP_1)
	v_fmac_f32_e32 v2, v95, v102
	s_waitcnt lgkmcnt(0)
	v_fmac_f32_e32 v2, v96, v103
	s_waitcnt vmcnt(0)
	s_delay_alu instid0(VALU_DEP_1) | instskip(NEXT) | instid1(VALU_DEP_1)
	v_fmac_f32_e32 v2, v105, v104
	v_sub_f32_e32 v2, v89, v2
	scratch_store_b32 off, v2, off offset:136
	v_cmpx_lt_u32_e32 33, v0
	s_cbranch_execz .LBB106_199
; %bb.198:
	scratch_load_b32 v2, off, off offset:132
	v_mov_b32_e32 v89, 0
	scratch_store_b32 off, v89, off offset:132
	s_waitcnt vmcnt(0)
	ds_store_b32 v1, v2
.LBB106_199:
	s_or_b32 exec_lo, exec_lo, s0
	s_waitcnt lgkmcnt(0)
	s_waitcnt_vscnt null, 0x0
	s_barrier
	buffer_gl0_inv
	s_clause 0x2
	scratch_load_b128 v[89:92], off, off offset:132
	scratch_load_b128 v[93:96], off, off offset:148
	scratch_load_b64 v[105:106], off, off offset:164
	v_mov_b32_e32 v2, 0
	ds_load_2addr_b64 v[97:100], v2 offset0:39 offset1:40
	ds_load_2addr_b64 v[101:104], v2 offset0:41 offset1:42
	s_mov_b32 s0, exec_lo
	s_waitcnt vmcnt(2) lgkmcnt(1)
	v_fma_f32 v90, v90, v97, 0
	s_delay_alu instid0(VALU_DEP_1) | instskip(SKIP_3) | instid1(VALU_DEP_1)
	v_fmac_f32_e32 v90, v91, v98
	ds_load_b32 v91, v2 offset:344
	v_fmac_f32_e32 v90, v92, v99
	s_waitcnt vmcnt(1)
	v_fmac_f32_e32 v90, v93, v100
	s_waitcnt lgkmcnt(1)
	s_delay_alu instid0(VALU_DEP_1) | instskip(NEXT) | instid1(VALU_DEP_1)
	v_fmac_f32_e32 v90, v94, v101
	v_fmac_f32_e32 v90, v95, v102
	s_delay_alu instid0(VALU_DEP_1) | instskip(SKIP_1) | instid1(VALU_DEP_1)
	v_fmac_f32_e32 v90, v96, v103
	s_waitcnt vmcnt(0)
	v_fmac_f32_e32 v90, v105, v104
	s_waitcnt lgkmcnt(0)
	s_delay_alu instid0(VALU_DEP_1) | instskip(NEXT) | instid1(VALU_DEP_1)
	v_fmac_f32_e32 v90, v106, v91
	v_sub_f32_e32 v89, v89, v90
	scratch_store_b32 off, v89, off offset:132
	v_cmpx_lt_u32_e32 32, v0
	s_cbranch_execz .LBB106_201
; %bb.200:
	scratch_load_b32 v89, off, off offset:128
	scratch_store_b32 off, v2, off offset:128
	s_waitcnt vmcnt(0)
	ds_store_b32 v1, v89
.LBB106_201:
	s_or_b32 exec_lo, exec_lo, s0
	s_waitcnt lgkmcnt(0)
	s_waitcnt_vscnt null, 0x0
	s_barrier
	buffer_gl0_inv
	s_clause 0x2
	scratch_load_b128 v[89:92], off, off offset:128
	scratch_load_b128 v[93:96], off, off offset:144
	scratch_load_b96 v[97:99], off, off offset:160
	ds_load_2addr_b32 v[100:101], v2 offset0:77 offset1:78
	ds_load_2addr_b32 v[102:103], v2 offset0:79 offset1:80
	;; [unrolled: 1-line block ×4, first 2 shown]
	s_mov_b32 s0, exec_lo
	s_waitcnt vmcnt(2) lgkmcnt(3)
	v_fma_f32 v100, v90, v100, 0
	s_delay_alu instid0(VALU_DEP_1) | instskip(SKIP_4) | instid1(VALU_DEP_1)
	v_fmac_f32_e32 v100, v91, v101
	ds_load_2addr_b32 v[90:91], v2 offset0:85 offset1:86
	s_waitcnt lgkmcnt(3)
	v_fmac_f32_e32 v100, v92, v102
	s_waitcnt vmcnt(1)
	v_fmac_f32_e32 v100, v93, v103
	s_waitcnt lgkmcnt(2)
	s_delay_alu instid0(VALU_DEP_1) | instskip(NEXT) | instid1(VALU_DEP_1)
	v_fmac_f32_e32 v100, v94, v104
	v_fmac_f32_e32 v100, v95, v105
	s_waitcnt lgkmcnt(1)
	s_delay_alu instid0(VALU_DEP_1) | instskip(SKIP_1) | instid1(VALU_DEP_1)
	v_fmac_f32_e32 v100, v96, v106
	s_waitcnt vmcnt(0)
	v_fmac_f32_e32 v100, v97, v107
	s_waitcnt lgkmcnt(0)
	s_delay_alu instid0(VALU_DEP_1) | instskip(NEXT) | instid1(VALU_DEP_1)
	v_fmac_f32_e32 v100, v98, v90
	v_fmac_f32_e32 v100, v99, v91
	s_delay_alu instid0(VALU_DEP_1)
	v_sub_f32_e32 v2, v89, v100
	scratch_store_b32 off, v2, off offset:128
	v_cmpx_lt_u32_e32 31, v0
	s_cbranch_execz .LBB106_203
; %bb.202:
	scratch_load_b32 v2, off, off offset:124
	v_mov_b32_e32 v89, 0
	scratch_store_b32 off, v89, off offset:124
	s_waitcnt vmcnt(0)
	ds_store_b32 v1, v2
.LBB106_203:
	s_or_b32 exec_lo, exec_lo, s0
	s_waitcnt lgkmcnt(0)
	s_waitcnt_vscnt null, 0x0
	s_barrier
	buffer_gl0_inv
	s_clause 0x2
	scratch_load_b128 v[89:92], off, off offset:124
	scratch_load_b128 v[93:96], off, off offset:140
	scratch_load_b128 v[97:100], off, off offset:156
	v_mov_b32_e32 v2, 0
	ds_load_b128 v[101:104], v2 offset:304
	ds_load_b128 v[105:108], v2 offset:320
	s_mov_b32 s0, exec_lo
	s_waitcnt vmcnt(2) lgkmcnt(1)
	v_fma_f32 v101, v90, v101, 0
	s_delay_alu instid0(VALU_DEP_1) | instskip(NEXT) | instid1(VALU_DEP_1)
	v_fmac_f32_e32 v101, v91, v102
	v_fmac_f32_e32 v101, v92, v103
	ds_load_b96 v[90:92], v2 offset:336
	s_waitcnt vmcnt(1)
	v_fmac_f32_e32 v101, v93, v104
	s_waitcnt lgkmcnt(1)
	s_delay_alu instid0(VALU_DEP_1) | instskip(NEXT) | instid1(VALU_DEP_1)
	v_fmac_f32_e32 v101, v94, v105
	v_fmac_f32_e32 v101, v95, v106
	s_delay_alu instid0(VALU_DEP_1) | instskip(SKIP_1) | instid1(VALU_DEP_1)
	v_fmac_f32_e32 v101, v96, v107
	s_waitcnt vmcnt(0)
	v_fmac_f32_e32 v101, v97, v108
	s_waitcnt lgkmcnt(0)
	s_delay_alu instid0(VALU_DEP_1) | instskip(NEXT) | instid1(VALU_DEP_1)
	v_fmac_f32_e32 v101, v98, v90
	v_fmac_f32_e32 v101, v99, v91
	s_delay_alu instid0(VALU_DEP_1) | instskip(NEXT) | instid1(VALU_DEP_1)
	v_fmac_f32_e32 v101, v100, v92
	v_sub_f32_e32 v89, v89, v101
	scratch_store_b32 off, v89, off offset:124
	v_cmpx_lt_u32_e32 30, v0
	s_cbranch_execz .LBB106_205
; %bb.204:
	scratch_load_b32 v89, off, off offset:120
	scratch_store_b32 off, v2, off offset:120
	s_waitcnt vmcnt(0)
	ds_store_b32 v1, v89
.LBB106_205:
	s_or_b32 exec_lo, exec_lo, s0
	s_waitcnt lgkmcnt(0)
	s_waitcnt_vscnt null, 0x0
	s_barrier
	buffer_gl0_inv
	s_clause 0x3
	scratch_load_b128 v[89:92], off, off offset:120
	scratch_load_b128 v[93:96], off, off offset:136
	;; [unrolled: 1-line block ×3, first 2 shown]
	scratch_load_b32 v109, off, off offset:168
	ds_load_2addr_b32 v[101:102], v2 offset0:75 offset1:76
	ds_load_2addr_b32 v[103:104], v2 offset0:77 offset1:78
	;; [unrolled: 1-line block ×4, first 2 shown]
	s_mov_b32 s0, exec_lo
	s_waitcnt vmcnt(3) lgkmcnt(3)
	v_fma_f32 v101, v90, v101, 0
	s_delay_alu instid0(VALU_DEP_1) | instskip(SKIP_4) | instid1(VALU_DEP_1)
	v_fmac_f32_e32 v101, v91, v102
	ds_load_2addr_b32 v[90:91], v2 offset0:83 offset1:84
	s_waitcnt lgkmcnt(3)
	v_fmac_f32_e32 v101, v92, v103
	s_waitcnt vmcnt(2)
	v_fmac_f32_e32 v101, v93, v104
	ds_load_2addr_b32 v[92:93], v2 offset0:85 offset1:86
	s_waitcnt lgkmcnt(3)
	v_fmac_f32_e32 v101, v94, v105
	s_delay_alu instid0(VALU_DEP_1) | instskip(SKIP_1) | instid1(VALU_DEP_1)
	v_fmac_f32_e32 v101, v95, v106
	s_waitcnt lgkmcnt(2)
	v_fmac_f32_e32 v101, v96, v107
	s_waitcnt vmcnt(1)
	s_delay_alu instid0(VALU_DEP_1) | instskip(SKIP_1) | instid1(VALU_DEP_1)
	v_fmac_f32_e32 v101, v97, v108
	s_waitcnt lgkmcnt(1)
	v_fmac_f32_e32 v101, v98, v90
	s_delay_alu instid0(VALU_DEP_1) | instskip(SKIP_1) | instid1(VALU_DEP_1)
	v_fmac_f32_e32 v101, v99, v91
	s_waitcnt lgkmcnt(0)
	v_fmac_f32_e32 v101, v100, v92
	s_waitcnt vmcnt(0)
	s_delay_alu instid0(VALU_DEP_1) | instskip(NEXT) | instid1(VALU_DEP_1)
	v_fmac_f32_e32 v101, v109, v93
	v_sub_f32_e32 v2, v89, v101
	scratch_store_b32 off, v2, off offset:120
	v_cmpx_lt_u32_e32 29, v0
	s_cbranch_execz .LBB106_207
; %bb.206:
	scratch_load_b32 v2, off, off offset:116
	v_mov_b32_e32 v89, 0
	scratch_store_b32 off, v89, off offset:116
	s_waitcnt vmcnt(0)
	ds_store_b32 v1, v2
.LBB106_207:
	s_or_b32 exec_lo, exec_lo, s0
	s_waitcnt lgkmcnt(0)
	s_waitcnt_vscnt null, 0x0
	s_barrier
	buffer_gl0_inv
	s_clause 0x3
	scratch_load_b128 v[89:92], off, off offset:116
	scratch_load_b128 v[93:96], off, off offset:132
	;; [unrolled: 1-line block ×3, first 2 shown]
	scratch_load_b64 v[109:110], off, off offset:164
	v_mov_b32_e32 v2, 0
	ds_load_2addr_b64 v[101:104], v2 offset0:37 offset1:38
	ds_load_2addr_b64 v[105:108], v2 offset0:39 offset1:40
	s_mov_b32 s0, exec_lo
	s_waitcnt vmcnt(3) lgkmcnt(1)
	v_fma_f32 v101, v90, v101, 0
	s_delay_alu instid0(VALU_DEP_1) | instskip(NEXT) | instid1(VALU_DEP_1)
	v_fmac_f32_e32 v101, v91, v102
	v_fmac_f32_e32 v101, v92, v103
	s_waitcnt vmcnt(2)
	s_delay_alu instid0(VALU_DEP_1)
	v_fmac_f32_e32 v101, v93, v104
	ds_load_2addr_b64 v[90:93], v2 offset0:41 offset1:42
	s_waitcnt lgkmcnt(1)
	v_fmac_f32_e32 v101, v94, v105
	ds_load_b32 v94, v2 offset:344
	v_fmac_f32_e32 v101, v95, v106
	s_delay_alu instid0(VALU_DEP_1) | instskip(SKIP_1) | instid1(VALU_DEP_1)
	v_fmac_f32_e32 v101, v96, v107
	s_waitcnt vmcnt(1)
	v_fmac_f32_e32 v101, v97, v108
	s_waitcnt lgkmcnt(1)
	s_delay_alu instid0(VALU_DEP_1) | instskip(NEXT) | instid1(VALU_DEP_1)
	v_fmac_f32_e32 v101, v98, v90
	v_fmac_f32_e32 v101, v99, v91
	s_delay_alu instid0(VALU_DEP_1) | instskip(SKIP_1) | instid1(VALU_DEP_1)
	v_fmac_f32_e32 v101, v100, v92
	s_waitcnt vmcnt(0)
	v_fmac_f32_e32 v101, v109, v93
	s_waitcnt lgkmcnt(0)
	s_delay_alu instid0(VALU_DEP_1) | instskip(NEXT) | instid1(VALU_DEP_1)
	v_fmac_f32_e32 v101, v110, v94
	v_sub_f32_e32 v89, v89, v101
	scratch_store_b32 off, v89, off offset:116
	v_cmpx_lt_u32_e32 28, v0
	s_cbranch_execz .LBB106_209
; %bb.208:
	scratch_load_b32 v89, off, off offset:112
	scratch_store_b32 off, v2, off offset:112
	s_waitcnt vmcnt(0)
	ds_store_b32 v1, v89
.LBB106_209:
	s_or_b32 exec_lo, exec_lo, s0
	s_waitcnt lgkmcnt(0)
	s_waitcnt_vscnt null, 0x0
	s_barrier
	buffer_gl0_inv
	s_clause 0x3
	scratch_load_b128 v[89:92], off, off offset:112
	scratch_load_b128 v[93:96], off, off offset:128
	;; [unrolled: 1-line block ×3, first 2 shown]
	scratch_load_b96 v[101:103], off, off offset:160
	ds_load_2addr_b32 v[104:105], v2 offset0:73 offset1:74
	ds_load_2addr_b32 v[106:107], v2 offset0:75 offset1:76
	;; [unrolled: 1-line block ×4, first 2 shown]
	s_mov_b32 s0, exec_lo
	s_waitcnt vmcnt(3) lgkmcnt(3)
	v_fma_f32 v104, v90, v104, 0
	s_delay_alu instid0(VALU_DEP_1) | instskip(SKIP_4) | instid1(VALU_DEP_1)
	v_fmac_f32_e32 v104, v91, v105
	ds_load_2addr_b32 v[90:91], v2 offset0:81 offset1:82
	s_waitcnt lgkmcnt(3)
	v_fmac_f32_e32 v104, v92, v106
	s_waitcnt vmcnt(2)
	v_fmac_f32_e32 v104, v93, v107
	ds_load_2addr_b32 v[92:93], v2 offset0:83 offset1:84
	s_waitcnt lgkmcnt(3)
	v_fmac_f32_e32 v104, v94, v108
	s_delay_alu instid0(VALU_DEP_1) | instskip(SKIP_4) | instid1(VALU_DEP_1)
	v_fmac_f32_e32 v104, v95, v109
	ds_load_2addr_b32 v[94:95], v2 offset0:85 offset1:86
	s_waitcnt lgkmcnt(3)
	v_fmac_f32_e32 v104, v96, v110
	s_waitcnt vmcnt(1)
	v_fmac_f32_e32 v104, v97, v111
	s_waitcnt lgkmcnt(2)
	s_delay_alu instid0(VALU_DEP_1) | instskip(NEXT) | instid1(VALU_DEP_1)
	v_fmac_f32_e32 v104, v98, v90
	v_fmac_f32_e32 v104, v99, v91
	s_waitcnt lgkmcnt(1)
	s_delay_alu instid0(VALU_DEP_1) | instskip(SKIP_1) | instid1(VALU_DEP_1)
	v_fmac_f32_e32 v104, v100, v92
	s_waitcnt vmcnt(0)
	v_fmac_f32_e32 v104, v101, v93
	s_waitcnt lgkmcnt(0)
	s_delay_alu instid0(VALU_DEP_1) | instskip(NEXT) | instid1(VALU_DEP_1)
	v_fmac_f32_e32 v104, v102, v94
	v_fmac_f32_e32 v104, v103, v95
	s_delay_alu instid0(VALU_DEP_1)
	v_sub_f32_e32 v2, v89, v104
	scratch_store_b32 off, v2, off offset:112
	v_cmpx_lt_u32_e32 27, v0
	s_cbranch_execz .LBB106_211
; %bb.210:
	scratch_load_b32 v2, off, off offset:108
	v_mov_b32_e32 v89, 0
	scratch_store_b32 off, v89, off offset:108
	s_waitcnt vmcnt(0)
	ds_store_b32 v1, v2
.LBB106_211:
	s_or_b32 exec_lo, exec_lo, s0
	s_waitcnt lgkmcnt(0)
	s_waitcnt_vscnt null, 0x0
	s_barrier
	buffer_gl0_inv
	s_clause 0x3
	scratch_load_b128 v[89:92], off, off offset:108
	scratch_load_b128 v[93:96], off, off offset:124
	;; [unrolled: 1-line block ×4, first 2 shown]
	v_mov_b32_e32 v2, 0
	ds_load_b128 v[105:108], v2 offset:288
	ds_load_b128 v[109:112], v2 offset:304
	s_mov_b32 s0, exec_lo
	s_waitcnt vmcnt(3) lgkmcnt(1)
	v_fma_f32 v105, v90, v105, 0
	s_delay_alu instid0(VALU_DEP_1) | instskip(NEXT) | instid1(VALU_DEP_1)
	v_fmac_f32_e32 v105, v91, v106
	v_fmac_f32_e32 v105, v92, v107
	s_waitcnt vmcnt(2)
	s_delay_alu instid0(VALU_DEP_1) | instskip(SKIP_3) | instid1(VALU_DEP_1)
	v_fmac_f32_e32 v105, v93, v108
	ds_load_b128 v[90:93], v2 offset:320
	s_waitcnt lgkmcnt(1)
	v_fmac_f32_e32 v105, v94, v109
	v_fmac_f32_e32 v105, v95, v110
	s_delay_alu instid0(VALU_DEP_1) | instskip(SKIP_4) | instid1(VALU_DEP_1)
	v_fmac_f32_e32 v105, v96, v111
	ds_load_b96 v[94:96], v2 offset:336
	s_waitcnt vmcnt(1)
	v_fmac_f32_e32 v105, v97, v112
	s_waitcnt lgkmcnt(1)
	v_fmac_f32_e32 v105, v98, v90
	s_delay_alu instid0(VALU_DEP_1) | instskip(NEXT) | instid1(VALU_DEP_1)
	v_fmac_f32_e32 v105, v99, v91
	v_fmac_f32_e32 v105, v100, v92
	s_waitcnt vmcnt(0)
	s_delay_alu instid0(VALU_DEP_1) | instskip(SKIP_1) | instid1(VALU_DEP_1)
	v_fmac_f32_e32 v105, v101, v93
	s_waitcnt lgkmcnt(0)
	v_fmac_f32_e32 v105, v102, v94
	s_delay_alu instid0(VALU_DEP_1) | instskip(NEXT) | instid1(VALU_DEP_1)
	v_fmac_f32_e32 v105, v103, v95
	v_fmac_f32_e32 v105, v104, v96
	s_delay_alu instid0(VALU_DEP_1)
	v_sub_f32_e32 v89, v89, v105
	scratch_store_b32 off, v89, off offset:108
	v_cmpx_lt_u32_e32 26, v0
	s_cbranch_execz .LBB106_213
; %bb.212:
	scratch_load_b32 v89, off, off offset:104
	scratch_store_b32 off, v2, off offset:104
	s_waitcnt vmcnt(0)
	ds_store_b32 v1, v89
.LBB106_213:
	s_or_b32 exec_lo, exec_lo, s0
	s_waitcnt lgkmcnt(0)
	s_waitcnt_vscnt null, 0x0
	s_barrier
	buffer_gl0_inv
	s_clause 0x4
	scratch_load_b128 v[89:92], off, off offset:104
	scratch_load_b128 v[93:96], off, off offset:120
	;; [unrolled: 1-line block ×4, first 2 shown]
	scratch_load_b32 v113, off, off offset:168
	ds_load_2addr_b32 v[105:106], v2 offset0:71 offset1:72
	ds_load_2addr_b32 v[107:108], v2 offset0:73 offset1:74
	ds_load_2addr_b32 v[109:110], v2 offset0:75 offset1:76
	ds_load_2addr_b32 v[111:112], v2 offset0:77 offset1:78
	s_mov_b32 s0, exec_lo
	s_waitcnt vmcnt(4) lgkmcnt(3)
	v_fma_f32 v105, v90, v105, 0
	s_delay_alu instid0(VALU_DEP_1) | instskip(SKIP_4) | instid1(VALU_DEP_1)
	v_fmac_f32_e32 v105, v91, v106
	ds_load_2addr_b32 v[90:91], v2 offset0:79 offset1:80
	s_waitcnt lgkmcnt(3)
	v_fmac_f32_e32 v105, v92, v107
	s_waitcnt vmcnt(3)
	v_fmac_f32_e32 v105, v93, v108
	ds_load_2addr_b32 v[92:93], v2 offset0:81 offset1:82
	s_waitcnt lgkmcnt(3)
	v_fmac_f32_e32 v105, v94, v109
	s_delay_alu instid0(VALU_DEP_1) | instskip(SKIP_1) | instid1(VALU_DEP_1)
	v_fmac_f32_e32 v105, v95, v110
	s_waitcnt lgkmcnt(2)
	v_fmac_f32_e32 v105, v96, v111
	s_waitcnt vmcnt(2)
	s_delay_alu instid0(VALU_DEP_1) | instskip(SKIP_4) | instid1(VALU_DEP_1)
	v_fmac_f32_e32 v105, v97, v112
	ds_load_2addr_b32 v[94:95], v2 offset0:83 offset1:84
	ds_load_2addr_b32 v[96:97], v2 offset0:85 offset1:86
	s_waitcnt lgkmcnt(3)
	v_fmac_f32_e32 v105, v98, v90
	v_fmac_f32_e32 v105, v99, v91
	s_waitcnt lgkmcnt(2)
	s_delay_alu instid0(VALU_DEP_1) | instskip(SKIP_1) | instid1(VALU_DEP_1)
	v_fmac_f32_e32 v105, v100, v92
	s_waitcnt vmcnt(1)
	v_fmac_f32_e32 v105, v101, v93
	s_waitcnt lgkmcnt(1)
	s_delay_alu instid0(VALU_DEP_1) | instskip(NEXT) | instid1(VALU_DEP_1)
	v_fmac_f32_e32 v105, v102, v94
	v_fmac_f32_e32 v105, v103, v95
	s_waitcnt lgkmcnt(0)
	s_delay_alu instid0(VALU_DEP_1) | instskip(SKIP_1) | instid1(VALU_DEP_1)
	v_fmac_f32_e32 v105, v104, v96
	s_waitcnt vmcnt(0)
	v_fmac_f32_e32 v105, v113, v97
	s_delay_alu instid0(VALU_DEP_1)
	v_sub_f32_e32 v2, v89, v105
	scratch_store_b32 off, v2, off offset:104
	v_cmpx_lt_u32_e32 25, v0
	s_cbranch_execz .LBB106_215
; %bb.214:
	scratch_load_b32 v2, off, off offset:100
	v_mov_b32_e32 v89, 0
	scratch_store_b32 off, v89, off offset:100
	s_waitcnt vmcnt(0)
	ds_store_b32 v1, v2
.LBB106_215:
	s_or_b32 exec_lo, exec_lo, s0
	s_waitcnt lgkmcnt(0)
	s_waitcnt_vscnt null, 0x0
	s_barrier
	buffer_gl0_inv
	s_clause 0x4
	scratch_load_b128 v[89:92], off, off offset:100
	scratch_load_b128 v[93:96], off, off offset:116
	;; [unrolled: 1-line block ×4, first 2 shown]
	scratch_load_b64 v[113:114], off, off offset:164
	v_mov_b32_e32 v2, 0
	ds_load_2addr_b64 v[105:108], v2 offset0:35 offset1:36
	ds_load_2addr_b64 v[109:112], v2 offset0:37 offset1:38
	s_mov_b32 s0, exec_lo
	s_waitcnt vmcnt(4) lgkmcnt(1)
	v_fma_f32 v105, v90, v105, 0
	s_delay_alu instid0(VALU_DEP_1) | instskip(NEXT) | instid1(VALU_DEP_1)
	v_fmac_f32_e32 v105, v91, v106
	v_fmac_f32_e32 v105, v92, v107
	s_waitcnt vmcnt(3)
	s_delay_alu instid0(VALU_DEP_1) | instskip(SKIP_3) | instid1(VALU_DEP_1)
	v_fmac_f32_e32 v105, v93, v108
	ds_load_2addr_b64 v[90:93], v2 offset0:39 offset1:40
	s_waitcnt lgkmcnt(1)
	v_fmac_f32_e32 v105, v94, v109
	v_fmac_f32_e32 v105, v95, v110
	s_delay_alu instid0(VALU_DEP_1) | instskip(SKIP_1) | instid1(VALU_DEP_1)
	v_fmac_f32_e32 v105, v96, v111
	s_waitcnt vmcnt(2)
	v_fmac_f32_e32 v105, v97, v112
	ds_load_2addr_b64 v[94:97], v2 offset0:41 offset1:42
	s_waitcnt lgkmcnt(1)
	v_fmac_f32_e32 v105, v98, v90
	ds_load_b32 v90, v2 offset:344
	v_fmac_f32_e32 v105, v99, v91
	s_delay_alu instid0(VALU_DEP_1) | instskip(SKIP_1) | instid1(VALU_DEP_1)
	v_fmac_f32_e32 v105, v100, v92
	s_waitcnt vmcnt(1)
	v_fmac_f32_e32 v105, v101, v93
	s_waitcnt lgkmcnt(1)
	s_delay_alu instid0(VALU_DEP_1) | instskip(NEXT) | instid1(VALU_DEP_1)
	v_fmac_f32_e32 v105, v102, v94
	v_fmac_f32_e32 v105, v103, v95
	s_delay_alu instid0(VALU_DEP_1) | instskip(SKIP_1) | instid1(VALU_DEP_1)
	v_fmac_f32_e32 v105, v104, v96
	s_waitcnt vmcnt(0)
	v_fmac_f32_e32 v105, v113, v97
	s_waitcnt lgkmcnt(0)
	s_delay_alu instid0(VALU_DEP_1) | instskip(NEXT) | instid1(VALU_DEP_1)
	v_fmac_f32_e32 v105, v114, v90
	v_sub_f32_e32 v89, v89, v105
	scratch_store_b32 off, v89, off offset:100
	v_cmpx_lt_u32_e32 24, v0
	s_cbranch_execz .LBB106_217
; %bb.216:
	scratch_load_b32 v89, off, off offset:96
	scratch_store_b32 off, v2, off offset:96
	s_waitcnt vmcnt(0)
	ds_store_b32 v1, v89
.LBB106_217:
	s_or_b32 exec_lo, exec_lo, s0
	s_waitcnt lgkmcnt(0)
	s_waitcnt_vscnt null, 0x0
	s_barrier
	buffer_gl0_inv
	s_clause 0x4
	scratch_load_b128 v[89:92], off, off offset:96
	scratch_load_b128 v[93:96], off, off offset:112
	;; [unrolled: 1-line block ×4, first 2 shown]
	scratch_load_b96 v[105:107], off, off offset:160
	ds_load_2addr_b32 v[108:109], v2 offset0:69 offset1:70
	ds_load_2addr_b32 v[110:111], v2 offset0:71 offset1:72
	;; [unrolled: 1-line block ×4, first 2 shown]
	s_mov_b32 s0, exec_lo
	s_waitcnt vmcnt(4) lgkmcnt(3)
	v_fma_f32 v108, v90, v108, 0
	s_delay_alu instid0(VALU_DEP_1) | instskip(SKIP_4) | instid1(VALU_DEP_1)
	v_fmac_f32_e32 v108, v91, v109
	ds_load_2addr_b32 v[90:91], v2 offset0:77 offset1:78
	s_waitcnt lgkmcnt(3)
	v_fmac_f32_e32 v108, v92, v110
	s_waitcnt vmcnt(3)
	v_fmac_f32_e32 v108, v93, v111
	ds_load_2addr_b32 v[92:93], v2 offset0:79 offset1:80
	s_waitcnt lgkmcnt(3)
	v_fmac_f32_e32 v108, v94, v112
	s_delay_alu instid0(VALU_DEP_1) | instskip(SKIP_1) | instid1(VALU_DEP_1)
	v_fmac_f32_e32 v108, v95, v113
	s_waitcnt lgkmcnt(2)
	v_fmac_f32_e32 v108, v96, v114
	s_waitcnt vmcnt(2)
	s_delay_alu instid0(VALU_DEP_1) | instskip(SKIP_4) | instid1(VALU_DEP_1)
	v_fmac_f32_e32 v108, v97, v115
	ds_load_2addr_b32 v[94:95], v2 offset0:81 offset1:82
	ds_load_2addr_b32 v[96:97], v2 offset0:83 offset1:84
	s_waitcnt lgkmcnt(3)
	v_fmac_f32_e32 v108, v98, v90
	v_fmac_f32_e32 v108, v99, v91
	ds_load_2addr_b32 v[90:91], v2 offset0:85 offset1:86
	s_waitcnt lgkmcnt(3)
	v_fmac_f32_e32 v108, v100, v92
	s_waitcnt vmcnt(1)
	s_delay_alu instid0(VALU_DEP_1) | instskip(SKIP_1) | instid1(VALU_DEP_1)
	v_fmac_f32_e32 v108, v101, v93
	s_waitcnt lgkmcnt(2)
	v_fmac_f32_e32 v108, v102, v94
	s_delay_alu instid0(VALU_DEP_1) | instskip(SKIP_1) | instid1(VALU_DEP_1)
	v_fmac_f32_e32 v108, v103, v95
	s_waitcnt lgkmcnt(1)
	v_fmac_f32_e32 v108, v104, v96
	s_waitcnt vmcnt(0)
	s_delay_alu instid0(VALU_DEP_1) | instskip(SKIP_1) | instid1(VALU_DEP_1)
	v_fmac_f32_e32 v108, v105, v97
	s_waitcnt lgkmcnt(0)
	v_fmac_f32_e32 v108, v106, v90
	s_delay_alu instid0(VALU_DEP_1) | instskip(NEXT) | instid1(VALU_DEP_1)
	v_fmac_f32_e32 v108, v107, v91
	v_sub_f32_e32 v2, v89, v108
	scratch_store_b32 off, v2, off offset:96
	v_cmpx_lt_u32_e32 23, v0
	s_cbranch_execz .LBB106_219
; %bb.218:
	scratch_load_b32 v2, off, off offset:92
	v_mov_b32_e32 v89, 0
	scratch_store_b32 off, v89, off offset:92
	s_waitcnt vmcnt(0)
	ds_store_b32 v1, v2
.LBB106_219:
	s_or_b32 exec_lo, exec_lo, s0
	s_waitcnt lgkmcnt(0)
	s_waitcnt_vscnt null, 0x0
	s_barrier
	buffer_gl0_inv
	s_clause 0x4
	scratch_load_b128 v[89:92], off, off offset:92
	scratch_load_b128 v[93:96], off, off offset:108
	;; [unrolled: 1-line block ×5, first 2 shown]
	v_mov_b32_e32 v2, 0
	ds_load_b128 v[109:112], v2 offset:272
	ds_load_b128 v[113:116], v2 offset:288
	s_mov_b32 s0, exec_lo
	s_waitcnt vmcnt(4) lgkmcnt(1)
	v_fma_f32 v109, v90, v109, 0
	s_delay_alu instid0(VALU_DEP_1) | instskip(NEXT) | instid1(VALU_DEP_1)
	v_fmac_f32_e32 v109, v91, v110
	v_fmac_f32_e32 v109, v92, v111
	s_waitcnt vmcnt(3)
	s_delay_alu instid0(VALU_DEP_1) | instskip(SKIP_3) | instid1(VALU_DEP_1)
	v_fmac_f32_e32 v109, v93, v112
	ds_load_b128 v[90:93], v2 offset:304
	s_waitcnt lgkmcnt(1)
	v_fmac_f32_e32 v109, v94, v113
	v_fmac_f32_e32 v109, v95, v114
	s_delay_alu instid0(VALU_DEP_1) | instskip(SKIP_1) | instid1(VALU_DEP_1)
	v_fmac_f32_e32 v109, v96, v115
	s_waitcnt vmcnt(2)
	v_fmac_f32_e32 v109, v97, v116
	ds_load_b128 v[94:97], v2 offset:320
	s_waitcnt lgkmcnt(1)
	v_fmac_f32_e32 v109, v98, v90
	s_delay_alu instid0(VALU_DEP_1) | instskip(NEXT) | instid1(VALU_DEP_1)
	v_fmac_f32_e32 v109, v99, v91
	v_fmac_f32_e32 v109, v100, v92
	ds_load_b96 v[90:92], v2 offset:336
	s_waitcnt vmcnt(1)
	v_fmac_f32_e32 v109, v101, v93
	s_waitcnt lgkmcnt(1)
	s_delay_alu instid0(VALU_DEP_1) | instskip(NEXT) | instid1(VALU_DEP_1)
	v_fmac_f32_e32 v109, v102, v94
	v_fmac_f32_e32 v109, v103, v95
	s_delay_alu instid0(VALU_DEP_1) | instskip(SKIP_1) | instid1(VALU_DEP_1)
	v_fmac_f32_e32 v109, v104, v96
	s_waitcnt vmcnt(0)
	v_fmac_f32_e32 v109, v105, v97
	s_waitcnt lgkmcnt(0)
	s_delay_alu instid0(VALU_DEP_1) | instskip(NEXT) | instid1(VALU_DEP_1)
	v_fmac_f32_e32 v109, v106, v90
	v_fmac_f32_e32 v109, v107, v91
	s_delay_alu instid0(VALU_DEP_1) | instskip(NEXT) | instid1(VALU_DEP_1)
	v_fmac_f32_e32 v109, v108, v92
	v_sub_f32_e32 v89, v89, v109
	scratch_store_b32 off, v89, off offset:92
	v_cmpx_lt_u32_e32 22, v0
	s_cbranch_execz .LBB106_221
; %bb.220:
	scratch_load_b32 v89, off, off offset:88
	scratch_store_b32 off, v2, off offset:88
	s_waitcnt vmcnt(0)
	ds_store_b32 v1, v89
.LBB106_221:
	s_or_b32 exec_lo, exec_lo, s0
	s_waitcnt lgkmcnt(0)
	s_waitcnt_vscnt null, 0x0
	s_barrier
	buffer_gl0_inv
	s_clause 0x5
	scratch_load_b128 v[89:92], off, off offset:88
	scratch_load_b128 v[93:96], off, off offset:104
	scratch_load_b128 v[97:100], off, off offset:120
	scratch_load_b128 v[101:104], off, off offset:136
	scratch_load_b128 v[105:108], off, off offset:152
	scratch_load_b32 v117, off, off offset:168
	ds_load_2addr_b32 v[109:110], v2 offset0:67 offset1:68
	ds_load_2addr_b32 v[111:112], v2 offset0:69 offset1:70
	;; [unrolled: 1-line block ×4, first 2 shown]
	s_mov_b32 s0, exec_lo
	s_waitcnt vmcnt(5) lgkmcnt(3)
	v_fma_f32 v109, v90, v109, 0
	s_delay_alu instid0(VALU_DEP_1) | instskip(SKIP_4) | instid1(VALU_DEP_1)
	v_fmac_f32_e32 v109, v91, v110
	ds_load_2addr_b32 v[90:91], v2 offset0:75 offset1:76
	s_waitcnt lgkmcnt(3)
	v_fmac_f32_e32 v109, v92, v111
	s_waitcnt vmcnt(4)
	v_fmac_f32_e32 v109, v93, v112
	ds_load_2addr_b32 v[92:93], v2 offset0:77 offset1:78
	s_waitcnt lgkmcnt(3)
	v_fmac_f32_e32 v109, v94, v113
	s_delay_alu instid0(VALU_DEP_1) | instskip(SKIP_1) | instid1(VALU_DEP_1)
	v_fmac_f32_e32 v109, v95, v114
	s_waitcnt lgkmcnt(2)
	v_fmac_f32_e32 v109, v96, v115
	s_waitcnt vmcnt(3)
	s_delay_alu instid0(VALU_DEP_1) | instskip(SKIP_4) | instid1(VALU_DEP_1)
	v_fmac_f32_e32 v109, v97, v116
	ds_load_2addr_b32 v[94:95], v2 offset0:79 offset1:80
	ds_load_2addr_b32 v[96:97], v2 offset0:81 offset1:82
	s_waitcnt lgkmcnt(3)
	v_fmac_f32_e32 v109, v98, v90
	v_fmac_f32_e32 v109, v99, v91
	ds_load_2addr_b32 v[90:91], v2 offset0:83 offset1:84
	s_waitcnt lgkmcnt(3)
	v_fmac_f32_e32 v109, v100, v92
	s_waitcnt vmcnt(2)
	s_delay_alu instid0(VALU_DEP_1) | instskip(SKIP_3) | instid1(VALU_DEP_1)
	v_fmac_f32_e32 v109, v101, v93
	ds_load_2addr_b32 v[92:93], v2 offset0:85 offset1:86
	s_waitcnt lgkmcnt(3)
	v_fmac_f32_e32 v109, v102, v94
	v_fmac_f32_e32 v109, v103, v95
	s_waitcnt lgkmcnt(2)
	s_delay_alu instid0(VALU_DEP_1) | instskip(SKIP_1) | instid1(VALU_DEP_1)
	v_fmac_f32_e32 v109, v104, v96
	s_waitcnt vmcnt(1)
	v_fmac_f32_e32 v109, v105, v97
	s_waitcnt lgkmcnt(1)
	s_delay_alu instid0(VALU_DEP_1) | instskip(NEXT) | instid1(VALU_DEP_1)
	v_fmac_f32_e32 v109, v106, v90
	v_fmac_f32_e32 v109, v107, v91
	s_waitcnt lgkmcnt(0)
	s_delay_alu instid0(VALU_DEP_1) | instskip(SKIP_1) | instid1(VALU_DEP_1)
	v_fmac_f32_e32 v109, v108, v92
	s_waitcnt vmcnt(0)
	v_fmac_f32_e32 v109, v117, v93
	s_delay_alu instid0(VALU_DEP_1)
	v_sub_f32_e32 v2, v89, v109
	scratch_store_b32 off, v2, off offset:88
	v_cmpx_lt_u32_e32 21, v0
	s_cbranch_execz .LBB106_223
; %bb.222:
	scratch_load_b32 v2, off, off offset:84
	v_mov_b32_e32 v89, 0
	scratch_store_b32 off, v89, off offset:84
	s_waitcnt vmcnt(0)
	ds_store_b32 v1, v2
.LBB106_223:
	s_or_b32 exec_lo, exec_lo, s0
	s_waitcnt lgkmcnt(0)
	s_waitcnt_vscnt null, 0x0
	s_barrier
	buffer_gl0_inv
	s_clause 0x5
	scratch_load_b128 v[89:92], off, off offset:84
	scratch_load_b128 v[93:96], off, off offset:100
	;; [unrolled: 1-line block ×5, first 2 shown]
	scratch_load_b64 v[117:118], off, off offset:164
	v_mov_b32_e32 v2, 0
	ds_load_2addr_b64 v[109:112], v2 offset0:33 offset1:34
	ds_load_2addr_b64 v[113:116], v2 offset0:35 offset1:36
	s_mov_b32 s0, exec_lo
	s_waitcnt vmcnt(5) lgkmcnt(1)
	v_fma_f32 v109, v90, v109, 0
	s_delay_alu instid0(VALU_DEP_1) | instskip(NEXT) | instid1(VALU_DEP_1)
	v_fmac_f32_e32 v109, v91, v110
	v_fmac_f32_e32 v109, v92, v111
	s_waitcnt vmcnt(4)
	s_delay_alu instid0(VALU_DEP_1) | instskip(SKIP_3) | instid1(VALU_DEP_1)
	v_fmac_f32_e32 v109, v93, v112
	ds_load_2addr_b64 v[90:93], v2 offset0:37 offset1:38
	s_waitcnt lgkmcnt(1)
	v_fmac_f32_e32 v109, v94, v113
	v_fmac_f32_e32 v109, v95, v114
	s_delay_alu instid0(VALU_DEP_1) | instskip(SKIP_1) | instid1(VALU_DEP_1)
	v_fmac_f32_e32 v109, v96, v115
	s_waitcnt vmcnt(3)
	v_fmac_f32_e32 v109, v97, v116
	ds_load_2addr_b64 v[94:97], v2 offset0:39 offset1:40
	s_waitcnt lgkmcnt(1)
	v_fmac_f32_e32 v109, v98, v90
	s_delay_alu instid0(VALU_DEP_1) | instskip(NEXT) | instid1(VALU_DEP_1)
	v_fmac_f32_e32 v109, v99, v91
	v_fmac_f32_e32 v109, v100, v92
	s_waitcnt vmcnt(2)
	s_delay_alu instid0(VALU_DEP_1)
	v_fmac_f32_e32 v109, v101, v93
	ds_load_2addr_b64 v[90:93], v2 offset0:41 offset1:42
	s_waitcnt lgkmcnt(1)
	v_fmac_f32_e32 v109, v102, v94
	ds_load_b32 v94, v2 offset:344
	v_fmac_f32_e32 v109, v103, v95
	s_delay_alu instid0(VALU_DEP_1) | instskip(SKIP_1) | instid1(VALU_DEP_1)
	v_fmac_f32_e32 v109, v104, v96
	s_waitcnt vmcnt(1)
	v_fmac_f32_e32 v109, v105, v97
	s_waitcnt lgkmcnt(1)
	s_delay_alu instid0(VALU_DEP_1) | instskip(NEXT) | instid1(VALU_DEP_1)
	v_fmac_f32_e32 v109, v106, v90
	v_fmac_f32_e32 v109, v107, v91
	s_delay_alu instid0(VALU_DEP_1) | instskip(SKIP_1) | instid1(VALU_DEP_1)
	v_fmac_f32_e32 v109, v108, v92
	s_waitcnt vmcnt(0)
	v_fmac_f32_e32 v109, v117, v93
	s_waitcnt lgkmcnt(0)
	s_delay_alu instid0(VALU_DEP_1) | instskip(NEXT) | instid1(VALU_DEP_1)
	v_fmac_f32_e32 v109, v118, v94
	v_sub_f32_e32 v89, v89, v109
	scratch_store_b32 off, v89, off offset:84
	v_cmpx_lt_u32_e32 20, v0
	s_cbranch_execz .LBB106_225
; %bb.224:
	scratch_load_b32 v89, off, off offset:80
	scratch_store_b32 off, v2, off offset:80
	s_waitcnt vmcnt(0)
	ds_store_b32 v1, v89
.LBB106_225:
	s_or_b32 exec_lo, exec_lo, s0
	s_waitcnt lgkmcnt(0)
	s_waitcnt_vscnt null, 0x0
	s_barrier
	buffer_gl0_inv
	s_clause 0x5
	scratch_load_b128 v[89:92], off, off offset:80
	scratch_load_b128 v[93:96], off, off offset:96
	;; [unrolled: 1-line block ×5, first 2 shown]
	scratch_load_b96 v[109:111], off, off offset:160
	ds_load_2addr_b32 v[112:113], v2 offset0:65 offset1:66
	ds_load_2addr_b32 v[114:115], v2 offset0:67 offset1:68
	;; [unrolled: 1-line block ×3, first 2 shown]
	s_mov_b32 s0, exec_lo
	s_waitcnt vmcnt(5) lgkmcnt(2)
	v_fma_f32 v112, v90, v112, 0
	s_delay_alu instid0(VALU_DEP_1) | instskip(SKIP_4) | instid1(VALU_DEP_1)
	v_fmac_f32_e32 v112, v91, v113
	ds_load_2addr_b32 v[90:91], v2 offset0:71 offset1:72
	s_waitcnt lgkmcnt(2)
	v_fmac_f32_e32 v112, v92, v114
	s_waitcnt vmcnt(4)
	v_fmac_f32_e32 v112, v93, v115
	ds_load_2addr_b32 v[92:93], v2 offset0:73 offset1:74
	s_waitcnt lgkmcnt(2)
	v_fmac_f32_e32 v112, v94, v116
	s_delay_alu instid0(VALU_DEP_1) | instskip(SKIP_4) | instid1(VALU_DEP_1)
	v_fmac_f32_e32 v112, v95, v117
	ds_load_2addr_b32 v[94:95], v2 offset0:75 offset1:76
	s_waitcnt lgkmcnt(2)
	v_fmac_f32_e32 v112, v96, v90
	s_waitcnt vmcnt(3)
	v_fmac_f32_e32 v112, v97, v91
	ds_load_2addr_b32 v[90:91], v2 offset0:77 offset1:78
	s_waitcnt lgkmcnt(2)
	v_fmac_f32_e32 v112, v98, v92
	;; [unrolled: 10-line block ×4, first 2 shown]
	s_delay_alu instid0(VALU_DEP_1) | instskip(SKIP_1) | instid1(VALU_DEP_1)
	v_fmac_f32_e32 v112, v107, v95
	s_waitcnt lgkmcnt(1)
	v_fmac_f32_e32 v112, v108, v90
	s_waitcnt vmcnt(0)
	s_delay_alu instid0(VALU_DEP_1) | instskip(SKIP_1) | instid1(VALU_DEP_1)
	v_fmac_f32_e32 v112, v109, v91
	s_waitcnt lgkmcnt(0)
	v_fmac_f32_e32 v112, v110, v92
	s_delay_alu instid0(VALU_DEP_1) | instskip(NEXT) | instid1(VALU_DEP_1)
	v_fmac_f32_e32 v112, v111, v93
	v_sub_f32_e32 v2, v89, v112
	scratch_store_b32 off, v2, off offset:80
	v_cmpx_lt_u32_e32 19, v0
	s_cbranch_execz .LBB106_227
; %bb.226:
	scratch_load_b32 v2, off, off offset:76
	v_mov_b32_e32 v89, 0
	scratch_store_b32 off, v89, off offset:76
	s_waitcnt vmcnt(0)
	ds_store_b32 v1, v2
.LBB106_227:
	s_or_b32 exec_lo, exec_lo, s0
	s_waitcnt lgkmcnt(0)
	s_waitcnt_vscnt null, 0x0
	s_barrier
	buffer_gl0_inv
	s_clause 0x5
	scratch_load_b128 v[89:92], off, off offset:76
	scratch_load_b128 v[93:96], off, off offset:92
	;; [unrolled: 1-line block ×6, first 2 shown]
	v_mov_b32_e32 v2, 0
	ds_load_b128 v[113:116], v2 offset:256
	ds_load_b128 v[117:120], v2 offset:272
	s_mov_b32 s0, exec_lo
	s_waitcnt vmcnt(5) lgkmcnt(1)
	v_fma_f32 v113, v90, v113, 0
	s_delay_alu instid0(VALU_DEP_1) | instskip(NEXT) | instid1(VALU_DEP_1)
	v_fmac_f32_e32 v113, v91, v114
	v_fmac_f32_e32 v113, v92, v115
	s_waitcnt vmcnt(4)
	s_delay_alu instid0(VALU_DEP_1) | instskip(SKIP_3) | instid1(VALU_DEP_1)
	v_fmac_f32_e32 v113, v93, v116
	ds_load_b128 v[90:93], v2 offset:288
	s_waitcnt lgkmcnt(1)
	v_fmac_f32_e32 v113, v94, v117
	v_fmac_f32_e32 v113, v95, v118
	s_delay_alu instid0(VALU_DEP_1) | instskip(SKIP_1) | instid1(VALU_DEP_1)
	v_fmac_f32_e32 v113, v96, v119
	s_waitcnt vmcnt(3)
	v_fmac_f32_e32 v113, v97, v120
	ds_load_b128 v[94:97], v2 offset:304
	s_waitcnt lgkmcnt(1)
	v_fmac_f32_e32 v113, v98, v90
	s_delay_alu instid0(VALU_DEP_1) | instskip(NEXT) | instid1(VALU_DEP_1)
	v_fmac_f32_e32 v113, v99, v91
	v_fmac_f32_e32 v113, v100, v92
	s_waitcnt vmcnt(2)
	s_delay_alu instid0(VALU_DEP_1) | instskip(SKIP_3) | instid1(VALU_DEP_1)
	v_fmac_f32_e32 v113, v101, v93
	ds_load_b128 v[90:93], v2 offset:320
	s_waitcnt lgkmcnt(1)
	v_fmac_f32_e32 v113, v102, v94
	v_fmac_f32_e32 v113, v103, v95
	s_delay_alu instid0(VALU_DEP_1) | instskip(SKIP_4) | instid1(VALU_DEP_1)
	v_fmac_f32_e32 v113, v104, v96
	ds_load_b96 v[94:96], v2 offset:336
	s_waitcnt vmcnt(1)
	v_fmac_f32_e32 v113, v105, v97
	s_waitcnt lgkmcnt(1)
	v_fmac_f32_e32 v113, v106, v90
	s_delay_alu instid0(VALU_DEP_1) | instskip(NEXT) | instid1(VALU_DEP_1)
	v_fmac_f32_e32 v113, v107, v91
	v_fmac_f32_e32 v113, v108, v92
	s_waitcnt vmcnt(0)
	s_delay_alu instid0(VALU_DEP_1) | instskip(SKIP_1) | instid1(VALU_DEP_1)
	v_fmac_f32_e32 v113, v109, v93
	s_waitcnt lgkmcnt(0)
	v_fmac_f32_e32 v113, v110, v94
	s_delay_alu instid0(VALU_DEP_1) | instskip(NEXT) | instid1(VALU_DEP_1)
	v_fmac_f32_e32 v113, v111, v95
	v_fmac_f32_e32 v113, v112, v96
	s_delay_alu instid0(VALU_DEP_1)
	v_sub_f32_e32 v89, v89, v113
	scratch_store_b32 off, v89, off offset:76
	v_cmpx_lt_u32_e32 18, v0
	s_cbranch_execz .LBB106_229
; %bb.228:
	scratch_load_b32 v89, off, off offset:72
	scratch_store_b32 off, v2, off offset:72
	s_waitcnt vmcnt(0)
	ds_store_b32 v1, v89
.LBB106_229:
	s_or_b32 exec_lo, exec_lo, s0
	s_waitcnt lgkmcnt(0)
	s_waitcnt_vscnt null, 0x0
	s_barrier
	buffer_gl0_inv
	s_clause 0x6
	scratch_load_b128 v[89:92], off, off offset:72
	scratch_load_b128 v[93:96], off, off offset:88
	;; [unrolled: 1-line block ×6, first 2 shown]
	scratch_load_b32 v121, off, off offset:168
	ds_load_2addr_b32 v[113:114], v2 offset0:63 offset1:64
	ds_load_2addr_b32 v[115:116], v2 offset0:65 offset1:66
	;; [unrolled: 1-line block ×4, first 2 shown]
	s_mov_b32 s0, exec_lo
	s_waitcnt vmcnt(6) lgkmcnt(3)
	v_fma_f32 v113, v90, v113, 0
	s_delay_alu instid0(VALU_DEP_1) | instskip(SKIP_4) | instid1(VALU_DEP_1)
	v_fmac_f32_e32 v113, v91, v114
	ds_load_2addr_b32 v[90:91], v2 offset0:71 offset1:72
	s_waitcnt lgkmcnt(3)
	v_fmac_f32_e32 v113, v92, v115
	s_waitcnt vmcnt(5)
	v_fmac_f32_e32 v113, v93, v116
	ds_load_2addr_b32 v[92:93], v2 offset0:73 offset1:74
	s_waitcnt lgkmcnt(3)
	v_fmac_f32_e32 v113, v94, v117
	s_delay_alu instid0(VALU_DEP_1) | instskip(SKIP_1) | instid1(VALU_DEP_1)
	v_fmac_f32_e32 v113, v95, v118
	s_waitcnt lgkmcnt(2)
	v_fmac_f32_e32 v113, v96, v119
	s_waitcnt vmcnt(4)
	s_delay_alu instid0(VALU_DEP_1) | instskip(SKIP_4) | instid1(VALU_DEP_1)
	v_fmac_f32_e32 v113, v97, v120
	ds_load_2addr_b32 v[94:95], v2 offset0:75 offset1:76
	ds_load_2addr_b32 v[96:97], v2 offset0:77 offset1:78
	s_waitcnt lgkmcnt(3)
	v_fmac_f32_e32 v113, v98, v90
	v_fmac_f32_e32 v113, v99, v91
	ds_load_2addr_b32 v[90:91], v2 offset0:79 offset1:80
	s_waitcnt lgkmcnt(3)
	v_fmac_f32_e32 v113, v100, v92
	s_waitcnt vmcnt(3)
	s_delay_alu instid0(VALU_DEP_1) | instskip(SKIP_3) | instid1(VALU_DEP_1)
	v_fmac_f32_e32 v113, v101, v93
	ds_load_2addr_b32 v[92:93], v2 offset0:81 offset1:82
	s_waitcnt lgkmcnt(3)
	v_fmac_f32_e32 v113, v102, v94
	v_fmac_f32_e32 v113, v103, v95
	s_waitcnt lgkmcnt(2)
	s_delay_alu instid0(VALU_DEP_1) | instskip(SKIP_1) | instid1(VALU_DEP_1)
	v_fmac_f32_e32 v113, v104, v96
	s_waitcnt vmcnt(2)
	v_fmac_f32_e32 v113, v105, v97
	ds_load_2addr_b32 v[94:95], v2 offset0:83 offset1:84
	ds_load_2addr_b32 v[96:97], v2 offset0:85 offset1:86
	s_waitcnt lgkmcnt(3)
	v_fmac_f32_e32 v113, v106, v90
	s_delay_alu instid0(VALU_DEP_1) | instskip(SKIP_1) | instid1(VALU_DEP_1)
	v_fmac_f32_e32 v113, v107, v91
	s_waitcnt lgkmcnt(2)
	v_fmac_f32_e32 v113, v108, v92
	s_waitcnt vmcnt(1)
	s_delay_alu instid0(VALU_DEP_1) | instskip(SKIP_1) | instid1(VALU_DEP_1)
	v_fmac_f32_e32 v113, v109, v93
	s_waitcnt lgkmcnt(1)
	v_fmac_f32_e32 v113, v110, v94
	s_delay_alu instid0(VALU_DEP_1) | instskip(SKIP_1) | instid1(VALU_DEP_1)
	v_fmac_f32_e32 v113, v111, v95
	s_waitcnt lgkmcnt(0)
	v_fmac_f32_e32 v113, v112, v96
	s_waitcnt vmcnt(0)
	s_delay_alu instid0(VALU_DEP_1) | instskip(NEXT) | instid1(VALU_DEP_1)
	v_fmac_f32_e32 v113, v121, v97
	v_sub_f32_e32 v2, v89, v113
	scratch_store_b32 off, v2, off offset:72
	v_cmpx_lt_u32_e32 17, v0
	s_cbranch_execz .LBB106_231
; %bb.230:
	scratch_load_b32 v2, off, off offset:68
	v_mov_b32_e32 v89, 0
	scratch_store_b32 off, v89, off offset:68
	s_waitcnt vmcnt(0)
	ds_store_b32 v1, v2
.LBB106_231:
	s_or_b32 exec_lo, exec_lo, s0
	s_waitcnt lgkmcnt(0)
	s_waitcnt_vscnt null, 0x0
	s_barrier
	buffer_gl0_inv
	s_clause 0x6
	scratch_load_b128 v[89:92], off, off offset:68
	scratch_load_b128 v[93:96], off, off offset:84
	;; [unrolled: 1-line block ×6, first 2 shown]
	scratch_load_b64 v[121:122], off, off offset:164
	v_mov_b32_e32 v2, 0
	ds_load_2addr_b64 v[113:116], v2 offset0:31 offset1:32
	ds_load_2addr_b64 v[117:120], v2 offset0:33 offset1:34
	s_mov_b32 s0, exec_lo
	s_waitcnt vmcnt(6) lgkmcnt(1)
	v_fma_f32 v113, v90, v113, 0
	s_delay_alu instid0(VALU_DEP_1) | instskip(NEXT) | instid1(VALU_DEP_1)
	v_fmac_f32_e32 v113, v91, v114
	v_fmac_f32_e32 v113, v92, v115
	s_waitcnt vmcnt(5)
	s_delay_alu instid0(VALU_DEP_1) | instskip(SKIP_3) | instid1(VALU_DEP_1)
	v_fmac_f32_e32 v113, v93, v116
	ds_load_2addr_b64 v[90:93], v2 offset0:35 offset1:36
	s_waitcnt lgkmcnt(1)
	v_fmac_f32_e32 v113, v94, v117
	v_fmac_f32_e32 v113, v95, v118
	s_delay_alu instid0(VALU_DEP_1) | instskip(SKIP_1) | instid1(VALU_DEP_1)
	v_fmac_f32_e32 v113, v96, v119
	s_waitcnt vmcnt(4)
	v_fmac_f32_e32 v113, v97, v120
	ds_load_2addr_b64 v[94:97], v2 offset0:37 offset1:38
	s_waitcnt lgkmcnt(1)
	v_fmac_f32_e32 v113, v98, v90
	s_delay_alu instid0(VALU_DEP_1) | instskip(NEXT) | instid1(VALU_DEP_1)
	v_fmac_f32_e32 v113, v99, v91
	v_fmac_f32_e32 v113, v100, v92
	s_waitcnt vmcnt(3)
	s_delay_alu instid0(VALU_DEP_1) | instskip(SKIP_3) | instid1(VALU_DEP_1)
	v_fmac_f32_e32 v113, v101, v93
	ds_load_2addr_b64 v[90:93], v2 offset0:39 offset1:40
	s_waitcnt lgkmcnt(1)
	v_fmac_f32_e32 v113, v102, v94
	v_fmac_f32_e32 v113, v103, v95
	s_delay_alu instid0(VALU_DEP_1) | instskip(SKIP_1) | instid1(VALU_DEP_1)
	v_fmac_f32_e32 v113, v104, v96
	s_waitcnt vmcnt(2)
	v_fmac_f32_e32 v113, v105, v97
	ds_load_2addr_b64 v[94:97], v2 offset0:41 offset1:42
	s_waitcnt lgkmcnt(1)
	v_fmac_f32_e32 v113, v106, v90
	ds_load_b32 v90, v2 offset:344
	v_fmac_f32_e32 v113, v107, v91
	s_delay_alu instid0(VALU_DEP_1) | instskip(SKIP_1) | instid1(VALU_DEP_1)
	v_fmac_f32_e32 v113, v108, v92
	s_waitcnt vmcnt(1)
	v_fmac_f32_e32 v113, v109, v93
	s_waitcnt lgkmcnt(1)
	s_delay_alu instid0(VALU_DEP_1) | instskip(NEXT) | instid1(VALU_DEP_1)
	v_fmac_f32_e32 v113, v110, v94
	v_fmac_f32_e32 v113, v111, v95
	s_delay_alu instid0(VALU_DEP_1) | instskip(SKIP_1) | instid1(VALU_DEP_1)
	v_fmac_f32_e32 v113, v112, v96
	s_waitcnt vmcnt(0)
	v_fmac_f32_e32 v113, v121, v97
	s_waitcnt lgkmcnt(0)
	s_delay_alu instid0(VALU_DEP_1) | instskip(NEXT) | instid1(VALU_DEP_1)
	v_fmac_f32_e32 v113, v122, v90
	v_sub_f32_e32 v89, v89, v113
	scratch_store_b32 off, v89, off offset:68
	v_cmpx_lt_u32_e32 16, v0
	s_cbranch_execz .LBB106_233
; %bb.232:
	scratch_load_b32 v89, off, off offset:64
	scratch_store_b32 off, v2, off offset:64
	s_waitcnt vmcnt(0)
	ds_store_b32 v1, v89
.LBB106_233:
	s_or_b32 exec_lo, exec_lo, s0
	s_waitcnt lgkmcnt(0)
	s_waitcnt_vscnt null, 0x0
	s_barrier
	buffer_gl0_inv
	s_clause 0x6
	scratch_load_b128 v[89:92], off, off offset:64
	scratch_load_b128 v[93:96], off, off offset:80
	;; [unrolled: 1-line block ×6, first 2 shown]
	scratch_load_b96 v[113:115], off, off offset:160
	ds_load_2addr_b32 v[116:117], v2 offset0:61 offset1:62
	ds_load_2addr_b32 v[118:119], v2 offset0:63 offset1:64
	;; [unrolled: 1-line block ×4, first 2 shown]
	s_mov_b32 s0, exec_lo
	s_waitcnt vmcnt(6) lgkmcnt(3)
	v_fma_f32 v116, v90, v116, 0
	s_delay_alu instid0(VALU_DEP_1) | instskip(SKIP_4) | instid1(VALU_DEP_1)
	v_fmac_f32_e32 v116, v91, v117
	ds_load_2addr_b32 v[90:91], v2 offset0:69 offset1:70
	s_waitcnt lgkmcnt(3)
	v_fmac_f32_e32 v116, v92, v118
	s_waitcnt vmcnt(5)
	v_fmac_f32_e32 v116, v93, v119
	ds_load_2addr_b32 v[92:93], v2 offset0:71 offset1:72
	s_waitcnt lgkmcnt(3)
	v_fmac_f32_e32 v116, v94, v120
	s_delay_alu instid0(VALU_DEP_1) | instskip(SKIP_1) | instid1(VALU_DEP_1)
	v_fmac_f32_e32 v116, v95, v121
	s_waitcnt lgkmcnt(2)
	v_fmac_f32_e32 v116, v96, v122
	s_waitcnt vmcnt(4)
	s_delay_alu instid0(VALU_DEP_1) | instskip(SKIP_4) | instid1(VALU_DEP_1)
	v_fmac_f32_e32 v116, v97, v123
	ds_load_2addr_b32 v[94:95], v2 offset0:73 offset1:74
	ds_load_2addr_b32 v[96:97], v2 offset0:75 offset1:76
	s_waitcnt lgkmcnt(3)
	v_fmac_f32_e32 v116, v98, v90
	v_fmac_f32_e32 v116, v99, v91
	ds_load_2addr_b32 v[90:91], v2 offset0:77 offset1:78
	s_waitcnt lgkmcnt(3)
	v_fmac_f32_e32 v116, v100, v92
	s_waitcnt vmcnt(3)
	s_delay_alu instid0(VALU_DEP_1) | instskip(SKIP_3) | instid1(VALU_DEP_1)
	v_fmac_f32_e32 v116, v101, v93
	ds_load_2addr_b32 v[92:93], v2 offset0:79 offset1:80
	s_waitcnt lgkmcnt(3)
	v_fmac_f32_e32 v116, v102, v94
	v_fmac_f32_e32 v116, v103, v95
	s_waitcnt lgkmcnt(2)
	s_delay_alu instid0(VALU_DEP_1) | instskip(SKIP_1) | instid1(VALU_DEP_1)
	v_fmac_f32_e32 v116, v104, v96
	s_waitcnt vmcnt(2)
	v_fmac_f32_e32 v116, v105, v97
	ds_load_2addr_b32 v[94:95], v2 offset0:81 offset1:82
	ds_load_2addr_b32 v[96:97], v2 offset0:83 offset1:84
	s_waitcnt lgkmcnt(3)
	v_fmac_f32_e32 v116, v106, v90
	s_delay_alu instid0(VALU_DEP_1) | instskip(SKIP_4) | instid1(VALU_DEP_1)
	v_fmac_f32_e32 v116, v107, v91
	ds_load_2addr_b32 v[90:91], v2 offset0:85 offset1:86
	s_waitcnt lgkmcnt(3)
	v_fmac_f32_e32 v116, v108, v92
	s_waitcnt vmcnt(1)
	v_fmac_f32_e32 v116, v109, v93
	s_waitcnt lgkmcnt(2)
	s_delay_alu instid0(VALU_DEP_1) | instskip(NEXT) | instid1(VALU_DEP_1)
	v_fmac_f32_e32 v116, v110, v94
	v_fmac_f32_e32 v116, v111, v95
	s_waitcnt lgkmcnt(1)
	s_delay_alu instid0(VALU_DEP_1) | instskip(SKIP_1) | instid1(VALU_DEP_1)
	v_fmac_f32_e32 v116, v112, v96
	s_waitcnt vmcnt(0)
	v_fmac_f32_e32 v116, v113, v97
	s_waitcnt lgkmcnt(0)
	s_delay_alu instid0(VALU_DEP_1) | instskip(NEXT) | instid1(VALU_DEP_1)
	v_fmac_f32_e32 v116, v114, v90
	v_fmac_f32_e32 v116, v115, v91
	s_delay_alu instid0(VALU_DEP_1)
	v_sub_f32_e32 v2, v89, v116
	scratch_store_b32 off, v2, off offset:64
	v_cmpx_lt_u32_e32 15, v0
	s_cbranch_execz .LBB106_235
; %bb.234:
	scratch_load_b32 v2, off, off offset:60
	v_mov_b32_e32 v89, 0
	scratch_store_b32 off, v89, off offset:60
	s_waitcnt vmcnt(0)
	ds_store_b32 v1, v2
.LBB106_235:
	s_or_b32 exec_lo, exec_lo, s0
	s_waitcnt lgkmcnt(0)
	s_waitcnt_vscnt null, 0x0
	s_barrier
	buffer_gl0_inv
	s_clause 0x6
	scratch_load_b128 v[89:92], off, off offset:60
	scratch_load_b128 v[93:96], off, off offset:76
	;; [unrolled: 1-line block ×7, first 2 shown]
	v_mov_b32_e32 v2, 0
	ds_load_b128 v[117:120], v2 offset:240
	ds_load_b128 v[121:124], v2 offset:256
	s_mov_b32 s0, exec_lo
	s_waitcnt vmcnt(6) lgkmcnt(1)
	v_fma_f32 v117, v90, v117, 0
	s_delay_alu instid0(VALU_DEP_1) | instskip(NEXT) | instid1(VALU_DEP_1)
	v_fmac_f32_e32 v117, v91, v118
	v_fmac_f32_e32 v117, v92, v119
	s_waitcnt vmcnt(5)
	s_delay_alu instid0(VALU_DEP_1) | instskip(SKIP_3) | instid1(VALU_DEP_1)
	v_fmac_f32_e32 v117, v93, v120
	ds_load_b128 v[90:93], v2 offset:272
	s_waitcnt lgkmcnt(1)
	v_fmac_f32_e32 v117, v94, v121
	v_fmac_f32_e32 v117, v95, v122
	s_delay_alu instid0(VALU_DEP_1) | instskip(SKIP_1) | instid1(VALU_DEP_1)
	v_fmac_f32_e32 v117, v96, v123
	s_waitcnt vmcnt(4)
	v_fmac_f32_e32 v117, v97, v124
	ds_load_b128 v[94:97], v2 offset:288
	s_waitcnt lgkmcnt(1)
	v_fmac_f32_e32 v117, v98, v90
	s_delay_alu instid0(VALU_DEP_1) | instskip(NEXT) | instid1(VALU_DEP_1)
	v_fmac_f32_e32 v117, v99, v91
	v_fmac_f32_e32 v117, v100, v92
	s_waitcnt vmcnt(3)
	s_delay_alu instid0(VALU_DEP_1) | instskip(SKIP_3) | instid1(VALU_DEP_1)
	v_fmac_f32_e32 v117, v101, v93
	ds_load_b128 v[90:93], v2 offset:304
	s_waitcnt lgkmcnt(1)
	v_fmac_f32_e32 v117, v102, v94
	v_fmac_f32_e32 v117, v103, v95
	s_delay_alu instid0(VALU_DEP_1) | instskip(SKIP_1) | instid1(VALU_DEP_1)
	v_fmac_f32_e32 v117, v104, v96
	s_waitcnt vmcnt(2)
	v_fmac_f32_e32 v117, v105, v97
	ds_load_b128 v[94:97], v2 offset:320
	s_waitcnt lgkmcnt(1)
	v_fmac_f32_e32 v117, v106, v90
	s_delay_alu instid0(VALU_DEP_1) | instskip(NEXT) | instid1(VALU_DEP_1)
	v_fmac_f32_e32 v117, v107, v91
	v_fmac_f32_e32 v117, v108, v92
	ds_load_b96 v[90:92], v2 offset:336
	s_waitcnt vmcnt(1)
	v_fmac_f32_e32 v117, v109, v93
	s_waitcnt lgkmcnt(1)
	s_delay_alu instid0(VALU_DEP_1) | instskip(NEXT) | instid1(VALU_DEP_1)
	v_fmac_f32_e32 v117, v110, v94
	v_fmac_f32_e32 v117, v111, v95
	s_delay_alu instid0(VALU_DEP_1) | instskip(SKIP_1) | instid1(VALU_DEP_1)
	v_fmac_f32_e32 v117, v112, v96
	s_waitcnt vmcnt(0)
	v_fmac_f32_e32 v117, v113, v97
	s_waitcnt lgkmcnt(0)
	s_delay_alu instid0(VALU_DEP_1) | instskip(NEXT) | instid1(VALU_DEP_1)
	v_fmac_f32_e32 v117, v114, v90
	v_fmac_f32_e32 v117, v115, v91
	s_delay_alu instid0(VALU_DEP_1) | instskip(NEXT) | instid1(VALU_DEP_1)
	v_fmac_f32_e32 v117, v116, v92
	v_sub_f32_e32 v89, v89, v117
	scratch_store_b32 off, v89, off offset:60
	v_cmpx_lt_u32_e32 14, v0
	s_cbranch_execz .LBB106_237
; %bb.236:
	scratch_load_b32 v89, off, off offset:56
	scratch_store_b32 off, v2, off offset:56
	s_waitcnt vmcnt(0)
	ds_store_b32 v1, v89
.LBB106_237:
	s_or_b32 exec_lo, exec_lo, s0
	s_waitcnt lgkmcnt(0)
	s_waitcnt_vscnt null, 0x0
	s_barrier
	buffer_gl0_inv
	s_clause 0x7
	scratch_load_b128 v[89:92], off, off offset:56
	scratch_load_b128 v[93:96], off, off offset:72
	;; [unrolled: 1-line block ×7, first 2 shown]
	scratch_load_b32 v125, off, off offset:168
	ds_load_2addr_b32 v[117:118], v2 offset0:59 offset1:60
	ds_load_2addr_b32 v[119:120], v2 offset0:61 offset1:62
	;; [unrolled: 1-line block ×4, first 2 shown]
	s_mov_b32 s0, exec_lo
	s_waitcnt vmcnt(7) lgkmcnt(3)
	v_fma_f32 v117, v90, v117, 0
	s_delay_alu instid0(VALU_DEP_1) | instskip(SKIP_4) | instid1(VALU_DEP_1)
	v_fmac_f32_e32 v117, v91, v118
	ds_load_2addr_b32 v[90:91], v2 offset0:67 offset1:68
	s_waitcnt lgkmcnt(3)
	v_fmac_f32_e32 v117, v92, v119
	s_waitcnt vmcnt(6)
	v_fmac_f32_e32 v117, v93, v120
	ds_load_2addr_b32 v[92:93], v2 offset0:69 offset1:70
	s_waitcnt lgkmcnt(3)
	v_fmac_f32_e32 v117, v94, v121
	s_delay_alu instid0(VALU_DEP_1) | instskip(SKIP_1) | instid1(VALU_DEP_1)
	v_fmac_f32_e32 v117, v95, v122
	s_waitcnt lgkmcnt(2)
	v_fmac_f32_e32 v117, v96, v123
	s_waitcnt vmcnt(5)
	s_delay_alu instid0(VALU_DEP_1) | instskip(SKIP_4) | instid1(VALU_DEP_1)
	v_fmac_f32_e32 v117, v97, v124
	ds_load_2addr_b32 v[94:95], v2 offset0:71 offset1:72
	ds_load_2addr_b32 v[96:97], v2 offset0:73 offset1:74
	s_waitcnt lgkmcnt(3)
	v_fmac_f32_e32 v117, v98, v90
	v_fmac_f32_e32 v117, v99, v91
	ds_load_2addr_b32 v[90:91], v2 offset0:75 offset1:76
	s_waitcnt lgkmcnt(3)
	v_fmac_f32_e32 v117, v100, v92
	s_waitcnt vmcnt(4)
	s_delay_alu instid0(VALU_DEP_1) | instskip(SKIP_3) | instid1(VALU_DEP_1)
	v_fmac_f32_e32 v117, v101, v93
	ds_load_2addr_b32 v[92:93], v2 offset0:77 offset1:78
	s_waitcnt lgkmcnt(3)
	v_fmac_f32_e32 v117, v102, v94
	v_fmac_f32_e32 v117, v103, v95
	s_waitcnt lgkmcnt(2)
	s_delay_alu instid0(VALU_DEP_1) | instskip(SKIP_1) | instid1(VALU_DEP_1)
	v_fmac_f32_e32 v117, v104, v96
	s_waitcnt vmcnt(3)
	v_fmac_f32_e32 v117, v105, v97
	ds_load_2addr_b32 v[94:95], v2 offset0:79 offset1:80
	ds_load_2addr_b32 v[96:97], v2 offset0:81 offset1:82
	s_waitcnt lgkmcnt(3)
	v_fmac_f32_e32 v117, v106, v90
	s_delay_alu instid0(VALU_DEP_1) | instskip(SKIP_4) | instid1(VALU_DEP_1)
	v_fmac_f32_e32 v117, v107, v91
	ds_load_2addr_b32 v[90:91], v2 offset0:83 offset1:84
	s_waitcnt lgkmcnt(3)
	v_fmac_f32_e32 v117, v108, v92
	s_waitcnt vmcnt(2)
	v_fmac_f32_e32 v117, v109, v93
	ds_load_2addr_b32 v[92:93], v2 offset0:85 offset1:86
	s_waitcnt lgkmcnt(3)
	v_fmac_f32_e32 v117, v110, v94
	s_delay_alu instid0(VALU_DEP_1) | instskip(SKIP_1) | instid1(VALU_DEP_1)
	v_fmac_f32_e32 v117, v111, v95
	s_waitcnt lgkmcnt(2)
	v_fmac_f32_e32 v117, v112, v96
	s_waitcnt vmcnt(1)
	s_delay_alu instid0(VALU_DEP_1) | instskip(SKIP_1) | instid1(VALU_DEP_1)
	v_fmac_f32_e32 v117, v113, v97
	s_waitcnt lgkmcnt(1)
	v_fmac_f32_e32 v117, v114, v90
	s_delay_alu instid0(VALU_DEP_1) | instskip(SKIP_1) | instid1(VALU_DEP_1)
	v_fmac_f32_e32 v117, v115, v91
	s_waitcnt lgkmcnt(0)
	v_fmac_f32_e32 v117, v116, v92
	s_waitcnt vmcnt(0)
	s_delay_alu instid0(VALU_DEP_1) | instskip(NEXT) | instid1(VALU_DEP_1)
	v_fmac_f32_e32 v117, v125, v93
	v_sub_f32_e32 v2, v89, v117
	scratch_store_b32 off, v2, off offset:56
	v_cmpx_lt_u32_e32 13, v0
	s_cbranch_execz .LBB106_239
; %bb.238:
	scratch_load_b32 v2, off, off offset:52
	v_mov_b32_e32 v89, 0
	scratch_store_b32 off, v89, off offset:52
	s_waitcnt vmcnt(0)
	ds_store_b32 v1, v2
.LBB106_239:
	s_or_b32 exec_lo, exec_lo, s0
	s_waitcnt lgkmcnt(0)
	s_waitcnt_vscnt null, 0x0
	s_barrier
	buffer_gl0_inv
	s_clause 0x7
	scratch_load_b128 v[89:92], off, off offset:52
	scratch_load_b128 v[93:96], off, off offset:68
	;; [unrolled: 1-line block ×7, first 2 shown]
	scratch_load_b64 v[125:126], off, off offset:164
	v_mov_b32_e32 v2, 0
	ds_load_2addr_b64 v[117:120], v2 offset0:29 offset1:30
	ds_load_2addr_b64 v[121:124], v2 offset0:31 offset1:32
	s_mov_b32 s0, exec_lo
	s_waitcnt vmcnt(7) lgkmcnt(1)
	v_fma_f32 v117, v90, v117, 0
	s_delay_alu instid0(VALU_DEP_1) | instskip(NEXT) | instid1(VALU_DEP_1)
	v_fmac_f32_e32 v117, v91, v118
	v_fmac_f32_e32 v117, v92, v119
	s_waitcnt vmcnt(6)
	s_delay_alu instid0(VALU_DEP_1) | instskip(SKIP_3) | instid1(VALU_DEP_1)
	v_fmac_f32_e32 v117, v93, v120
	ds_load_2addr_b64 v[90:93], v2 offset0:33 offset1:34
	s_waitcnt lgkmcnt(1)
	v_fmac_f32_e32 v117, v94, v121
	v_fmac_f32_e32 v117, v95, v122
	s_delay_alu instid0(VALU_DEP_1) | instskip(SKIP_1) | instid1(VALU_DEP_1)
	v_fmac_f32_e32 v117, v96, v123
	s_waitcnt vmcnt(5)
	v_fmac_f32_e32 v117, v97, v124
	ds_load_2addr_b64 v[94:97], v2 offset0:35 offset1:36
	s_waitcnt lgkmcnt(1)
	v_fmac_f32_e32 v117, v98, v90
	s_delay_alu instid0(VALU_DEP_1) | instskip(NEXT) | instid1(VALU_DEP_1)
	v_fmac_f32_e32 v117, v99, v91
	v_fmac_f32_e32 v117, v100, v92
	s_waitcnt vmcnt(4)
	s_delay_alu instid0(VALU_DEP_1) | instskip(SKIP_3) | instid1(VALU_DEP_1)
	v_fmac_f32_e32 v117, v101, v93
	ds_load_2addr_b64 v[90:93], v2 offset0:37 offset1:38
	s_waitcnt lgkmcnt(1)
	v_fmac_f32_e32 v117, v102, v94
	v_fmac_f32_e32 v117, v103, v95
	s_delay_alu instid0(VALU_DEP_1) | instskip(SKIP_1) | instid1(VALU_DEP_1)
	v_fmac_f32_e32 v117, v104, v96
	s_waitcnt vmcnt(3)
	v_fmac_f32_e32 v117, v105, v97
	ds_load_2addr_b64 v[94:97], v2 offset0:39 offset1:40
	s_waitcnt lgkmcnt(1)
	v_fmac_f32_e32 v117, v106, v90
	s_delay_alu instid0(VALU_DEP_1) | instskip(NEXT) | instid1(VALU_DEP_1)
	v_fmac_f32_e32 v117, v107, v91
	v_fmac_f32_e32 v117, v108, v92
	s_waitcnt vmcnt(2)
	s_delay_alu instid0(VALU_DEP_1)
	v_fmac_f32_e32 v117, v109, v93
	ds_load_2addr_b64 v[90:93], v2 offset0:41 offset1:42
	s_waitcnt lgkmcnt(1)
	v_fmac_f32_e32 v117, v110, v94
	ds_load_b32 v94, v2 offset:344
	v_fmac_f32_e32 v117, v111, v95
	s_delay_alu instid0(VALU_DEP_1) | instskip(SKIP_1) | instid1(VALU_DEP_1)
	v_fmac_f32_e32 v117, v112, v96
	s_waitcnt vmcnt(1)
	v_fmac_f32_e32 v117, v113, v97
	s_waitcnt lgkmcnt(1)
	s_delay_alu instid0(VALU_DEP_1) | instskip(NEXT) | instid1(VALU_DEP_1)
	v_fmac_f32_e32 v117, v114, v90
	v_fmac_f32_e32 v117, v115, v91
	s_delay_alu instid0(VALU_DEP_1) | instskip(SKIP_1) | instid1(VALU_DEP_1)
	v_fmac_f32_e32 v117, v116, v92
	s_waitcnt vmcnt(0)
	v_fmac_f32_e32 v117, v125, v93
	s_waitcnt lgkmcnt(0)
	s_delay_alu instid0(VALU_DEP_1) | instskip(NEXT) | instid1(VALU_DEP_1)
	v_fmac_f32_e32 v117, v126, v94
	v_sub_f32_e32 v89, v89, v117
	scratch_store_b32 off, v89, off offset:52
	v_cmpx_lt_u32_e32 12, v0
	s_cbranch_execz .LBB106_241
; %bb.240:
	scratch_load_b32 v89, off, off offset:48
	scratch_store_b32 off, v2, off offset:48
	s_waitcnt vmcnt(0)
	ds_store_b32 v1, v89
.LBB106_241:
	s_or_b32 exec_lo, exec_lo, s0
	s_waitcnt lgkmcnt(0)
	s_waitcnt_vscnt null, 0x0
	s_barrier
	buffer_gl0_inv
	s_clause 0x7
	scratch_load_b128 v[89:92], off, off offset:48
	scratch_load_b128 v[93:96], off, off offset:64
	;; [unrolled: 1-line block ×7, first 2 shown]
	scratch_load_b96 v[117:119], off, off offset:160
	ds_load_2addr_b32 v[120:121], v2 offset0:57 offset1:58
	ds_load_2addr_b32 v[122:123], v2 offset0:59 offset1:60
	;; [unrolled: 1-line block ×4, first 2 shown]
	s_mov_b32 s0, exec_lo
	s_waitcnt vmcnt(7) lgkmcnt(3)
	v_fma_f32 v120, v90, v120, 0
	s_delay_alu instid0(VALU_DEP_1) | instskip(SKIP_4) | instid1(VALU_DEP_1)
	v_fmac_f32_e32 v120, v91, v121
	ds_load_2addr_b32 v[90:91], v2 offset0:65 offset1:66
	s_waitcnt lgkmcnt(3)
	v_fmac_f32_e32 v120, v92, v122
	s_waitcnt vmcnt(6)
	v_fmac_f32_e32 v120, v93, v123
	ds_load_2addr_b32 v[92:93], v2 offset0:67 offset1:68
	s_waitcnt lgkmcnt(3)
	v_fmac_f32_e32 v120, v94, v124
	s_delay_alu instid0(VALU_DEP_1) | instskip(SKIP_1) | instid1(VALU_DEP_1)
	v_fmac_f32_e32 v120, v95, v125
	s_waitcnt lgkmcnt(2)
	v_fmac_f32_e32 v120, v96, v126
	s_waitcnt vmcnt(5)
	s_delay_alu instid0(VALU_DEP_1) | instskip(SKIP_4) | instid1(VALU_DEP_1)
	v_fmac_f32_e32 v120, v97, v127
	ds_load_2addr_b32 v[94:95], v2 offset0:69 offset1:70
	ds_load_2addr_b32 v[96:97], v2 offset0:71 offset1:72
	s_waitcnt lgkmcnt(3)
	v_fmac_f32_e32 v120, v98, v90
	v_fmac_f32_e32 v120, v99, v91
	ds_load_2addr_b32 v[90:91], v2 offset0:73 offset1:74
	s_waitcnt lgkmcnt(3)
	v_fmac_f32_e32 v120, v100, v92
	s_waitcnt vmcnt(4)
	s_delay_alu instid0(VALU_DEP_1) | instskip(SKIP_3) | instid1(VALU_DEP_1)
	v_fmac_f32_e32 v120, v101, v93
	ds_load_2addr_b32 v[92:93], v2 offset0:75 offset1:76
	s_waitcnt lgkmcnt(3)
	v_fmac_f32_e32 v120, v102, v94
	v_fmac_f32_e32 v120, v103, v95
	s_waitcnt lgkmcnt(2)
	s_delay_alu instid0(VALU_DEP_1) | instskip(SKIP_1) | instid1(VALU_DEP_1)
	v_fmac_f32_e32 v120, v104, v96
	s_waitcnt vmcnt(3)
	v_fmac_f32_e32 v120, v105, v97
	ds_load_2addr_b32 v[94:95], v2 offset0:77 offset1:78
	ds_load_2addr_b32 v[96:97], v2 offset0:79 offset1:80
	s_waitcnt lgkmcnt(3)
	v_fmac_f32_e32 v120, v106, v90
	s_delay_alu instid0(VALU_DEP_1) | instskip(SKIP_4) | instid1(VALU_DEP_1)
	v_fmac_f32_e32 v120, v107, v91
	ds_load_2addr_b32 v[90:91], v2 offset0:81 offset1:82
	s_waitcnt lgkmcnt(3)
	v_fmac_f32_e32 v120, v108, v92
	s_waitcnt vmcnt(2)
	v_fmac_f32_e32 v120, v109, v93
	ds_load_2addr_b32 v[92:93], v2 offset0:83 offset1:84
	s_waitcnt lgkmcnt(3)
	v_fmac_f32_e32 v120, v110, v94
	s_delay_alu instid0(VALU_DEP_1) | instskip(SKIP_4) | instid1(VALU_DEP_1)
	v_fmac_f32_e32 v120, v111, v95
	ds_load_2addr_b32 v[94:95], v2 offset0:85 offset1:86
	s_waitcnt lgkmcnt(3)
	v_fmac_f32_e32 v120, v112, v96
	s_waitcnt vmcnt(1)
	v_fmac_f32_e32 v120, v113, v97
	s_waitcnt lgkmcnt(2)
	s_delay_alu instid0(VALU_DEP_1) | instskip(NEXT) | instid1(VALU_DEP_1)
	v_fmac_f32_e32 v120, v114, v90
	v_fmac_f32_e32 v120, v115, v91
	s_waitcnt lgkmcnt(1)
	s_delay_alu instid0(VALU_DEP_1) | instskip(SKIP_1) | instid1(VALU_DEP_1)
	v_fmac_f32_e32 v120, v116, v92
	s_waitcnt vmcnt(0)
	v_fmac_f32_e32 v120, v117, v93
	s_waitcnt lgkmcnt(0)
	s_delay_alu instid0(VALU_DEP_1) | instskip(NEXT) | instid1(VALU_DEP_1)
	v_fmac_f32_e32 v120, v118, v94
	v_fmac_f32_e32 v120, v119, v95
	s_delay_alu instid0(VALU_DEP_1)
	v_sub_f32_e32 v2, v89, v120
	scratch_store_b32 off, v2, off offset:48
	v_cmpx_lt_u32_e32 11, v0
	s_cbranch_execz .LBB106_243
; %bb.242:
	scratch_load_b32 v2, off, off offset:44
	v_mov_b32_e32 v89, 0
	scratch_store_b32 off, v89, off offset:44
	s_waitcnt vmcnt(0)
	ds_store_b32 v1, v2
.LBB106_243:
	s_or_b32 exec_lo, exec_lo, s0
	s_waitcnt lgkmcnt(0)
	s_waitcnt_vscnt null, 0x0
	s_barrier
	buffer_gl0_inv
	s_clause 0x7
	scratch_load_b128 v[89:92], off, off offset:44
	scratch_load_b128 v[93:96], off, off offset:60
	;; [unrolled: 1-line block ×8, first 2 shown]
	v_mov_b32_e32 v2, 0
	ds_load_b128 v[121:124], v2 offset:224
	ds_load_b128 v[125:128], v2 offset:240
	s_mov_b32 s0, exec_lo
	s_waitcnt vmcnt(7) lgkmcnt(1)
	v_fma_f32 v121, v90, v121, 0
	s_delay_alu instid0(VALU_DEP_1) | instskip(NEXT) | instid1(VALU_DEP_1)
	v_fmac_f32_e32 v121, v91, v122
	v_fmac_f32_e32 v121, v92, v123
	s_waitcnt vmcnt(6)
	s_delay_alu instid0(VALU_DEP_1) | instskip(SKIP_3) | instid1(VALU_DEP_1)
	v_fmac_f32_e32 v121, v93, v124
	ds_load_b128 v[90:93], v2 offset:256
	s_waitcnt lgkmcnt(1)
	v_fmac_f32_e32 v121, v94, v125
	v_fmac_f32_e32 v121, v95, v126
	s_delay_alu instid0(VALU_DEP_1) | instskip(SKIP_1) | instid1(VALU_DEP_1)
	v_fmac_f32_e32 v121, v96, v127
	s_waitcnt vmcnt(5)
	v_fmac_f32_e32 v121, v97, v128
	ds_load_b128 v[94:97], v2 offset:272
	s_waitcnt lgkmcnt(1)
	v_fmac_f32_e32 v121, v98, v90
	s_delay_alu instid0(VALU_DEP_1) | instskip(NEXT) | instid1(VALU_DEP_1)
	v_fmac_f32_e32 v121, v99, v91
	v_fmac_f32_e32 v121, v100, v92
	s_waitcnt vmcnt(4)
	s_delay_alu instid0(VALU_DEP_1) | instskip(SKIP_3) | instid1(VALU_DEP_1)
	v_fmac_f32_e32 v121, v101, v93
	ds_load_b128 v[90:93], v2 offset:288
	s_waitcnt lgkmcnt(1)
	v_fmac_f32_e32 v121, v102, v94
	v_fmac_f32_e32 v121, v103, v95
	s_delay_alu instid0(VALU_DEP_1) | instskip(SKIP_1) | instid1(VALU_DEP_1)
	v_fmac_f32_e32 v121, v104, v96
	s_waitcnt vmcnt(3)
	v_fmac_f32_e32 v121, v105, v97
	ds_load_b128 v[94:97], v2 offset:304
	s_waitcnt lgkmcnt(1)
	v_fmac_f32_e32 v121, v106, v90
	s_delay_alu instid0(VALU_DEP_1) | instskip(NEXT) | instid1(VALU_DEP_1)
	v_fmac_f32_e32 v121, v107, v91
	v_fmac_f32_e32 v121, v108, v92
	s_waitcnt vmcnt(2)
	s_delay_alu instid0(VALU_DEP_1) | instskip(SKIP_3) | instid1(VALU_DEP_1)
	v_fmac_f32_e32 v121, v109, v93
	ds_load_b128 v[90:93], v2 offset:320
	s_waitcnt lgkmcnt(1)
	v_fmac_f32_e32 v121, v110, v94
	v_fmac_f32_e32 v121, v111, v95
	s_delay_alu instid0(VALU_DEP_1) | instskip(SKIP_4) | instid1(VALU_DEP_1)
	v_fmac_f32_e32 v121, v112, v96
	ds_load_b96 v[94:96], v2 offset:336
	s_waitcnt vmcnt(1)
	v_fmac_f32_e32 v121, v113, v97
	s_waitcnt lgkmcnt(1)
	v_fmac_f32_e32 v121, v114, v90
	s_delay_alu instid0(VALU_DEP_1) | instskip(NEXT) | instid1(VALU_DEP_1)
	v_fmac_f32_e32 v121, v115, v91
	v_fmac_f32_e32 v121, v116, v92
	s_waitcnt vmcnt(0)
	s_delay_alu instid0(VALU_DEP_1) | instskip(SKIP_1) | instid1(VALU_DEP_1)
	v_fmac_f32_e32 v121, v117, v93
	s_waitcnt lgkmcnt(0)
	v_fmac_f32_e32 v121, v118, v94
	s_delay_alu instid0(VALU_DEP_1) | instskip(NEXT) | instid1(VALU_DEP_1)
	v_fmac_f32_e32 v121, v119, v95
	v_fmac_f32_e32 v121, v120, v96
	s_delay_alu instid0(VALU_DEP_1)
	v_sub_f32_e32 v89, v89, v121
	scratch_store_b32 off, v89, off offset:44
	v_cmpx_lt_u32_e32 10, v0
	s_cbranch_execz .LBB106_245
; %bb.244:
	scratch_load_b32 v89, off, off offset:40
	scratch_store_b32 off, v2, off offset:40
	s_waitcnt vmcnt(0)
	ds_store_b32 v1, v89
.LBB106_245:
	s_or_b32 exec_lo, exec_lo, s0
	s_waitcnt lgkmcnt(0)
	s_waitcnt_vscnt null, 0x0
	s_barrier
	buffer_gl0_inv
	s_clause 0x8
	scratch_load_b128 v[89:92], off, off offset:40
	scratch_load_b128 v[93:96], off, off offset:56
	;; [unrolled: 1-line block ×8, first 2 shown]
	scratch_load_b32 v129, off, off offset:168
	ds_load_2addr_b32 v[121:122], v2 offset0:55 offset1:56
	ds_load_2addr_b32 v[123:124], v2 offset0:57 offset1:58
	ds_load_2addr_b32 v[125:126], v2 offset0:59 offset1:60
	ds_load_2addr_b32 v[127:128], v2 offset0:61 offset1:62
	s_mov_b32 s0, exec_lo
	s_waitcnt vmcnt(8) lgkmcnt(3)
	v_fma_f32 v121, v90, v121, 0
	s_delay_alu instid0(VALU_DEP_1) | instskip(SKIP_4) | instid1(VALU_DEP_1)
	v_fmac_f32_e32 v121, v91, v122
	ds_load_2addr_b32 v[90:91], v2 offset0:63 offset1:64
	s_waitcnt lgkmcnt(3)
	v_fmac_f32_e32 v121, v92, v123
	s_waitcnt vmcnt(7)
	v_fmac_f32_e32 v121, v93, v124
	ds_load_2addr_b32 v[92:93], v2 offset0:65 offset1:66
	s_waitcnt lgkmcnt(3)
	v_fmac_f32_e32 v121, v94, v125
	s_delay_alu instid0(VALU_DEP_1) | instskip(SKIP_1) | instid1(VALU_DEP_1)
	v_fmac_f32_e32 v121, v95, v126
	s_waitcnt lgkmcnt(2)
	v_fmac_f32_e32 v121, v96, v127
	s_waitcnt vmcnt(6)
	s_delay_alu instid0(VALU_DEP_1) | instskip(SKIP_4) | instid1(VALU_DEP_1)
	v_fmac_f32_e32 v121, v97, v128
	ds_load_2addr_b32 v[94:95], v2 offset0:67 offset1:68
	ds_load_2addr_b32 v[96:97], v2 offset0:69 offset1:70
	s_waitcnt lgkmcnt(3)
	v_fmac_f32_e32 v121, v98, v90
	v_fmac_f32_e32 v121, v99, v91
	ds_load_2addr_b32 v[90:91], v2 offset0:71 offset1:72
	s_waitcnt lgkmcnt(3)
	v_fmac_f32_e32 v121, v100, v92
	s_waitcnt vmcnt(5)
	s_delay_alu instid0(VALU_DEP_1) | instskip(SKIP_3) | instid1(VALU_DEP_1)
	v_fmac_f32_e32 v121, v101, v93
	ds_load_2addr_b32 v[92:93], v2 offset0:73 offset1:74
	s_waitcnt lgkmcnt(3)
	v_fmac_f32_e32 v121, v102, v94
	v_fmac_f32_e32 v121, v103, v95
	s_waitcnt lgkmcnt(2)
	s_delay_alu instid0(VALU_DEP_1) | instskip(SKIP_1) | instid1(VALU_DEP_1)
	v_fmac_f32_e32 v121, v104, v96
	s_waitcnt vmcnt(4)
	v_fmac_f32_e32 v121, v105, v97
	ds_load_2addr_b32 v[94:95], v2 offset0:75 offset1:76
	ds_load_2addr_b32 v[96:97], v2 offset0:77 offset1:78
	s_waitcnt lgkmcnt(3)
	v_fmac_f32_e32 v121, v106, v90
	s_delay_alu instid0(VALU_DEP_1) | instskip(SKIP_4) | instid1(VALU_DEP_1)
	v_fmac_f32_e32 v121, v107, v91
	ds_load_2addr_b32 v[90:91], v2 offset0:79 offset1:80
	s_waitcnt lgkmcnt(3)
	v_fmac_f32_e32 v121, v108, v92
	s_waitcnt vmcnt(3)
	v_fmac_f32_e32 v121, v109, v93
	ds_load_2addr_b32 v[92:93], v2 offset0:81 offset1:82
	s_waitcnt lgkmcnt(3)
	v_fmac_f32_e32 v121, v110, v94
	s_delay_alu instid0(VALU_DEP_1) | instskip(SKIP_1) | instid1(VALU_DEP_1)
	v_fmac_f32_e32 v121, v111, v95
	s_waitcnt lgkmcnt(2)
	v_fmac_f32_e32 v121, v112, v96
	s_waitcnt vmcnt(2)
	s_delay_alu instid0(VALU_DEP_1) | instskip(SKIP_4) | instid1(VALU_DEP_1)
	v_fmac_f32_e32 v121, v113, v97
	ds_load_2addr_b32 v[94:95], v2 offset0:83 offset1:84
	ds_load_2addr_b32 v[96:97], v2 offset0:85 offset1:86
	s_waitcnt lgkmcnt(3)
	v_fmac_f32_e32 v121, v114, v90
	v_fmac_f32_e32 v121, v115, v91
	s_waitcnt lgkmcnt(2)
	s_delay_alu instid0(VALU_DEP_1) | instskip(SKIP_1) | instid1(VALU_DEP_1)
	v_fmac_f32_e32 v121, v116, v92
	s_waitcnt vmcnt(1)
	v_fmac_f32_e32 v121, v117, v93
	s_waitcnt lgkmcnt(1)
	s_delay_alu instid0(VALU_DEP_1) | instskip(NEXT) | instid1(VALU_DEP_1)
	v_fmac_f32_e32 v121, v118, v94
	v_fmac_f32_e32 v121, v119, v95
	s_waitcnt lgkmcnt(0)
	s_delay_alu instid0(VALU_DEP_1) | instskip(SKIP_1) | instid1(VALU_DEP_1)
	v_fmac_f32_e32 v121, v120, v96
	s_waitcnt vmcnt(0)
	v_fmac_f32_e32 v121, v129, v97
	s_delay_alu instid0(VALU_DEP_1)
	v_sub_f32_e32 v2, v89, v121
	scratch_store_b32 off, v2, off offset:40
	v_cmpx_lt_u32_e32 9, v0
	s_cbranch_execz .LBB106_247
; %bb.246:
	scratch_load_b32 v2, off, off offset:36
	v_mov_b32_e32 v89, 0
	scratch_store_b32 off, v89, off offset:36
	s_waitcnt vmcnt(0)
	ds_store_b32 v1, v2
.LBB106_247:
	s_or_b32 exec_lo, exec_lo, s0
	s_waitcnt lgkmcnt(0)
	s_waitcnt_vscnt null, 0x0
	s_barrier
	buffer_gl0_inv
	s_clause 0x8
	scratch_load_b128 v[89:92], off, off offset:36
	scratch_load_b128 v[93:96], off, off offset:52
	;; [unrolled: 1-line block ×8, first 2 shown]
	scratch_load_b64 v[129:130], off, off offset:164
	v_mov_b32_e32 v2, 0
	ds_load_2addr_b64 v[121:124], v2 offset0:27 offset1:28
	ds_load_2addr_b64 v[125:128], v2 offset0:29 offset1:30
	s_mov_b32 s0, exec_lo
	s_waitcnt vmcnt(8) lgkmcnt(1)
	v_fma_f32 v121, v90, v121, 0
	s_delay_alu instid0(VALU_DEP_1) | instskip(NEXT) | instid1(VALU_DEP_1)
	v_fmac_f32_e32 v121, v91, v122
	v_fmac_f32_e32 v121, v92, v123
	s_waitcnt vmcnt(7)
	s_delay_alu instid0(VALU_DEP_1) | instskip(SKIP_3) | instid1(VALU_DEP_1)
	v_fmac_f32_e32 v121, v93, v124
	ds_load_2addr_b64 v[90:93], v2 offset0:31 offset1:32
	s_waitcnt lgkmcnt(1)
	v_fmac_f32_e32 v121, v94, v125
	v_fmac_f32_e32 v121, v95, v126
	s_delay_alu instid0(VALU_DEP_1) | instskip(SKIP_1) | instid1(VALU_DEP_1)
	v_fmac_f32_e32 v121, v96, v127
	s_waitcnt vmcnt(6)
	v_fmac_f32_e32 v121, v97, v128
	ds_load_2addr_b64 v[94:97], v2 offset0:33 offset1:34
	s_waitcnt lgkmcnt(1)
	v_fmac_f32_e32 v121, v98, v90
	s_delay_alu instid0(VALU_DEP_1) | instskip(NEXT) | instid1(VALU_DEP_1)
	v_fmac_f32_e32 v121, v99, v91
	v_fmac_f32_e32 v121, v100, v92
	s_waitcnt vmcnt(5)
	s_delay_alu instid0(VALU_DEP_1) | instskip(SKIP_3) | instid1(VALU_DEP_1)
	v_fmac_f32_e32 v121, v101, v93
	ds_load_2addr_b64 v[90:93], v2 offset0:35 offset1:36
	s_waitcnt lgkmcnt(1)
	v_fmac_f32_e32 v121, v102, v94
	v_fmac_f32_e32 v121, v103, v95
	s_delay_alu instid0(VALU_DEP_1) | instskip(SKIP_1) | instid1(VALU_DEP_1)
	v_fmac_f32_e32 v121, v104, v96
	s_waitcnt vmcnt(4)
	v_fmac_f32_e32 v121, v105, v97
	ds_load_2addr_b64 v[94:97], v2 offset0:37 offset1:38
	s_waitcnt lgkmcnt(1)
	v_fmac_f32_e32 v121, v106, v90
	;; [unrolled: 17-line block ×3, first 2 shown]
	ds_load_b32 v90, v2 offset:344
	v_fmac_f32_e32 v121, v115, v91
	s_delay_alu instid0(VALU_DEP_1) | instskip(SKIP_1) | instid1(VALU_DEP_1)
	v_fmac_f32_e32 v121, v116, v92
	s_waitcnt vmcnt(1)
	v_fmac_f32_e32 v121, v117, v93
	s_waitcnt lgkmcnt(1)
	s_delay_alu instid0(VALU_DEP_1) | instskip(NEXT) | instid1(VALU_DEP_1)
	v_fmac_f32_e32 v121, v118, v94
	v_fmac_f32_e32 v121, v119, v95
	s_delay_alu instid0(VALU_DEP_1) | instskip(SKIP_1) | instid1(VALU_DEP_1)
	v_fmac_f32_e32 v121, v120, v96
	s_waitcnt vmcnt(0)
	v_fmac_f32_e32 v121, v129, v97
	s_waitcnt lgkmcnt(0)
	s_delay_alu instid0(VALU_DEP_1) | instskip(NEXT) | instid1(VALU_DEP_1)
	v_fmac_f32_e32 v121, v130, v90
	v_sub_f32_e32 v89, v89, v121
	scratch_store_b32 off, v89, off offset:36
	v_cmpx_lt_u32_e32 8, v0
	s_cbranch_execz .LBB106_249
; %bb.248:
	scratch_load_b32 v89, off, off offset:32
	scratch_store_b32 off, v2, off offset:32
	s_waitcnt vmcnt(0)
	ds_store_b32 v1, v89
.LBB106_249:
	s_or_b32 exec_lo, exec_lo, s0
	s_waitcnt lgkmcnt(0)
	s_waitcnt_vscnt null, 0x0
	s_barrier
	buffer_gl0_inv
	s_clause 0x8
	scratch_load_b128 v[89:92], off, off offset:32
	scratch_load_b128 v[93:96], off, off offset:48
	;; [unrolled: 1-line block ×8, first 2 shown]
	scratch_load_b96 v[121:123], off, off offset:160
	ds_load_2addr_b32 v[124:125], v2 offset0:53 offset1:54
	ds_load_2addr_b32 v[126:127], v2 offset0:55 offset1:56
	;; [unrolled: 1-line block ×4, first 2 shown]
	s_mov_b32 s0, exec_lo
	s_waitcnt vmcnt(8) lgkmcnt(3)
	v_fma_f32 v124, v90, v124, 0
	s_delay_alu instid0(VALU_DEP_1) | instskip(SKIP_4) | instid1(VALU_DEP_1)
	v_fmac_f32_e32 v124, v91, v125
	ds_load_2addr_b32 v[90:91], v2 offset0:61 offset1:62
	s_waitcnt lgkmcnt(3)
	v_fmac_f32_e32 v124, v92, v126
	s_waitcnt vmcnt(7)
	v_fmac_f32_e32 v124, v93, v127
	ds_load_2addr_b32 v[92:93], v2 offset0:63 offset1:64
	s_waitcnt lgkmcnt(3)
	v_fmac_f32_e32 v124, v94, v128
	s_delay_alu instid0(VALU_DEP_1) | instskip(SKIP_1) | instid1(VALU_DEP_1)
	v_fmac_f32_e32 v124, v95, v129
	s_waitcnt lgkmcnt(2)
	v_fmac_f32_e32 v124, v96, v130
	s_waitcnt vmcnt(6)
	s_delay_alu instid0(VALU_DEP_1) | instskip(SKIP_4) | instid1(VALU_DEP_1)
	v_fmac_f32_e32 v124, v97, v131
	ds_load_2addr_b32 v[94:95], v2 offset0:65 offset1:66
	ds_load_2addr_b32 v[96:97], v2 offset0:67 offset1:68
	s_waitcnt lgkmcnt(3)
	v_fmac_f32_e32 v124, v98, v90
	v_fmac_f32_e32 v124, v99, v91
	ds_load_2addr_b32 v[90:91], v2 offset0:69 offset1:70
	s_waitcnt lgkmcnt(3)
	v_fmac_f32_e32 v124, v100, v92
	s_waitcnt vmcnt(5)
	s_delay_alu instid0(VALU_DEP_1) | instskip(SKIP_3) | instid1(VALU_DEP_1)
	v_fmac_f32_e32 v124, v101, v93
	ds_load_2addr_b32 v[92:93], v2 offset0:71 offset1:72
	s_waitcnt lgkmcnt(3)
	v_fmac_f32_e32 v124, v102, v94
	v_fmac_f32_e32 v124, v103, v95
	s_waitcnt lgkmcnt(2)
	s_delay_alu instid0(VALU_DEP_1) | instskip(SKIP_1) | instid1(VALU_DEP_1)
	v_fmac_f32_e32 v124, v104, v96
	s_waitcnt vmcnt(4)
	v_fmac_f32_e32 v124, v105, v97
	ds_load_2addr_b32 v[94:95], v2 offset0:73 offset1:74
	ds_load_2addr_b32 v[96:97], v2 offset0:75 offset1:76
	s_waitcnt lgkmcnt(3)
	v_fmac_f32_e32 v124, v106, v90
	s_delay_alu instid0(VALU_DEP_1) | instskip(SKIP_4) | instid1(VALU_DEP_1)
	v_fmac_f32_e32 v124, v107, v91
	ds_load_2addr_b32 v[90:91], v2 offset0:77 offset1:78
	s_waitcnt lgkmcnt(3)
	v_fmac_f32_e32 v124, v108, v92
	s_waitcnt vmcnt(3)
	v_fmac_f32_e32 v124, v109, v93
	ds_load_2addr_b32 v[92:93], v2 offset0:79 offset1:80
	s_waitcnt lgkmcnt(3)
	v_fmac_f32_e32 v124, v110, v94
	s_delay_alu instid0(VALU_DEP_1) | instskip(SKIP_1) | instid1(VALU_DEP_1)
	v_fmac_f32_e32 v124, v111, v95
	s_waitcnt lgkmcnt(2)
	v_fmac_f32_e32 v124, v112, v96
	s_waitcnt vmcnt(2)
	s_delay_alu instid0(VALU_DEP_1) | instskip(SKIP_4) | instid1(VALU_DEP_1)
	v_fmac_f32_e32 v124, v113, v97
	ds_load_2addr_b32 v[94:95], v2 offset0:81 offset1:82
	ds_load_2addr_b32 v[96:97], v2 offset0:83 offset1:84
	s_waitcnt lgkmcnt(3)
	v_fmac_f32_e32 v124, v114, v90
	v_fmac_f32_e32 v124, v115, v91
	ds_load_2addr_b32 v[90:91], v2 offset0:85 offset1:86
	s_waitcnt lgkmcnt(3)
	v_fmac_f32_e32 v124, v116, v92
	s_waitcnt vmcnt(1)
	s_delay_alu instid0(VALU_DEP_1) | instskip(SKIP_1) | instid1(VALU_DEP_1)
	v_fmac_f32_e32 v124, v117, v93
	s_waitcnt lgkmcnt(2)
	v_fmac_f32_e32 v124, v118, v94
	s_delay_alu instid0(VALU_DEP_1) | instskip(SKIP_1) | instid1(VALU_DEP_1)
	v_fmac_f32_e32 v124, v119, v95
	s_waitcnt lgkmcnt(1)
	v_fmac_f32_e32 v124, v120, v96
	s_waitcnt vmcnt(0)
	s_delay_alu instid0(VALU_DEP_1) | instskip(SKIP_1) | instid1(VALU_DEP_1)
	v_fmac_f32_e32 v124, v121, v97
	s_waitcnt lgkmcnt(0)
	v_fmac_f32_e32 v124, v122, v90
	s_delay_alu instid0(VALU_DEP_1) | instskip(NEXT) | instid1(VALU_DEP_1)
	v_fmac_f32_e32 v124, v123, v91
	v_sub_f32_e32 v2, v89, v124
	scratch_store_b32 off, v2, off offset:32
	v_cmpx_lt_u32_e32 7, v0
	s_cbranch_execz .LBB106_251
; %bb.250:
	scratch_load_b32 v2, off, off offset:28
	v_mov_b32_e32 v89, 0
	scratch_store_b32 off, v89, off offset:28
	s_waitcnt vmcnt(0)
	ds_store_b32 v1, v2
.LBB106_251:
	s_or_b32 exec_lo, exec_lo, s0
	s_waitcnt lgkmcnt(0)
	s_waitcnt_vscnt null, 0x0
	s_barrier
	buffer_gl0_inv
	s_clause 0x8
	scratch_load_b128 v[89:92], off, off offset:28
	scratch_load_b128 v[93:96], off, off offset:44
	scratch_load_b128 v[97:100], off, off offset:60
	scratch_load_b128 v[101:104], off, off offset:76
	scratch_load_b128 v[105:108], off, off offset:92
	scratch_load_b128 v[109:112], off, off offset:108
	scratch_load_b128 v[113:116], off, off offset:124
	scratch_load_b128 v[117:120], off, off offset:140
	scratch_load_b128 v[121:124], off, off offset:156
	v_mov_b32_e32 v2, 0
	ds_load_b128 v[125:128], v2 offset:208
	ds_load_b128 v[129:132], v2 offset:224
	s_mov_b32 s0, exec_lo
	s_waitcnt vmcnt(8) lgkmcnt(1)
	v_fma_f32 v125, v90, v125, 0
	s_delay_alu instid0(VALU_DEP_1) | instskip(NEXT) | instid1(VALU_DEP_1)
	v_fmac_f32_e32 v125, v91, v126
	v_fmac_f32_e32 v125, v92, v127
	s_waitcnt vmcnt(7)
	s_delay_alu instid0(VALU_DEP_1) | instskip(SKIP_3) | instid1(VALU_DEP_1)
	v_fmac_f32_e32 v125, v93, v128
	ds_load_b128 v[90:93], v2 offset:240
	s_waitcnt lgkmcnt(1)
	v_fmac_f32_e32 v125, v94, v129
	v_fmac_f32_e32 v125, v95, v130
	s_delay_alu instid0(VALU_DEP_1) | instskip(SKIP_1) | instid1(VALU_DEP_1)
	v_fmac_f32_e32 v125, v96, v131
	s_waitcnt vmcnt(6)
	v_fmac_f32_e32 v125, v97, v132
	ds_load_b128 v[94:97], v2 offset:256
	s_waitcnt lgkmcnt(1)
	v_fmac_f32_e32 v125, v98, v90
	s_delay_alu instid0(VALU_DEP_1) | instskip(NEXT) | instid1(VALU_DEP_1)
	v_fmac_f32_e32 v125, v99, v91
	v_fmac_f32_e32 v125, v100, v92
	s_waitcnt vmcnt(5)
	s_delay_alu instid0(VALU_DEP_1) | instskip(SKIP_3) | instid1(VALU_DEP_1)
	v_fmac_f32_e32 v125, v101, v93
	ds_load_b128 v[90:93], v2 offset:272
	s_waitcnt lgkmcnt(1)
	v_fmac_f32_e32 v125, v102, v94
	v_fmac_f32_e32 v125, v103, v95
	s_delay_alu instid0(VALU_DEP_1) | instskip(SKIP_1) | instid1(VALU_DEP_1)
	v_fmac_f32_e32 v125, v104, v96
	s_waitcnt vmcnt(4)
	v_fmac_f32_e32 v125, v105, v97
	ds_load_b128 v[94:97], v2 offset:288
	s_waitcnt lgkmcnt(1)
	v_fmac_f32_e32 v125, v106, v90
	;; [unrolled: 17-line block ×3, first 2 shown]
	s_delay_alu instid0(VALU_DEP_1) | instskip(NEXT) | instid1(VALU_DEP_1)
	v_fmac_f32_e32 v125, v115, v91
	v_fmac_f32_e32 v125, v116, v92
	ds_load_b96 v[90:92], v2 offset:336
	s_waitcnt vmcnt(1)
	v_fmac_f32_e32 v125, v117, v93
	s_waitcnt lgkmcnt(1)
	s_delay_alu instid0(VALU_DEP_1) | instskip(NEXT) | instid1(VALU_DEP_1)
	v_fmac_f32_e32 v125, v118, v94
	v_fmac_f32_e32 v125, v119, v95
	s_delay_alu instid0(VALU_DEP_1) | instskip(SKIP_1) | instid1(VALU_DEP_1)
	v_fmac_f32_e32 v125, v120, v96
	s_waitcnt vmcnt(0)
	v_fmac_f32_e32 v125, v121, v97
	s_waitcnt lgkmcnt(0)
	s_delay_alu instid0(VALU_DEP_1) | instskip(NEXT) | instid1(VALU_DEP_1)
	v_fmac_f32_e32 v125, v122, v90
	v_fmac_f32_e32 v125, v123, v91
	s_delay_alu instid0(VALU_DEP_1) | instskip(NEXT) | instid1(VALU_DEP_1)
	v_fmac_f32_e32 v125, v124, v92
	v_sub_f32_e32 v89, v89, v125
	scratch_store_b32 off, v89, off offset:28
	v_cmpx_lt_u32_e32 6, v0
	s_cbranch_execz .LBB106_253
; %bb.252:
	scratch_load_b32 v89, off, off offset:24
	scratch_store_b32 off, v2, off offset:24
	s_waitcnt vmcnt(0)
	ds_store_b32 v1, v89
.LBB106_253:
	s_or_b32 exec_lo, exec_lo, s0
	s_waitcnt lgkmcnt(0)
	s_waitcnt_vscnt null, 0x0
	s_barrier
	buffer_gl0_inv
	s_clause 0x9
	scratch_load_b128 v[89:92], off, off offset:24
	scratch_load_b128 v[93:96], off, off offset:40
	;; [unrolled: 1-line block ×9, first 2 shown]
	scratch_load_b32 v133, off, off offset:168
	ds_load_2addr_b32 v[125:126], v2 offset0:51 offset1:52
	ds_load_2addr_b32 v[127:128], v2 offset0:53 offset1:54
	;; [unrolled: 1-line block ×4, first 2 shown]
	s_mov_b32 s0, exec_lo
	s_waitcnt vmcnt(9) lgkmcnt(3)
	v_fma_f32 v125, v90, v125, 0
	s_delay_alu instid0(VALU_DEP_1) | instskip(SKIP_4) | instid1(VALU_DEP_1)
	v_fmac_f32_e32 v125, v91, v126
	ds_load_2addr_b32 v[90:91], v2 offset0:59 offset1:60
	s_waitcnt lgkmcnt(3)
	v_fmac_f32_e32 v125, v92, v127
	s_waitcnt vmcnt(8)
	v_fmac_f32_e32 v125, v93, v128
	ds_load_2addr_b32 v[92:93], v2 offset0:61 offset1:62
	s_waitcnt lgkmcnt(3)
	v_fmac_f32_e32 v125, v94, v129
	s_delay_alu instid0(VALU_DEP_1) | instskip(SKIP_1) | instid1(VALU_DEP_1)
	v_fmac_f32_e32 v125, v95, v130
	s_waitcnt lgkmcnt(2)
	v_fmac_f32_e32 v125, v96, v131
	s_waitcnt vmcnt(7)
	s_delay_alu instid0(VALU_DEP_1) | instskip(SKIP_4) | instid1(VALU_DEP_1)
	v_fmac_f32_e32 v125, v97, v132
	ds_load_2addr_b32 v[94:95], v2 offset0:63 offset1:64
	ds_load_2addr_b32 v[96:97], v2 offset0:65 offset1:66
	s_waitcnt lgkmcnt(3)
	v_fmac_f32_e32 v125, v98, v90
	v_fmac_f32_e32 v125, v99, v91
	ds_load_2addr_b32 v[90:91], v2 offset0:67 offset1:68
	s_waitcnt lgkmcnt(3)
	v_fmac_f32_e32 v125, v100, v92
	s_waitcnt vmcnt(6)
	s_delay_alu instid0(VALU_DEP_1) | instskip(SKIP_3) | instid1(VALU_DEP_1)
	v_fmac_f32_e32 v125, v101, v93
	ds_load_2addr_b32 v[92:93], v2 offset0:69 offset1:70
	s_waitcnt lgkmcnt(3)
	v_fmac_f32_e32 v125, v102, v94
	v_fmac_f32_e32 v125, v103, v95
	s_waitcnt lgkmcnt(2)
	s_delay_alu instid0(VALU_DEP_1) | instskip(SKIP_1) | instid1(VALU_DEP_1)
	v_fmac_f32_e32 v125, v104, v96
	s_waitcnt vmcnt(5)
	v_fmac_f32_e32 v125, v105, v97
	ds_load_2addr_b32 v[94:95], v2 offset0:71 offset1:72
	ds_load_2addr_b32 v[96:97], v2 offset0:73 offset1:74
	s_waitcnt lgkmcnt(3)
	v_fmac_f32_e32 v125, v106, v90
	s_delay_alu instid0(VALU_DEP_1) | instskip(SKIP_4) | instid1(VALU_DEP_1)
	v_fmac_f32_e32 v125, v107, v91
	ds_load_2addr_b32 v[90:91], v2 offset0:75 offset1:76
	s_waitcnt lgkmcnt(3)
	v_fmac_f32_e32 v125, v108, v92
	s_waitcnt vmcnt(4)
	v_fmac_f32_e32 v125, v109, v93
	ds_load_2addr_b32 v[92:93], v2 offset0:77 offset1:78
	s_waitcnt lgkmcnt(3)
	v_fmac_f32_e32 v125, v110, v94
	s_delay_alu instid0(VALU_DEP_1) | instskip(SKIP_1) | instid1(VALU_DEP_1)
	v_fmac_f32_e32 v125, v111, v95
	s_waitcnt lgkmcnt(2)
	v_fmac_f32_e32 v125, v112, v96
	s_waitcnt vmcnt(3)
	s_delay_alu instid0(VALU_DEP_1) | instskip(SKIP_4) | instid1(VALU_DEP_1)
	v_fmac_f32_e32 v125, v113, v97
	ds_load_2addr_b32 v[94:95], v2 offset0:79 offset1:80
	ds_load_2addr_b32 v[96:97], v2 offset0:81 offset1:82
	s_waitcnt lgkmcnt(3)
	v_fmac_f32_e32 v125, v114, v90
	v_fmac_f32_e32 v125, v115, v91
	ds_load_2addr_b32 v[90:91], v2 offset0:83 offset1:84
	s_waitcnt lgkmcnt(3)
	v_fmac_f32_e32 v125, v116, v92
	s_waitcnt vmcnt(2)
	s_delay_alu instid0(VALU_DEP_1) | instskip(SKIP_3) | instid1(VALU_DEP_1)
	v_fmac_f32_e32 v125, v117, v93
	ds_load_2addr_b32 v[92:93], v2 offset0:85 offset1:86
	s_waitcnt lgkmcnt(3)
	v_fmac_f32_e32 v125, v118, v94
	v_fmac_f32_e32 v125, v119, v95
	s_waitcnt lgkmcnt(2)
	s_delay_alu instid0(VALU_DEP_1) | instskip(SKIP_1) | instid1(VALU_DEP_1)
	v_fmac_f32_e32 v125, v120, v96
	s_waitcnt vmcnt(1)
	v_fmac_f32_e32 v125, v121, v97
	s_waitcnt lgkmcnt(1)
	s_delay_alu instid0(VALU_DEP_1) | instskip(NEXT) | instid1(VALU_DEP_1)
	v_fmac_f32_e32 v125, v122, v90
	v_fmac_f32_e32 v125, v123, v91
	s_waitcnt lgkmcnt(0)
	s_delay_alu instid0(VALU_DEP_1) | instskip(SKIP_1) | instid1(VALU_DEP_1)
	v_fmac_f32_e32 v125, v124, v92
	s_waitcnt vmcnt(0)
	v_fmac_f32_e32 v125, v133, v93
	s_delay_alu instid0(VALU_DEP_1)
	v_sub_f32_e32 v2, v89, v125
	scratch_store_b32 off, v2, off offset:24
	v_cmpx_lt_u32_e32 5, v0
	s_cbranch_execz .LBB106_255
; %bb.254:
	scratch_load_b32 v2, off, off offset:20
	v_mov_b32_e32 v89, 0
	scratch_store_b32 off, v89, off offset:20
	s_waitcnt vmcnt(0)
	ds_store_b32 v1, v2
.LBB106_255:
	s_or_b32 exec_lo, exec_lo, s0
	s_waitcnt lgkmcnt(0)
	s_waitcnt_vscnt null, 0x0
	s_barrier
	buffer_gl0_inv
	s_clause 0x9
	scratch_load_b128 v[89:92], off, off offset:20
	scratch_load_b128 v[93:96], off, off offset:36
	;; [unrolled: 1-line block ×9, first 2 shown]
	scratch_load_b64 v[133:134], off, off offset:164
	v_mov_b32_e32 v2, 0
	ds_load_2addr_b64 v[125:128], v2 offset0:25 offset1:26
	ds_load_2addr_b64 v[129:132], v2 offset0:27 offset1:28
	s_mov_b32 s0, exec_lo
	s_waitcnt vmcnt(9) lgkmcnt(1)
	v_fma_f32 v125, v90, v125, 0
	s_delay_alu instid0(VALU_DEP_1) | instskip(NEXT) | instid1(VALU_DEP_1)
	v_fmac_f32_e32 v125, v91, v126
	v_fmac_f32_e32 v125, v92, v127
	s_waitcnt vmcnt(8)
	s_delay_alu instid0(VALU_DEP_1) | instskip(SKIP_3) | instid1(VALU_DEP_1)
	v_fmac_f32_e32 v125, v93, v128
	ds_load_2addr_b64 v[90:93], v2 offset0:29 offset1:30
	s_waitcnt lgkmcnt(1)
	v_fmac_f32_e32 v125, v94, v129
	v_fmac_f32_e32 v125, v95, v130
	s_delay_alu instid0(VALU_DEP_1) | instskip(SKIP_1) | instid1(VALU_DEP_1)
	v_fmac_f32_e32 v125, v96, v131
	s_waitcnt vmcnt(7)
	v_fmac_f32_e32 v125, v97, v132
	ds_load_2addr_b64 v[94:97], v2 offset0:31 offset1:32
	s_waitcnt lgkmcnt(1)
	v_fmac_f32_e32 v125, v98, v90
	s_delay_alu instid0(VALU_DEP_1) | instskip(NEXT) | instid1(VALU_DEP_1)
	v_fmac_f32_e32 v125, v99, v91
	v_fmac_f32_e32 v125, v100, v92
	s_waitcnt vmcnt(6)
	s_delay_alu instid0(VALU_DEP_1) | instskip(SKIP_3) | instid1(VALU_DEP_1)
	v_fmac_f32_e32 v125, v101, v93
	ds_load_2addr_b64 v[90:93], v2 offset0:33 offset1:34
	s_waitcnt lgkmcnt(1)
	v_fmac_f32_e32 v125, v102, v94
	v_fmac_f32_e32 v125, v103, v95
	s_delay_alu instid0(VALU_DEP_1) | instskip(SKIP_1) | instid1(VALU_DEP_1)
	v_fmac_f32_e32 v125, v104, v96
	s_waitcnt vmcnt(5)
	v_fmac_f32_e32 v125, v105, v97
	ds_load_2addr_b64 v[94:97], v2 offset0:35 offset1:36
	s_waitcnt lgkmcnt(1)
	v_fmac_f32_e32 v125, v106, v90
	;; [unrolled: 17-line block ×3, first 2 shown]
	s_delay_alu instid0(VALU_DEP_1) | instskip(NEXT) | instid1(VALU_DEP_1)
	v_fmac_f32_e32 v125, v115, v91
	v_fmac_f32_e32 v125, v116, v92
	s_waitcnt vmcnt(2)
	s_delay_alu instid0(VALU_DEP_1)
	v_fmac_f32_e32 v125, v117, v93
	ds_load_2addr_b64 v[90:93], v2 offset0:41 offset1:42
	s_waitcnt lgkmcnt(1)
	v_fmac_f32_e32 v125, v118, v94
	ds_load_b32 v94, v2 offset:344
	v_fmac_f32_e32 v125, v119, v95
	s_delay_alu instid0(VALU_DEP_1) | instskip(SKIP_1) | instid1(VALU_DEP_1)
	v_fmac_f32_e32 v125, v120, v96
	s_waitcnt vmcnt(1)
	v_fmac_f32_e32 v125, v121, v97
	s_waitcnt lgkmcnt(1)
	s_delay_alu instid0(VALU_DEP_1) | instskip(NEXT) | instid1(VALU_DEP_1)
	v_fmac_f32_e32 v125, v122, v90
	v_fmac_f32_e32 v125, v123, v91
	s_delay_alu instid0(VALU_DEP_1) | instskip(SKIP_1) | instid1(VALU_DEP_1)
	v_fmac_f32_e32 v125, v124, v92
	s_waitcnt vmcnt(0)
	v_fmac_f32_e32 v125, v133, v93
	s_waitcnt lgkmcnt(0)
	s_delay_alu instid0(VALU_DEP_1) | instskip(NEXT) | instid1(VALU_DEP_1)
	v_fmac_f32_e32 v125, v134, v94
	v_sub_f32_e32 v89, v89, v125
	scratch_store_b32 off, v89, off offset:20
	v_cmpx_lt_u32_e32 4, v0
	s_cbranch_execz .LBB106_257
; %bb.256:
	scratch_load_b32 v89, off, off offset:16
	scratch_store_b32 off, v2, off offset:16
	s_waitcnt vmcnt(0)
	ds_store_b32 v1, v89
.LBB106_257:
	s_or_b32 exec_lo, exec_lo, s0
	s_waitcnt lgkmcnt(0)
	s_waitcnt_vscnt null, 0x0
	s_barrier
	buffer_gl0_inv
	s_clause 0x9
	scratch_load_b128 v[89:92], off, off offset:16
	scratch_load_b128 v[93:96], off, off offset:32
	;; [unrolled: 1-line block ×9, first 2 shown]
	scratch_load_b96 v[125:127], off, off offset:160
	ds_load_2addr_b32 v[128:129], v2 offset0:49 offset1:50
	ds_load_2addr_b32 v[130:131], v2 offset0:51 offset1:52
	ds_load_2addr_b32 v[132:133], v2 offset0:53 offset1:54
	ds_load_2addr_b32 v[134:135], v2 offset0:55 offset1:56
	s_mov_b32 s0, exec_lo
	s_waitcnt vmcnt(9) lgkmcnt(3)
	v_fma_f32 v128, v90, v128, 0
	s_delay_alu instid0(VALU_DEP_1) | instskip(SKIP_4) | instid1(VALU_DEP_1)
	v_fmac_f32_e32 v128, v91, v129
	ds_load_2addr_b32 v[90:91], v2 offset0:57 offset1:58
	s_waitcnt lgkmcnt(3)
	v_fmac_f32_e32 v128, v92, v130
	s_waitcnt vmcnt(8)
	v_fmac_f32_e32 v128, v93, v131
	ds_load_2addr_b32 v[92:93], v2 offset0:59 offset1:60
	s_waitcnt lgkmcnt(3)
	v_fmac_f32_e32 v128, v94, v132
	s_delay_alu instid0(VALU_DEP_1) | instskip(SKIP_1) | instid1(VALU_DEP_1)
	v_fmac_f32_e32 v128, v95, v133
	s_waitcnt lgkmcnt(2)
	v_fmac_f32_e32 v128, v96, v134
	s_waitcnt vmcnt(7)
	s_delay_alu instid0(VALU_DEP_1) | instskip(SKIP_4) | instid1(VALU_DEP_1)
	v_fmac_f32_e32 v128, v97, v135
	ds_load_2addr_b32 v[94:95], v2 offset0:61 offset1:62
	ds_load_2addr_b32 v[96:97], v2 offset0:63 offset1:64
	s_waitcnt lgkmcnt(3)
	v_fmac_f32_e32 v128, v98, v90
	v_fmac_f32_e32 v128, v99, v91
	ds_load_2addr_b32 v[90:91], v2 offset0:65 offset1:66
	s_waitcnt lgkmcnt(3)
	v_fmac_f32_e32 v128, v100, v92
	s_waitcnt vmcnt(6)
	s_delay_alu instid0(VALU_DEP_1) | instskip(SKIP_3) | instid1(VALU_DEP_1)
	v_fmac_f32_e32 v128, v101, v93
	ds_load_2addr_b32 v[92:93], v2 offset0:67 offset1:68
	s_waitcnt lgkmcnt(3)
	v_fmac_f32_e32 v128, v102, v94
	v_fmac_f32_e32 v128, v103, v95
	s_waitcnt lgkmcnt(2)
	s_delay_alu instid0(VALU_DEP_1) | instskip(SKIP_1) | instid1(VALU_DEP_1)
	v_fmac_f32_e32 v128, v104, v96
	s_waitcnt vmcnt(5)
	v_fmac_f32_e32 v128, v105, v97
	ds_load_2addr_b32 v[94:95], v2 offset0:69 offset1:70
	ds_load_2addr_b32 v[96:97], v2 offset0:71 offset1:72
	s_waitcnt lgkmcnt(3)
	v_fmac_f32_e32 v128, v106, v90
	s_delay_alu instid0(VALU_DEP_1) | instskip(SKIP_4) | instid1(VALU_DEP_1)
	v_fmac_f32_e32 v128, v107, v91
	ds_load_2addr_b32 v[90:91], v2 offset0:73 offset1:74
	s_waitcnt lgkmcnt(3)
	v_fmac_f32_e32 v128, v108, v92
	s_waitcnt vmcnt(4)
	v_fmac_f32_e32 v128, v109, v93
	ds_load_2addr_b32 v[92:93], v2 offset0:75 offset1:76
	s_waitcnt lgkmcnt(3)
	v_fmac_f32_e32 v128, v110, v94
	s_delay_alu instid0(VALU_DEP_1) | instskip(SKIP_1) | instid1(VALU_DEP_1)
	v_fmac_f32_e32 v128, v111, v95
	s_waitcnt lgkmcnt(2)
	v_fmac_f32_e32 v128, v112, v96
	s_waitcnt vmcnt(3)
	s_delay_alu instid0(VALU_DEP_1) | instskip(SKIP_4) | instid1(VALU_DEP_1)
	v_fmac_f32_e32 v128, v113, v97
	ds_load_2addr_b32 v[94:95], v2 offset0:77 offset1:78
	ds_load_2addr_b32 v[96:97], v2 offset0:79 offset1:80
	s_waitcnt lgkmcnt(3)
	v_fmac_f32_e32 v128, v114, v90
	v_fmac_f32_e32 v128, v115, v91
	ds_load_2addr_b32 v[90:91], v2 offset0:81 offset1:82
	s_waitcnt lgkmcnt(3)
	v_fmac_f32_e32 v128, v116, v92
	s_waitcnt vmcnt(2)
	s_delay_alu instid0(VALU_DEP_1) | instskip(SKIP_3) | instid1(VALU_DEP_1)
	v_fmac_f32_e32 v128, v117, v93
	ds_load_2addr_b32 v[92:93], v2 offset0:83 offset1:84
	s_waitcnt lgkmcnt(3)
	v_fmac_f32_e32 v128, v118, v94
	v_fmac_f32_e32 v128, v119, v95
	ds_load_2addr_b32 v[94:95], v2 offset0:85 offset1:86
	s_waitcnt lgkmcnt(3)
	v_fmac_f32_e32 v128, v120, v96
	s_waitcnt vmcnt(1)
	s_delay_alu instid0(VALU_DEP_1) | instskip(SKIP_1) | instid1(VALU_DEP_1)
	v_fmac_f32_e32 v128, v121, v97
	s_waitcnt lgkmcnt(2)
	v_fmac_f32_e32 v128, v122, v90
	s_delay_alu instid0(VALU_DEP_1) | instskip(SKIP_1) | instid1(VALU_DEP_1)
	v_fmac_f32_e32 v128, v123, v91
	s_waitcnt lgkmcnt(1)
	v_fmac_f32_e32 v128, v124, v92
	s_waitcnt vmcnt(0)
	s_delay_alu instid0(VALU_DEP_1) | instskip(SKIP_1) | instid1(VALU_DEP_1)
	v_fmac_f32_e32 v128, v125, v93
	s_waitcnt lgkmcnt(0)
	v_fmac_f32_e32 v128, v126, v94
	s_delay_alu instid0(VALU_DEP_1) | instskip(NEXT) | instid1(VALU_DEP_1)
	v_fmac_f32_e32 v128, v127, v95
	v_sub_f32_e32 v2, v89, v128
	scratch_store_b32 off, v2, off offset:16
	v_cmpx_lt_u32_e32 3, v0
	s_cbranch_execz .LBB106_259
; %bb.258:
	scratch_load_b32 v2, off, off offset:12
	v_mov_b32_e32 v89, 0
	scratch_store_b32 off, v89, off offset:12
	s_waitcnt vmcnt(0)
	ds_store_b32 v1, v2
.LBB106_259:
	s_or_b32 exec_lo, exec_lo, s0
	s_waitcnt lgkmcnt(0)
	s_waitcnt_vscnt null, 0x0
	s_barrier
	buffer_gl0_inv
	s_clause 0x9
	scratch_load_b128 v[89:92], off, off offset:12
	scratch_load_b128 v[93:96], off, off offset:28
	;; [unrolled: 1-line block ×10, first 2 shown]
	v_mov_b32_e32 v2, 0
	ds_load_b128 v[129:132], v2 offset:192
	ds_load_b128 v[133:136], v2 offset:208
	s_mov_b32 s0, exec_lo
	s_waitcnt vmcnt(9) lgkmcnt(1)
	v_fma_f32 v129, v90, v129, 0
	s_delay_alu instid0(VALU_DEP_1) | instskip(NEXT) | instid1(VALU_DEP_1)
	v_fmac_f32_e32 v129, v91, v130
	v_fmac_f32_e32 v129, v92, v131
	s_waitcnt vmcnt(8)
	s_delay_alu instid0(VALU_DEP_1) | instskip(SKIP_3) | instid1(VALU_DEP_1)
	v_fmac_f32_e32 v129, v93, v132
	ds_load_b128 v[90:93], v2 offset:224
	s_waitcnt lgkmcnt(1)
	v_fmac_f32_e32 v129, v94, v133
	v_fmac_f32_e32 v129, v95, v134
	s_delay_alu instid0(VALU_DEP_1) | instskip(SKIP_1) | instid1(VALU_DEP_1)
	v_fmac_f32_e32 v129, v96, v135
	s_waitcnt vmcnt(7)
	v_fmac_f32_e32 v129, v97, v136
	ds_load_b128 v[94:97], v2 offset:240
	s_waitcnt lgkmcnt(1)
	v_fmac_f32_e32 v129, v98, v90
	s_delay_alu instid0(VALU_DEP_1) | instskip(NEXT) | instid1(VALU_DEP_1)
	v_fmac_f32_e32 v129, v99, v91
	v_fmac_f32_e32 v129, v100, v92
	s_waitcnt vmcnt(6)
	s_delay_alu instid0(VALU_DEP_1) | instskip(SKIP_3) | instid1(VALU_DEP_1)
	v_fmac_f32_e32 v129, v101, v93
	ds_load_b128 v[90:93], v2 offset:256
	s_waitcnt lgkmcnt(1)
	v_fmac_f32_e32 v129, v102, v94
	v_fmac_f32_e32 v129, v103, v95
	s_delay_alu instid0(VALU_DEP_1) | instskip(SKIP_1) | instid1(VALU_DEP_1)
	v_fmac_f32_e32 v129, v104, v96
	s_waitcnt vmcnt(5)
	v_fmac_f32_e32 v129, v105, v97
	ds_load_b128 v[94:97], v2 offset:272
	s_waitcnt lgkmcnt(1)
	v_fmac_f32_e32 v129, v106, v90
	s_delay_alu instid0(VALU_DEP_1) | instskip(NEXT) | instid1(VALU_DEP_1)
	v_fmac_f32_e32 v129, v107, v91
	v_fmac_f32_e32 v129, v108, v92
	s_waitcnt vmcnt(4)
	s_delay_alu instid0(VALU_DEP_1) | instskip(SKIP_3) | instid1(VALU_DEP_1)
	v_fmac_f32_e32 v129, v109, v93
	ds_load_b128 v[90:93], v2 offset:288
	s_waitcnt lgkmcnt(1)
	v_fmac_f32_e32 v129, v110, v94
	v_fmac_f32_e32 v129, v111, v95
	s_delay_alu instid0(VALU_DEP_1) | instskip(SKIP_1) | instid1(VALU_DEP_1)
	v_fmac_f32_e32 v129, v112, v96
	s_waitcnt vmcnt(3)
	v_fmac_f32_e32 v129, v113, v97
	ds_load_b128 v[94:97], v2 offset:304
	s_waitcnt lgkmcnt(1)
	v_fmac_f32_e32 v129, v114, v90
	s_delay_alu instid0(VALU_DEP_1) | instskip(NEXT) | instid1(VALU_DEP_1)
	v_fmac_f32_e32 v129, v115, v91
	v_fmac_f32_e32 v129, v116, v92
	s_waitcnt vmcnt(2)
	s_delay_alu instid0(VALU_DEP_1) | instskip(SKIP_3) | instid1(VALU_DEP_1)
	v_fmac_f32_e32 v129, v117, v93
	ds_load_b128 v[90:93], v2 offset:320
	s_waitcnt lgkmcnt(1)
	v_fmac_f32_e32 v129, v118, v94
	v_fmac_f32_e32 v129, v119, v95
	s_delay_alu instid0(VALU_DEP_1) | instskip(SKIP_4) | instid1(VALU_DEP_1)
	v_fmac_f32_e32 v129, v120, v96
	ds_load_b96 v[94:96], v2 offset:336
	s_waitcnt vmcnt(1)
	v_fmac_f32_e32 v129, v121, v97
	s_waitcnt lgkmcnt(1)
	v_fmac_f32_e32 v129, v122, v90
	s_delay_alu instid0(VALU_DEP_1) | instskip(NEXT) | instid1(VALU_DEP_1)
	v_fmac_f32_e32 v129, v123, v91
	v_fmac_f32_e32 v129, v124, v92
	s_waitcnt vmcnt(0)
	s_delay_alu instid0(VALU_DEP_1) | instskip(SKIP_1) | instid1(VALU_DEP_1)
	v_fmac_f32_e32 v129, v125, v93
	s_waitcnt lgkmcnt(0)
	v_fmac_f32_e32 v129, v126, v94
	s_delay_alu instid0(VALU_DEP_1) | instskip(NEXT) | instid1(VALU_DEP_1)
	v_fmac_f32_e32 v129, v127, v95
	v_fmac_f32_e32 v129, v128, v96
	s_delay_alu instid0(VALU_DEP_1)
	v_sub_f32_e32 v89, v89, v129
	scratch_store_b32 off, v89, off offset:12
	v_cmpx_lt_u32_e32 2, v0
	s_cbranch_execz .LBB106_261
; %bb.260:
	scratch_load_b32 v89, off, off offset:8
	scratch_store_b32 off, v2, off offset:8
	s_waitcnt vmcnt(0)
	ds_store_b32 v1, v89
.LBB106_261:
	s_or_b32 exec_lo, exec_lo, s0
	s_waitcnt lgkmcnt(0)
	s_waitcnt_vscnt null, 0x0
	s_barrier
	buffer_gl0_inv
	s_clause 0xa
	scratch_load_b128 v[89:92], off, off offset:8
	scratch_load_b128 v[93:96], off, off offset:24
	;; [unrolled: 1-line block ×10, first 2 shown]
	scratch_load_b32 v137, off, off offset:168
	ds_load_2addr_b32 v[129:130], v2 offset0:47 offset1:48
	ds_load_2addr_b32 v[131:132], v2 offset0:49 offset1:50
	;; [unrolled: 1-line block ×4, first 2 shown]
	s_mov_b32 s0, exec_lo
	s_waitcnt vmcnt(10) lgkmcnt(3)
	v_fma_f32 v129, v90, v129, 0
	s_delay_alu instid0(VALU_DEP_1) | instskip(SKIP_4) | instid1(VALU_DEP_1)
	v_fmac_f32_e32 v129, v91, v130
	ds_load_2addr_b32 v[90:91], v2 offset0:55 offset1:56
	s_waitcnt lgkmcnt(3)
	v_fmac_f32_e32 v129, v92, v131
	s_waitcnt vmcnt(9)
	v_fmac_f32_e32 v129, v93, v132
	ds_load_2addr_b32 v[92:93], v2 offset0:57 offset1:58
	s_waitcnt lgkmcnt(3)
	v_fmac_f32_e32 v129, v94, v133
	s_delay_alu instid0(VALU_DEP_1) | instskip(SKIP_1) | instid1(VALU_DEP_1)
	v_fmac_f32_e32 v129, v95, v134
	s_waitcnt lgkmcnt(2)
	v_fmac_f32_e32 v129, v96, v135
	s_waitcnt vmcnt(8)
	s_delay_alu instid0(VALU_DEP_1) | instskip(SKIP_4) | instid1(VALU_DEP_1)
	v_fmac_f32_e32 v129, v97, v136
	ds_load_2addr_b32 v[94:95], v2 offset0:59 offset1:60
	ds_load_2addr_b32 v[96:97], v2 offset0:61 offset1:62
	s_waitcnt lgkmcnt(3)
	v_fmac_f32_e32 v129, v98, v90
	v_fmac_f32_e32 v129, v99, v91
	ds_load_2addr_b32 v[90:91], v2 offset0:63 offset1:64
	s_waitcnt lgkmcnt(3)
	v_fmac_f32_e32 v129, v100, v92
	s_waitcnt vmcnt(7)
	s_delay_alu instid0(VALU_DEP_1) | instskip(SKIP_3) | instid1(VALU_DEP_1)
	v_fmac_f32_e32 v129, v101, v93
	ds_load_2addr_b32 v[92:93], v2 offset0:65 offset1:66
	s_waitcnt lgkmcnt(3)
	v_fmac_f32_e32 v129, v102, v94
	v_fmac_f32_e32 v129, v103, v95
	s_waitcnt lgkmcnt(2)
	s_delay_alu instid0(VALU_DEP_1) | instskip(SKIP_1) | instid1(VALU_DEP_1)
	v_fmac_f32_e32 v129, v104, v96
	s_waitcnt vmcnt(6)
	v_fmac_f32_e32 v129, v105, v97
	ds_load_2addr_b32 v[94:95], v2 offset0:67 offset1:68
	ds_load_2addr_b32 v[96:97], v2 offset0:69 offset1:70
	s_waitcnt lgkmcnt(3)
	v_fmac_f32_e32 v129, v106, v90
	s_delay_alu instid0(VALU_DEP_1) | instskip(SKIP_4) | instid1(VALU_DEP_1)
	v_fmac_f32_e32 v129, v107, v91
	ds_load_2addr_b32 v[90:91], v2 offset0:71 offset1:72
	s_waitcnt lgkmcnt(3)
	v_fmac_f32_e32 v129, v108, v92
	s_waitcnt vmcnt(5)
	v_fmac_f32_e32 v129, v109, v93
	ds_load_2addr_b32 v[92:93], v2 offset0:73 offset1:74
	s_waitcnt lgkmcnt(3)
	v_fmac_f32_e32 v129, v110, v94
	s_delay_alu instid0(VALU_DEP_1) | instskip(SKIP_1) | instid1(VALU_DEP_1)
	v_fmac_f32_e32 v129, v111, v95
	s_waitcnt lgkmcnt(2)
	v_fmac_f32_e32 v129, v112, v96
	s_waitcnt vmcnt(4)
	s_delay_alu instid0(VALU_DEP_1) | instskip(SKIP_4) | instid1(VALU_DEP_1)
	v_fmac_f32_e32 v129, v113, v97
	ds_load_2addr_b32 v[94:95], v2 offset0:75 offset1:76
	ds_load_2addr_b32 v[96:97], v2 offset0:77 offset1:78
	s_waitcnt lgkmcnt(3)
	v_fmac_f32_e32 v129, v114, v90
	v_fmac_f32_e32 v129, v115, v91
	ds_load_2addr_b32 v[90:91], v2 offset0:79 offset1:80
	s_waitcnt lgkmcnt(3)
	v_fmac_f32_e32 v129, v116, v92
	s_waitcnt vmcnt(3)
	s_delay_alu instid0(VALU_DEP_1) | instskip(SKIP_3) | instid1(VALU_DEP_1)
	v_fmac_f32_e32 v129, v117, v93
	ds_load_2addr_b32 v[92:93], v2 offset0:81 offset1:82
	s_waitcnt lgkmcnt(3)
	v_fmac_f32_e32 v129, v118, v94
	v_fmac_f32_e32 v129, v119, v95
	s_waitcnt lgkmcnt(2)
	s_delay_alu instid0(VALU_DEP_1) | instskip(SKIP_1) | instid1(VALU_DEP_1)
	v_fmac_f32_e32 v129, v120, v96
	s_waitcnt vmcnt(2)
	v_fmac_f32_e32 v129, v121, v97
	ds_load_2addr_b32 v[94:95], v2 offset0:83 offset1:84
	ds_load_2addr_b32 v[96:97], v2 offset0:85 offset1:86
	s_waitcnt lgkmcnt(3)
	v_fmac_f32_e32 v129, v122, v90
	s_delay_alu instid0(VALU_DEP_1) | instskip(SKIP_1) | instid1(VALU_DEP_1)
	v_fmac_f32_e32 v129, v123, v91
	s_waitcnt lgkmcnt(2)
	v_fmac_f32_e32 v129, v124, v92
	s_waitcnt vmcnt(1)
	s_delay_alu instid0(VALU_DEP_1) | instskip(SKIP_1) | instid1(VALU_DEP_1)
	v_fmac_f32_e32 v129, v125, v93
	s_waitcnt lgkmcnt(1)
	v_fmac_f32_e32 v129, v126, v94
	s_delay_alu instid0(VALU_DEP_1) | instskip(SKIP_1) | instid1(VALU_DEP_1)
	v_fmac_f32_e32 v129, v127, v95
	s_waitcnt lgkmcnt(0)
	v_fmac_f32_e32 v129, v128, v96
	s_waitcnt vmcnt(0)
	s_delay_alu instid0(VALU_DEP_1) | instskip(NEXT) | instid1(VALU_DEP_1)
	v_fmac_f32_e32 v129, v137, v97
	v_sub_f32_e32 v2, v89, v129
	scratch_store_b32 off, v2, off offset:8
	v_cmpx_lt_u32_e32 1, v0
	s_cbranch_execz .LBB106_263
; %bb.262:
	scratch_load_b32 v2, off, off offset:4
	v_mov_b32_e32 v89, 0
	scratch_store_b32 off, v89, off offset:4
	s_waitcnt vmcnt(0)
	ds_store_b32 v1, v2
.LBB106_263:
	s_or_b32 exec_lo, exec_lo, s0
	s_waitcnt lgkmcnt(0)
	s_waitcnt_vscnt null, 0x0
	s_barrier
	buffer_gl0_inv
	s_clause 0xa
	scratch_load_b128 v[90:93], off, off offset:4
	scratch_load_b128 v[94:97], off, off offset:20
	;; [unrolled: 1-line block ×10, first 2 shown]
	scratch_load_b64 v[138:139], off, off offset:164
	v_mov_b32_e32 v89, 0
	ds_load_2addr_b64 v[130:133], v89 offset0:23 offset1:24
	ds_load_2addr_b64 v[134:137], v89 offset0:25 offset1:26
	s_mov_b32 s0, exec_lo
	s_waitcnt vmcnt(10) lgkmcnt(1)
	v_fma_f32 v2, v91, v130, 0
	s_delay_alu instid0(VALU_DEP_1) | instskip(NEXT) | instid1(VALU_DEP_1)
	v_fmac_f32_e32 v2, v92, v131
	v_fmac_f32_e32 v2, v93, v132
	s_waitcnt vmcnt(9)
	s_delay_alu instid0(VALU_DEP_1) | instskip(SKIP_3) | instid1(VALU_DEP_1)
	v_fmac_f32_e32 v2, v94, v133
	ds_load_2addr_b64 v[91:94], v89 offset0:27 offset1:28
	s_waitcnt lgkmcnt(1)
	v_fmac_f32_e32 v2, v95, v134
	v_fmac_f32_e32 v2, v96, v135
	s_delay_alu instid0(VALU_DEP_1) | instskip(SKIP_1) | instid1(VALU_DEP_1)
	v_fmac_f32_e32 v2, v97, v136
	s_waitcnt vmcnt(8)
	v_fmac_f32_e32 v2, v98, v137
	ds_load_2addr_b64 v[95:98], v89 offset0:29 offset1:30
	s_waitcnt lgkmcnt(1)
	v_fmac_f32_e32 v2, v99, v91
	s_delay_alu instid0(VALU_DEP_1) | instskip(NEXT) | instid1(VALU_DEP_1)
	v_fmac_f32_e32 v2, v100, v92
	v_fmac_f32_e32 v2, v101, v93
	s_waitcnt vmcnt(7)
	s_delay_alu instid0(VALU_DEP_1) | instskip(SKIP_3) | instid1(VALU_DEP_1)
	v_fmac_f32_e32 v2, v102, v94
	ds_load_2addr_b64 v[91:94], v89 offset0:31 offset1:32
	s_waitcnt lgkmcnt(1)
	v_fmac_f32_e32 v2, v103, v95
	v_fmac_f32_e32 v2, v104, v96
	s_delay_alu instid0(VALU_DEP_1) | instskip(SKIP_1) | instid1(VALU_DEP_1)
	v_fmac_f32_e32 v2, v105, v97
	s_waitcnt vmcnt(6)
	v_fmac_f32_e32 v2, v106, v98
	ds_load_2addr_b64 v[95:98], v89 offset0:33 offset1:34
	s_waitcnt lgkmcnt(1)
	v_fmac_f32_e32 v2, v107, v91
	;; [unrolled: 17-line block ×4, first 2 shown]
	ds_load_b32 v91, v89 offset:344
	v_fmac_f32_e32 v2, v124, v92
	s_delay_alu instid0(VALU_DEP_1) | instskip(SKIP_1) | instid1(VALU_DEP_1)
	v_fmac_f32_e32 v2, v125, v93
	s_waitcnt vmcnt(1)
	v_fmac_f32_e32 v2, v126, v94
	s_waitcnt lgkmcnt(1)
	s_delay_alu instid0(VALU_DEP_1) | instskip(NEXT) | instid1(VALU_DEP_1)
	v_fmac_f32_e32 v2, v127, v95
	v_fmac_f32_e32 v2, v128, v96
	s_delay_alu instid0(VALU_DEP_1) | instskip(SKIP_1) | instid1(VALU_DEP_1)
	v_fmac_f32_e32 v2, v129, v97
	s_waitcnt vmcnt(0)
	v_fmac_f32_e32 v2, v138, v98
	s_waitcnt lgkmcnt(0)
	s_delay_alu instid0(VALU_DEP_1) | instskip(NEXT) | instid1(VALU_DEP_1)
	v_fmac_f32_e32 v2, v139, v91
	v_sub_f32_e32 v2, v90, v2
	scratch_store_b32 off, v2, off offset:4
	v_cmpx_ne_u32_e32 0, v0
	s_cbranch_execz .LBB106_265
; %bb.264:
	scratch_load_b32 v0, off, off
	scratch_store_b32 off, v89, off
	s_waitcnt vmcnt(0)
	ds_store_b32 v1, v0
.LBB106_265:
	s_or_b32 exec_lo, exec_lo, s0
	s_waitcnt lgkmcnt(0)
	s_waitcnt_vscnt null, 0x0
	s_barrier
	buffer_gl0_inv
	s_clause 0xa
	scratch_load_b128 v[90:93], off, off
	scratch_load_b128 v[94:97], off, off offset:16
	scratch_load_b128 v[98:101], off, off offset:32
	;; [unrolled: 1-line block ×9, first 2 shown]
	scratch_load_b96 v[0:2], off, off offset:160
	ds_load_2addr_b32 v[130:131], v89 offset0:45 offset1:46
	ds_load_2addr_b32 v[132:133], v89 offset0:47 offset1:48
	;; [unrolled: 1-line block ×4, first 2 shown]
	s_and_b32 vcc_lo, exec_lo, s12
	s_waitcnt vmcnt(10) lgkmcnt(3)
	v_fma_f32 v130, v91, v130, 0
	s_delay_alu instid0(VALU_DEP_1) | instskip(SKIP_4) | instid1(VALU_DEP_1)
	v_fmac_f32_e32 v130, v92, v131
	ds_load_2addr_b32 v[91:92], v89 offset0:53 offset1:54
	s_waitcnt lgkmcnt(3)
	v_fmac_f32_e32 v130, v93, v132
	s_waitcnt vmcnt(9)
	v_fmac_f32_e32 v130, v94, v133
	ds_load_2addr_b32 v[93:94], v89 offset0:55 offset1:56
	s_waitcnt lgkmcnt(3)
	v_fmac_f32_e32 v130, v95, v134
	s_delay_alu instid0(VALU_DEP_1) | instskip(SKIP_1) | instid1(VALU_DEP_1)
	v_fmac_f32_e32 v130, v96, v135
	s_waitcnt lgkmcnt(2)
	v_fmac_f32_e32 v130, v97, v136
	s_waitcnt vmcnt(8)
	s_delay_alu instid0(VALU_DEP_1) | instskip(SKIP_4) | instid1(VALU_DEP_1)
	v_fmac_f32_e32 v130, v98, v137
	ds_load_2addr_b32 v[95:96], v89 offset0:57 offset1:58
	ds_load_2addr_b32 v[97:98], v89 offset0:59 offset1:60
	s_waitcnt lgkmcnt(3)
	v_fmac_f32_e32 v130, v99, v91
	v_fmac_f32_e32 v130, v100, v92
	ds_load_2addr_b32 v[91:92], v89 offset0:61 offset1:62
	s_waitcnt lgkmcnt(3)
	v_fmac_f32_e32 v130, v101, v93
	s_waitcnt vmcnt(7)
	s_delay_alu instid0(VALU_DEP_1) | instskip(SKIP_3) | instid1(VALU_DEP_1)
	v_fmac_f32_e32 v130, v102, v94
	ds_load_2addr_b32 v[93:94], v89 offset0:63 offset1:64
	s_waitcnt lgkmcnt(3)
	v_fmac_f32_e32 v130, v103, v95
	v_fmac_f32_e32 v130, v104, v96
	s_waitcnt lgkmcnt(2)
	s_delay_alu instid0(VALU_DEP_1) | instskip(SKIP_1) | instid1(VALU_DEP_1)
	v_fmac_f32_e32 v130, v105, v97
	s_waitcnt vmcnt(6)
	v_fmac_f32_e32 v130, v106, v98
	ds_load_2addr_b32 v[95:96], v89 offset0:65 offset1:66
	ds_load_2addr_b32 v[97:98], v89 offset0:67 offset1:68
	s_waitcnt lgkmcnt(3)
	v_fmac_f32_e32 v130, v107, v91
	s_delay_alu instid0(VALU_DEP_1) | instskip(SKIP_4) | instid1(VALU_DEP_1)
	v_fmac_f32_e32 v130, v108, v92
	ds_load_2addr_b32 v[91:92], v89 offset0:69 offset1:70
	s_waitcnt lgkmcnt(3)
	v_fmac_f32_e32 v130, v109, v93
	s_waitcnt vmcnt(5)
	v_fmac_f32_e32 v130, v110, v94
	ds_load_2addr_b32 v[93:94], v89 offset0:71 offset1:72
	s_waitcnt lgkmcnt(3)
	v_fmac_f32_e32 v130, v111, v95
	s_delay_alu instid0(VALU_DEP_1) | instskip(SKIP_1) | instid1(VALU_DEP_1)
	v_fmac_f32_e32 v130, v112, v96
	s_waitcnt lgkmcnt(2)
	v_fmac_f32_e32 v130, v113, v97
	s_waitcnt vmcnt(4)
	s_delay_alu instid0(VALU_DEP_1) | instskip(SKIP_4) | instid1(VALU_DEP_1)
	v_fmac_f32_e32 v130, v114, v98
	ds_load_2addr_b32 v[95:96], v89 offset0:73 offset1:74
	ds_load_2addr_b32 v[97:98], v89 offset0:75 offset1:76
	s_waitcnt lgkmcnt(3)
	v_fmac_f32_e32 v130, v115, v91
	v_fmac_f32_e32 v130, v116, v92
	ds_load_2addr_b32 v[91:92], v89 offset0:77 offset1:78
	s_waitcnt lgkmcnt(3)
	v_fmac_f32_e32 v130, v117, v93
	s_waitcnt vmcnt(3)
	s_delay_alu instid0(VALU_DEP_1) | instskip(SKIP_3) | instid1(VALU_DEP_1)
	v_fmac_f32_e32 v130, v118, v94
	ds_load_2addr_b32 v[93:94], v89 offset0:79 offset1:80
	s_waitcnt lgkmcnt(3)
	v_fmac_f32_e32 v130, v119, v95
	v_fmac_f32_e32 v130, v120, v96
	s_waitcnt lgkmcnt(2)
	s_delay_alu instid0(VALU_DEP_1) | instskip(SKIP_1) | instid1(VALU_DEP_1)
	v_fmac_f32_e32 v130, v121, v97
	s_waitcnt vmcnt(2)
	v_fmac_f32_e32 v130, v122, v98
	ds_load_2addr_b32 v[95:96], v89 offset0:81 offset1:82
	ds_load_2addr_b32 v[97:98], v89 offset0:83 offset1:84
	s_waitcnt lgkmcnt(3)
	v_fmac_f32_e32 v130, v123, v91
	s_delay_alu instid0(VALU_DEP_1) | instskip(SKIP_4) | instid1(VALU_DEP_1)
	v_fmac_f32_e32 v130, v124, v92
	ds_load_2addr_b32 v[91:92], v89 offset0:85 offset1:86
	s_waitcnt lgkmcnt(3)
	v_fmac_f32_e32 v130, v125, v93
	s_waitcnt vmcnt(1)
	v_fmac_f32_e32 v130, v126, v94
	s_waitcnt lgkmcnt(2)
	s_delay_alu instid0(VALU_DEP_1) | instskip(NEXT) | instid1(VALU_DEP_1)
	v_fmac_f32_e32 v130, v127, v95
	v_fmac_f32_e32 v130, v128, v96
	s_waitcnt lgkmcnt(1)
	s_delay_alu instid0(VALU_DEP_1) | instskip(SKIP_1) | instid1(VALU_DEP_1)
	v_fmac_f32_e32 v130, v129, v97
	s_waitcnt vmcnt(0)
	v_fmac_f32_e32 v130, v0, v98
	s_waitcnt lgkmcnt(0)
	s_delay_alu instid0(VALU_DEP_1) | instskip(NEXT) | instid1(VALU_DEP_1)
	v_fmac_f32_e32 v130, v1, v91
	v_fmac_f32_e32 v130, v2, v92
	s_delay_alu instid0(VALU_DEP_1)
	v_sub_f32_e32 v0, v90, v130
	scratch_store_b32 off, v0, off
	s_cbranch_vccz .LBB106_351
; %bb.266:
	v_dual_mov_b32 v90, s3 :: v_dual_mov_b32 v89, s2
	s_mov_b32 s0, exec_lo
	flat_load_b32 v0, v[89:90] offset:164
	s_waitcnt vmcnt(0) lgkmcnt(0)
	v_cmpx_ne_u32_e32 42, v0
	s_cbranch_execz .LBB106_268
; %bb.267:
	v_lshl_add_u32 v0, v0, 2, 0
	scratch_load_b32 v2, v0, off offset:-4
	s_waitcnt vmcnt(0)
	scratch_store_b32 off, v2, off offset:164
	scratch_store_b32 v0, v1, off offset:-4
.LBB106_268:
	s_or_b32 exec_lo, exec_lo, s0
	v_dual_mov_b32 v0, s2 :: v_dual_mov_b32 v1, s3
	s_mov_b32 s0, exec_lo
	flat_load_b32 v0, v[0:1] offset:160
	s_waitcnt vmcnt(0) lgkmcnt(0)
	v_cmpx_ne_u32_e32 41, v0
	s_cbranch_execz .LBB106_270
; %bb.269:
	v_lshl_add_u32 v0, v0, 2, 0
	scratch_load_b32 v1, v0, off offset:-4
	scratch_load_b32 v2, off, off offset:160
	s_waitcnt vmcnt(1)
	scratch_store_b32 off, v1, off offset:160
	s_waitcnt vmcnt(0)
	scratch_store_b32 v0, v2, off offset:-4
.LBB106_270:
	s_or_b32 exec_lo, exec_lo, s0
	v_dual_mov_b32 v0, s2 :: v_dual_mov_b32 v1, s3
	s_mov_b32 s0, exec_lo
	flat_load_b32 v0, v[0:1] offset:156
	s_waitcnt vmcnt(0) lgkmcnt(0)
	v_cmpx_ne_u32_e32 40, v0
	s_cbranch_execz .LBB106_272
; %bb.271:
	v_lshl_add_u32 v0, v0, 2, 0
	scratch_load_b32 v1, v0, off offset:-4
	scratch_load_b32 v2, off, off offset:156
	s_waitcnt vmcnt(1)
	scratch_store_b32 off, v1, off offset:156
	s_waitcnt vmcnt(0)
	scratch_store_b32 v0, v2, off offset:-4
.LBB106_272:
	;; [unrolled: 16-line block ×40, first 2 shown]
	s_or_b32 exec_lo, exec_lo, s0
	v_dual_mov_b32 v0, s2 :: v_dual_mov_b32 v1, s3
	s_mov_b32 s0, exec_lo
	flat_load_b32 v1, v[0:1]
	scratch_load_b32 v0, off, off
	s_waitcnt vmcnt(1) lgkmcnt(0)
	v_cmpx_ne_u32_e32 1, v1
	s_cbranch_execz .LBB106_350
; %bb.349:
	v_lshl_add_u32 v1, v1, 2, 0
	scratch_load_b32 v2, v1, off offset:-4
	s_waitcnt vmcnt(0)
	scratch_store_b32 off, v2, off
	scratch_store_b32 v1, v0, off offset:-4
	scratch_load_b32 v0, off, off
.LBB106_350:
	s_or_b32 exec_lo, exec_lo, s0
.LBB106_351:
	s_clause 0xa
	scratch_load_b128 v[89:92], off, off offset:4
	scratch_load_b128 v[93:96], off, off offset:20
	;; [unrolled: 1-line block ×10, first 2 shown]
	scratch_load_b64 v[1:2], off, off offset:164
	s_waitcnt vmcnt(11)
	global_store_b32 v[3:4], v0, off
	s_waitcnt vmcnt(10)
	s_clause 0x3
	global_store_b32 v[5:6], v89, off
	global_store_b32 v[7:8], v90, off
	global_store_b32 v[9:10], v91, off
	global_store_b32 v[11:12], v92, off
	s_waitcnt vmcnt(9)
	s_clause 0x3
	global_store_b32 v[13:14], v93, off
	global_store_b32 v[15:16], v94, off
	global_store_b32 v[17:18], v95, off
	;; [unrolled: 6-line block ×10, first 2 shown]
	global_store_b32 v[85:86], v128, off
	s_waitcnt vmcnt(0)
	s_clause 0x1
	global_store_b32 v[87:88], v1, off
	global_store_b32 v[53:54], v2, off
	s_endpgm
	.section	.rodata,"a",@progbits
	.p2align	6, 0x0
	.amdhsa_kernel _ZN9rocsolver6v33100L18getri_kernel_smallILi43EfPKPfEEvT1_iilPiilS6_bb
		.amdhsa_group_segment_fixed_size 348
		.amdhsa_private_segment_fixed_size 176
		.amdhsa_kernarg_size 60
		.amdhsa_user_sgpr_count 15
		.amdhsa_user_sgpr_dispatch_ptr 0
		.amdhsa_user_sgpr_queue_ptr 0
		.amdhsa_user_sgpr_kernarg_segment_ptr 1
		.amdhsa_user_sgpr_dispatch_id 0
		.amdhsa_user_sgpr_private_segment_size 0
		.amdhsa_wavefront_size32 1
		.amdhsa_uses_dynamic_stack 0
		.amdhsa_enable_private_segment 1
		.amdhsa_system_sgpr_workgroup_id_x 1
		.amdhsa_system_sgpr_workgroup_id_y 0
		.amdhsa_system_sgpr_workgroup_id_z 0
		.amdhsa_system_sgpr_workgroup_info 0
		.amdhsa_system_vgpr_workitem_id 0
		.amdhsa_next_free_vgpr 140
		.amdhsa_next_free_sgpr 17
		.amdhsa_reserve_vcc 1
		.amdhsa_float_round_mode_32 0
		.amdhsa_float_round_mode_16_64 0
		.amdhsa_float_denorm_mode_32 3
		.amdhsa_float_denorm_mode_16_64 3
		.amdhsa_dx10_clamp 1
		.amdhsa_ieee_mode 1
		.amdhsa_fp16_overflow 0
		.amdhsa_workgroup_processor_mode 1
		.amdhsa_memory_ordered 1
		.amdhsa_forward_progress 0
		.amdhsa_shared_vgpr_count 0
		.amdhsa_exception_fp_ieee_invalid_op 0
		.amdhsa_exception_fp_denorm_src 0
		.amdhsa_exception_fp_ieee_div_zero 0
		.amdhsa_exception_fp_ieee_overflow 0
		.amdhsa_exception_fp_ieee_underflow 0
		.amdhsa_exception_fp_ieee_inexact 0
		.amdhsa_exception_int_div_zero 0
	.end_amdhsa_kernel
	.section	.text._ZN9rocsolver6v33100L18getri_kernel_smallILi43EfPKPfEEvT1_iilPiilS6_bb,"axG",@progbits,_ZN9rocsolver6v33100L18getri_kernel_smallILi43EfPKPfEEvT1_iilPiilS6_bb,comdat
.Lfunc_end106:
	.size	_ZN9rocsolver6v33100L18getri_kernel_smallILi43EfPKPfEEvT1_iilPiilS6_bb, .Lfunc_end106-_ZN9rocsolver6v33100L18getri_kernel_smallILi43EfPKPfEEvT1_iilPiilS6_bb
                                        ; -- End function
	.section	.AMDGPU.csdata,"",@progbits
; Kernel info:
; codeLenInByte = 29824
; NumSgprs: 19
; NumVgprs: 140
; ScratchSize: 176
; MemoryBound: 0
; FloatMode: 240
; IeeeMode: 1
; LDSByteSize: 348 bytes/workgroup (compile time only)
; SGPRBlocks: 2
; VGPRBlocks: 17
; NumSGPRsForWavesPerEU: 19
; NumVGPRsForWavesPerEU: 140
; Occupancy: 10
; WaveLimiterHint : 1
; COMPUTE_PGM_RSRC2:SCRATCH_EN: 1
; COMPUTE_PGM_RSRC2:USER_SGPR: 15
; COMPUTE_PGM_RSRC2:TRAP_HANDLER: 0
; COMPUTE_PGM_RSRC2:TGID_X_EN: 1
; COMPUTE_PGM_RSRC2:TGID_Y_EN: 0
; COMPUTE_PGM_RSRC2:TGID_Z_EN: 0
; COMPUTE_PGM_RSRC2:TIDIG_COMP_CNT: 0
	.section	.text._ZN9rocsolver6v33100L18getri_kernel_smallILi44EfPKPfEEvT1_iilPiilS6_bb,"axG",@progbits,_ZN9rocsolver6v33100L18getri_kernel_smallILi44EfPKPfEEvT1_iilPiilS6_bb,comdat
	.globl	_ZN9rocsolver6v33100L18getri_kernel_smallILi44EfPKPfEEvT1_iilPiilS6_bb ; -- Begin function _ZN9rocsolver6v33100L18getri_kernel_smallILi44EfPKPfEEvT1_iilPiilS6_bb
	.p2align	8
	.type	_ZN9rocsolver6v33100L18getri_kernel_smallILi44EfPKPfEEvT1_iilPiilS6_bb,@function
_ZN9rocsolver6v33100L18getri_kernel_smallILi44EfPKPfEEvT1_iilPiilS6_bb: ; @_ZN9rocsolver6v33100L18getri_kernel_smallILi44EfPKPfEEvT1_iilPiilS6_bb
; %bb.0:
	s_mov_b32 s2, exec_lo
	v_cmpx_gt_u32_e32 44, v0
	s_cbranch_execz .LBB107_184
; %bb.1:
	s_clause 0x1
	s_load_b32 s13, s[0:1], 0x38
	s_load_b64 s[2:3], s[0:1], 0x0
	s_mov_b32 s8, s15
	s_load_b128 s[4:7], s[0:1], 0x28
	s_waitcnt lgkmcnt(0)
	s_bitcmp1_b32 s13, 8
	s_cselect_b32 s12, -1, 0
	s_ashr_i32 s9, s15, 31
	s_delay_alu instid0(SALU_CYCLE_1) | instskip(NEXT) | instid1(SALU_CYCLE_1)
	s_lshl_b64 s[10:11], s[8:9], 3
	s_add_u32 s2, s2, s10
	s_addc_u32 s3, s3, s11
	s_load_b64 s[10:11], s[2:3], 0x0
	s_bfe_u32 s2, s13, 0x10008
	s_delay_alu instid0(SALU_CYCLE_1)
	s_cmp_eq_u32 s2, 0
                                        ; implicit-def: $sgpr2_sgpr3
	s_cbranch_scc1 .LBB107_3
; %bb.2:
	s_clause 0x1
	s_load_b32 s2, s[0:1], 0x20
	s_load_b64 s[14:15], s[0:1], 0x18
	s_mul_i32 s3, s8, s5
	s_mul_hi_u32 s5, s8, s4
	s_mul_i32 s16, s9, s4
	s_add_i32 s3, s5, s3
	s_mul_i32 s4, s8, s4
	s_add_i32 s5, s3, s16
	s_delay_alu instid0(SALU_CYCLE_1)
	s_lshl_b64 s[4:5], s[4:5], 2
	s_waitcnt lgkmcnt(0)
	s_ashr_i32 s3, s2, 31
	s_add_u32 s4, s14, s4
	s_addc_u32 s5, s15, s5
	s_lshl_b64 s[2:3], s[2:3], 2
	s_delay_alu instid0(SALU_CYCLE_1)
	s_add_u32 s2, s4, s2
	s_addc_u32 s3, s5, s3
.LBB107_3:
	s_load_b64 s[0:1], s[0:1], 0x8
	v_lshlrev_b32_e32 v3, 2, v0
	s_waitcnt lgkmcnt(0)
	v_add3_u32 v1, s1, s1, v0
	s_ashr_i32 s5, s0, 31
	s_mov_b32 s4, s0
	s_mov_b32 s14, s1
	s_lshl_b64 s[4:5], s[4:5], 2
	v_add_nc_u32_e32 v8, s1, v1
	v_ashrrev_i32_e32 v2, 31, v1
	s_add_u32 s4, s10, s4
	s_addc_u32 s5, s11, s5
	v_add_co_u32 v4, s0, s4, v3
	v_add_nc_u32_e32 v10, s1, v8
	s_ashr_i32 s15, s1, 31
	v_add_co_ci_u32_e64 v5, null, s5, 0, s0
	v_lshlrev_b64 v[1:2], 2, v[1:2]
	s_delay_alu instid0(VALU_DEP_3)
	v_add_nc_u32_e32 v12, s1, v10
	v_ashrrev_i32_e32 v9, 31, v8
	s_lshl_b64 s[10:11], s[14:15], 2
	v_ashrrev_i32_e32 v11, 31, v10
	v_add_co_u32 v6, vcc_lo, v4, s10
	v_add_nc_u32_e32 v14, s1, v12
	v_add_co_ci_u32_e32 v7, vcc_lo, s11, v5, vcc_lo
	v_lshlrev_b64 v[39:40], 2, v[8:9]
	v_add_co_u32 v8, vcc_lo, s4, v1
	s_delay_alu instid0(VALU_DEP_4) | instskip(SKIP_3) | instid1(VALU_DEP_4)
	v_add_nc_u32_e32 v16, s1, v14
	v_add_co_ci_u32_e32 v9, vcc_lo, s5, v2, vcc_lo
	v_lshlrev_b64 v[1:2], 2, v[10:11]
	v_ashrrev_i32_e32 v13, 31, v12
	v_add_nc_u32_e32 v18, s1, v16
	v_add_co_u32 v10, vcc_lo, s4, v39
	v_ashrrev_i32_e32 v15, 31, v14
	v_add_co_ci_u32_e32 v11, vcc_lo, s5, v40, vcc_lo
	s_delay_alu instid0(VALU_DEP_4) | instskip(SKIP_3) | instid1(VALU_DEP_4)
	v_add_nc_u32_e32 v20, s1, v18
	v_lshlrev_b64 v[39:40], 2, v[12:13]
	v_add_co_u32 v12, vcc_lo, s4, v1
	v_add_co_ci_u32_e32 v13, vcc_lo, s5, v2, vcc_lo
	v_add_nc_u32_e32 v22, s1, v20
	v_lshlrev_b64 v[1:2], 2, v[14:15]
	v_ashrrev_i32_e32 v17, 31, v16
	v_add_co_u32 v14, vcc_lo, s4, v39
	s_delay_alu instid0(VALU_DEP_4) | instskip(SKIP_3) | instid1(VALU_DEP_4)
	v_add_nc_u32_e32 v24, s1, v22
	v_ashrrev_i32_e32 v19, 31, v18
	v_add_co_ci_u32_e32 v15, vcc_lo, s5, v40, vcc_lo
	v_lshlrev_b64 v[39:40], 2, v[16:17]
	v_add_nc_u32_e32 v26, s1, v24
	v_add_co_u32 v16, vcc_lo, s4, v1
	v_add_co_ci_u32_e32 v17, vcc_lo, s5, v2, vcc_lo
	s_delay_alu instid0(VALU_DEP_3) | instskip(SKIP_3) | instid1(VALU_DEP_4)
	v_add_nc_u32_e32 v28, s1, v26
	v_lshlrev_b64 v[1:2], 2, v[18:19]
	v_ashrrev_i32_e32 v21, 31, v20
	v_add_co_u32 v18, vcc_lo, s4, v39
	v_add_nc_u32_e32 v30, s1, v28
	v_ashrrev_i32_e32 v23, 31, v22
	v_add_co_ci_u32_e32 v19, vcc_lo, s5, v40, vcc_lo
	v_lshlrev_b64 v[39:40], 2, v[20:21]
	s_delay_alu instid0(VALU_DEP_4) | instskip(SKIP_2) | instid1(VALU_DEP_3)
	v_add_nc_u32_e32 v32, s1, v30
	v_add_co_u32 v20, vcc_lo, s4, v1
	v_add_co_ci_u32_e32 v21, vcc_lo, s5, v2, vcc_lo
	v_add_nc_u32_e32 v34, s1, v32
	v_lshlrev_b64 v[1:2], 2, v[22:23]
	v_ashrrev_i32_e32 v25, 31, v24
	v_add_co_u32 v22, vcc_lo, s4, v39
	s_delay_alu instid0(VALU_DEP_4) | instskip(SKIP_3) | instid1(VALU_DEP_4)
	v_add_nc_u32_e32 v36, s1, v34
	v_ashrrev_i32_e32 v27, 31, v26
	v_add_co_ci_u32_e32 v23, vcc_lo, s5, v40, vcc_lo
	v_lshlrev_b64 v[39:40], 2, v[24:25]
	v_add_nc_u32_e32 v38, s1, v36
	v_add_co_u32 v24, vcc_lo, s4, v1
	v_add_co_ci_u32_e32 v25, vcc_lo, s5, v2, vcc_lo
	s_delay_alu instid0(VALU_DEP_3) | instskip(SKIP_3) | instid1(VALU_DEP_4)
	v_add_nc_u32_e32 v41, s1, v38
	v_lshlrev_b64 v[1:2], 2, v[26:27]
	v_ashrrev_i32_e32 v29, 31, v28
	v_add_co_u32 v26, vcc_lo, s4, v39
	v_add_nc_u32_e32 v43, s1, v41
	v_ashrrev_i32_e32 v31, 31, v30
	v_add_co_ci_u32_e32 v27, vcc_lo, s5, v40, vcc_lo
	v_lshlrev_b64 v[39:40], 2, v[28:29]
	s_delay_alu instid0(VALU_DEP_4) | instskip(SKIP_2) | instid1(VALU_DEP_3)
	v_add_nc_u32_e32 v45, s1, v43
	;; [unrolled: 25-line block ×4, first 2 shown]
	v_add_co_u32 v44, vcc_lo, s4, v1
	v_add_co_ci_u32_e32 v45, vcc_lo, s5, v2, vcc_lo
	v_add_nc_u32_e32 v74, s1, v72
	v_lshlrev_b64 v[1:2], 2, v[47:48]
	v_ashrrev_i32_e32 v50, 31, v49
	v_add_co_u32 v46, vcc_lo, s4, v56
	s_delay_alu instid0(VALU_DEP_4) | instskip(SKIP_3) | instid1(VALU_DEP_4)
	v_add_nc_u32_e32 v76, s1, v74
	v_ashrrev_i32_e32 v52, 31, v51
	v_add_co_ci_u32_e32 v47, vcc_lo, s5, v57, vcc_lo
	v_lshlrev_b64 v[56:57], 2, v[49:50]
	v_add_nc_u32_e32 v78, s1, v76
	v_add_co_u32 v48, vcc_lo, s4, v1
	v_ashrrev_i32_e32 v54, 31, v53
	v_add_co_ci_u32_e32 v49, vcc_lo, s5, v2, vcc_lo
	s_delay_alu instid0(VALU_DEP_4) | instskip(SKIP_3) | instid1(VALU_DEP_4)
	v_add_nc_u32_e32 v80, s1, v78
	v_lshlrev_b64 v[1:2], 2, v[51:52]
	v_add_co_u32 v50, vcc_lo, s4, v56
	v_lshlrev_b64 v[69:70], 2, v[53:54]
	v_add_nc_u32_e32 v82, s1, v80
	v_ashrrev_i32_e32 v56, 31, v55
	v_add_co_ci_u32_e32 v51, vcc_lo, s5, v57, vcc_lo
	v_add_co_u32 v52, vcc_lo, s4, v1
	s_delay_alu instid0(VALU_DEP_4) | instskip(SKIP_3) | instid1(VALU_DEP_4)
	v_add_nc_u32_e32 v84, s1, v82
	v_add_co_ci_u32_e32 v53, vcc_lo, s5, v2, vcc_lo
	v_lshlrev_b64 v[1:2], 2, v[55:56]
	v_ashrrev_i32_e32 v59, 31, v58
	v_add_nc_u32_e32 v86, s1, v84
	v_add_co_u32 v56, vcc_lo, s4, v69
	v_add_co_ci_u32_e32 v57, vcc_lo, s5, v70, vcc_lo
	s_delay_alu instid0(VALU_DEP_3)
	v_add_nc_u32_e32 v88, s1, v86
	v_ashrrev_i32_e32 v61, 31, v60
	v_lshlrev_b64 v[69:70], 2, v[58:59]
	v_ashrrev_i32_e32 v63, 31, v62
	v_ashrrev_i32_e32 v65, 31, v64
	v_add_nc_u32_e32 v90, s1, v88
	v_ashrrev_i32_e32 v67, 31, v66
	v_ashrrev_i32_e32 v73, 31, v72
	v_ashrrev_i32_e32 v75, 31, v74
	v_ashrrev_i32_e32 v77, 31, v76
	v_add_nc_u32_e32 v54, s1, v90
	v_ashrrev_i32_e32 v79, 31, v78
	v_ashrrev_i32_e32 v81, 31, v80
	v_lshlrev_b64 v[74:75], 2, v[74:75]
	v_ashrrev_i32_e32 v83, 31, v82
	v_ashrrev_i32_e32 v55, 31, v54
	v_lshlrev_b64 v[78:79], 2, v[78:79]
	;; [unrolled: 3-line block ×3, first 2 shown]
	v_lshlrev_b64 v[54:55], 2, v[54:55]
	v_ashrrev_i32_e32 v89, 31, v88
	v_ashrrev_i32_e32 v91, 31, v90
	v_lshlrev_b64 v[86:87], 2, v[86:87]
	s_clause 0x8
	global_load_b32 v92, v3, s[4:5]
	global_load_b32 v93, v[6:7], off
	global_load_b32 v94, v[8:9], off
	global_load_b32 v95, v[10:11], off
	global_load_b32 v96, v[12:13], off
	global_load_b32 v97, v[14:15], off
	global_load_b32 v98, v[16:17], off
	global_load_b32 v99, v[18:19], off
	global_load_b32 v100, v[20:21], off
	v_add_co_u32 v54, vcc_lo, s4, v54
	v_add_co_ci_u32_e32 v55, vcc_lo, s5, v55, vcc_lo
	v_add_co_u32 v58, vcc_lo, s4, v1
	v_add_co_ci_u32_e32 v59, vcc_lo, s5, v2, vcc_lo
	v_lshlrev_b64 v[1:2], 2, v[60:61]
	v_add_co_u32 v60, vcc_lo, s4, v69
	v_add_co_ci_u32_e32 v61, vcc_lo, s5, v70, vcc_lo
	v_lshlrev_b64 v[69:70], 2, v[62:63]
	s_delay_alu instid0(VALU_DEP_4) | instskip(SKIP_2) | instid1(VALU_DEP_4)
	v_add_co_u32 v62, vcc_lo, s4, v1
	v_add_co_ci_u32_e32 v63, vcc_lo, s5, v2, vcc_lo
	v_lshlrev_b64 v[1:2], 2, v[64:65]
	v_add_co_u32 v64, vcc_lo, s4, v69
	v_ashrrev_i32_e32 v69, 31, v68
	v_add_co_ci_u32_e32 v65, vcc_lo, s5, v70, vcc_lo
	v_lshlrev_b64 v[70:71], 2, v[66:67]
	v_add_co_u32 v66, vcc_lo, s4, v1
	v_add_co_ci_u32_e32 v67, vcc_lo, s5, v2, vcc_lo
	v_lshlrev_b64 v[1:2], 2, v[68:69]
	s_delay_alu instid0(VALU_DEP_4) | instskip(SKIP_2) | instid1(VALU_DEP_4)
	v_add_co_u32 v68, vcc_lo, s4, v70
	v_add_co_ci_u32_e32 v69, vcc_lo, s5, v71, vcc_lo
	v_lshlrev_b64 v[90:91], 2, v[90:91]
	v_add_co_u32 v70, vcc_lo, s4, v1
	v_add_co_ci_u32_e32 v71, vcc_lo, s5, v2, vcc_lo
	v_lshlrev_b64 v[1:2], 2, v[72:73]
	s_clause 0x17
	global_load_b32 v101, v[22:23], off
	global_load_b32 v102, v[24:25], off
	;; [unrolled: 1-line block ×24, first 2 shown]
	s_bitcmp0_b32 s13, 0
	s_mov_b32 s1, -1
	v_add_co_u32 v72, vcc_lo, s4, v1
	v_add_co_ci_u32_e32 v73, vcc_lo, s5, v2, vcc_lo
	v_lshlrev_b64 v[1:2], 2, v[76:77]
	v_add_co_u32 v74, vcc_lo, s4, v74
	v_add_co_ci_u32_e32 v75, vcc_lo, s5, v75, vcc_lo
	s_delay_alu instid0(VALU_DEP_3) | instskip(NEXT) | instid1(VALU_DEP_4)
	v_add_co_u32 v76, vcc_lo, s4, v1
	v_add_co_ci_u32_e32 v77, vcc_lo, s5, v2, vcc_lo
	v_lshlrev_b64 v[1:2], 2, v[80:81]
	v_add_co_u32 v78, vcc_lo, s4, v78
	v_add_co_ci_u32_e32 v79, vcc_lo, s5, v79, vcc_lo
	s_delay_alu instid0(VALU_DEP_3) | instskip(NEXT) | instid1(VALU_DEP_4)
	;; [unrolled: 6-line block ×4, first 2 shown]
	v_add_co_u32 v88, vcc_lo, s4, v1
	v_add_co_ci_u32_e32 v89, vcc_lo, s5, v2, vcc_lo
	v_add_co_u32 v90, vcc_lo, s4, v90
	v_add_co_ci_u32_e32 v91, vcc_lo, s5, v91, vcc_lo
	s_clause 0xa
	global_load_b32 v125, v[72:73], off
	global_load_b32 v126, v[74:75], off
	;; [unrolled: 1-line block ×11, first 2 shown]
	s_waitcnt vmcnt(40)
	scratch_store_b128 off, v[92:95], off
	s_waitcnt vmcnt(36)
	scratch_store_b128 off, v[96:99], off offset:16
	s_waitcnt vmcnt(32)
	scratch_store_b128 off, v[100:103], off offset:32
	;; [unrolled: 2-line block ×10, first 2 shown]
	s_cbranch_scc1 .LBB107_182
; %bb.4:
	v_cmp_eq_u32_e64 s0, 0, v0
	s_delay_alu instid0(VALU_DEP_1)
	s_and_saveexec_b32 s1, s0
	s_cbranch_execz .LBB107_6
; %bb.5:
	v_mov_b32_e32 v1, 0
	ds_store_b32 v1, v1 offset:352
.LBB107_6:
	s_or_b32 exec_lo, exec_lo, s1
	s_waitcnt lgkmcnt(0)
	s_waitcnt_vscnt null, 0x0
	s_barrier
	buffer_gl0_inv
	scratch_load_b32 v1, v3, off
	s_mov_b32 s4, exec_lo
	s_waitcnt vmcnt(0)
	v_cmpx_eq_f32_e32 0, v1
	s_cbranch_execz .LBB107_10
; %bb.7:
	v_mov_b32_e32 v1, 0
	s_mov_b32 s5, 0
	ds_load_b32 v2, v1 offset:352
	s_waitcnt lgkmcnt(0)
	v_readfirstlane_b32 s1, v2
	v_add_nc_u32_e32 v2, 1, v0
	s_delay_alu instid0(VALU_DEP_2) | instskip(NEXT) | instid1(VALU_DEP_1)
	s_cmp_eq_u32 s1, 0
	v_cmp_gt_i32_e32 vcc_lo, s1, v2
	s_cselect_b32 s10, -1, 0
	s_delay_alu instid0(SALU_CYCLE_1) | instskip(NEXT) | instid1(SALU_CYCLE_1)
	s_or_b32 s10, s10, vcc_lo
	s_and_b32 exec_lo, exec_lo, s10
	s_cbranch_execz .LBB107_10
; %bb.8:
	v_mov_b32_e32 v92, s1
.LBB107_9:                              ; =>This Inner Loop Header: Depth=1
	ds_cmpstore_rtn_b32 v92, v1, v2, v92 offset:352
	s_waitcnt lgkmcnt(0)
	v_cmp_ne_u32_e32 vcc_lo, 0, v92
	v_cmp_le_i32_e64 s1, v92, v2
	s_delay_alu instid0(VALU_DEP_1) | instskip(NEXT) | instid1(SALU_CYCLE_1)
	s_and_b32 s1, vcc_lo, s1
	s_and_b32 s1, exec_lo, s1
	s_delay_alu instid0(SALU_CYCLE_1) | instskip(NEXT) | instid1(SALU_CYCLE_1)
	s_or_b32 s5, s1, s5
	s_and_not1_b32 exec_lo, exec_lo, s5
	s_cbranch_execnz .LBB107_9
.LBB107_10:
	s_or_b32 exec_lo, exec_lo, s4
	v_mov_b32_e32 v1, 0
	s_barrier
	buffer_gl0_inv
	ds_load_b32 v2, v1 offset:352
	s_and_saveexec_b32 s1, s0
	s_cbranch_execz .LBB107_12
; %bb.11:
	s_lshl_b64 s[4:5], s[8:9], 2
	s_delay_alu instid0(SALU_CYCLE_1)
	s_add_u32 s4, s6, s4
	s_addc_u32 s5, s7, s5
	s_waitcnt lgkmcnt(0)
	global_store_b32 v1, v2, s[4:5]
.LBB107_12:
	s_or_b32 exec_lo, exec_lo, s1
	s_waitcnt lgkmcnt(0)
	v_cmp_ne_u32_e32 vcc_lo, 0, v2
	s_mov_b32 s1, 0
	s_cbranch_vccnz .LBB107_182
; %bb.13:
	v_add_nc_u32_e32 v1, 0, v3
	scratch_load_b32 v2, v1, off
	s_waitcnt vmcnt(0)
	v_div_scale_f32 v92, null, v2, v2, 1.0
	v_div_scale_f32 v95, vcc_lo, 1.0, v2, 1.0
	s_delay_alu instid0(VALU_DEP_2) | instskip(SKIP_2) | instid1(VALU_DEP_1)
	v_rcp_f32_e32 v93, v92
	s_waitcnt_depctr 0xfff
	v_fma_f32 v94, -v92, v93, 1.0
	v_fmac_f32_e32 v93, v94, v93
	s_delay_alu instid0(VALU_DEP_1) | instskip(NEXT) | instid1(VALU_DEP_1)
	v_mul_f32_e32 v94, v95, v93
	v_fma_f32 v96, -v92, v94, v95
	s_delay_alu instid0(VALU_DEP_1) | instskip(NEXT) | instid1(VALU_DEP_1)
	v_fmac_f32_e32 v94, v96, v93
	v_fma_f32 v92, -v92, v94, v95
	s_delay_alu instid0(VALU_DEP_1) | instskip(NEXT) | instid1(VALU_DEP_1)
	v_div_fmas_f32 v92, v92, v93, v94
	v_div_fixup_f32 v2, v92, v2, 1.0
	scratch_store_b32 v1, v2, off
	scratch_load_b32 v92, off, off offset:4
	v_xor_b32_e32 v93, 0x80000000, v2
	v_add_nc_u32_e32 v2, 0xb0, v3
	s_waitcnt vmcnt(0)
	ds_store_2addr_b32 v3, v93, v92 offset1:44
	s_waitcnt lgkmcnt(0)
	s_waitcnt_vscnt null, 0x0
	s_barrier
	buffer_gl0_inv
	s_and_saveexec_b32 s1, s0
	s_cbranch_execz .LBB107_15
; %bb.14:
	scratch_load_b32 v92, v1, off
	ds_load_b32 v93, v2
	v_mov_b32_e32 v94, 0
	ds_load_b32 v94, v94 offset:4
	s_waitcnt vmcnt(0) lgkmcnt(1)
	v_fma_f32 v92, v92, v93, 0
	s_waitcnt lgkmcnt(0)
	s_delay_alu instid0(VALU_DEP_1)
	v_mul_f32_e32 v92, v92, v94
	scratch_store_b32 off, v92, off offset:4
.LBB107_15:
	s_or_b32 exec_lo, exec_lo, s1
	s_waitcnt_vscnt null, 0x0
	s_barrier
	buffer_gl0_inv
	scratch_load_b32 v92, off, off offset:8
	s_mov_b32 s1, exec_lo
	s_waitcnt vmcnt(0)
	ds_store_b32 v2, v92
	s_waitcnt lgkmcnt(0)
	s_barrier
	buffer_gl0_inv
	v_cmpx_gt_u32_e32 2, v0
	s_cbranch_execz .LBB107_17
; %bb.16:
	scratch_load_b32 v94, v1, off
	scratch_load_b32 v95, off, off offset:4
	ds_load_b32 v96, v2
	v_mov_b32_e32 v92, 0
	ds_load_2addr_b32 v[92:93], v92 offset0:2 offset1:45
	s_waitcnt vmcnt(1) lgkmcnt(1)
	v_fma_f32 v94, v94, v96, 0
	s_waitcnt vmcnt(0) lgkmcnt(0)
	s_delay_alu instid0(VALU_DEP_1) | instskip(NEXT) | instid1(VALU_DEP_1)
	v_fma_f32 v93, v95, v93, v94
	v_cndmask_b32_e64 v93, v94, v93, s0
	s_delay_alu instid0(VALU_DEP_1)
	v_mul_f32_e32 v92, v93, v92
	scratch_store_b32 off, v92, off offset:8
.LBB107_17:
	s_or_b32 exec_lo, exec_lo, s1
	s_waitcnt_vscnt null, 0x0
	s_barrier
	buffer_gl0_inv
	scratch_load_b32 v93, off, off offset:12
	v_add_nc_u32_e32 v92, -1, v0
	s_mov_b32 s0, exec_lo
	s_waitcnt vmcnt(0)
	ds_store_b32 v2, v93
	s_waitcnt lgkmcnt(0)
	s_barrier
	buffer_gl0_inv
	v_cmpx_gt_u32_e32 3, v0
	s_cbranch_execz .LBB107_21
; %bb.18:
	v_dual_mov_b32 v93, 0 :: v_dual_add_nc_u32 v94, -1, v0
	v_add_nc_u32_e32 v95, 0xb0, v3
	v_add_nc_u32_e32 v96, 0, v3
	s_mov_b32 s1, 0
.LBB107_19:                             ; =>This Inner Loop Header: Depth=1
	scratch_load_b32 v97, v96, off
	ds_load_b32 v98, v95
	v_add_nc_u32_e32 v94, 1, v94
	v_add_nc_u32_e32 v95, 4, v95
	v_add_nc_u32_e32 v96, 4, v96
	s_delay_alu instid0(VALU_DEP_3)
	v_cmp_lt_u32_e32 vcc_lo, 1, v94
	s_or_b32 s1, vcc_lo, s1
	s_waitcnt vmcnt(0) lgkmcnt(0)
	v_fmac_f32_e32 v93, v97, v98
	s_and_not1_b32 exec_lo, exec_lo, s1
	s_cbranch_execnz .LBB107_19
; %bb.20:
	s_or_b32 exec_lo, exec_lo, s1
	v_mov_b32_e32 v94, 0
	ds_load_b32 v94, v94 offset:12
	s_waitcnt lgkmcnt(0)
	v_mul_f32_e32 v93, v93, v94
	scratch_store_b32 off, v93, off offset:12
.LBB107_21:
	s_or_b32 exec_lo, exec_lo, s0
	s_waitcnt_vscnt null, 0x0
	s_barrier
	buffer_gl0_inv
	scratch_load_b32 v93, off, off offset:16
	s_mov_b32 s0, exec_lo
	s_waitcnt vmcnt(0)
	ds_store_b32 v2, v93
	s_waitcnt lgkmcnt(0)
	s_barrier
	buffer_gl0_inv
	v_cmpx_gt_u32_e32 4, v0
	s_cbranch_execz .LBB107_25
; %bb.22:
	v_dual_mov_b32 v93, 0 :: v_dual_add_nc_u32 v94, -1, v0
	v_add_nc_u32_e32 v95, 0xb0, v3
	v_add_nc_u32_e32 v96, 0, v3
	s_mov_b32 s1, 0
.LBB107_23:                             ; =>This Inner Loop Header: Depth=1
	scratch_load_b32 v97, v96, off
	ds_load_b32 v98, v95
	v_add_nc_u32_e32 v94, 1, v94
	v_add_nc_u32_e32 v95, 4, v95
	v_add_nc_u32_e32 v96, 4, v96
	s_delay_alu instid0(VALU_DEP_3)
	v_cmp_lt_u32_e32 vcc_lo, 2, v94
	s_or_b32 s1, vcc_lo, s1
	s_waitcnt vmcnt(0) lgkmcnt(0)
	v_fmac_f32_e32 v93, v97, v98
	s_and_not1_b32 exec_lo, exec_lo, s1
	s_cbranch_execnz .LBB107_23
; %bb.24:
	s_or_b32 exec_lo, exec_lo, s1
	v_mov_b32_e32 v94, 0
	ds_load_b32 v94, v94 offset:16
	s_waitcnt lgkmcnt(0)
	v_mul_f32_e32 v93, v93, v94
	scratch_store_b32 off, v93, off offset:16
.LBB107_25:
	s_or_b32 exec_lo, exec_lo, s0
	s_waitcnt_vscnt null, 0x0
	s_barrier
	buffer_gl0_inv
	scratch_load_b32 v93, off, off offset:20
	;; [unrolled: 39-line block ×21, first 2 shown]
	s_mov_b32 s0, exec_lo
	s_waitcnt vmcnt(0)
	ds_store_b32 v2, v93
	s_waitcnt lgkmcnt(0)
	s_barrier
	buffer_gl0_inv
	v_cmpx_gt_u32_e32 24, v0
	s_cbranch_execz .LBB107_105
; %bb.102:
	v_dual_mov_b32 v93, 0 :: v_dual_add_nc_u32 v94, -1, v0
	v_add_nc_u32_e32 v95, 0xb0, v3
	v_add_nc_u32_e32 v96, 0, v3
	s_mov_b32 s1, 0
.LBB107_103:                            ; =>This Inner Loop Header: Depth=1
	scratch_load_b32 v97, v96, off
	ds_load_b32 v98, v95
	v_add_nc_u32_e32 v94, 1, v94
	v_add_nc_u32_e32 v95, 4, v95
	v_add_nc_u32_e32 v96, 4, v96
	s_delay_alu instid0(VALU_DEP_3)
	v_cmp_lt_u32_e32 vcc_lo, 22, v94
	s_or_b32 s1, vcc_lo, s1
	s_waitcnt vmcnt(0) lgkmcnt(0)
	v_fmac_f32_e32 v93, v97, v98
	s_and_not1_b32 exec_lo, exec_lo, s1
	s_cbranch_execnz .LBB107_103
; %bb.104:
	s_or_b32 exec_lo, exec_lo, s1
	v_mov_b32_e32 v94, 0
	ds_load_b32 v94, v94 offset:96
	s_waitcnt lgkmcnt(0)
	v_mul_f32_e32 v93, v93, v94
	scratch_store_b32 off, v93, off offset:96
.LBB107_105:
	s_or_b32 exec_lo, exec_lo, s0
	s_waitcnt_vscnt null, 0x0
	s_barrier
	buffer_gl0_inv
	scratch_load_b32 v93, off, off offset:100
	s_mov_b32 s0, exec_lo
	s_waitcnt vmcnt(0)
	ds_store_b32 v2, v93
	s_waitcnt lgkmcnt(0)
	s_barrier
	buffer_gl0_inv
	v_cmpx_gt_u32_e32 25, v0
	s_cbranch_execz .LBB107_109
; %bb.106:
	v_dual_mov_b32 v93, 0 :: v_dual_add_nc_u32 v94, -1, v0
	v_add_nc_u32_e32 v95, 0xb0, v3
	v_add_nc_u32_e32 v96, 0, v3
	s_mov_b32 s1, 0
.LBB107_107:                            ; =>This Inner Loop Header: Depth=1
	scratch_load_b32 v97, v96, off
	ds_load_b32 v98, v95
	v_add_nc_u32_e32 v94, 1, v94
	v_add_nc_u32_e32 v95, 4, v95
	v_add_nc_u32_e32 v96, 4, v96
	s_delay_alu instid0(VALU_DEP_3)
	v_cmp_lt_u32_e32 vcc_lo, 23, v94
	s_or_b32 s1, vcc_lo, s1
	s_waitcnt vmcnt(0) lgkmcnt(0)
	v_fmac_f32_e32 v93, v97, v98
	s_and_not1_b32 exec_lo, exec_lo, s1
	s_cbranch_execnz .LBB107_107
; %bb.108:
	s_or_b32 exec_lo, exec_lo, s1
	v_mov_b32_e32 v94, 0
	ds_load_b32 v94, v94 offset:100
	s_waitcnt lgkmcnt(0)
	v_mul_f32_e32 v93, v93, v94
	scratch_store_b32 off, v93, off offset:100
.LBB107_109:
	s_or_b32 exec_lo, exec_lo, s0
	s_waitcnt_vscnt null, 0x0
	s_barrier
	buffer_gl0_inv
	scratch_load_b32 v93, off, off offset:104
	;; [unrolled: 39-line block ×18, first 2 shown]
	s_mov_b32 s0, exec_lo
	s_waitcnt vmcnt(0)
	ds_store_b32 v2, v93
	s_waitcnt lgkmcnt(0)
	s_barrier
	buffer_gl0_inv
	v_cmpx_gt_u32_e32 42, v0
	s_cbranch_execz .LBB107_177
; %bb.174:
	v_add_nc_u32_e32 v93, -1, v0
	v_add_nc_u32_e32 v94, 0xb0, v3
	v_add_nc_u32_e32 v95, 0, v3
	v_mov_b32_e32 v3, 0
	s_mov_b32 s1, 0
.LBB107_175:                            ; =>This Inner Loop Header: Depth=1
	scratch_load_b32 v96, v95, off
	ds_load_b32 v97, v94
	v_add_nc_u32_e32 v93, 1, v93
	v_add_nc_u32_e32 v94, 4, v94
	;; [unrolled: 1-line block ×3, first 2 shown]
	s_delay_alu instid0(VALU_DEP_3)
	v_cmp_lt_u32_e32 vcc_lo, 40, v93
	s_or_b32 s1, vcc_lo, s1
	s_waitcnt vmcnt(0) lgkmcnt(0)
	v_fmac_f32_e32 v3, v96, v97
	s_and_not1_b32 exec_lo, exec_lo, s1
	s_cbranch_execnz .LBB107_175
; %bb.176:
	s_or_b32 exec_lo, exec_lo, s1
	v_mov_b32_e32 v93, 0
	ds_load_b32 v93, v93 offset:168
	s_waitcnt lgkmcnt(0)
	v_mul_f32_e32 v3, v3, v93
	scratch_store_b32 off, v3, off offset:168
.LBB107_177:
	s_or_b32 exec_lo, exec_lo, s0
	s_waitcnt_vscnt null, 0x0
	s_barrier
	buffer_gl0_inv
	scratch_load_b32 v3, off, off offset:172
	s_mov_b32 s0, exec_lo
	s_waitcnt vmcnt(0)
	ds_store_b32 v2, v3
	s_waitcnt lgkmcnt(0)
	s_barrier
	buffer_gl0_inv
	v_cmpx_ne_u32_e32 43, v0
	s_cbranch_execz .LBB107_181
; %bb.178:
	v_mov_b32_e32 v3, 0
	s_mov_b32 s1, 0
.LBB107_179:                            ; =>This Inner Loop Header: Depth=1
	scratch_load_b32 v93, v1, off
	ds_load_b32 v94, v2
	v_add_nc_u32_e32 v92, 1, v92
	v_add_nc_u32_e32 v2, 4, v2
	;; [unrolled: 1-line block ×3, first 2 shown]
	s_waitcnt vmcnt(0) lgkmcnt(0)
	v_fmac_f32_e32 v3, v93, v94
	v_cmp_lt_u32_e32 vcc_lo, 41, v92
	s_or_b32 s1, vcc_lo, s1
	s_delay_alu instid0(SALU_CYCLE_1)
	s_and_not1_b32 exec_lo, exec_lo, s1
	s_cbranch_execnz .LBB107_179
; %bb.180:
	s_or_b32 exec_lo, exec_lo, s1
	v_mov_b32_e32 v1, 0
	ds_load_b32 v1, v1 offset:172
	s_waitcnt lgkmcnt(0)
	v_mul_f32_e32 v1, v3, v1
	scratch_store_b32 off, v1, off offset:172
.LBB107_181:
	s_or_b32 exec_lo, exec_lo, s0
	s_mov_b32 s1, -1
	s_waitcnt_vscnt null, 0x0
	s_barrier
	buffer_gl0_inv
.LBB107_182:
	s_and_b32 vcc_lo, exec_lo, s1
	s_cbranch_vccz .LBB107_184
; %bb.183:
	s_lshl_b64 s[0:1], s[8:9], 2
	v_mov_b32_e32 v1, 0
	s_add_u32 s0, s6, s0
	s_addc_u32 s1, s7, s1
	global_load_b32 v1, v1, s[0:1]
	s_waitcnt vmcnt(0)
	v_cmp_ne_u32_e32 vcc_lo, 0, v1
	s_cbranch_vccz .LBB107_185
.LBB107_184:
	s_endpgm
.LBB107_185:
	v_lshl_add_u32 v1, v0, 2, 0xb0
	s_mov_b32 s0, exec_lo
	v_cmpx_eq_u32_e32 43, v0
	s_cbranch_execz .LBB107_187
; %bb.186:
	scratch_load_b32 v2, off, off offset:168
	v_mov_b32_e32 v3, 0
	scratch_store_b32 off, v3, off offset:168
	s_waitcnt vmcnt(0)
	ds_store_b32 v1, v2
.LBB107_187:
	s_or_b32 exec_lo, exec_lo, s0
	s_waitcnt lgkmcnt(0)
	s_waitcnt_vscnt null, 0x0
	s_barrier
	buffer_gl0_inv
	scratch_load_b64 v[92:93], off, off offset:168
	v_mov_b32_e32 v2, 0
	s_mov_b32 s0, exec_lo
	ds_load_b32 v3, v2 offset:348
	s_waitcnt vmcnt(0) lgkmcnt(0)
	v_fma_f32 v3, v93, v3, 0
	s_delay_alu instid0(VALU_DEP_1)
	v_sub_f32_e32 v3, v92, v3
	scratch_store_b32 off, v3, off offset:168
	v_cmpx_lt_u32_e32 41, v0
	s_cbranch_execz .LBB107_189
; %bb.188:
	scratch_load_b32 v3, off, off offset:164
	scratch_store_b32 off, v2, off offset:164
	s_waitcnt vmcnt(0)
	ds_store_b32 v1, v3
.LBB107_189:
	s_or_b32 exec_lo, exec_lo, s0
	s_waitcnt lgkmcnt(0)
	s_waitcnt_vscnt null, 0x0
	s_barrier
	buffer_gl0_inv
	scratch_load_b96 v[92:94], off, off offset:164
	ds_load_b64 v[2:3], v2 offset:344
	s_mov_b32 s0, exec_lo
	s_waitcnt vmcnt(0) lgkmcnt(0)
	v_fma_f32 v2, v93, v2, 0
	s_delay_alu instid0(VALU_DEP_1) | instskip(NEXT) | instid1(VALU_DEP_1)
	v_fmac_f32_e32 v2, v94, v3
	v_sub_f32_e32 v2, v92, v2
	scratch_store_b32 off, v2, off offset:164
	v_cmpx_lt_u32_e32 40, v0
	s_cbranch_execz .LBB107_191
; %bb.190:
	scratch_load_b32 v2, off, off offset:160
	v_mov_b32_e32 v3, 0
	scratch_store_b32 off, v3, off offset:160
	s_waitcnt vmcnt(0)
	ds_store_b32 v1, v2
.LBB107_191:
	s_or_b32 exec_lo, exec_lo, s0
	s_waitcnt lgkmcnt(0)
	s_waitcnt_vscnt null, 0x0
	s_barrier
	buffer_gl0_inv
	scratch_load_b128 v[92:95], off, off offset:160
	v_mov_b32_e32 v2, 0
	ds_load_2addr_b32 v[96:97], v2 offset0:85 offset1:86
	ds_load_b32 v3, v2 offset:348
	s_mov_b32 s0, exec_lo
	s_waitcnt vmcnt(0) lgkmcnt(1)
	v_fma_f32 v93, v93, v96, 0
	s_delay_alu instid0(VALU_DEP_1) | instskip(SKIP_1) | instid1(VALU_DEP_1)
	v_fmac_f32_e32 v93, v94, v97
	s_waitcnt lgkmcnt(0)
	v_fmac_f32_e32 v93, v95, v3
	s_delay_alu instid0(VALU_DEP_1)
	v_sub_f32_e32 v3, v92, v93
	scratch_store_b32 off, v3, off offset:160
	v_cmpx_lt_u32_e32 39, v0
	s_cbranch_execz .LBB107_193
; %bb.192:
	scratch_load_b32 v3, off, off offset:156
	scratch_store_b32 off, v2, off offset:156
	s_waitcnt vmcnt(0)
	ds_store_b32 v1, v3
.LBB107_193:
	s_or_b32 exec_lo, exec_lo, s0
	s_waitcnt lgkmcnt(0)
	s_waitcnt_vscnt null, 0x0
	s_barrier
	buffer_gl0_inv
	s_clause 0x1
	scratch_load_b128 v[92:95], off, off offset:156
	scratch_load_b32 v3, off, off offset:172
	ds_load_b128 v[96:99], v2 offset:336
	s_mov_b32 s0, exec_lo
	s_waitcnt vmcnt(1) lgkmcnt(0)
	v_fma_f32 v2, v93, v96, 0
	s_delay_alu instid0(VALU_DEP_1) | instskip(NEXT) | instid1(VALU_DEP_1)
	v_fmac_f32_e32 v2, v94, v97
	v_fmac_f32_e32 v2, v95, v98
	s_waitcnt vmcnt(0)
	s_delay_alu instid0(VALU_DEP_1) | instskip(NEXT) | instid1(VALU_DEP_1)
	v_fmac_f32_e32 v2, v3, v99
	v_sub_f32_e32 v2, v92, v2
	scratch_store_b32 off, v2, off offset:156
	v_cmpx_lt_u32_e32 38, v0
	s_cbranch_execz .LBB107_195
; %bb.194:
	scratch_load_b32 v2, off, off offset:152
	v_mov_b32_e32 v3, 0
	scratch_store_b32 off, v3, off offset:152
	s_waitcnt vmcnt(0)
	ds_store_b32 v1, v2
.LBB107_195:
	s_or_b32 exec_lo, exec_lo, s0
	s_waitcnt lgkmcnt(0)
	s_waitcnt_vscnt null, 0x0
	s_barrier
	buffer_gl0_inv
	s_clause 0x1
	scratch_load_b128 v[92:95], off, off offset:152
	scratch_load_b64 v[96:97], off, off offset:168
	v_mov_b32_e32 v2, 0
	ds_load_2addr_b32 v[98:99], v2 offset0:83 offset1:84
	ds_load_2addr_b32 v[100:101], v2 offset0:85 offset1:86
	ds_load_b32 v3, v2 offset:348
	s_mov_b32 s0, exec_lo
	s_waitcnt vmcnt(1) lgkmcnt(2)
	v_fma_f32 v93, v93, v98, 0
	s_delay_alu instid0(VALU_DEP_1) | instskip(SKIP_1) | instid1(VALU_DEP_1)
	v_fmac_f32_e32 v93, v94, v99
	s_waitcnt lgkmcnt(1)
	v_fmac_f32_e32 v93, v95, v100
	s_waitcnt vmcnt(0)
	s_delay_alu instid0(VALU_DEP_1) | instskip(SKIP_1) | instid1(VALU_DEP_1)
	v_fmac_f32_e32 v93, v96, v101
	s_waitcnt lgkmcnt(0)
	v_fmac_f32_e32 v93, v97, v3
	s_delay_alu instid0(VALU_DEP_1)
	v_sub_f32_e32 v3, v92, v93
	scratch_store_b32 off, v3, off offset:152
	v_cmpx_lt_u32_e32 37, v0
	s_cbranch_execz .LBB107_197
; %bb.196:
	scratch_load_b32 v3, off, off offset:148
	scratch_store_b32 off, v2, off offset:148
	s_waitcnt vmcnt(0)
	ds_store_b32 v1, v3
.LBB107_197:
	s_or_b32 exec_lo, exec_lo, s0
	s_waitcnt lgkmcnt(0)
	s_waitcnt_vscnt null, 0x0
	s_barrier
	buffer_gl0_inv
	s_clause 0x1
	scratch_load_b128 v[92:95], off, off offset:148
	scratch_load_b96 v[100:102], off, off offset:164
	ds_load_2addr_b64 v[96:99], v2 offset0:41 offset1:42
	ds_load_b64 v[2:3], v2 offset:344
	s_mov_b32 s0, exec_lo
	s_waitcnt vmcnt(1) lgkmcnt(1)
	v_fma_f32 v93, v93, v96, 0
	s_delay_alu instid0(VALU_DEP_1) | instskip(NEXT) | instid1(VALU_DEP_1)
	v_fmac_f32_e32 v93, v94, v97
	v_fmac_f32_e32 v93, v95, v98
	s_waitcnt vmcnt(0)
	s_delay_alu instid0(VALU_DEP_1) | instskip(SKIP_1) | instid1(VALU_DEP_1)
	v_fmac_f32_e32 v93, v100, v99
	s_waitcnt lgkmcnt(0)
	v_fmac_f32_e32 v93, v101, v2
	s_delay_alu instid0(VALU_DEP_1) | instskip(NEXT) | instid1(VALU_DEP_1)
	v_fmac_f32_e32 v93, v102, v3
	v_sub_f32_e32 v2, v92, v93
	scratch_store_b32 off, v2, off offset:148
	v_cmpx_lt_u32_e32 36, v0
	s_cbranch_execz .LBB107_199
; %bb.198:
	scratch_load_b32 v2, off, off offset:144
	v_mov_b32_e32 v3, 0
	scratch_store_b32 off, v3, off offset:144
	s_waitcnt vmcnt(0)
	ds_store_b32 v1, v2
.LBB107_199:
	s_or_b32 exec_lo, exec_lo, s0
	s_waitcnt lgkmcnt(0)
	s_waitcnt_vscnt null, 0x0
	s_barrier
	buffer_gl0_inv
	s_clause 0x1
	scratch_load_b128 v[92:95], off, off offset:144
	scratch_load_b128 v[96:99], off, off offset:160
	v_mov_b32_e32 v2, 0
	ds_load_2addr_b32 v[100:101], v2 offset0:81 offset1:82
	ds_load_2addr_b32 v[102:103], v2 offset0:83 offset1:84
	;; [unrolled: 1-line block ×3, first 2 shown]
	ds_load_b32 v3, v2 offset:348
	s_mov_b32 s0, exec_lo
	s_waitcnt vmcnt(1) lgkmcnt(3)
	v_fma_f32 v93, v93, v100, 0
	s_delay_alu instid0(VALU_DEP_1) | instskip(SKIP_1) | instid1(VALU_DEP_1)
	v_fmac_f32_e32 v93, v94, v101
	s_waitcnt lgkmcnt(2)
	v_fmac_f32_e32 v93, v95, v102
	s_waitcnt vmcnt(0)
	s_delay_alu instid0(VALU_DEP_1) | instskip(SKIP_1) | instid1(VALU_DEP_1)
	v_fmac_f32_e32 v93, v96, v103
	s_waitcnt lgkmcnt(1)
	v_fmac_f32_e32 v93, v97, v104
	s_delay_alu instid0(VALU_DEP_1) | instskip(SKIP_1) | instid1(VALU_DEP_1)
	v_fmac_f32_e32 v93, v98, v105
	s_waitcnt lgkmcnt(0)
	v_fmac_f32_e32 v93, v99, v3
	s_delay_alu instid0(VALU_DEP_1)
	v_sub_f32_e32 v3, v92, v93
	scratch_store_b32 off, v3, off offset:144
	v_cmpx_lt_u32_e32 35, v0
	s_cbranch_execz .LBB107_201
; %bb.200:
	scratch_load_b32 v3, off, off offset:140
	scratch_store_b32 off, v2, off offset:140
	s_waitcnt vmcnt(0)
	ds_store_b32 v1, v3
.LBB107_201:
	s_or_b32 exec_lo, exec_lo, s0
	s_waitcnt lgkmcnt(0)
	s_waitcnt_vscnt null, 0x0
	s_barrier
	buffer_gl0_inv
	s_clause 0x2
	scratch_load_b128 v[92:95], off, off offset:140
	scratch_load_b128 v[96:99], off, off offset:156
	scratch_load_b32 v3, off, off offset:172
	ds_load_b128 v[100:103], v2 offset:320
	ds_load_b128 v[104:107], v2 offset:336
	s_mov_b32 s0, exec_lo
	s_waitcnt vmcnt(2) lgkmcnt(1)
	v_fma_f32 v2, v93, v100, 0
	s_delay_alu instid0(VALU_DEP_1) | instskip(NEXT) | instid1(VALU_DEP_1)
	v_fmac_f32_e32 v2, v94, v101
	v_fmac_f32_e32 v2, v95, v102
	s_waitcnt vmcnt(1)
	s_delay_alu instid0(VALU_DEP_1) | instskip(SKIP_1) | instid1(VALU_DEP_1)
	v_fmac_f32_e32 v2, v96, v103
	s_waitcnt lgkmcnt(0)
	v_fmac_f32_e32 v2, v97, v104
	s_delay_alu instid0(VALU_DEP_1) | instskip(NEXT) | instid1(VALU_DEP_1)
	v_fmac_f32_e32 v2, v98, v105
	v_fmac_f32_e32 v2, v99, v106
	s_waitcnt vmcnt(0)
	s_delay_alu instid0(VALU_DEP_1) | instskip(NEXT) | instid1(VALU_DEP_1)
	v_fmac_f32_e32 v2, v3, v107
	v_sub_f32_e32 v2, v92, v2
	scratch_store_b32 off, v2, off offset:140
	v_cmpx_lt_u32_e32 34, v0
	s_cbranch_execz .LBB107_203
; %bb.202:
	scratch_load_b32 v2, off, off offset:136
	v_mov_b32_e32 v3, 0
	scratch_store_b32 off, v3, off offset:136
	s_waitcnt vmcnt(0)
	ds_store_b32 v1, v2
.LBB107_203:
	s_or_b32 exec_lo, exec_lo, s0
	s_waitcnt lgkmcnt(0)
	s_waitcnt_vscnt null, 0x0
	s_barrier
	buffer_gl0_inv
	s_clause 0x2
	scratch_load_b128 v[92:95], off, off offset:136
	scratch_load_b128 v[96:99], off, off offset:152
	scratch_load_b64 v[100:101], off, off offset:168
	v_mov_b32_e32 v2, 0
	ds_load_2addr_b32 v[102:103], v2 offset0:79 offset1:80
	ds_load_2addr_b32 v[104:105], v2 offset0:81 offset1:82
	;; [unrolled: 1-line block ×4, first 2 shown]
	s_mov_b32 s0, exec_lo
	s_waitcnt vmcnt(2) lgkmcnt(3)
	v_fma_f32 v3, v93, v102, 0
	s_delay_alu instid0(VALU_DEP_1) | instskip(SKIP_4) | instid1(VALU_DEP_1)
	v_fmac_f32_e32 v3, v94, v103
	ds_load_b32 v93, v2 offset:348
	s_waitcnt lgkmcnt(3)
	v_fmac_f32_e32 v3, v95, v104
	s_waitcnt vmcnt(1)
	v_fmac_f32_e32 v3, v96, v105
	s_waitcnt lgkmcnt(2)
	s_delay_alu instid0(VALU_DEP_1) | instskip(NEXT) | instid1(VALU_DEP_1)
	v_fmac_f32_e32 v3, v97, v106
	v_fmac_f32_e32 v3, v98, v107
	s_waitcnt lgkmcnt(1)
	s_delay_alu instid0(VALU_DEP_1) | instskip(SKIP_1) | instid1(VALU_DEP_1)
	v_fmac_f32_e32 v3, v99, v108
	s_waitcnt vmcnt(0)
	v_fmac_f32_e32 v3, v100, v109
	s_waitcnt lgkmcnt(0)
	s_delay_alu instid0(VALU_DEP_1) | instskip(NEXT) | instid1(VALU_DEP_1)
	v_fmac_f32_e32 v3, v101, v93
	v_sub_f32_e32 v3, v92, v3
	scratch_store_b32 off, v3, off offset:136
	v_cmpx_lt_u32_e32 33, v0
	s_cbranch_execz .LBB107_205
; %bb.204:
	scratch_load_b32 v3, off, off offset:132
	scratch_store_b32 off, v2, off offset:132
	s_waitcnt vmcnt(0)
	ds_store_b32 v1, v3
.LBB107_205:
	s_or_b32 exec_lo, exec_lo, s0
	s_waitcnt lgkmcnt(0)
	s_waitcnt_vscnt null, 0x0
	s_barrier
	buffer_gl0_inv
	s_clause 0x2
	scratch_load_b128 v[92:95], off, off offset:132
	scratch_load_b128 v[96:99], off, off offset:148
	scratch_load_b96 v[108:110], off, off offset:164
	ds_load_2addr_b64 v[100:103], v2 offset0:39 offset1:40
	ds_load_2addr_b64 v[104:107], v2 offset0:41 offset1:42
	ds_load_b64 v[2:3], v2 offset:344
	s_mov_b32 s0, exec_lo
	s_waitcnt vmcnt(2) lgkmcnt(2)
	v_fma_f32 v93, v93, v100, 0
	s_delay_alu instid0(VALU_DEP_1) | instskip(NEXT) | instid1(VALU_DEP_1)
	v_fmac_f32_e32 v93, v94, v101
	v_fmac_f32_e32 v93, v95, v102
	s_waitcnt vmcnt(1)
	s_delay_alu instid0(VALU_DEP_1) | instskip(SKIP_1) | instid1(VALU_DEP_1)
	v_fmac_f32_e32 v93, v96, v103
	s_waitcnt lgkmcnt(1)
	v_fmac_f32_e32 v93, v97, v104
	s_delay_alu instid0(VALU_DEP_1) | instskip(NEXT) | instid1(VALU_DEP_1)
	v_fmac_f32_e32 v93, v98, v105
	v_fmac_f32_e32 v93, v99, v106
	s_waitcnt vmcnt(0)
	s_delay_alu instid0(VALU_DEP_1) | instskip(SKIP_1) | instid1(VALU_DEP_1)
	v_fmac_f32_e32 v93, v108, v107
	s_waitcnt lgkmcnt(0)
	v_fmac_f32_e32 v93, v109, v2
	s_delay_alu instid0(VALU_DEP_1) | instskip(NEXT) | instid1(VALU_DEP_1)
	v_fmac_f32_e32 v93, v110, v3
	v_sub_f32_e32 v2, v92, v93
	scratch_store_b32 off, v2, off offset:132
	v_cmpx_lt_u32_e32 32, v0
	s_cbranch_execz .LBB107_207
; %bb.206:
	scratch_load_b32 v2, off, off offset:128
	v_mov_b32_e32 v3, 0
	scratch_store_b32 off, v3, off offset:128
	s_waitcnt vmcnt(0)
	ds_store_b32 v1, v2
.LBB107_207:
	s_or_b32 exec_lo, exec_lo, s0
	s_waitcnt lgkmcnt(0)
	s_waitcnt_vscnt null, 0x0
	s_barrier
	buffer_gl0_inv
	s_clause 0x2
	scratch_load_b128 v[92:95], off, off offset:128
	scratch_load_b128 v[96:99], off, off offset:144
	;; [unrolled: 1-line block ×3, first 2 shown]
	v_mov_b32_e32 v2, 0
	ds_load_2addr_b32 v[104:105], v2 offset0:77 offset1:78
	ds_load_2addr_b32 v[106:107], v2 offset0:79 offset1:80
	;; [unrolled: 1-line block ×4, first 2 shown]
	s_mov_b32 s0, exec_lo
	s_waitcnt vmcnt(2) lgkmcnt(3)
	v_fma_f32 v3, v93, v104, 0
	s_delay_alu instid0(VALU_DEP_1)
	v_fmac_f32_e32 v3, v94, v105
	ds_load_2addr_b32 v[93:94], v2 offset0:85 offset1:86
	s_waitcnt lgkmcnt(3)
	v_fmac_f32_e32 v3, v95, v106
	ds_load_b32 v95, v2 offset:348
	s_waitcnt vmcnt(1)
	v_fmac_f32_e32 v3, v96, v107
	s_waitcnt lgkmcnt(3)
	s_delay_alu instid0(VALU_DEP_1) | instskip(NEXT) | instid1(VALU_DEP_1)
	v_fmac_f32_e32 v3, v97, v108
	v_fmac_f32_e32 v3, v98, v109
	s_waitcnt lgkmcnt(2)
	s_delay_alu instid0(VALU_DEP_1) | instskip(SKIP_1) | instid1(VALU_DEP_1)
	v_fmac_f32_e32 v3, v99, v110
	s_waitcnt vmcnt(0)
	v_fmac_f32_e32 v3, v100, v111
	s_waitcnt lgkmcnt(1)
	s_delay_alu instid0(VALU_DEP_1) | instskip(NEXT) | instid1(VALU_DEP_1)
	v_fmac_f32_e32 v3, v101, v93
	v_fmac_f32_e32 v3, v102, v94
	s_waitcnt lgkmcnt(0)
	s_delay_alu instid0(VALU_DEP_1) | instskip(NEXT) | instid1(VALU_DEP_1)
	v_fmac_f32_e32 v3, v103, v95
	v_sub_f32_e32 v3, v92, v3
	scratch_store_b32 off, v3, off offset:128
	v_cmpx_lt_u32_e32 31, v0
	s_cbranch_execz .LBB107_209
; %bb.208:
	scratch_load_b32 v3, off, off offset:124
	scratch_store_b32 off, v2, off offset:124
	s_waitcnt vmcnt(0)
	ds_store_b32 v1, v3
.LBB107_209:
	s_or_b32 exec_lo, exec_lo, s0
	s_waitcnt lgkmcnt(0)
	s_waitcnt_vscnt null, 0x0
	s_barrier
	buffer_gl0_inv
	s_clause 0x3
	scratch_load_b128 v[92:95], off, off offset:124
	scratch_load_b128 v[96:99], off, off offset:140
	;; [unrolled: 1-line block ×3, first 2 shown]
	scratch_load_b32 v3, off, off offset:172
	ds_load_b128 v[104:107], v2 offset:304
	ds_load_b128 v[108:111], v2 offset:320
	s_mov_b32 s0, exec_lo
	s_waitcnt vmcnt(3) lgkmcnt(1)
	v_fma_f32 v104, v93, v104, 0
	s_delay_alu instid0(VALU_DEP_1) | instskip(NEXT) | instid1(VALU_DEP_1)
	v_fmac_f32_e32 v104, v94, v105
	v_fmac_f32_e32 v104, v95, v106
	s_waitcnt vmcnt(2)
	s_delay_alu instid0(VALU_DEP_1) | instskip(SKIP_3) | instid1(VALU_DEP_1)
	v_fmac_f32_e32 v104, v96, v107
	ds_load_b128 v[93:96], v2 offset:336
	s_waitcnt lgkmcnt(1)
	v_fmac_f32_e32 v104, v97, v108
	v_fmac_f32_e32 v104, v98, v109
	s_delay_alu instid0(VALU_DEP_1) | instskip(SKIP_1) | instid1(VALU_DEP_1)
	v_fmac_f32_e32 v104, v99, v110
	s_waitcnt vmcnt(1)
	v_fmac_f32_e32 v104, v100, v111
	s_waitcnt lgkmcnt(0)
	s_delay_alu instid0(VALU_DEP_1) | instskip(NEXT) | instid1(VALU_DEP_1)
	v_fmac_f32_e32 v104, v101, v93
	v_fmac_f32_e32 v104, v102, v94
	s_delay_alu instid0(VALU_DEP_1) | instskip(SKIP_1) | instid1(VALU_DEP_1)
	v_fmac_f32_e32 v104, v103, v95
	s_waitcnt vmcnt(0)
	v_fmac_f32_e32 v104, v3, v96
	s_delay_alu instid0(VALU_DEP_1)
	v_sub_f32_e32 v2, v92, v104
	scratch_store_b32 off, v2, off offset:124
	v_cmpx_lt_u32_e32 30, v0
	s_cbranch_execz .LBB107_211
; %bb.210:
	scratch_load_b32 v2, off, off offset:120
	v_mov_b32_e32 v3, 0
	scratch_store_b32 off, v3, off offset:120
	s_waitcnt vmcnt(0)
	ds_store_b32 v1, v2
.LBB107_211:
	s_or_b32 exec_lo, exec_lo, s0
	s_waitcnt lgkmcnt(0)
	s_waitcnt_vscnt null, 0x0
	s_barrier
	buffer_gl0_inv
	s_clause 0x3
	scratch_load_b128 v[92:95], off, off offset:120
	scratch_load_b128 v[96:99], off, off offset:136
	;; [unrolled: 1-line block ×3, first 2 shown]
	scratch_load_b64 v[104:105], off, off offset:168
	v_mov_b32_e32 v2, 0
	ds_load_2addr_b32 v[106:107], v2 offset0:75 offset1:76
	ds_load_2addr_b32 v[108:109], v2 offset0:77 offset1:78
	ds_load_2addr_b32 v[110:111], v2 offset0:79 offset1:80
	ds_load_2addr_b32 v[112:113], v2 offset0:81 offset1:82
	s_mov_b32 s0, exec_lo
	s_waitcnt vmcnt(3) lgkmcnt(3)
	v_fma_f32 v3, v93, v106, 0
	s_delay_alu instid0(VALU_DEP_1) | instskip(SKIP_4) | instid1(VALU_DEP_1)
	v_fmac_f32_e32 v3, v94, v107
	ds_load_2addr_b32 v[93:94], v2 offset0:83 offset1:84
	s_waitcnt lgkmcnt(3)
	v_fmac_f32_e32 v3, v95, v108
	s_waitcnt vmcnt(2)
	v_fmac_f32_e32 v3, v96, v109
	ds_load_2addr_b32 v[95:96], v2 offset0:85 offset1:86
	s_waitcnt lgkmcnt(3)
	v_fmac_f32_e32 v3, v97, v110
	ds_load_b32 v97, v2 offset:348
	v_fmac_f32_e32 v3, v98, v111
	s_waitcnt lgkmcnt(3)
	s_delay_alu instid0(VALU_DEP_1) | instskip(SKIP_1) | instid1(VALU_DEP_1)
	v_fmac_f32_e32 v3, v99, v112
	s_waitcnt vmcnt(1)
	v_fmac_f32_e32 v3, v100, v113
	s_waitcnt lgkmcnt(2)
	s_delay_alu instid0(VALU_DEP_1) | instskip(NEXT) | instid1(VALU_DEP_1)
	v_fmac_f32_e32 v3, v101, v93
	v_fmac_f32_e32 v3, v102, v94
	s_waitcnt lgkmcnt(1)
	s_delay_alu instid0(VALU_DEP_1) | instskip(SKIP_1) | instid1(VALU_DEP_1)
	v_fmac_f32_e32 v3, v103, v95
	s_waitcnt vmcnt(0)
	v_fmac_f32_e32 v3, v104, v96
	s_waitcnt lgkmcnt(0)
	s_delay_alu instid0(VALU_DEP_1) | instskip(NEXT) | instid1(VALU_DEP_1)
	v_fmac_f32_e32 v3, v105, v97
	v_sub_f32_e32 v3, v92, v3
	scratch_store_b32 off, v3, off offset:120
	v_cmpx_lt_u32_e32 29, v0
	s_cbranch_execz .LBB107_213
; %bb.212:
	scratch_load_b32 v3, off, off offset:116
	scratch_store_b32 off, v2, off offset:116
	s_waitcnt vmcnt(0)
	ds_store_b32 v1, v3
.LBB107_213:
	s_or_b32 exec_lo, exec_lo, s0
	s_waitcnt lgkmcnt(0)
	s_waitcnt_vscnt null, 0x0
	s_barrier
	buffer_gl0_inv
	s_clause 0x3
	scratch_load_b128 v[92:95], off, off offset:116
	scratch_load_b128 v[96:99], off, off offset:132
	scratch_load_b128 v[100:103], off, off offset:148
	scratch_load_b96 v[112:114], off, off offset:164
	ds_load_2addr_b64 v[104:107], v2 offset0:37 offset1:38
	ds_load_2addr_b64 v[108:111], v2 offset0:39 offset1:40
	s_mov_b32 s0, exec_lo
	s_waitcnt vmcnt(3) lgkmcnt(1)
	v_fma_f32 v104, v93, v104, 0
	s_delay_alu instid0(VALU_DEP_1) | instskip(NEXT) | instid1(VALU_DEP_1)
	v_fmac_f32_e32 v104, v94, v105
	v_fmac_f32_e32 v104, v95, v106
	s_waitcnt vmcnt(2)
	s_delay_alu instid0(VALU_DEP_1) | instskip(SKIP_4) | instid1(VALU_DEP_1)
	v_fmac_f32_e32 v104, v96, v107
	ds_load_2addr_b64 v[93:96], v2 offset0:41 offset1:42
	ds_load_b64 v[2:3], v2 offset:344
	s_waitcnt lgkmcnt(2)
	v_fmac_f32_e32 v104, v97, v108
	v_fmac_f32_e32 v104, v98, v109
	s_delay_alu instid0(VALU_DEP_1) | instskip(SKIP_1) | instid1(VALU_DEP_1)
	v_fmac_f32_e32 v104, v99, v110
	s_waitcnt vmcnt(1)
	v_fmac_f32_e32 v104, v100, v111
	s_waitcnt lgkmcnt(1)
	s_delay_alu instid0(VALU_DEP_1) | instskip(NEXT) | instid1(VALU_DEP_1)
	v_fmac_f32_e32 v104, v101, v93
	v_fmac_f32_e32 v104, v102, v94
	s_delay_alu instid0(VALU_DEP_1) | instskip(SKIP_1) | instid1(VALU_DEP_1)
	v_fmac_f32_e32 v104, v103, v95
	s_waitcnt vmcnt(0)
	v_fmac_f32_e32 v104, v112, v96
	s_waitcnt lgkmcnt(0)
	s_delay_alu instid0(VALU_DEP_1) | instskip(NEXT) | instid1(VALU_DEP_1)
	v_fmac_f32_e32 v104, v113, v2
	v_fmac_f32_e32 v104, v114, v3
	s_delay_alu instid0(VALU_DEP_1)
	v_sub_f32_e32 v2, v92, v104
	scratch_store_b32 off, v2, off offset:116
	v_cmpx_lt_u32_e32 28, v0
	s_cbranch_execz .LBB107_215
; %bb.214:
	scratch_load_b32 v2, off, off offset:112
	v_mov_b32_e32 v3, 0
	scratch_store_b32 off, v3, off offset:112
	s_waitcnt vmcnt(0)
	ds_store_b32 v1, v2
.LBB107_215:
	s_or_b32 exec_lo, exec_lo, s0
	s_waitcnt lgkmcnt(0)
	s_waitcnt_vscnt null, 0x0
	s_barrier
	buffer_gl0_inv
	s_clause 0x3
	scratch_load_b128 v[92:95], off, off offset:112
	scratch_load_b128 v[96:99], off, off offset:128
	;; [unrolled: 1-line block ×4, first 2 shown]
	v_mov_b32_e32 v2, 0
	ds_load_2addr_b32 v[108:109], v2 offset0:73 offset1:74
	ds_load_2addr_b32 v[110:111], v2 offset0:75 offset1:76
	;; [unrolled: 1-line block ×4, first 2 shown]
	s_mov_b32 s0, exec_lo
	s_waitcnt vmcnt(3) lgkmcnt(3)
	v_fma_f32 v3, v93, v108, 0
	s_delay_alu instid0(VALU_DEP_1) | instskip(SKIP_4) | instid1(VALU_DEP_1)
	v_fmac_f32_e32 v3, v94, v109
	ds_load_2addr_b32 v[93:94], v2 offset0:81 offset1:82
	s_waitcnt lgkmcnt(3)
	v_fmac_f32_e32 v3, v95, v110
	s_waitcnt vmcnt(2)
	v_fmac_f32_e32 v3, v96, v111
	ds_load_2addr_b32 v[95:96], v2 offset0:83 offset1:84
	s_waitcnt lgkmcnt(3)
	v_fmac_f32_e32 v3, v97, v112
	s_delay_alu instid0(VALU_DEP_1) | instskip(SKIP_1) | instid1(VALU_DEP_1)
	v_fmac_f32_e32 v3, v98, v113
	s_waitcnt lgkmcnt(2)
	v_fmac_f32_e32 v3, v99, v114
	ds_load_2addr_b32 v[97:98], v2 offset0:85 offset1:86
	ds_load_b32 v99, v2 offset:348
	s_waitcnt vmcnt(1)
	v_fmac_f32_e32 v3, v100, v115
	s_waitcnt lgkmcnt(3)
	s_delay_alu instid0(VALU_DEP_1) | instskip(NEXT) | instid1(VALU_DEP_1)
	v_fmac_f32_e32 v3, v101, v93
	v_fmac_f32_e32 v3, v102, v94
	s_waitcnt lgkmcnt(2)
	s_delay_alu instid0(VALU_DEP_1) | instskip(SKIP_1) | instid1(VALU_DEP_1)
	v_fmac_f32_e32 v3, v103, v95
	s_waitcnt vmcnt(0)
	v_fmac_f32_e32 v3, v104, v96
	s_waitcnt lgkmcnt(1)
	s_delay_alu instid0(VALU_DEP_1) | instskip(NEXT) | instid1(VALU_DEP_1)
	v_fmac_f32_e32 v3, v105, v97
	v_fmac_f32_e32 v3, v106, v98
	s_waitcnt lgkmcnt(0)
	s_delay_alu instid0(VALU_DEP_1) | instskip(NEXT) | instid1(VALU_DEP_1)
	v_fmac_f32_e32 v3, v107, v99
	v_sub_f32_e32 v3, v92, v3
	scratch_store_b32 off, v3, off offset:112
	v_cmpx_lt_u32_e32 27, v0
	s_cbranch_execz .LBB107_217
; %bb.216:
	scratch_load_b32 v3, off, off offset:108
	scratch_store_b32 off, v2, off offset:108
	s_waitcnt vmcnt(0)
	ds_store_b32 v1, v3
.LBB107_217:
	s_or_b32 exec_lo, exec_lo, s0
	s_waitcnt lgkmcnt(0)
	s_waitcnt_vscnt null, 0x0
	s_barrier
	buffer_gl0_inv
	s_clause 0x4
	scratch_load_b128 v[92:95], off, off offset:108
	scratch_load_b128 v[96:99], off, off offset:124
	scratch_load_b128 v[100:103], off, off offset:140
	scratch_load_b128 v[104:107], off, off offset:156
	scratch_load_b32 v3, off, off offset:172
	ds_load_b128 v[108:111], v2 offset:288
	ds_load_b128 v[112:115], v2 offset:304
	s_mov_b32 s0, exec_lo
	s_waitcnt vmcnt(4) lgkmcnt(1)
	v_fma_f32 v108, v93, v108, 0
	s_delay_alu instid0(VALU_DEP_1) | instskip(NEXT) | instid1(VALU_DEP_1)
	v_fmac_f32_e32 v108, v94, v109
	v_fmac_f32_e32 v108, v95, v110
	s_waitcnt vmcnt(3)
	s_delay_alu instid0(VALU_DEP_1) | instskip(SKIP_3) | instid1(VALU_DEP_1)
	v_fmac_f32_e32 v108, v96, v111
	ds_load_b128 v[93:96], v2 offset:320
	s_waitcnt lgkmcnt(1)
	v_fmac_f32_e32 v108, v97, v112
	v_fmac_f32_e32 v108, v98, v113
	s_delay_alu instid0(VALU_DEP_1) | instskip(SKIP_1) | instid1(VALU_DEP_1)
	v_fmac_f32_e32 v108, v99, v114
	s_waitcnt vmcnt(2)
	v_fmac_f32_e32 v108, v100, v115
	ds_load_b128 v[97:100], v2 offset:336
	s_waitcnt lgkmcnt(1)
	v_fmac_f32_e32 v108, v101, v93
	s_delay_alu instid0(VALU_DEP_1) | instskip(NEXT) | instid1(VALU_DEP_1)
	v_fmac_f32_e32 v108, v102, v94
	v_fmac_f32_e32 v108, v103, v95
	s_waitcnt vmcnt(1)
	s_delay_alu instid0(VALU_DEP_1) | instskip(SKIP_1) | instid1(VALU_DEP_1)
	v_fmac_f32_e32 v108, v104, v96
	s_waitcnt lgkmcnt(0)
	v_fmac_f32_e32 v108, v105, v97
	s_delay_alu instid0(VALU_DEP_1) | instskip(NEXT) | instid1(VALU_DEP_1)
	v_fmac_f32_e32 v108, v106, v98
	v_fmac_f32_e32 v108, v107, v99
	s_waitcnt vmcnt(0)
	s_delay_alu instid0(VALU_DEP_1) | instskip(NEXT) | instid1(VALU_DEP_1)
	v_fmac_f32_e32 v108, v3, v100
	v_sub_f32_e32 v2, v92, v108
	scratch_store_b32 off, v2, off offset:108
	v_cmpx_lt_u32_e32 26, v0
	s_cbranch_execz .LBB107_219
; %bb.218:
	scratch_load_b32 v2, off, off offset:104
	v_mov_b32_e32 v3, 0
	scratch_store_b32 off, v3, off offset:104
	s_waitcnt vmcnt(0)
	ds_store_b32 v1, v2
.LBB107_219:
	s_or_b32 exec_lo, exec_lo, s0
	s_waitcnt lgkmcnt(0)
	s_waitcnt_vscnt null, 0x0
	s_barrier
	buffer_gl0_inv
	s_clause 0x4
	scratch_load_b128 v[92:95], off, off offset:104
	scratch_load_b128 v[96:99], off, off offset:120
	;; [unrolled: 1-line block ×4, first 2 shown]
	scratch_load_b64 v[108:109], off, off offset:168
	v_mov_b32_e32 v2, 0
	ds_load_2addr_b32 v[110:111], v2 offset0:71 offset1:72
	ds_load_2addr_b32 v[112:113], v2 offset0:73 offset1:74
	;; [unrolled: 1-line block ×4, first 2 shown]
	s_mov_b32 s0, exec_lo
	s_waitcnt vmcnt(4) lgkmcnt(3)
	v_fma_f32 v3, v93, v110, 0
	s_delay_alu instid0(VALU_DEP_1) | instskip(SKIP_4) | instid1(VALU_DEP_1)
	v_fmac_f32_e32 v3, v94, v111
	ds_load_2addr_b32 v[93:94], v2 offset0:79 offset1:80
	s_waitcnt lgkmcnt(3)
	v_fmac_f32_e32 v3, v95, v112
	s_waitcnt vmcnt(3)
	v_fmac_f32_e32 v3, v96, v113
	ds_load_2addr_b32 v[95:96], v2 offset0:81 offset1:82
	s_waitcnt lgkmcnt(3)
	v_fmac_f32_e32 v3, v97, v114
	s_delay_alu instid0(VALU_DEP_1) | instskip(SKIP_1) | instid1(VALU_DEP_1)
	v_fmac_f32_e32 v3, v98, v115
	s_waitcnt lgkmcnt(2)
	v_fmac_f32_e32 v3, v99, v116
	s_waitcnt vmcnt(2)
	s_delay_alu instid0(VALU_DEP_1)
	v_fmac_f32_e32 v3, v100, v117
	ds_load_2addr_b32 v[97:98], v2 offset0:83 offset1:84
	ds_load_2addr_b32 v[99:100], v2 offset0:85 offset1:86
	s_waitcnt lgkmcnt(3)
	v_fmac_f32_e32 v3, v101, v93
	ds_load_b32 v93, v2 offset:348
	v_fmac_f32_e32 v3, v102, v94
	s_waitcnt lgkmcnt(3)
	s_delay_alu instid0(VALU_DEP_1) | instskip(SKIP_1) | instid1(VALU_DEP_1)
	v_fmac_f32_e32 v3, v103, v95
	s_waitcnt vmcnt(1)
	v_fmac_f32_e32 v3, v104, v96
	s_waitcnt lgkmcnt(2)
	s_delay_alu instid0(VALU_DEP_1) | instskip(NEXT) | instid1(VALU_DEP_1)
	v_fmac_f32_e32 v3, v105, v97
	v_fmac_f32_e32 v3, v106, v98
	s_waitcnt lgkmcnt(1)
	s_delay_alu instid0(VALU_DEP_1) | instskip(SKIP_1) | instid1(VALU_DEP_1)
	v_fmac_f32_e32 v3, v107, v99
	s_waitcnt vmcnt(0)
	v_fmac_f32_e32 v3, v108, v100
	s_waitcnt lgkmcnt(0)
	s_delay_alu instid0(VALU_DEP_1) | instskip(NEXT) | instid1(VALU_DEP_1)
	v_fmac_f32_e32 v3, v109, v93
	v_sub_f32_e32 v3, v92, v3
	scratch_store_b32 off, v3, off offset:104
	v_cmpx_lt_u32_e32 25, v0
	s_cbranch_execz .LBB107_221
; %bb.220:
	scratch_load_b32 v3, off, off offset:100
	scratch_store_b32 off, v2, off offset:100
	s_waitcnt vmcnt(0)
	ds_store_b32 v1, v3
.LBB107_221:
	s_or_b32 exec_lo, exec_lo, s0
	s_waitcnt lgkmcnt(0)
	s_waitcnt_vscnt null, 0x0
	s_barrier
	buffer_gl0_inv
	s_clause 0x4
	scratch_load_b128 v[92:95], off, off offset:100
	scratch_load_b128 v[96:99], off, off offset:116
	scratch_load_b128 v[100:103], off, off offset:132
	scratch_load_b128 v[104:107], off, off offset:148
	scratch_load_b96 v[116:118], off, off offset:164
	ds_load_2addr_b64 v[108:111], v2 offset0:35 offset1:36
	ds_load_2addr_b64 v[112:115], v2 offset0:37 offset1:38
	s_mov_b32 s0, exec_lo
	s_waitcnt vmcnt(4) lgkmcnt(1)
	v_fma_f32 v108, v93, v108, 0
	s_delay_alu instid0(VALU_DEP_1) | instskip(NEXT) | instid1(VALU_DEP_1)
	v_fmac_f32_e32 v108, v94, v109
	v_fmac_f32_e32 v108, v95, v110
	s_waitcnt vmcnt(3)
	s_delay_alu instid0(VALU_DEP_1) | instskip(SKIP_3) | instid1(VALU_DEP_1)
	v_fmac_f32_e32 v108, v96, v111
	ds_load_2addr_b64 v[93:96], v2 offset0:39 offset1:40
	s_waitcnt lgkmcnt(1)
	v_fmac_f32_e32 v108, v97, v112
	v_fmac_f32_e32 v108, v98, v113
	s_delay_alu instid0(VALU_DEP_1) | instskip(SKIP_1) | instid1(VALU_DEP_1)
	v_fmac_f32_e32 v108, v99, v114
	s_waitcnt vmcnt(2)
	v_fmac_f32_e32 v108, v100, v115
	ds_load_2addr_b64 v[97:100], v2 offset0:41 offset1:42
	ds_load_b64 v[2:3], v2 offset:344
	s_waitcnt lgkmcnt(2)
	v_fmac_f32_e32 v108, v101, v93
	s_delay_alu instid0(VALU_DEP_1) | instskip(NEXT) | instid1(VALU_DEP_1)
	v_fmac_f32_e32 v108, v102, v94
	v_fmac_f32_e32 v108, v103, v95
	s_waitcnt vmcnt(1)
	s_delay_alu instid0(VALU_DEP_1) | instskip(SKIP_1) | instid1(VALU_DEP_1)
	v_fmac_f32_e32 v108, v104, v96
	s_waitcnt lgkmcnt(1)
	v_fmac_f32_e32 v108, v105, v97
	s_delay_alu instid0(VALU_DEP_1) | instskip(NEXT) | instid1(VALU_DEP_1)
	v_fmac_f32_e32 v108, v106, v98
	v_fmac_f32_e32 v108, v107, v99
	s_waitcnt vmcnt(0)
	s_delay_alu instid0(VALU_DEP_1) | instskip(SKIP_1) | instid1(VALU_DEP_1)
	v_fmac_f32_e32 v108, v116, v100
	s_waitcnt lgkmcnt(0)
	v_fmac_f32_e32 v108, v117, v2
	s_delay_alu instid0(VALU_DEP_1) | instskip(NEXT) | instid1(VALU_DEP_1)
	v_fmac_f32_e32 v108, v118, v3
	v_sub_f32_e32 v2, v92, v108
	scratch_store_b32 off, v2, off offset:100
	v_cmpx_lt_u32_e32 24, v0
	s_cbranch_execz .LBB107_223
; %bb.222:
	scratch_load_b32 v2, off, off offset:96
	v_mov_b32_e32 v3, 0
	scratch_store_b32 off, v3, off offset:96
	s_waitcnt vmcnt(0)
	ds_store_b32 v1, v2
.LBB107_223:
	s_or_b32 exec_lo, exec_lo, s0
	s_waitcnt lgkmcnt(0)
	s_waitcnt_vscnt null, 0x0
	s_barrier
	buffer_gl0_inv
	s_clause 0x4
	scratch_load_b128 v[92:95], off, off offset:96
	scratch_load_b128 v[96:99], off, off offset:112
	;; [unrolled: 1-line block ×5, first 2 shown]
	v_mov_b32_e32 v2, 0
	ds_load_2addr_b32 v[112:113], v2 offset0:69 offset1:70
	ds_load_2addr_b32 v[114:115], v2 offset0:71 offset1:72
	;; [unrolled: 1-line block ×4, first 2 shown]
	s_mov_b32 s0, exec_lo
	s_waitcnt vmcnt(4) lgkmcnt(3)
	v_fma_f32 v3, v93, v112, 0
	s_delay_alu instid0(VALU_DEP_1) | instskip(SKIP_4) | instid1(VALU_DEP_1)
	v_fmac_f32_e32 v3, v94, v113
	ds_load_2addr_b32 v[93:94], v2 offset0:77 offset1:78
	s_waitcnt lgkmcnt(3)
	v_fmac_f32_e32 v3, v95, v114
	s_waitcnt vmcnt(3)
	v_fmac_f32_e32 v3, v96, v115
	ds_load_2addr_b32 v[95:96], v2 offset0:79 offset1:80
	s_waitcnt lgkmcnt(3)
	v_fmac_f32_e32 v3, v97, v116
	s_delay_alu instid0(VALU_DEP_1) | instskip(SKIP_1) | instid1(VALU_DEP_1)
	v_fmac_f32_e32 v3, v98, v117
	s_waitcnt lgkmcnt(2)
	v_fmac_f32_e32 v3, v99, v118
	s_waitcnt vmcnt(2)
	s_delay_alu instid0(VALU_DEP_1) | instskip(SKIP_4) | instid1(VALU_DEP_1)
	v_fmac_f32_e32 v3, v100, v119
	ds_load_2addr_b32 v[97:98], v2 offset0:81 offset1:82
	ds_load_2addr_b32 v[99:100], v2 offset0:83 offset1:84
	s_waitcnt lgkmcnt(3)
	v_fmac_f32_e32 v3, v101, v93
	v_fmac_f32_e32 v3, v102, v94
	ds_load_2addr_b32 v[93:94], v2 offset0:85 offset1:86
	s_waitcnt lgkmcnt(3)
	v_fmac_f32_e32 v3, v103, v95
	ds_load_b32 v95, v2 offset:348
	s_waitcnt vmcnt(1)
	v_fmac_f32_e32 v3, v104, v96
	s_waitcnt lgkmcnt(3)
	s_delay_alu instid0(VALU_DEP_1) | instskip(NEXT) | instid1(VALU_DEP_1)
	v_fmac_f32_e32 v3, v105, v97
	v_fmac_f32_e32 v3, v106, v98
	s_waitcnt lgkmcnt(2)
	s_delay_alu instid0(VALU_DEP_1) | instskip(SKIP_1) | instid1(VALU_DEP_1)
	v_fmac_f32_e32 v3, v107, v99
	s_waitcnt vmcnt(0)
	v_fmac_f32_e32 v3, v108, v100
	s_waitcnt lgkmcnt(1)
	s_delay_alu instid0(VALU_DEP_1) | instskip(NEXT) | instid1(VALU_DEP_1)
	v_fmac_f32_e32 v3, v109, v93
	v_fmac_f32_e32 v3, v110, v94
	s_waitcnt lgkmcnt(0)
	s_delay_alu instid0(VALU_DEP_1) | instskip(NEXT) | instid1(VALU_DEP_1)
	v_fmac_f32_e32 v3, v111, v95
	v_sub_f32_e32 v3, v92, v3
	scratch_store_b32 off, v3, off offset:96
	v_cmpx_lt_u32_e32 23, v0
	s_cbranch_execz .LBB107_225
; %bb.224:
	scratch_load_b32 v3, off, off offset:92
	scratch_store_b32 off, v2, off offset:92
	s_waitcnt vmcnt(0)
	ds_store_b32 v1, v3
.LBB107_225:
	s_or_b32 exec_lo, exec_lo, s0
	s_waitcnt lgkmcnt(0)
	s_waitcnt_vscnt null, 0x0
	s_barrier
	buffer_gl0_inv
	s_clause 0x5
	scratch_load_b128 v[92:95], off, off offset:92
	scratch_load_b128 v[96:99], off, off offset:108
	;; [unrolled: 1-line block ×5, first 2 shown]
	scratch_load_b32 v3, off, off offset:172
	ds_load_b128 v[112:115], v2 offset:272
	ds_load_b128 v[116:119], v2 offset:288
	s_mov_b32 s0, exec_lo
	s_waitcnt vmcnt(5) lgkmcnt(1)
	v_fma_f32 v112, v93, v112, 0
	s_delay_alu instid0(VALU_DEP_1) | instskip(NEXT) | instid1(VALU_DEP_1)
	v_fmac_f32_e32 v112, v94, v113
	v_fmac_f32_e32 v112, v95, v114
	s_waitcnt vmcnt(4)
	s_delay_alu instid0(VALU_DEP_1) | instskip(SKIP_3) | instid1(VALU_DEP_1)
	v_fmac_f32_e32 v112, v96, v115
	ds_load_b128 v[93:96], v2 offset:304
	s_waitcnt lgkmcnt(1)
	v_fmac_f32_e32 v112, v97, v116
	v_fmac_f32_e32 v112, v98, v117
	s_delay_alu instid0(VALU_DEP_1) | instskip(SKIP_1) | instid1(VALU_DEP_1)
	v_fmac_f32_e32 v112, v99, v118
	s_waitcnt vmcnt(3)
	v_fmac_f32_e32 v112, v100, v119
	ds_load_b128 v[97:100], v2 offset:320
	s_waitcnt lgkmcnt(1)
	v_fmac_f32_e32 v112, v101, v93
	s_delay_alu instid0(VALU_DEP_1) | instskip(NEXT) | instid1(VALU_DEP_1)
	v_fmac_f32_e32 v112, v102, v94
	v_fmac_f32_e32 v112, v103, v95
	s_waitcnt vmcnt(2)
	s_delay_alu instid0(VALU_DEP_1) | instskip(SKIP_3) | instid1(VALU_DEP_1)
	v_fmac_f32_e32 v112, v104, v96
	ds_load_b128 v[93:96], v2 offset:336
	s_waitcnt lgkmcnt(1)
	v_fmac_f32_e32 v112, v105, v97
	v_fmac_f32_e32 v112, v106, v98
	s_delay_alu instid0(VALU_DEP_1) | instskip(SKIP_1) | instid1(VALU_DEP_1)
	v_fmac_f32_e32 v112, v107, v99
	s_waitcnt vmcnt(1)
	v_fmac_f32_e32 v112, v108, v100
	s_waitcnt lgkmcnt(0)
	s_delay_alu instid0(VALU_DEP_1) | instskip(NEXT) | instid1(VALU_DEP_1)
	v_fmac_f32_e32 v112, v109, v93
	v_fmac_f32_e32 v112, v110, v94
	s_delay_alu instid0(VALU_DEP_1) | instskip(SKIP_1) | instid1(VALU_DEP_1)
	v_fmac_f32_e32 v112, v111, v95
	s_waitcnt vmcnt(0)
	v_fmac_f32_e32 v112, v3, v96
	s_delay_alu instid0(VALU_DEP_1)
	v_sub_f32_e32 v2, v92, v112
	scratch_store_b32 off, v2, off offset:92
	v_cmpx_lt_u32_e32 22, v0
	s_cbranch_execz .LBB107_227
; %bb.226:
	scratch_load_b32 v2, off, off offset:88
	v_mov_b32_e32 v3, 0
	scratch_store_b32 off, v3, off offset:88
	s_waitcnt vmcnt(0)
	ds_store_b32 v1, v2
.LBB107_227:
	s_or_b32 exec_lo, exec_lo, s0
	s_waitcnt lgkmcnt(0)
	s_waitcnt_vscnt null, 0x0
	s_barrier
	buffer_gl0_inv
	s_clause 0x5
	scratch_load_b128 v[92:95], off, off offset:88
	scratch_load_b128 v[96:99], off, off offset:104
	;; [unrolled: 1-line block ×5, first 2 shown]
	scratch_load_b64 v[112:113], off, off offset:168
	v_mov_b32_e32 v2, 0
	ds_load_2addr_b32 v[114:115], v2 offset0:67 offset1:68
	ds_load_2addr_b32 v[116:117], v2 offset0:69 offset1:70
	;; [unrolled: 1-line block ×4, first 2 shown]
	s_mov_b32 s0, exec_lo
	s_waitcnt vmcnt(5) lgkmcnt(3)
	v_fma_f32 v3, v93, v114, 0
	s_delay_alu instid0(VALU_DEP_1) | instskip(SKIP_4) | instid1(VALU_DEP_1)
	v_fmac_f32_e32 v3, v94, v115
	ds_load_2addr_b32 v[93:94], v2 offset0:75 offset1:76
	s_waitcnt lgkmcnt(3)
	v_fmac_f32_e32 v3, v95, v116
	s_waitcnt vmcnt(4)
	v_fmac_f32_e32 v3, v96, v117
	ds_load_2addr_b32 v[95:96], v2 offset0:77 offset1:78
	s_waitcnt lgkmcnt(3)
	v_fmac_f32_e32 v3, v97, v118
	s_delay_alu instid0(VALU_DEP_1) | instskip(SKIP_1) | instid1(VALU_DEP_1)
	v_fmac_f32_e32 v3, v98, v119
	s_waitcnt lgkmcnt(2)
	v_fmac_f32_e32 v3, v99, v120
	s_waitcnt vmcnt(3)
	s_delay_alu instid0(VALU_DEP_1) | instskip(SKIP_4) | instid1(VALU_DEP_1)
	v_fmac_f32_e32 v3, v100, v121
	ds_load_2addr_b32 v[97:98], v2 offset0:79 offset1:80
	ds_load_2addr_b32 v[99:100], v2 offset0:81 offset1:82
	s_waitcnt lgkmcnt(3)
	v_fmac_f32_e32 v3, v101, v93
	v_fmac_f32_e32 v3, v102, v94
	ds_load_2addr_b32 v[93:94], v2 offset0:83 offset1:84
	s_waitcnt lgkmcnt(3)
	v_fmac_f32_e32 v3, v103, v95
	s_waitcnt vmcnt(2)
	s_delay_alu instid0(VALU_DEP_1)
	v_fmac_f32_e32 v3, v104, v96
	ds_load_2addr_b32 v[95:96], v2 offset0:85 offset1:86
	s_waitcnt lgkmcnt(3)
	v_fmac_f32_e32 v3, v105, v97
	ds_load_b32 v97, v2 offset:348
	v_fmac_f32_e32 v3, v106, v98
	s_waitcnt lgkmcnt(3)
	s_delay_alu instid0(VALU_DEP_1) | instskip(SKIP_1) | instid1(VALU_DEP_1)
	v_fmac_f32_e32 v3, v107, v99
	s_waitcnt vmcnt(1)
	v_fmac_f32_e32 v3, v108, v100
	s_waitcnt lgkmcnt(2)
	s_delay_alu instid0(VALU_DEP_1) | instskip(NEXT) | instid1(VALU_DEP_1)
	v_fmac_f32_e32 v3, v109, v93
	v_fmac_f32_e32 v3, v110, v94
	s_waitcnt lgkmcnt(1)
	s_delay_alu instid0(VALU_DEP_1) | instskip(SKIP_1) | instid1(VALU_DEP_1)
	v_fmac_f32_e32 v3, v111, v95
	s_waitcnt vmcnt(0)
	v_fmac_f32_e32 v3, v112, v96
	s_waitcnt lgkmcnt(0)
	s_delay_alu instid0(VALU_DEP_1) | instskip(NEXT) | instid1(VALU_DEP_1)
	v_fmac_f32_e32 v3, v113, v97
	v_sub_f32_e32 v3, v92, v3
	scratch_store_b32 off, v3, off offset:88
	v_cmpx_lt_u32_e32 21, v0
	s_cbranch_execz .LBB107_229
; %bb.228:
	scratch_load_b32 v3, off, off offset:84
	scratch_store_b32 off, v2, off offset:84
	s_waitcnt vmcnt(0)
	ds_store_b32 v1, v3
.LBB107_229:
	s_or_b32 exec_lo, exec_lo, s0
	s_waitcnt lgkmcnt(0)
	s_waitcnt_vscnt null, 0x0
	s_barrier
	buffer_gl0_inv
	s_clause 0x5
	scratch_load_b128 v[92:95], off, off offset:84
	scratch_load_b128 v[96:99], off, off offset:100
	;; [unrolled: 1-line block ×5, first 2 shown]
	scratch_load_b96 v[120:122], off, off offset:164
	ds_load_2addr_b64 v[112:115], v2 offset0:33 offset1:34
	ds_load_2addr_b64 v[116:119], v2 offset0:35 offset1:36
	s_mov_b32 s0, exec_lo
	s_waitcnt vmcnt(5) lgkmcnt(1)
	v_fma_f32 v112, v93, v112, 0
	s_delay_alu instid0(VALU_DEP_1) | instskip(NEXT) | instid1(VALU_DEP_1)
	v_fmac_f32_e32 v112, v94, v113
	v_fmac_f32_e32 v112, v95, v114
	s_waitcnt vmcnt(4)
	s_delay_alu instid0(VALU_DEP_1) | instskip(SKIP_3) | instid1(VALU_DEP_1)
	v_fmac_f32_e32 v112, v96, v115
	ds_load_2addr_b64 v[93:96], v2 offset0:37 offset1:38
	s_waitcnt lgkmcnt(1)
	v_fmac_f32_e32 v112, v97, v116
	v_fmac_f32_e32 v112, v98, v117
	s_delay_alu instid0(VALU_DEP_1) | instskip(SKIP_1) | instid1(VALU_DEP_1)
	v_fmac_f32_e32 v112, v99, v118
	s_waitcnt vmcnt(3)
	v_fmac_f32_e32 v112, v100, v119
	ds_load_2addr_b64 v[97:100], v2 offset0:39 offset1:40
	s_waitcnt lgkmcnt(1)
	v_fmac_f32_e32 v112, v101, v93
	s_delay_alu instid0(VALU_DEP_1) | instskip(NEXT) | instid1(VALU_DEP_1)
	v_fmac_f32_e32 v112, v102, v94
	v_fmac_f32_e32 v112, v103, v95
	s_waitcnt vmcnt(2)
	s_delay_alu instid0(VALU_DEP_1) | instskip(SKIP_4) | instid1(VALU_DEP_1)
	v_fmac_f32_e32 v112, v104, v96
	ds_load_2addr_b64 v[93:96], v2 offset0:41 offset1:42
	ds_load_b64 v[2:3], v2 offset:344
	s_waitcnt lgkmcnt(2)
	v_fmac_f32_e32 v112, v105, v97
	v_fmac_f32_e32 v112, v106, v98
	s_delay_alu instid0(VALU_DEP_1) | instskip(SKIP_1) | instid1(VALU_DEP_1)
	v_fmac_f32_e32 v112, v107, v99
	s_waitcnt vmcnt(1)
	v_fmac_f32_e32 v112, v108, v100
	s_waitcnt lgkmcnt(1)
	s_delay_alu instid0(VALU_DEP_1) | instskip(NEXT) | instid1(VALU_DEP_1)
	v_fmac_f32_e32 v112, v109, v93
	v_fmac_f32_e32 v112, v110, v94
	s_delay_alu instid0(VALU_DEP_1) | instskip(SKIP_1) | instid1(VALU_DEP_1)
	v_fmac_f32_e32 v112, v111, v95
	s_waitcnt vmcnt(0)
	v_fmac_f32_e32 v112, v120, v96
	s_waitcnt lgkmcnt(0)
	s_delay_alu instid0(VALU_DEP_1) | instskip(NEXT) | instid1(VALU_DEP_1)
	v_fmac_f32_e32 v112, v121, v2
	v_fmac_f32_e32 v112, v122, v3
	s_delay_alu instid0(VALU_DEP_1)
	v_sub_f32_e32 v2, v92, v112
	scratch_store_b32 off, v2, off offset:84
	v_cmpx_lt_u32_e32 20, v0
	s_cbranch_execz .LBB107_231
; %bb.230:
	scratch_load_b32 v2, off, off offset:80
	v_mov_b32_e32 v3, 0
	scratch_store_b32 off, v3, off offset:80
	s_waitcnt vmcnt(0)
	ds_store_b32 v1, v2
.LBB107_231:
	s_or_b32 exec_lo, exec_lo, s0
	s_waitcnt lgkmcnt(0)
	s_waitcnt_vscnt null, 0x0
	s_barrier
	buffer_gl0_inv
	s_clause 0x5
	scratch_load_b128 v[92:95], off, off offset:80
	scratch_load_b128 v[96:99], off, off offset:96
	;; [unrolled: 1-line block ×6, first 2 shown]
	v_mov_b32_e32 v2, 0
	ds_load_2addr_b32 v[116:117], v2 offset0:65 offset1:66
	ds_load_2addr_b32 v[118:119], v2 offset0:67 offset1:68
	;; [unrolled: 1-line block ×4, first 2 shown]
	s_mov_b32 s0, exec_lo
	s_waitcnt vmcnt(5) lgkmcnt(3)
	v_fma_f32 v3, v93, v116, 0
	s_delay_alu instid0(VALU_DEP_1) | instskip(SKIP_4) | instid1(VALU_DEP_1)
	v_fmac_f32_e32 v3, v94, v117
	ds_load_2addr_b32 v[93:94], v2 offset0:73 offset1:74
	s_waitcnt lgkmcnt(3)
	v_fmac_f32_e32 v3, v95, v118
	s_waitcnt vmcnt(4)
	v_fmac_f32_e32 v3, v96, v119
	ds_load_2addr_b32 v[95:96], v2 offset0:75 offset1:76
	s_waitcnt lgkmcnt(3)
	v_fmac_f32_e32 v3, v97, v120
	s_delay_alu instid0(VALU_DEP_1) | instskip(SKIP_1) | instid1(VALU_DEP_1)
	v_fmac_f32_e32 v3, v98, v121
	s_waitcnt lgkmcnt(2)
	v_fmac_f32_e32 v3, v99, v122
	s_waitcnt vmcnt(3)
	s_delay_alu instid0(VALU_DEP_1) | instskip(SKIP_4) | instid1(VALU_DEP_1)
	v_fmac_f32_e32 v3, v100, v123
	ds_load_2addr_b32 v[97:98], v2 offset0:77 offset1:78
	ds_load_2addr_b32 v[99:100], v2 offset0:79 offset1:80
	s_waitcnt lgkmcnt(3)
	v_fmac_f32_e32 v3, v101, v93
	v_fmac_f32_e32 v3, v102, v94
	ds_load_2addr_b32 v[93:94], v2 offset0:81 offset1:82
	s_waitcnt lgkmcnt(3)
	v_fmac_f32_e32 v3, v103, v95
	s_waitcnt vmcnt(2)
	s_delay_alu instid0(VALU_DEP_1) | instskip(SKIP_3) | instid1(VALU_DEP_1)
	v_fmac_f32_e32 v3, v104, v96
	ds_load_2addr_b32 v[95:96], v2 offset0:83 offset1:84
	s_waitcnt lgkmcnt(3)
	v_fmac_f32_e32 v3, v105, v97
	v_fmac_f32_e32 v3, v106, v98
	s_waitcnt lgkmcnt(2)
	s_delay_alu instid0(VALU_DEP_1)
	v_fmac_f32_e32 v3, v107, v99
	ds_load_2addr_b32 v[97:98], v2 offset0:85 offset1:86
	ds_load_b32 v99, v2 offset:348
	s_waitcnt vmcnt(1)
	v_fmac_f32_e32 v3, v108, v100
	s_waitcnt lgkmcnt(3)
	s_delay_alu instid0(VALU_DEP_1) | instskip(NEXT) | instid1(VALU_DEP_1)
	v_fmac_f32_e32 v3, v109, v93
	v_fmac_f32_e32 v3, v110, v94
	s_waitcnt lgkmcnt(2)
	s_delay_alu instid0(VALU_DEP_1) | instskip(SKIP_1) | instid1(VALU_DEP_1)
	v_fmac_f32_e32 v3, v111, v95
	s_waitcnt vmcnt(0)
	v_fmac_f32_e32 v3, v112, v96
	s_waitcnt lgkmcnt(1)
	s_delay_alu instid0(VALU_DEP_1) | instskip(NEXT) | instid1(VALU_DEP_1)
	v_fmac_f32_e32 v3, v113, v97
	v_fmac_f32_e32 v3, v114, v98
	s_waitcnt lgkmcnt(0)
	s_delay_alu instid0(VALU_DEP_1) | instskip(NEXT) | instid1(VALU_DEP_1)
	v_fmac_f32_e32 v3, v115, v99
	v_sub_f32_e32 v3, v92, v3
	scratch_store_b32 off, v3, off offset:80
	v_cmpx_lt_u32_e32 19, v0
	s_cbranch_execz .LBB107_233
; %bb.232:
	scratch_load_b32 v3, off, off offset:76
	scratch_store_b32 off, v2, off offset:76
	s_waitcnt vmcnt(0)
	ds_store_b32 v1, v3
.LBB107_233:
	s_or_b32 exec_lo, exec_lo, s0
	s_waitcnt lgkmcnt(0)
	s_waitcnt_vscnt null, 0x0
	s_barrier
	buffer_gl0_inv
	s_clause 0x6
	scratch_load_b128 v[92:95], off, off offset:76
	scratch_load_b128 v[96:99], off, off offset:92
	;; [unrolled: 1-line block ×6, first 2 shown]
	scratch_load_b32 v3, off, off offset:172
	ds_load_b128 v[116:119], v2 offset:256
	ds_load_b128 v[120:123], v2 offset:272
	s_mov_b32 s0, exec_lo
	s_waitcnt vmcnt(6) lgkmcnt(1)
	v_fma_f32 v116, v93, v116, 0
	s_delay_alu instid0(VALU_DEP_1) | instskip(NEXT) | instid1(VALU_DEP_1)
	v_fmac_f32_e32 v116, v94, v117
	v_fmac_f32_e32 v116, v95, v118
	s_waitcnt vmcnt(5)
	s_delay_alu instid0(VALU_DEP_1) | instskip(SKIP_3) | instid1(VALU_DEP_1)
	v_fmac_f32_e32 v116, v96, v119
	ds_load_b128 v[93:96], v2 offset:288
	s_waitcnt lgkmcnt(1)
	v_fmac_f32_e32 v116, v97, v120
	v_fmac_f32_e32 v116, v98, v121
	s_delay_alu instid0(VALU_DEP_1) | instskip(SKIP_1) | instid1(VALU_DEP_1)
	v_fmac_f32_e32 v116, v99, v122
	s_waitcnt vmcnt(4)
	v_fmac_f32_e32 v116, v100, v123
	ds_load_b128 v[97:100], v2 offset:304
	s_waitcnt lgkmcnt(1)
	v_fmac_f32_e32 v116, v101, v93
	s_delay_alu instid0(VALU_DEP_1) | instskip(NEXT) | instid1(VALU_DEP_1)
	v_fmac_f32_e32 v116, v102, v94
	v_fmac_f32_e32 v116, v103, v95
	s_waitcnt vmcnt(3)
	s_delay_alu instid0(VALU_DEP_1) | instskip(SKIP_3) | instid1(VALU_DEP_1)
	v_fmac_f32_e32 v116, v104, v96
	ds_load_b128 v[93:96], v2 offset:320
	s_waitcnt lgkmcnt(1)
	v_fmac_f32_e32 v116, v105, v97
	v_fmac_f32_e32 v116, v106, v98
	s_delay_alu instid0(VALU_DEP_1) | instskip(SKIP_1) | instid1(VALU_DEP_1)
	v_fmac_f32_e32 v116, v107, v99
	s_waitcnt vmcnt(2)
	v_fmac_f32_e32 v116, v108, v100
	ds_load_b128 v[97:100], v2 offset:336
	s_waitcnt lgkmcnt(1)
	v_fmac_f32_e32 v116, v109, v93
	s_delay_alu instid0(VALU_DEP_1) | instskip(NEXT) | instid1(VALU_DEP_1)
	v_fmac_f32_e32 v116, v110, v94
	v_fmac_f32_e32 v116, v111, v95
	s_waitcnt vmcnt(1)
	s_delay_alu instid0(VALU_DEP_1) | instskip(SKIP_1) | instid1(VALU_DEP_1)
	v_fmac_f32_e32 v116, v112, v96
	s_waitcnt lgkmcnt(0)
	v_fmac_f32_e32 v116, v113, v97
	s_delay_alu instid0(VALU_DEP_1) | instskip(NEXT) | instid1(VALU_DEP_1)
	v_fmac_f32_e32 v116, v114, v98
	v_fmac_f32_e32 v116, v115, v99
	s_waitcnt vmcnt(0)
	s_delay_alu instid0(VALU_DEP_1) | instskip(NEXT) | instid1(VALU_DEP_1)
	v_fmac_f32_e32 v116, v3, v100
	v_sub_f32_e32 v2, v92, v116
	scratch_store_b32 off, v2, off offset:76
	v_cmpx_lt_u32_e32 18, v0
	s_cbranch_execz .LBB107_235
; %bb.234:
	scratch_load_b32 v2, off, off offset:72
	v_mov_b32_e32 v3, 0
	scratch_store_b32 off, v3, off offset:72
	s_waitcnt vmcnt(0)
	ds_store_b32 v1, v2
.LBB107_235:
	s_or_b32 exec_lo, exec_lo, s0
	s_waitcnt lgkmcnt(0)
	s_waitcnt_vscnt null, 0x0
	s_barrier
	buffer_gl0_inv
	s_clause 0x6
	scratch_load_b128 v[92:95], off, off offset:72
	scratch_load_b128 v[96:99], off, off offset:88
	;; [unrolled: 1-line block ×6, first 2 shown]
	scratch_load_b64 v[116:117], off, off offset:168
	v_mov_b32_e32 v2, 0
	ds_load_2addr_b32 v[118:119], v2 offset0:63 offset1:64
	ds_load_2addr_b32 v[120:121], v2 offset0:65 offset1:66
	;; [unrolled: 1-line block ×4, first 2 shown]
	s_mov_b32 s0, exec_lo
	s_waitcnt vmcnt(6) lgkmcnt(3)
	v_fma_f32 v3, v93, v118, 0
	s_delay_alu instid0(VALU_DEP_1) | instskip(SKIP_4) | instid1(VALU_DEP_1)
	v_fmac_f32_e32 v3, v94, v119
	ds_load_2addr_b32 v[93:94], v2 offset0:71 offset1:72
	s_waitcnt lgkmcnt(3)
	v_fmac_f32_e32 v3, v95, v120
	s_waitcnt vmcnt(5)
	v_fmac_f32_e32 v3, v96, v121
	ds_load_2addr_b32 v[95:96], v2 offset0:73 offset1:74
	s_waitcnt lgkmcnt(3)
	v_fmac_f32_e32 v3, v97, v122
	s_delay_alu instid0(VALU_DEP_1) | instskip(SKIP_1) | instid1(VALU_DEP_1)
	v_fmac_f32_e32 v3, v98, v123
	s_waitcnt lgkmcnt(2)
	v_fmac_f32_e32 v3, v99, v124
	s_waitcnt vmcnt(4)
	s_delay_alu instid0(VALU_DEP_1) | instskip(SKIP_4) | instid1(VALU_DEP_1)
	v_fmac_f32_e32 v3, v100, v125
	ds_load_2addr_b32 v[97:98], v2 offset0:75 offset1:76
	ds_load_2addr_b32 v[99:100], v2 offset0:77 offset1:78
	s_waitcnt lgkmcnt(3)
	v_fmac_f32_e32 v3, v101, v93
	v_fmac_f32_e32 v3, v102, v94
	ds_load_2addr_b32 v[93:94], v2 offset0:79 offset1:80
	s_waitcnt lgkmcnt(3)
	v_fmac_f32_e32 v3, v103, v95
	s_waitcnt vmcnt(3)
	s_delay_alu instid0(VALU_DEP_1) | instskip(SKIP_3) | instid1(VALU_DEP_1)
	v_fmac_f32_e32 v3, v104, v96
	ds_load_2addr_b32 v[95:96], v2 offset0:81 offset1:82
	s_waitcnt lgkmcnt(3)
	v_fmac_f32_e32 v3, v105, v97
	v_fmac_f32_e32 v3, v106, v98
	s_waitcnt lgkmcnt(2)
	s_delay_alu instid0(VALU_DEP_1) | instskip(SKIP_1) | instid1(VALU_DEP_1)
	v_fmac_f32_e32 v3, v107, v99
	s_waitcnt vmcnt(2)
	v_fmac_f32_e32 v3, v108, v100
	ds_load_2addr_b32 v[97:98], v2 offset0:83 offset1:84
	ds_load_2addr_b32 v[99:100], v2 offset0:85 offset1:86
	s_waitcnt lgkmcnt(3)
	v_fmac_f32_e32 v3, v109, v93
	ds_load_b32 v93, v2 offset:348
	v_fmac_f32_e32 v3, v110, v94
	s_waitcnt lgkmcnt(3)
	s_delay_alu instid0(VALU_DEP_1) | instskip(SKIP_1) | instid1(VALU_DEP_1)
	v_fmac_f32_e32 v3, v111, v95
	s_waitcnt vmcnt(1)
	v_fmac_f32_e32 v3, v112, v96
	s_waitcnt lgkmcnt(2)
	s_delay_alu instid0(VALU_DEP_1) | instskip(NEXT) | instid1(VALU_DEP_1)
	v_fmac_f32_e32 v3, v113, v97
	v_fmac_f32_e32 v3, v114, v98
	s_waitcnt lgkmcnt(1)
	s_delay_alu instid0(VALU_DEP_1) | instskip(SKIP_1) | instid1(VALU_DEP_1)
	v_fmac_f32_e32 v3, v115, v99
	s_waitcnt vmcnt(0)
	v_fmac_f32_e32 v3, v116, v100
	s_waitcnt lgkmcnt(0)
	s_delay_alu instid0(VALU_DEP_1) | instskip(NEXT) | instid1(VALU_DEP_1)
	v_fmac_f32_e32 v3, v117, v93
	v_sub_f32_e32 v3, v92, v3
	scratch_store_b32 off, v3, off offset:72
	v_cmpx_lt_u32_e32 17, v0
	s_cbranch_execz .LBB107_237
; %bb.236:
	scratch_load_b32 v3, off, off offset:68
	scratch_store_b32 off, v2, off offset:68
	s_waitcnt vmcnt(0)
	ds_store_b32 v1, v3
.LBB107_237:
	s_or_b32 exec_lo, exec_lo, s0
	s_waitcnt lgkmcnt(0)
	s_waitcnt_vscnt null, 0x0
	s_barrier
	buffer_gl0_inv
	s_clause 0x6
	scratch_load_b128 v[92:95], off, off offset:68
	scratch_load_b128 v[96:99], off, off offset:84
	;; [unrolled: 1-line block ×6, first 2 shown]
	scratch_load_b96 v[124:126], off, off offset:164
	ds_load_2addr_b64 v[116:119], v2 offset0:31 offset1:32
	ds_load_2addr_b64 v[120:123], v2 offset0:33 offset1:34
	s_mov_b32 s0, exec_lo
	s_waitcnt vmcnt(6) lgkmcnt(1)
	v_fma_f32 v116, v93, v116, 0
	s_delay_alu instid0(VALU_DEP_1) | instskip(NEXT) | instid1(VALU_DEP_1)
	v_fmac_f32_e32 v116, v94, v117
	v_fmac_f32_e32 v116, v95, v118
	s_waitcnt vmcnt(5)
	s_delay_alu instid0(VALU_DEP_1) | instskip(SKIP_3) | instid1(VALU_DEP_1)
	v_fmac_f32_e32 v116, v96, v119
	ds_load_2addr_b64 v[93:96], v2 offset0:35 offset1:36
	s_waitcnt lgkmcnt(1)
	v_fmac_f32_e32 v116, v97, v120
	v_fmac_f32_e32 v116, v98, v121
	s_delay_alu instid0(VALU_DEP_1) | instskip(SKIP_1) | instid1(VALU_DEP_1)
	v_fmac_f32_e32 v116, v99, v122
	s_waitcnt vmcnt(4)
	v_fmac_f32_e32 v116, v100, v123
	ds_load_2addr_b64 v[97:100], v2 offset0:37 offset1:38
	s_waitcnt lgkmcnt(1)
	v_fmac_f32_e32 v116, v101, v93
	s_delay_alu instid0(VALU_DEP_1) | instskip(NEXT) | instid1(VALU_DEP_1)
	v_fmac_f32_e32 v116, v102, v94
	v_fmac_f32_e32 v116, v103, v95
	s_waitcnt vmcnt(3)
	s_delay_alu instid0(VALU_DEP_1) | instskip(SKIP_3) | instid1(VALU_DEP_1)
	v_fmac_f32_e32 v116, v104, v96
	ds_load_2addr_b64 v[93:96], v2 offset0:39 offset1:40
	s_waitcnt lgkmcnt(1)
	v_fmac_f32_e32 v116, v105, v97
	v_fmac_f32_e32 v116, v106, v98
	s_delay_alu instid0(VALU_DEP_1) | instskip(SKIP_1) | instid1(VALU_DEP_1)
	v_fmac_f32_e32 v116, v107, v99
	s_waitcnt vmcnt(2)
	v_fmac_f32_e32 v116, v108, v100
	ds_load_2addr_b64 v[97:100], v2 offset0:41 offset1:42
	ds_load_b64 v[2:3], v2 offset:344
	s_waitcnt lgkmcnt(2)
	v_fmac_f32_e32 v116, v109, v93
	s_delay_alu instid0(VALU_DEP_1) | instskip(NEXT) | instid1(VALU_DEP_1)
	v_fmac_f32_e32 v116, v110, v94
	v_fmac_f32_e32 v116, v111, v95
	s_waitcnt vmcnt(1)
	s_delay_alu instid0(VALU_DEP_1) | instskip(SKIP_1) | instid1(VALU_DEP_1)
	v_fmac_f32_e32 v116, v112, v96
	s_waitcnt lgkmcnt(1)
	v_fmac_f32_e32 v116, v113, v97
	s_delay_alu instid0(VALU_DEP_1) | instskip(NEXT) | instid1(VALU_DEP_1)
	v_fmac_f32_e32 v116, v114, v98
	v_fmac_f32_e32 v116, v115, v99
	s_waitcnt vmcnt(0)
	s_delay_alu instid0(VALU_DEP_1) | instskip(SKIP_1) | instid1(VALU_DEP_1)
	v_fmac_f32_e32 v116, v124, v100
	s_waitcnt lgkmcnt(0)
	v_fmac_f32_e32 v116, v125, v2
	s_delay_alu instid0(VALU_DEP_1) | instskip(NEXT) | instid1(VALU_DEP_1)
	v_fmac_f32_e32 v116, v126, v3
	v_sub_f32_e32 v2, v92, v116
	scratch_store_b32 off, v2, off offset:68
	v_cmpx_lt_u32_e32 16, v0
	s_cbranch_execz .LBB107_239
; %bb.238:
	scratch_load_b32 v2, off, off offset:64
	v_mov_b32_e32 v3, 0
	scratch_store_b32 off, v3, off offset:64
	s_waitcnt vmcnt(0)
	ds_store_b32 v1, v2
.LBB107_239:
	s_or_b32 exec_lo, exec_lo, s0
	s_waitcnt lgkmcnt(0)
	s_waitcnt_vscnt null, 0x0
	s_barrier
	buffer_gl0_inv
	s_clause 0x6
	scratch_load_b128 v[92:95], off, off offset:64
	scratch_load_b128 v[96:99], off, off offset:80
	;; [unrolled: 1-line block ×7, first 2 shown]
	v_mov_b32_e32 v2, 0
	ds_load_2addr_b32 v[120:121], v2 offset0:61 offset1:62
	ds_load_2addr_b32 v[122:123], v2 offset0:63 offset1:64
	ds_load_2addr_b32 v[124:125], v2 offset0:65 offset1:66
	ds_load_2addr_b32 v[126:127], v2 offset0:67 offset1:68
	s_mov_b32 s0, exec_lo
	s_waitcnt vmcnt(6) lgkmcnt(3)
	v_fma_f32 v3, v93, v120, 0
	s_delay_alu instid0(VALU_DEP_1) | instskip(SKIP_4) | instid1(VALU_DEP_1)
	v_fmac_f32_e32 v3, v94, v121
	ds_load_2addr_b32 v[93:94], v2 offset0:69 offset1:70
	s_waitcnt lgkmcnt(3)
	v_fmac_f32_e32 v3, v95, v122
	s_waitcnt vmcnt(5)
	v_fmac_f32_e32 v3, v96, v123
	ds_load_2addr_b32 v[95:96], v2 offset0:71 offset1:72
	s_waitcnt lgkmcnt(3)
	v_fmac_f32_e32 v3, v97, v124
	s_delay_alu instid0(VALU_DEP_1) | instskip(SKIP_1) | instid1(VALU_DEP_1)
	v_fmac_f32_e32 v3, v98, v125
	s_waitcnt lgkmcnt(2)
	v_fmac_f32_e32 v3, v99, v126
	s_waitcnt vmcnt(4)
	s_delay_alu instid0(VALU_DEP_1) | instskip(SKIP_4) | instid1(VALU_DEP_1)
	v_fmac_f32_e32 v3, v100, v127
	ds_load_2addr_b32 v[97:98], v2 offset0:73 offset1:74
	ds_load_2addr_b32 v[99:100], v2 offset0:75 offset1:76
	s_waitcnt lgkmcnt(3)
	v_fmac_f32_e32 v3, v101, v93
	v_fmac_f32_e32 v3, v102, v94
	ds_load_2addr_b32 v[93:94], v2 offset0:77 offset1:78
	s_waitcnt lgkmcnt(3)
	v_fmac_f32_e32 v3, v103, v95
	s_waitcnt vmcnt(3)
	s_delay_alu instid0(VALU_DEP_1) | instskip(SKIP_3) | instid1(VALU_DEP_1)
	v_fmac_f32_e32 v3, v104, v96
	ds_load_2addr_b32 v[95:96], v2 offset0:79 offset1:80
	s_waitcnt lgkmcnt(3)
	v_fmac_f32_e32 v3, v105, v97
	v_fmac_f32_e32 v3, v106, v98
	s_waitcnt lgkmcnt(2)
	s_delay_alu instid0(VALU_DEP_1) | instskip(SKIP_1) | instid1(VALU_DEP_1)
	v_fmac_f32_e32 v3, v107, v99
	s_waitcnt vmcnt(2)
	v_fmac_f32_e32 v3, v108, v100
	ds_load_2addr_b32 v[97:98], v2 offset0:81 offset1:82
	ds_load_2addr_b32 v[99:100], v2 offset0:83 offset1:84
	s_waitcnt lgkmcnt(3)
	v_fmac_f32_e32 v3, v109, v93
	s_delay_alu instid0(VALU_DEP_1)
	v_fmac_f32_e32 v3, v110, v94
	ds_load_2addr_b32 v[93:94], v2 offset0:85 offset1:86
	s_waitcnt lgkmcnt(3)
	v_fmac_f32_e32 v3, v111, v95
	ds_load_b32 v95, v2 offset:348
	s_waitcnt vmcnt(1)
	v_fmac_f32_e32 v3, v112, v96
	s_waitcnt lgkmcnt(3)
	s_delay_alu instid0(VALU_DEP_1) | instskip(NEXT) | instid1(VALU_DEP_1)
	v_fmac_f32_e32 v3, v113, v97
	v_fmac_f32_e32 v3, v114, v98
	s_waitcnt lgkmcnt(2)
	s_delay_alu instid0(VALU_DEP_1) | instskip(SKIP_1) | instid1(VALU_DEP_1)
	v_fmac_f32_e32 v3, v115, v99
	s_waitcnt vmcnt(0)
	v_fmac_f32_e32 v3, v116, v100
	s_waitcnt lgkmcnt(1)
	s_delay_alu instid0(VALU_DEP_1) | instskip(NEXT) | instid1(VALU_DEP_1)
	v_fmac_f32_e32 v3, v117, v93
	v_fmac_f32_e32 v3, v118, v94
	s_waitcnt lgkmcnt(0)
	s_delay_alu instid0(VALU_DEP_1) | instskip(NEXT) | instid1(VALU_DEP_1)
	v_fmac_f32_e32 v3, v119, v95
	v_sub_f32_e32 v3, v92, v3
	scratch_store_b32 off, v3, off offset:64
	v_cmpx_lt_u32_e32 15, v0
	s_cbranch_execz .LBB107_241
; %bb.240:
	scratch_load_b32 v3, off, off offset:60
	scratch_store_b32 off, v2, off offset:60
	s_waitcnt vmcnt(0)
	ds_store_b32 v1, v3
.LBB107_241:
	s_or_b32 exec_lo, exec_lo, s0
	s_waitcnt lgkmcnt(0)
	s_waitcnt_vscnt null, 0x0
	s_barrier
	buffer_gl0_inv
	s_clause 0x7
	scratch_load_b128 v[92:95], off, off offset:60
	scratch_load_b128 v[96:99], off, off offset:76
	;; [unrolled: 1-line block ×7, first 2 shown]
	scratch_load_b32 v3, off, off offset:172
	ds_load_b128 v[120:123], v2 offset:240
	ds_load_b128 v[124:127], v2 offset:256
	s_mov_b32 s0, exec_lo
	s_waitcnt vmcnt(7) lgkmcnt(1)
	v_fma_f32 v120, v93, v120, 0
	s_delay_alu instid0(VALU_DEP_1) | instskip(NEXT) | instid1(VALU_DEP_1)
	v_fmac_f32_e32 v120, v94, v121
	v_fmac_f32_e32 v120, v95, v122
	s_waitcnt vmcnt(6)
	s_delay_alu instid0(VALU_DEP_1) | instskip(SKIP_3) | instid1(VALU_DEP_1)
	v_fmac_f32_e32 v120, v96, v123
	ds_load_b128 v[93:96], v2 offset:272
	s_waitcnt lgkmcnt(1)
	v_fmac_f32_e32 v120, v97, v124
	v_fmac_f32_e32 v120, v98, v125
	s_delay_alu instid0(VALU_DEP_1) | instskip(SKIP_1) | instid1(VALU_DEP_1)
	v_fmac_f32_e32 v120, v99, v126
	s_waitcnt vmcnt(5)
	v_fmac_f32_e32 v120, v100, v127
	ds_load_b128 v[97:100], v2 offset:288
	s_waitcnt lgkmcnt(1)
	v_fmac_f32_e32 v120, v101, v93
	s_delay_alu instid0(VALU_DEP_1) | instskip(NEXT) | instid1(VALU_DEP_1)
	v_fmac_f32_e32 v120, v102, v94
	v_fmac_f32_e32 v120, v103, v95
	s_waitcnt vmcnt(4)
	s_delay_alu instid0(VALU_DEP_1) | instskip(SKIP_3) | instid1(VALU_DEP_1)
	v_fmac_f32_e32 v120, v104, v96
	ds_load_b128 v[93:96], v2 offset:304
	s_waitcnt lgkmcnt(1)
	v_fmac_f32_e32 v120, v105, v97
	v_fmac_f32_e32 v120, v106, v98
	s_delay_alu instid0(VALU_DEP_1) | instskip(SKIP_1) | instid1(VALU_DEP_1)
	v_fmac_f32_e32 v120, v107, v99
	s_waitcnt vmcnt(3)
	v_fmac_f32_e32 v120, v108, v100
	ds_load_b128 v[97:100], v2 offset:320
	s_waitcnt lgkmcnt(1)
	v_fmac_f32_e32 v120, v109, v93
	s_delay_alu instid0(VALU_DEP_1) | instskip(NEXT) | instid1(VALU_DEP_1)
	v_fmac_f32_e32 v120, v110, v94
	v_fmac_f32_e32 v120, v111, v95
	s_waitcnt vmcnt(2)
	s_delay_alu instid0(VALU_DEP_1) | instskip(SKIP_3) | instid1(VALU_DEP_1)
	v_fmac_f32_e32 v120, v112, v96
	ds_load_b128 v[93:96], v2 offset:336
	s_waitcnt lgkmcnt(1)
	v_fmac_f32_e32 v120, v113, v97
	v_fmac_f32_e32 v120, v114, v98
	s_delay_alu instid0(VALU_DEP_1) | instskip(SKIP_1) | instid1(VALU_DEP_1)
	v_fmac_f32_e32 v120, v115, v99
	s_waitcnt vmcnt(1)
	v_fmac_f32_e32 v120, v116, v100
	s_waitcnt lgkmcnt(0)
	s_delay_alu instid0(VALU_DEP_1) | instskip(NEXT) | instid1(VALU_DEP_1)
	v_fmac_f32_e32 v120, v117, v93
	v_fmac_f32_e32 v120, v118, v94
	s_delay_alu instid0(VALU_DEP_1) | instskip(SKIP_1) | instid1(VALU_DEP_1)
	v_fmac_f32_e32 v120, v119, v95
	s_waitcnt vmcnt(0)
	v_fmac_f32_e32 v120, v3, v96
	s_delay_alu instid0(VALU_DEP_1)
	v_sub_f32_e32 v2, v92, v120
	scratch_store_b32 off, v2, off offset:60
	v_cmpx_lt_u32_e32 14, v0
	s_cbranch_execz .LBB107_243
; %bb.242:
	scratch_load_b32 v2, off, off offset:56
	v_mov_b32_e32 v3, 0
	scratch_store_b32 off, v3, off offset:56
	s_waitcnt vmcnt(0)
	ds_store_b32 v1, v2
.LBB107_243:
	s_or_b32 exec_lo, exec_lo, s0
	s_waitcnt lgkmcnt(0)
	s_waitcnt_vscnt null, 0x0
	s_barrier
	buffer_gl0_inv
	s_clause 0x7
	scratch_load_b128 v[92:95], off, off offset:56
	scratch_load_b128 v[96:99], off, off offset:72
	;; [unrolled: 1-line block ×7, first 2 shown]
	scratch_load_b64 v[120:121], off, off offset:168
	v_mov_b32_e32 v2, 0
	ds_load_2addr_b32 v[122:123], v2 offset0:59 offset1:60
	ds_load_2addr_b32 v[124:125], v2 offset0:61 offset1:62
	;; [unrolled: 1-line block ×4, first 2 shown]
	s_mov_b32 s0, exec_lo
	s_waitcnt vmcnt(7) lgkmcnt(3)
	v_fma_f32 v3, v93, v122, 0
	s_delay_alu instid0(VALU_DEP_1) | instskip(SKIP_4) | instid1(VALU_DEP_1)
	v_fmac_f32_e32 v3, v94, v123
	ds_load_2addr_b32 v[93:94], v2 offset0:67 offset1:68
	s_waitcnt lgkmcnt(3)
	v_fmac_f32_e32 v3, v95, v124
	s_waitcnt vmcnt(6)
	v_fmac_f32_e32 v3, v96, v125
	ds_load_2addr_b32 v[95:96], v2 offset0:69 offset1:70
	s_waitcnt lgkmcnt(3)
	v_fmac_f32_e32 v3, v97, v126
	s_delay_alu instid0(VALU_DEP_1) | instskip(SKIP_1) | instid1(VALU_DEP_1)
	v_fmac_f32_e32 v3, v98, v127
	s_waitcnt lgkmcnt(2)
	v_fmac_f32_e32 v3, v99, v128
	s_waitcnt vmcnt(5)
	s_delay_alu instid0(VALU_DEP_1) | instskip(SKIP_4) | instid1(VALU_DEP_1)
	v_fmac_f32_e32 v3, v100, v129
	ds_load_2addr_b32 v[97:98], v2 offset0:71 offset1:72
	ds_load_2addr_b32 v[99:100], v2 offset0:73 offset1:74
	s_waitcnt lgkmcnt(3)
	v_fmac_f32_e32 v3, v101, v93
	v_fmac_f32_e32 v3, v102, v94
	ds_load_2addr_b32 v[93:94], v2 offset0:75 offset1:76
	s_waitcnt lgkmcnt(3)
	v_fmac_f32_e32 v3, v103, v95
	s_waitcnt vmcnt(4)
	s_delay_alu instid0(VALU_DEP_1) | instskip(SKIP_3) | instid1(VALU_DEP_1)
	v_fmac_f32_e32 v3, v104, v96
	ds_load_2addr_b32 v[95:96], v2 offset0:77 offset1:78
	s_waitcnt lgkmcnt(3)
	v_fmac_f32_e32 v3, v105, v97
	v_fmac_f32_e32 v3, v106, v98
	s_waitcnt lgkmcnt(2)
	s_delay_alu instid0(VALU_DEP_1) | instskip(SKIP_1) | instid1(VALU_DEP_1)
	v_fmac_f32_e32 v3, v107, v99
	s_waitcnt vmcnt(3)
	v_fmac_f32_e32 v3, v108, v100
	ds_load_2addr_b32 v[97:98], v2 offset0:79 offset1:80
	ds_load_2addr_b32 v[99:100], v2 offset0:81 offset1:82
	s_waitcnt lgkmcnt(3)
	v_fmac_f32_e32 v3, v109, v93
	s_delay_alu instid0(VALU_DEP_1) | instskip(SKIP_4) | instid1(VALU_DEP_1)
	v_fmac_f32_e32 v3, v110, v94
	ds_load_2addr_b32 v[93:94], v2 offset0:83 offset1:84
	s_waitcnt lgkmcnt(3)
	v_fmac_f32_e32 v3, v111, v95
	s_waitcnt vmcnt(2)
	v_fmac_f32_e32 v3, v112, v96
	ds_load_2addr_b32 v[95:96], v2 offset0:85 offset1:86
	s_waitcnt lgkmcnt(3)
	v_fmac_f32_e32 v3, v113, v97
	ds_load_b32 v97, v2 offset:348
	v_fmac_f32_e32 v3, v114, v98
	s_waitcnt lgkmcnt(3)
	s_delay_alu instid0(VALU_DEP_1) | instskip(SKIP_1) | instid1(VALU_DEP_1)
	v_fmac_f32_e32 v3, v115, v99
	s_waitcnt vmcnt(1)
	v_fmac_f32_e32 v3, v116, v100
	s_waitcnt lgkmcnt(2)
	s_delay_alu instid0(VALU_DEP_1) | instskip(NEXT) | instid1(VALU_DEP_1)
	v_fmac_f32_e32 v3, v117, v93
	v_fmac_f32_e32 v3, v118, v94
	s_waitcnt lgkmcnt(1)
	s_delay_alu instid0(VALU_DEP_1) | instskip(SKIP_1) | instid1(VALU_DEP_1)
	v_fmac_f32_e32 v3, v119, v95
	s_waitcnt vmcnt(0)
	v_fmac_f32_e32 v3, v120, v96
	s_waitcnt lgkmcnt(0)
	s_delay_alu instid0(VALU_DEP_1) | instskip(NEXT) | instid1(VALU_DEP_1)
	v_fmac_f32_e32 v3, v121, v97
	v_sub_f32_e32 v3, v92, v3
	scratch_store_b32 off, v3, off offset:56
	v_cmpx_lt_u32_e32 13, v0
	s_cbranch_execz .LBB107_245
; %bb.244:
	scratch_load_b32 v3, off, off offset:52
	scratch_store_b32 off, v2, off offset:52
	s_waitcnt vmcnt(0)
	ds_store_b32 v1, v3
.LBB107_245:
	s_or_b32 exec_lo, exec_lo, s0
	s_waitcnt lgkmcnt(0)
	s_waitcnt_vscnt null, 0x0
	s_barrier
	buffer_gl0_inv
	s_clause 0x7
	scratch_load_b128 v[92:95], off, off offset:52
	scratch_load_b128 v[96:99], off, off offset:68
	;; [unrolled: 1-line block ×7, first 2 shown]
	scratch_load_b96 v[128:130], off, off offset:164
	ds_load_2addr_b64 v[120:123], v2 offset0:29 offset1:30
	ds_load_2addr_b64 v[124:127], v2 offset0:31 offset1:32
	s_mov_b32 s0, exec_lo
	s_waitcnt vmcnt(7) lgkmcnt(1)
	v_fma_f32 v120, v93, v120, 0
	s_delay_alu instid0(VALU_DEP_1) | instskip(NEXT) | instid1(VALU_DEP_1)
	v_fmac_f32_e32 v120, v94, v121
	v_fmac_f32_e32 v120, v95, v122
	s_waitcnt vmcnt(6)
	s_delay_alu instid0(VALU_DEP_1) | instskip(SKIP_3) | instid1(VALU_DEP_1)
	v_fmac_f32_e32 v120, v96, v123
	ds_load_2addr_b64 v[93:96], v2 offset0:33 offset1:34
	s_waitcnt lgkmcnt(1)
	v_fmac_f32_e32 v120, v97, v124
	v_fmac_f32_e32 v120, v98, v125
	s_delay_alu instid0(VALU_DEP_1) | instskip(SKIP_1) | instid1(VALU_DEP_1)
	v_fmac_f32_e32 v120, v99, v126
	s_waitcnt vmcnt(5)
	v_fmac_f32_e32 v120, v100, v127
	ds_load_2addr_b64 v[97:100], v2 offset0:35 offset1:36
	s_waitcnt lgkmcnt(1)
	v_fmac_f32_e32 v120, v101, v93
	s_delay_alu instid0(VALU_DEP_1) | instskip(NEXT) | instid1(VALU_DEP_1)
	v_fmac_f32_e32 v120, v102, v94
	v_fmac_f32_e32 v120, v103, v95
	s_waitcnt vmcnt(4)
	s_delay_alu instid0(VALU_DEP_1) | instskip(SKIP_3) | instid1(VALU_DEP_1)
	v_fmac_f32_e32 v120, v104, v96
	ds_load_2addr_b64 v[93:96], v2 offset0:37 offset1:38
	s_waitcnt lgkmcnt(1)
	v_fmac_f32_e32 v120, v105, v97
	v_fmac_f32_e32 v120, v106, v98
	s_delay_alu instid0(VALU_DEP_1) | instskip(SKIP_1) | instid1(VALU_DEP_1)
	v_fmac_f32_e32 v120, v107, v99
	s_waitcnt vmcnt(3)
	v_fmac_f32_e32 v120, v108, v100
	ds_load_2addr_b64 v[97:100], v2 offset0:39 offset1:40
	s_waitcnt lgkmcnt(1)
	v_fmac_f32_e32 v120, v109, v93
	s_delay_alu instid0(VALU_DEP_1) | instskip(NEXT) | instid1(VALU_DEP_1)
	v_fmac_f32_e32 v120, v110, v94
	v_fmac_f32_e32 v120, v111, v95
	s_waitcnt vmcnt(2)
	s_delay_alu instid0(VALU_DEP_1) | instskip(SKIP_4) | instid1(VALU_DEP_1)
	v_fmac_f32_e32 v120, v112, v96
	ds_load_2addr_b64 v[93:96], v2 offset0:41 offset1:42
	ds_load_b64 v[2:3], v2 offset:344
	s_waitcnt lgkmcnt(2)
	v_fmac_f32_e32 v120, v113, v97
	v_fmac_f32_e32 v120, v114, v98
	s_delay_alu instid0(VALU_DEP_1) | instskip(SKIP_1) | instid1(VALU_DEP_1)
	v_fmac_f32_e32 v120, v115, v99
	s_waitcnt vmcnt(1)
	v_fmac_f32_e32 v120, v116, v100
	s_waitcnt lgkmcnt(1)
	s_delay_alu instid0(VALU_DEP_1) | instskip(NEXT) | instid1(VALU_DEP_1)
	v_fmac_f32_e32 v120, v117, v93
	v_fmac_f32_e32 v120, v118, v94
	s_delay_alu instid0(VALU_DEP_1) | instskip(SKIP_1) | instid1(VALU_DEP_1)
	v_fmac_f32_e32 v120, v119, v95
	s_waitcnt vmcnt(0)
	v_fmac_f32_e32 v120, v128, v96
	s_waitcnt lgkmcnt(0)
	s_delay_alu instid0(VALU_DEP_1) | instskip(NEXT) | instid1(VALU_DEP_1)
	v_fmac_f32_e32 v120, v129, v2
	v_fmac_f32_e32 v120, v130, v3
	s_delay_alu instid0(VALU_DEP_1)
	v_sub_f32_e32 v2, v92, v120
	scratch_store_b32 off, v2, off offset:52
	v_cmpx_lt_u32_e32 12, v0
	s_cbranch_execz .LBB107_247
; %bb.246:
	scratch_load_b32 v2, off, off offset:48
	v_mov_b32_e32 v3, 0
	scratch_store_b32 off, v3, off offset:48
	s_waitcnt vmcnt(0)
	ds_store_b32 v1, v2
.LBB107_247:
	s_or_b32 exec_lo, exec_lo, s0
	s_waitcnt lgkmcnt(0)
	s_waitcnt_vscnt null, 0x0
	s_barrier
	buffer_gl0_inv
	s_clause 0x7
	scratch_load_b128 v[92:95], off, off offset:48
	scratch_load_b128 v[96:99], off, off offset:64
	;; [unrolled: 1-line block ×8, first 2 shown]
	v_mov_b32_e32 v2, 0
	ds_load_2addr_b32 v[124:125], v2 offset0:57 offset1:58
	ds_load_2addr_b32 v[126:127], v2 offset0:59 offset1:60
	;; [unrolled: 1-line block ×4, first 2 shown]
	s_mov_b32 s0, exec_lo
	s_waitcnt vmcnt(7) lgkmcnt(3)
	v_fma_f32 v3, v93, v124, 0
	s_delay_alu instid0(VALU_DEP_1) | instskip(SKIP_4) | instid1(VALU_DEP_1)
	v_fmac_f32_e32 v3, v94, v125
	ds_load_2addr_b32 v[93:94], v2 offset0:65 offset1:66
	s_waitcnt lgkmcnt(3)
	v_fmac_f32_e32 v3, v95, v126
	s_waitcnt vmcnt(6)
	v_fmac_f32_e32 v3, v96, v127
	ds_load_2addr_b32 v[95:96], v2 offset0:67 offset1:68
	s_waitcnt lgkmcnt(3)
	v_fmac_f32_e32 v3, v97, v128
	s_delay_alu instid0(VALU_DEP_1) | instskip(SKIP_1) | instid1(VALU_DEP_1)
	v_fmac_f32_e32 v3, v98, v129
	s_waitcnt lgkmcnt(2)
	v_fmac_f32_e32 v3, v99, v130
	s_waitcnt vmcnt(5)
	s_delay_alu instid0(VALU_DEP_1) | instskip(SKIP_4) | instid1(VALU_DEP_1)
	v_fmac_f32_e32 v3, v100, v131
	ds_load_2addr_b32 v[97:98], v2 offset0:69 offset1:70
	ds_load_2addr_b32 v[99:100], v2 offset0:71 offset1:72
	s_waitcnt lgkmcnt(3)
	v_fmac_f32_e32 v3, v101, v93
	v_fmac_f32_e32 v3, v102, v94
	ds_load_2addr_b32 v[93:94], v2 offset0:73 offset1:74
	s_waitcnt lgkmcnt(3)
	v_fmac_f32_e32 v3, v103, v95
	s_waitcnt vmcnt(4)
	s_delay_alu instid0(VALU_DEP_1) | instskip(SKIP_3) | instid1(VALU_DEP_1)
	v_fmac_f32_e32 v3, v104, v96
	ds_load_2addr_b32 v[95:96], v2 offset0:75 offset1:76
	s_waitcnt lgkmcnt(3)
	v_fmac_f32_e32 v3, v105, v97
	v_fmac_f32_e32 v3, v106, v98
	s_waitcnt lgkmcnt(2)
	s_delay_alu instid0(VALU_DEP_1) | instskip(SKIP_1) | instid1(VALU_DEP_1)
	v_fmac_f32_e32 v3, v107, v99
	s_waitcnt vmcnt(3)
	v_fmac_f32_e32 v3, v108, v100
	ds_load_2addr_b32 v[97:98], v2 offset0:77 offset1:78
	ds_load_2addr_b32 v[99:100], v2 offset0:79 offset1:80
	s_waitcnt lgkmcnt(3)
	v_fmac_f32_e32 v3, v109, v93
	s_delay_alu instid0(VALU_DEP_1) | instskip(SKIP_4) | instid1(VALU_DEP_1)
	v_fmac_f32_e32 v3, v110, v94
	ds_load_2addr_b32 v[93:94], v2 offset0:81 offset1:82
	s_waitcnt lgkmcnt(3)
	v_fmac_f32_e32 v3, v111, v95
	s_waitcnt vmcnt(2)
	v_fmac_f32_e32 v3, v112, v96
	ds_load_2addr_b32 v[95:96], v2 offset0:83 offset1:84
	s_waitcnt lgkmcnt(3)
	v_fmac_f32_e32 v3, v113, v97
	s_delay_alu instid0(VALU_DEP_1) | instskip(SKIP_1) | instid1(VALU_DEP_1)
	v_fmac_f32_e32 v3, v114, v98
	s_waitcnt lgkmcnt(2)
	v_fmac_f32_e32 v3, v115, v99
	ds_load_2addr_b32 v[97:98], v2 offset0:85 offset1:86
	ds_load_b32 v99, v2 offset:348
	s_waitcnt vmcnt(1)
	v_fmac_f32_e32 v3, v116, v100
	s_waitcnt lgkmcnt(3)
	s_delay_alu instid0(VALU_DEP_1) | instskip(NEXT) | instid1(VALU_DEP_1)
	v_fmac_f32_e32 v3, v117, v93
	v_fmac_f32_e32 v3, v118, v94
	s_waitcnt lgkmcnt(2)
	s_delay_alu instid0(VALU_DEP_1) | instskip(SKIP_1) | instid1(VALU_DEP_1)
	v_fmac_f32_e32 v3, v119, v95
	s_waitcnt vmcnt(0)
	v_fmac_f32_e32 v3, v120, v96
	s_waitcnt lgkmcnt(1)
	s_delay_alu instid0(VALU_DEP_1) | instskip(NEXT) | instid1(VALU_DEP_1)
	v_fmac_f32_e32 v3, v121, v97
	v_fmac_f32_e32 v3, v122, v98
	s_waitcnt lgkmcnt(0)
	s_delay_alu instid0(VALU_DEP_1) | instskip(NEXT) | instid1(VALU_DEP_1)
	v_fmac_f32_e32 v3, v123, v99
	v_sub_f32_e32 v3, v92, v3
	scratch_store_b32 off, v3, off offset:48
	v_cmpx_lt_u32_e32 11, v0
	s_cbranch_execz .LBB107_249
; %bb.248:
	scratch_load_b32 v3, off, off offset:44
	scratch_store_b32 off, v2, off offset:44
	s_waitcnt vmcnt(0)
	ds_store_b32 v1, v3
.LBB107_249:
	s_or_b32 exec_lo, exec_lo, s0
	s_waitcnt lgkmcnt(0)
	s_waitcnt_vscnt null, 0x0
	s_barrier
	buffer_gl0_inv
	s_clause 0x8
	scratch_load_b128 v[92:95], off, off offset:44
	scratch_load_b128 v[96:99], off, off offset:60
	scratch_load_b128 v[100:103], off, off offset:76
	scratch_load_b128 v[104:107], off, off offset:92
	scratch_load_b128 v[108:111], off, off offset:108
	scratch_load_b128 v[112:115], off, off offset:124
	scratch_load_b128 v[116:119], off, off offset:140
	scratch_load_b128 v[120:123], off, off offset:156
	scratch_load_b32 v3, off, off offset:172
	ds_load_b128 v[124:127], v2 offset:224
	ds_load_b128 v[128:131], v2 offset:240
	s_mov_b32 s0, exec_lo
	s_waitcnt vmcnt(8) lgkmcnt(1)
	v_fma_f32 v124, v93, v124, 0
	s_delay_alu instid0(VALU_DEP_1) | instskip(NEXT) | instid1(VALU_DEP_1)
	v_fmac_f32_e32 v124, v94, v125
	v_fmac_f32_e32 v124, v95, v126
	s_waitcnt vmcnt(7)
	s_delay_alu instid0(VALU_DEP_1) | instskip(SKIP_3) | instid1(VALU_DEP_1)
	v_fmac_f32_e32 v124, v96, v127
	ds_load_b128 v[93:96], v2 offset:256
	s_waitcnt lgkmcnt(1)
	v_fmac_f32_e32 v124, v97, v128
	v_fmac_f32_e32 v124, v98, v129
	s_delay_alu instid0(VALU_DEP_1) | instskip(SKIP_1) | instid1(VALU_DEP_1)
	v_fmac_f32_e32 v124, v99, v130
	s_waitcnt vmcnt(6)
	v_fmac_f32_e32 v124, v100, v131
	ds_load_b128 v[97:100], v2 offset:272
	s_waitcnt lgkmcnt(1)
	v_fmac_f32_e32 v124, v101, v93
	s_delay_alu instid0(VALU_DEP_1) | instskip(NEXT) | instid1(VALU_DEP_1)
	v_fmac_f32_e32 v124, v102, v94
	v_fmac_f32_e32 v124, v103, v95
	s_waitcnt vmcnt(5)
	s_delay_alu instid0(VALU_DEP_1) | instskip(SKIP_3) | instid1(VALU_DEP_1)
	v_fmac_f32_e32 v124, v104, v96
	ds_load_b128 v[93:96], v2 offset:288
	s_waitcnt lgkmcnt(1)
	v_fmac_f32_e32 v124, v105, v97
	v_fmac_f32_e32 v124, v106, v98
	s_delay_alu instid0(VALU_DEP_1) | instskip(SKIP_1) | instid1(VALU_DEP_1)
	v_fmac_f32_e32 v124, v107, v99
	s_waitcnt vmcnt(4)
	v_fmac_f32_e32 v124, v108, v100
	ds_load_b128 v[97:100], v2 offset:304
	s_waitcnt lgkmcnt(1)
	v_fmac_f32_e32 v124, v109, v93
	;; [unrolled: 17-line block ×3, first 2 shown]
	s_delay_alu instid0(VALU_DEP_1) | instskip(NEXT) | instid1(VALU_DEP_1)
	v_fmac_f32_e32 v124, v118, v94
	v_fmac_f32_e32 v124, v119, v95
	s_waitcnt vmcnt(1)
	s_delay_alu instid0(VALU_DEP_1) | instskip(SKIP_1) | instid1(VALU_DEP_1)
	v_fmac_f32_e32 v124, v120, v96
	s_waitcnt lgkmcnt(0)
	v_fmac_f32_e32 v124, v121, v97
	s_delay_alu instid0(VALU_DEP_1) | instskip(NEXT) | instid1(VALU_DEP_1)
	v_fmac_f32_e32 v124, v122, v98
	v_fmac_f32_e32 v124, v123, v99
	s_waitcnt vmcnt(0)
	s_delay_alu instid0(VALU_DEP_1) | instskip(NEXT) | instid1(VALU_DEP_1)
	v_fmac_f32_e32 v124, v3, v100
	v_sub_f32_e32 v2, v92, v124
	scratch_store_b32 off, v2, off offset:44
	v_cmpx_lt_u32_e32 10, v0
	s_cbranch_execz .LBB107_251
; %bb.250:
	scratch_load_b32 v2, off, off offset:40
	v_mov_b32_e32 v3, 0
	scratch_store_b32 off, v3, off offset:40
	s_waitcnt vmcnt(0)
	ds_store_b32 v1, v2
.LBB107_251:
	s_or_b32 exec_lo, exec_lo, s0
	s_waitcnt lgkmcnt(0)
	s_waitcnt_vscnt null, 0x0
	s_barrier
	buffer_gl0_inv
	s_clause 0x8
	scratch_load_b128 v[92:95], off, off offset:40
	scratch_load_b128 v[96:99], off, off offset:56
	;; [unrolled: 1-line block ×8, first 2 shown]
	scratch_load_b64 v[124:125], off, off offset:168
	v_mov_b32_e32 v2, 0
	ds_load_2addr_b32 v[126:127], v2 offset0:55 offset1:56
	ds_load_2addr_b32 v[128:129], v2 offset0:57 offset1:58
	;; [unrolled: 1-line block ×4, first 2 shown]
	s_mov_b32 s0, exec_lo
	s_waitcnt vmcnt(8) lgkmcnt(3)
	v_fma_f32 v3, v93, v126, 0
	s_delay_alu instid0(VALU_DEP_1) | instskip(SKIP_4) | instid1(VALU_DEP_1)
	v_fmac_f32_e32 v3, v94, v127
	ds_load_2addr_b32 v[93:94], v2 offset0:63 offset1:64
	s_waitcnt lgkmcnt(3)
	v_fmac_f32_e32 v3, v95, v128
	s_waitcnt vmcnt(7)
	v_fmac_f32_e32 v3, v96, v129
	ds_load_2addr_b32 v[95:96], v2 offset0:65 offset1:66
	s_waitcnt lgkmcnt(3)
	v_fmac_f32_e32 v3, v97, v130
	s_delay_alu instid0(VALU_DEP_1) | instskip(SKIP_1) | instid1(VALU_DEP_1)
	v_fmac_f32_e32 v3, v98, v131
	s_waitcnt lgkmcnt(2)
	v_fmac_f32_e32 v3, v99, v132
	s_waitcnt vmcnt(6)
	s_delay_alu instid0(VALU_DEP_1) | instskip(SKIP_4) | instid1(VALU_DEP_1)
	v_fmac_f32_e32 v3, v100, v133
	ds_load_2addr_b32 v[97:98], v2 offset0:67 offset1:68
	ds_load_2addr_b32 v[99:100], v2 offset0:69 offset1:70
	s_waitcnt lgkmcnt(3)
	v_fmac_f32_e32 v3, v101, v93
	v_fmac_f32_e32 v3, v102, v94
	ds_load_2addr_b32 v[93:94], v2 offset0:71 offset1:72
	s_waitcnt lgkmcnt(3)
	v_fmac_f32_e32 v3, v103, v95
	s_waitcnt vmcnt(5)
	s_delay_alu instid0(VALU_DEP_1) | instskip(SKIP_3) | instid1(VALU_DEP_1)
	v_fmac_f32_e32 v3, v104, v96
	ds_load_2addr_b32 v[95:96], v2 offset0:73 offset1:74
	s_waitcnt lgkmcnt(3)
	v_fmac_f32_e32 v3, v105, v97
	v_fmac_f32_e32 v3, v106, v98
	s_waitcnt lgkmcnt(2)
	s_delay_alu instid0(VALU_DEP_1) | instskip(SKIP_1) | instid1(VALU_DEP_1)
	v_fmac_f32_e32 v3, v107, v99
	s_waitcnt vmcnt(4)
	v_fmac_f32_e32 v3, v108, v100
	ds_load_2addr_b32 v[97:98], v2 offset0:75 offset1:76
	ds_load_2addr_b32 v[99:100], v2 offset0:77 offset1:78
	s_waitcnt lgkmcnt(3)
	v_fmac_f32_e32 v3, v109, v93
	s_delay_alu instid0(VALU_DEP_1) | instskip(SKIP_4) | instid1(VALU_DEP_1)
	v_fmac_f32_e32 v3, v110, v94
	ds_load_2addr_b32 v[93:94], v2 offset0:79 offset1:80
	s_waitcnt lgkmcnt(3)
	v_fmac_f32_e32 v3, v111, v95
	s_waitcnt vmcnt(3)
	v_fmac_f32_e32 v3, v112, v96
	ds_load_2addr_b32 v[95:96], v2 offset0:81 offset1:82
	s_waitcnt lgkmcnt(3)
	v_fmac_f32_e32 v3, v113, v97
	s_delay_alu instid0(VALU_DEP_1) | instskip(SKIP_1) | instid1(VALU_DEP_1)
	v_fmac_f32_e32 v3, v114, v98
	s_waitcnt lgkmcnt(2)
	v_fmac_f32_e32 v3, v115, v99
	s_waitcnt vmcnt(2)
	s_delay_alu instid0(VALU_DEP_1)
	v_fmac_f32_e32 v3, v116, v100
	ds_load_2addr_b32 v[97:98], v2 offset0:83 offset1:84
	ds_load_2addr_b32 v[99:100], v2 offset0:85 offset1:86
	s_waitcnt lgkmcnt(3)
	v_fmac_f32_e32 v3, v117, v93
	ds_load_b32 v93, v2 offset:348
	v_fmac_f32_e32 v3, v118, v94
	s_waitcnt lgkmcnt(3)
	s_delay_alu instid0(VALU_DEP_1) | instskip(SKIP_1) | instid1(VALU_DEP_1)
	v_fmac_f32_e32 v3, v119, v95
	s_waitcnt vmcnt(1)
	v_fmac_f32_e32 v3, v120, v96
	s_waitcnt lgkmcnt(2)
	s_delay_alu instid0(VALU_DEP_1) | instskip(NEXT) | instid1(VALU_DEP_1)
	v_fmac_f32_e32 v3, v121, v97
	v_fmac_f32_e32 v3, v122, v98
	s_waitcnt lgkmcnt(1)
	s_delay_alu instid0(VALU_DEP_1) | instskip(SKIP_1) | instid1(VALU_DEP_1)
	v_fmac_f32_e32 v3, v123, v99
	s_waitcnt vmcnt(0)
	v_fmac_f32_e32 v3, v124, v100
	s_waitcnt lgkmcnt(0)
	s_delay_alu instid0(VALU_DEP_1) | instskip(NEXT) | instid1(VALU_DEP_1)
	v_fmac_f32_e32 v3, v125, v93
	v_sub_f32_e32 v3, v92, v3
	scratch_store_b32 off, v3, off offset:40
	v_cmpx_lt_u32_e32 9, v0
	s_cbranch_execz .LBB107_253
; %bb.252:
	scratch_load_b32 v3, off, off offset:36
	scratch_store_b32 off, v2, off offset:36
	s_waitcnt vmcnt(0)
	ds_store_b32 v1, v3
.LBB107_253:
	s_or_b32 exec_lo, exec_lo, s0
	s_waitcnt lgkmcnt(0)
	s_waitcnt_vscnt null, 0x0
	s_barrier
	buffer_gl0_inv
	s_clause 0x8
	scratch_load_b128 v[92:95], off, off offset:36
	scratch_load_b128 v[96:99], off, off offset:52
	;; [unrolled: 1-line block ×8, first 2 shown]
	scratch_load_b96 v[132:134], off, off offset:164
	ds_load_2addr_b64 v[124:127], v2 offset0:27 offset1:28
	ds_load_2addr_b64 v[128:131], v2 offset0:29 offset1:30
	s_mov_b32 s0, exec_lo
	s_waitcnt vmcnt(8) lgkmcnt(1)
	v_fma_f32 v124, v93, v124, 0
	s_delay_alu instid0(VALU_DEP_1) | instskip(NEXT) | instid1(VALU_DEP_1)
	v_fmac_f32_e32 v124, v94, v125
	v_fmac_f32_e32 v124, v95, v126
	s_waitcnt vmcnt(7)
	s_delay_alu instid0(VALU_DEP_1) | instskip(SKIP_3) | instid1(VALU_DEP_1)
	v_fmac_f32_e32 v124, v96, v127
	ds_load_2addr_b64 v[93:96], v2 offset0:31 offset1:32
	s_waitcnt lgkmcnt(1)
	v_fmac_f32_e32 v124, v97, v128
	v_fmac_f32_e32 v124, v98, v129
	s_delay_alu instid0(VALU_DEP_1) | instskip(SKIP_1) | instid1(VALU_DEP_1)
	v_fmac_f32_e32 v124, v99, v130
	s_waitcnt vmcnt(6)
	v_fmac_f32_e32 v124, v100, v131
	ds_load_2addr_b64 v[97:100], v2 offset0:33 offset1:34
	s_waitcnt lgkmcnt(1)
	v_fmac_f32_e32 v124, v101, v93
	s_delay_alu instid0(VALU_DEP_1) | instskip(NEXT) | instid1(VALU_DEP_1)
	v_fmac_f32_e32 v124, v102, v94
	v_fmac_f32_e32 v124, v103, v95
	s_waitcnt vmcnt(5)
	s_delay_alu instid0(VALU_DEP_1) | instskip(SKIP_3) | instid1(VALU_DEP_1)
	v_fmac_f32_e32 v124, v104, v96
	ds_load_2addr_b64 v[93:96], v2 offset0:35 offset1:36
	s_waitcnt lgkmcnt(1)
	v_fmac_f32_e32 v124, v105, v97
	v_fmac_f32_e32 v124, v106, v98
	s_delay_alu instid0(VALU_DEP_1) | instskip(SKIP_1) | instid1(VALU_DEP_1)
	v_fmac_f32_e32 v124, v107, v99
	s_waitcnt vmcnt(4)
	v_fmac_f32_e32 v124, v108, v100
	ds_load_2addr_b64 v[97:100], v2 offset0:37 offset1:38
	s_waitcnt lgkmcnt(1)
	v_fmac_f32_e32 v124, v109, v93
	s_delay_alu instid0(VALU_DEP_1) | instskip(NEXT) | instid1(VALU_DEP_1)
	v_fmac_f32_e32 v124, v110, v94
	v_fmac_f32_e32 v124, v111, v95
	s_waitcnt vmcnt(3)
	s_delay_alu instid0(VALU_DEP_1) | instskip(SKIP_3) | instid1(VALU_DEP_1)
	v_fmac_f32_e32 v124, v112, v96
	ds_load_2addr_b64 v[93:96], v2 offset0:39 offset1:40
	s_waitcnt lgkmcnt(1)
	v_fmac_f32_e32 v124, v113, v97
	v_fmac_f32_e32 v124, v114, v98
	s_delay_alu instid0(VALU_DEP_1) | instskip(SKIP_1) | instid1(VALU_DEP_1)
	v_fmac_f32_e32 v124, v115, v99
	s_waitcnt vmcnt(2)
	v_fmac_f32_e32 v124, v116, v100
	ds_load_2addr_b64 v[97:100], v2 offset0:41 offset1:42
	ds_load_b64 v[2:3], v2 offset:344
	s_waitcnt lgkmcnt(2)
	v_fmac_f32_e32 v124, v117, v93
	s_delay_alu instid0(VALU_DEP_1) | instskip(NEXT) | instid1(VALU_DEP_1)
	v_fmac_f32_e32 v124, v118, v94
	v_fmac_f32_e32 v124, v119, v95
	s_waitcnt vmcnt(1)
	s_delay_alu instid0(VALU_DEP_1) | instskip(SKIP_1) | instid1(VALU_DEP_1)
	v_fmac_f32_e32 v124, v120, v96
	s_waitcnt lgkmcnt(1)
	v_fmac_f32_e32 v124, v121, v97
	s_delay_alu instid0(VALU_DEP_1) | instskip(NEXT) | instid1(VALU_DEP_1)
	v_fmac_f32_e32 v124, v122, v98
	v_fmac_f32_e32 v124, v123, v99
	s_waitcnt vmcnt(0)
	s_delay_alu instid0(VALU_DEP_1) | instskip(SKIP_1) | instid1(VALU_DEP_1)
	v_fmac_f32_e32 v124, v132, v100
	s_waitcnt lgkmcnt(0)
	v_fmac_f32_e32 v124, v133, v2
	s_delay_alu instid0(VALU_DEP_1) | instskip(NEXT) | instid1(VALU_DEP_1)
	v_fmac_f32_e32 v124, v134, v3
	v_sub_f32_e32 v2, v92, v124
	scratch_store_b32 off, v2, off offset:36
	v_cmpx_lt_u32_e32 8, v0
	s_cbranch_execz .LBB107_255
; %bb.254:
	scratch_load_b32 v2, off, off offset:32
	v_mov_b32_e32 v3, 0
	scratch_store_b32 off, v3, off offset:32
	s_waitcnt vmcnt(0)
	ds_store_b32 v1, v2
.LBB107_255:
	s_or_b32 exec_lo, exec_lo, s0
	s_waitcnt lgkmcnt(0)
	s_waitcnt_vscnt null, 0x0
	s_barrier
	buffer_gl0_inv
	s_clause 0x8
	scratch_load_b128 v[92:95], off, off offset:32
	scratch_load_b128 v[96:99], off, off offset:48
	scratch_load_b128 v[100:103], off, off offset:64
	scratch_load_b128 v[104:107], off, off offset:80
	scratch_load_b128 v[108:111], off, off offset:96
	scratch_load_b128 v[112:115], off, off offset:112
	scratch_load_b128 v[116:119], off, off offset:128
	scratch_load_b128 v[120:123], off, off offset:144
	scratch_load_b128 v[124:127], off, off offset:160
	v_mov_b32_e32 v2, 0
	ds_load_2addr_b32 v[128:129], v2 offset0:53 offset1:54
	ds_load_2addr_b32 v[130:131], v2 offset0:55 offset1:56
	;; [unrolled: 1-line block ×4, first 2 shown]
	s_mov_b32 s0, exec_lo
	s_waitcnt vmcnt(8) lgkmcnt(3)
	v_fma_f32 v3, v93, v128, 0
	s_delay_alu instid0(VALU_DEP_1) | instskip(SKIP_4) | instid1(VALU_DEP_1)
	v_fmac_f32_e32 v3, v94, v129
	ds_load_2addr_b32 v[93:94], v2 offset0:61 offset1:62
	s_waitcnt lgkmcnt(3)
	v_fmac_f32_e32 v3, v95, v130
	s_waitcnt vmcnt(7)
	v_fmac_f32_e32 v3, v96, v131
	ds_load_2addr_b32 v[95:96], v2 offset0:63 offset1:64
	s_waitcnt lgkmcnt(3)
	v_fmac_f32_e32 v3, v97, v132
	s_delay_alu instid0(VALU_DEP_1) | instskip(SKIP_1) | instid1(VALU_DEP_1)
	v_fmac_f32_e32 v3, v98, v133
	s_waitcnt lgkmcnt(2)
	v_fmac_f32_e32 v3, v99, v134
	s_waitcnt vmcnt(6)
	s_delay_alu instid0(VALU_DEP_1) | instskip(SKIP_4) | instid1(VALU_DEP_1)
	v_fmac_f32_e32 v3, v100, v135
	ds_load_2addr_b32 v[97:98], v2 offset0:65 offset1:66
	ds_load_2addr_b32 v[99:100], v2 offset0:67 offset1:68
	s_waitcnt lgkmcnt(3)
	v_fmac_f32_e32 v3, v101, v93
	v_fmac_f32_e32 v3, v102, v94
	ds_load_2addr_b32 v[93:94], v2 offset0:69 offset1:70
	s_waitcnt lgkmcnt(3)
	v_fmac_f32_e32 v3, v103, v95
	s_waitcnt vmcnt(5)
	s_delay_alu instid0(VALU_DEP_1) | instskip(SKIP_3) | instid1(VALU_DEP_1)
	v_fmac_f32_e32 v3, v104, v96
	ds_load_2addr_b32 v[95:96], v2 offset0:71 offset1:72
	s_waitcnt lgkmcnt(3)
	v_fmac_f32_e32 v3, v105, v97
	v_fmac_f32_e32 v3, v106, v98
	s_waitcnt lgkmcnt(2)
	s_delay_alu instid0(VALU_DEP_1) | instskip(SKIP_1) | instid1(VALU_DEP_1)
	v_fmac_f32_e32 v3, v107, v99
	s_waitcnt vmcnt(4)
	v_fmac_f32_e32 v3, v108, v100
	ds_load_2addr_b32 v[97:98], v2 offset0:73 offset1:74
	ds_load_2addr_b32 v[99:100], v2 offset0:75 offset1:76
	s_waitcnt lgkmcnt(3)
	v_fmac_f32_e32 v3, v109, v93
	s_delay_alu instid0(VALU_DEP_1) | instskip(SKIP_4) | instid1(VALU_DEP_1)
	v_fmac_f32_e32 v3, v110, v94
	ds_load_2addr_b32 v[93:94], v2 offset0:77 offset1:78
	s_waitcnt lgkmcnt(3)
	v_fmac_f32_e32 v3, v111, v95
	s_waitcnt vmcnt(3)
	v_fmac_f32_e32 v3, v112, v96
	ds_load_2addr_b32 v[95:96], v2 offset0:79 offset1:80
	s_waitcnt lgkmcnt(3)
	v_fmac_f32_e32 v3, v113, v97
	s_delay_alu instid0(VALU_DEP_1) | instskip(SKIP_1) | instid1(VALU_DEP_1)
	v_fmac_f32_e32 v3, v114, v98
	s_waitcnt lgkmcnt(2)
	v_fmac_f32_e32 v3, v115, v99
	s_waitcnt vmcnt(2)
	s_delay_alu instid0(VALU_DEP_1) | instskip(SKIP_4) | instid1(VALU_DEP_1)
	v_fmac_f32_e32 v3, v116, v100
	ds_load_2addr_b32 v[97:98], v2 offset0:81 offset1:82
	ds_load_2addr_b32 v[99:100], v2 offset0:83 offset1:84
	s_waitcnt lgkmcnt(3)
	v_fmac_f32_e32 v3, v117, v93
	v_fmac_f32_e32 v3, v118, v94
	ds_load_2addr_b32 v[93:94], v2 offset0:85 offset1:86
	s_waitcnt lgkmcnt(3)
	v_fmac_f32_e32 v3, v119, v95
	ds_load_b32 v95, v2 offset:348
	s_waitcnt vmcnt(1)
	v_fmac_f32_e32 v3, v120, v96
	s_waitcnt lgkmcnt(3)
	s_delay_alu instid0(VALU_DEP_1) | instskip(NEXT) | instid1(VALU_DEP_1)
	v_fmac_f32_e32 v3, v121, v97
	v_fmac_f32_e32 v3, v122, v98
	s_waitcnt lgkmcnt(2)
	s_delay_alu instid0(VALU_DEP_1) | instskip(SKIP_1) | instid1(VALU_DEP_1)
	v_fmac_f32_e32 v3, v123, v99
	s_waitcnt vmcnt(0)
	v_fmac_f32_e32 v3, v124, v100
	s_waitcnt lgkmcnt(1)
	s_delay_alu instid0(VALU_DEP_1) | instskip(NEXT) | instid1(VALU_DEP_1)
	v_fmac_f32_e32 v3, v125, v93
	v_fmac_f32_e32 v3, v126, v94
	s_waitcnt lgkmcnt(0)
	s_delay_alu instid0(VALU_DEP_1) | instskip(NEXT) | instid1(VALU_DEP_1)
	v_fmac_f32_e32 v3, v127, v95
	v_sub_f32_e32 v3, v92, v3
	scratch_store_b32 off, v3, off offset:32
	v_cmpx_lt_u32_e32 7, v0
	s_cbranch_execz .LBB107_257
; %bb.256:
	scratch_load_b32 v3, off, off offset:28
	scratch_store_b32 off, v2, off offset:28
	s_waitcnt vmcnt(0)
	ds_store_b32 v1, v3
.LBB107_257:
	s_or_b32 exec_lo, exec_lo, s0
	s_waitcnt lgkmcnt(0)
	s_waitcnt_vscnt null, 0x0
	s_barrier
	buffer_gl0_inv
	s_clause 0x9
	scratch_load_b128 v[92:95], off, off offset:28
	scratch_load_b128 v[96:99], off, off offset:44
	;; [unrolled: 1-line block ×9, first 2 shown]
	scratch_load_b32 v3, off, off offset:172
	ds_load_b128 v[128:131], v2 offset:208
	ds_load_b128 v[132:135], v2 offset:224
	s_mov_b32 s0, exec_lo
	s_waitcnt vmcnt(9) lgkmcnt(1)
	v_fma_f32 v128, v93, v128, 0
	s_delay_alu instid0(VALU_DEP_1) | instskip(NEXT) | instid1(VALU_DEP_1)
	v_fmac_f32_e32 v128, v94, v129
	v_fmac_f32_e32 v128, v95, v130
	s_waitcnt vmcnt(8)
	s_delay_alu instid0(VALU_DEP_1) | instskip(SKIP_3) | instid1(VALU_DEP_1)
	v_fmac_f32_e32 v128, v96, v131
	ds_load_b128 v[93:96], v2 offset:240
	s_waitcnt lgkmcnt(1)
	v_fmac_f32_e32 v128, v97, v132
	v_fmac_f32_e32 v128, v98, v133
	s_delay_alu instid0(VALU_DEP_1) | instskip(SKIP_1) | instid1(VALU_DEP_1)
	v_fmac_f32_e32 v128, v99, v134
	s_waitcnt vmcnt(7)
	v_fmac_f32_e32 v128, v100, v135
	ds_load_b128 v[97:100], v2 offset:256
	s_waitcnt lgkmcnt(1)
	v_fmac_f32_e32 v128, v101, v93
	s_delay_alu instid0(VALU_DEP_1) | instskip(NEXT) | instid1(VALU_DEP_1)
	v_fmac_f32_e32 v128, v102, v94
	v_fmac_f32_e32 v128, v103, v95
	s_waitcnt vmcnt(6)
	s_delay_alu instid0(VALU_DEP_1) | instskip(SKIP_3) | instid1(VALU_DEP_1)
	v_fmac_f32_e32 v128, v104, v96
	ds_load_b128 v[93:96], v2 offset:272
	s_waitcnt lgkmcnt(1)
	v_fmac_f32_e32 v128, v105, v97
	v_fmac_f32_e32 v128, v106, v98
	s_delay_alu instid0(VALU_DEP_1) | instskip(SKIP_1) | instid1(VALU_DEP_1)
	v_fmac_f32_e32 v128, v107, v99
	s_waitcnt vmcnt(5)
	v_fmac_f32_e32 v128, v108, v100
	ds_load_b128 v[97:100], v2 offset:288
	s_waitcnt lgkmcnt(1)
	v_fmac_f32_e32 v128, v109, v93
	s_delay_alu instid0(VALU_DEP_1) | instskip(NEXT) | instid1(VALU_DEP_1)
	v_fmac_f32_e32 v128, v110, v94
	v_fmac_f32_e32 v128, v111, v95
	s_waitcnt vmcnt(4)
	s_delay_alu instid0(VALU_DEP_1) | instskip(SKIP_3) | instid1(VALU_DEP_1)
	v_fmac_f32_e32 v128, v112, v96
	ds_load_b128 v[93:96], v2 offset:304
	s_waitcnt lgkmcnt(1)
	v_fmac_f32_e32 v128, v113, v97
	v_fmac_f32_e32 v128, v114, v98
	s_delay_alu instid0(VALU_DEP_1) | instskip(SKIP_1) | instid1(VALU_DEP_1)
	v_fmac_f32_e32 v128, v115, v99
	s_waitcnt vmcnt(3)
	v_fmac_f32_e32 v128, v116, v100
	ds_load_b128 v[97:100], v2 offset:320
	s_waitcnt lgkmcnt(1)
	v_fmac_f32_e32 v128, v117, v93
	s_delay_alu instid0(VALU_DEP_1) | instskip(NEXT) | instid1(VALU_DEP_1)
	v_fmac_f32_e32 v128, v118, v94
	v_fmac_f32_e32 v128, v119, v95
	s_waitcnt vmcnt(2)
	s_delay_alu instid0(VALU_DEP_1) | instskip(SKIP_3) | instid1(VALU_DEP_1)
	v_fmac_f32_e32 v128, v120, v96
	ds_load_b128 v[93:96], v2 offset:336
	s_waitcnt lgkmcnt(1)
	v_fmac_f32_e32 v128, v121, v97
	v_fmac_f32_e32 v128, v122, v98
	s_delay_alu instid0(VALU_DEP_1) | instskip(SKIP_1) | instid1(VALU_DEP_1)
	v_fmac_f32_e32 v128, v123, v99
	s_waitcnt vmcnt(1)
	v_fmac_f32_e32 v128, v124, v100
	s_waitcnt lgkmcnt(0)
	s_delay_alu instid0(VALU_DEP_1) | instskip(NEXT) | instid1(VALU_DEP_1)
	v_fmac_f32_e32 v128, v125, v93
	v_fmac_f32_e32 v128, v126, v94
	s_delay_alu instid0(VALU_DEP_1) | instskip(SKIP_1) | instid1(VALU_DEP_1)
	v_fmac_f32_e32 v128, v127, v95
	s_waitcnt vmcnt(0)
	v_fmac_f32_e32 v128, v3, v96
	s_delay_alu instid0(VALU_DEP_1)
	v_sub_f32_e32 v2, v92, v128
	scratch_store_b32 off, v2, off offset:28
	v_cmpx_lt_u32_e32 6, v0
	s_cbranch_execz .LBB107_259
; %bb.258:
	scratch_load_b32 v2, off, off offset:24
	v_mov_b32_e32 v3, 0
	scratch_store_b32 off, v3, off offset:24
	s_waitcnt vmcnt(0)
	ds_store_b32 v1, v2
.LBB107_259:
	s_or_b32 exec_lo, exec_lo, s0
	s_waitcnt lgkmcnt(0)
	s_waitcnt_vscnt null, 0x0
	s_barrier
	buffer_gl0_inv
	s_clause 0x9
	scratch_load_b128 v[92:95], off, off offset:24
	scratch_load_b128 v[96:99], off, off offset:40
	;; [unrolled: 1-line block ×9, first 2 shown]
	scratch_load_b64 v[128:129], off, off offset:168
	v_mov_b32_e32 v2, 0
	ds_load_2addr_b32 v[130:131], v2 offset0:51 offset1:52
	ds_load_2addr_b32 v[132:133], v2 offset0:53 offset1:54
	;; [unrolled: 1-line block ×4, first 2 shown]
	s_mov_b32 s0, exec_lo
	s_waitcnt vmcnt(9) lgkmcnt(3)
	v_fma_f32 v3, v93, v130, 0
	s_delay_alu instid0(VALU_DEP_1) | instskip(SKIP_4) | instid1(VALU_DEP_1)
	v_fmac_f32_e32 v3, v94, v131
	ds_load_2addr_b32 v[93:94], v2 offset0:59 offset1:60
	s_waitcnt lgkmcnt(3)
	v_fmac_f32_e32 v3, v95, v132
	s_waitcnt vmcnt(8)
	v_fmac_f32_e32 v3, v96, v133
	ds_load_2addr_b32 v[95:96], v2 offset0:61 offset1:62
	s_waitcnt lgkmcnt(3)
	v_fmac_f32_e32 v3, v97, v134
	s_delay_alu instid0(VALU_DEP_1) | instskip(SKIP_1) | instid1(VALU_DEP_1)
	v_fmac_f32_e32 v3, v98, v135
	s_waitcnt lgkmcnt(2)
	v_fmac_f32_e32 v3, v99, v136
	s_waitcnt vmcnt(7)
	s_delay_alu instid0(VALU_DEP_1) | instskip(SKIP_4) | instid1(VALU_DEP_1)
	v_fmac_f32_e32 v3, v100, v137
	ds_load_2addr_b32 v[97:98], v2 offset0:63 offset1:64
	ds_load_2addr_b32 v[99:100], v2 offset0:65 offset1:66
	s_waitcnt lgkmcnt(3)
	v_fmac_f32_e32 v3, v101, v93
	v_fmac_f32_e32 v3, v102, v94
	ds_load_2addr_b32 v[93:94], v2 offset0:67 offset1:68
	s_waitcnt lgkmcnt(3)
	v_fmac_f32_e32 v3, v103, v95
	s_waitcnt vmcnt(6)
	s_delay_alu instid0(VALU_DEP_1) | instskip(SKIP_3) | instid1(VALU_DEP_1)
	v_fmac_f32_e32 v3, v104, v96
	ds_load_2addr_b32 v[95:96], v2 offset0:69 offset1:70
	s_waitcnt lgkmcnt(3)
	v_fmac_f32_e32 v3, v105, v97
	v_fmac_f32_e32 v3, v106, v98
	s_waitcnt lgkmcnt(2)
	s_delay_alu instid0(VALU_DEP_1) | instskip(SKIP_1) | instid1(VALU_DEP_1)
	v_fmac_f32_e32 v3, v107, v99
	s_waitcnt vmcnt(5)
	v_fmac_f32_e32 v3, v108, v100
	ds_load_2addr_b32 v[97:98], v2 offset0:71 offset1:72
	ds_load_2addr_b32 v[99:100], v2 offset0:73 offset1:74
	s_waitcnt lgkmcnt(3)
	v_fmac_f32_e32 v3, v109, v93
	s_delay_alu instid0(VALU_DEP_1) | instskip(SKIP_4) | instid1(VALU_DEP_1)
	v_fmac_f32_e32 v3, v110, v94
	ds_load_2addr_b32 v[93:94], v2 offset0:75 offset1:76
	s_waitcnt lgkmcnt(3)
	v_fmac_f32_e32 v3, v111, v95
	s_waitcnt vmcnt(4)
	v_fmac_f32_e32 v3, v112, v96
	ds_load_2addr_b32 v[95:96], v2 offset0:77 offset1:78
	s_waitcnt lgkmcnt(3)
	v_fmac_f32_e32 v3, v113, v97
	s_delay_alu instid0(VALU_DEP_1) | instskip(SKIP_1) | instid1(VALU_DEP_1)
	v_fmac_f32_e32 v3, v114, v98
	s_waitcnt lgkmcnt(2)
	v_fmac_f32_e32 v3, v115, v99
	s_waitcnt vmcnt(3)
	s_delay_alu instid0(VALU_DEP_1) | instskip(SKIP_4) | instid1(VALU_DEP_1)
	v_fmac_f32_e32 v3, v116, v100
	ds_load_2addr_b32 v[97:98], v2 offset0:79 offset1:80
	ds_load_2addr_b32 v[99:100], v2 offset0:81 offset1:82
	s_waitcnt lgkmcnt(3)
	v_fmac_f32_e32 v3, v117, v93
	v_fmac_f32_e32 v3, v118, v94
	ds_load_2addr_b32 v[93:94], v2 offset0:83 offset1:84
	s_waitcnt lgkmcnt(3)
	v_fmac_f32_e32 v3, v119, v95
	s_waitcnt vmcnt(2)
	s_delay_alu instid0(VALU_DEP_1)
	v_fmac_f32_e32 v3, v120, v96
	ds_load_2addr_b32 v[95:96], v2 offset0:85 offset1:86
	s_waitcnt lgkmcnt(3)
	v_fmac_f32_e32 v3, v121, v97
	ds_load_b32 v97, v2 offset:348
	v_fmac_f32_e32 v3, v122, v98
	s_waitcnt lgkmcnt(3)
	s_delay_alu instid0(VALU_DEP_1) | instskip(SKIP_1) | instid1(VALU_DEP_1)
	v_fmac_f32_e32 v3, v123, v99
	s_waitcnt vmcnt(1)
	v_fmac_f32_e32 v3, v124, v100
	s_waitcnt lgkmcnt(2)
	s_delay_alu instid0(VALU_DEP_1) | instskip(NEXT) | instid1(VALU_DEP_1)
	v_fmac_f32_e32 v3, v125, v93
	v_fmac_f32_e32 v3, v126, v94
	s_waitcnt lgkmcnt(1)
	s_delay_alu instid0(VALU_DEP_1) | instskip(SKIP_1) | instid1(VALU_DEP_1)
	v_fmac_f32_e32 v3, v127, v95
	s_waitcnt vmcnt(0)
	v_fmac_f32_e32 v3, v128, v96
	s_waitcnt lgkmcnt(0)
	s_delay_alu instid0(VALU_DEP_1) | instskip(NEXT) | instid1(VALU_DEP_1)
	v_fmac_f32_e32 v3, v129, v97
	v_sub_f32_e32 v3, v92, v3
	scratch_store_b32 off, v3, off offset:24
	v_cmpx_lt_u32_e32 5, v0
	s_cbranch_execz .LBB107_261
; %bb.260:
	scratch_load_b32 v3, off, off offset:20
	scratch_store_b32 off, v2, off offset:20
	s_waitcnt vmcnt(0)
	ds_store_b32 v1, v3
.LBB107_261:
	s_or_b32 exec_lo, exec_lo, s0
	s_waitcnt lgkmcnt(0)
	s_waitcnt_vscnt null, 0x0
	s_barrier
	buffer_gl0_inv
	s_clause 0x9
	scratch_load_b128 v[92:95], off, off offset:20
	scratch_load_b128 v[96:99], off, off offset:36
	;; [unrolled: 1-line block ×9, first 2 shown]
	scratch_load_b96 v[136:138], off, off offset:164
	ds_load_2addr_b64 v[128:131], v2 offset0:25 offset1:26
	ds_load_2addr_b64 v[132:135], v2 offset0:27 offset1:28
	s_mov_b32 s0, exec_lo
	s_waitcnt vmcnt(9) lgkmcnt(1)
	v_fma_f32 v128, v93, v128, 0
	s_delay_alu instid0(VALU_DEP_1) | instskip(NEXT) | instid1(VALU_DEP_1)
	v_fmac_f32_e32 v128, v94, v129
	v_fmac_f32_e32 v128, v95, v130
	s_waitcnt vmcnt(8)
	s_delay_alu instid0(VALU_DEP_1) | instskip(SKIP_3) | instid1(VALU_DEP_1)
	v_fmac_f32_e32 v128, v96, v131
	ds_load_2addr_b64 v[93:96], v2 offset0:29 offset1:30
	s_waitcnt lgkmcnt(1)
	v_fmac_f32_e32 v128, v97, v132
	v_fmac_f32_e32 v128, v98, v133
	s_delay_alu instid0(VALU_DEP_1) | instskip(SKIP_1) | instid1(VALU_DEP_1)
	v_fmac_f32_e32 v128, v99, v134
	s_waitcnt vmcnt(7)
	v_fmac_f32_e32 v128, v100, v135
	ds_load_2addr_b64 v[97:100], v2 offset0:31 offset1:32
	s_waitcnt lgkmcnt(1)
	v_fmac_f32_e32 v128, v101, v93
	s_delay_alu instid0(VALU_DEP_1) | instskip(NEXT) | instid1(VALU_DEP_1)
	v_fmac_f32_e32 v128, v102, v94
	v_fmac_f32_e32 v128, v103, v95
	s_waitcnt vmcnt(6)
	s_delay_alu instid0(VALU_DEP_1) | instskip(SKIP_3) | instid1(VALU_DEP_1)
	v_fmac_f32_e32 v128, v104, v96
	ds_load_2addr_b64 v[93:96], v2 offset0:33 offset1:34
	s_waitcnt lgkmcnt(1)
	v_fmac_f32_e32 v128, v105, v97
	v_fmac_f32_e32 v128, v106, v98
	s_delay_alu instid0(VALU_DEP_1) | instskip(SKIP_1) | instid1(VALU_DEP_1)
	v_fmac_f32_e32 v128, v107, v99
	s_waitcnt vmcnt(5)
	v_fmac_f32_e32 v128, v108, v100
	ds_load_2addr_b64 v[97:100], v2 offset0:35 offset1:36
	s_waitcnt lgkmcnt(1)
	v_fmac_f32_e32 v128, v109, v93
	;; [unrolled: 17-line block ×3, first 2 shown]
	s_delay_alu instid0(VALU_DEP_1) | instskip(NEXT) | instid1(VALU_DEP_1)
	v_fmac_f32_e32 v128, v118, v94
	v_fmac_f32_e32 v128, v119, v95
	s_waitcnt vmcnt(2)
	s_delay_alu instid0(VALU_DEP_1) | instskip(SKIP_4) | instid1(VALU_DEP_1)
	v_fmac_f32_e32 v128, v120, v96
	ds_load_2addr_b64 v[93:96], v2 offset0:41 offset1:42
	ds_load_b64 v[2:3], v2 offset:344
	s_waitcnt lgkmcnt(2)
	v_fmac_f32_e32 v128, v121, v97
	v_fmac_f32_e32 v128, v122, v98
	s_delay_alu instid0(VALU_DEP_1) | instskip(SKIP_1) | instid1(VALU_DEP_1)
	v_fmac_f32_e32 v128, v123, v99
	s_waitcnt vmcnt(1)
	v_fmac_f32_e32 v128, v124, v100
	s_waitcnt lgkmcnt(1)
	s_delay_alu instid0(VALU_DEP_1) | instskip(NEXT) | instid1(VALU_DEP_1)
	v_fmac_f32_e32 v128, v125, v93
	v_fmac_f32_e32 v128, v126, v94
	s_delay_alu instid0(VALU_DEP_1) | instskip(SKIP_1) | instid1(VALU_DEP_1)
	v_fmac_f32_e32 v128, v127, v95
	s_waitcnt vmcnt(0)
	v_fmac_f32_e32 v128, v136, v96
	s_waitcnt lgkmcnt(0)
	s_delay_alu instid0(VALU_DEP_1) | instskip(NEXT) | instid1(VALU_DEP_1)
	v_fmac_f32_e32 v128, v137, v2
	v_fmac_f32_e32 v128, v138, v3
	s_delay_alu instid0(VALU_DEP_1)
	v_sub_f32_e32 v2, v92, v128
	scratch_store_b32 off, v2, off offset:20
	v_cmpx_lt_u32_e32 4, v0
	s_cbranch_execz .LBB107_263
; %bb.262:
	scratch_load_b32 v2, off, off offset:16
	v_mov_b32_e32 v3, 0
	scratch_store_b32 off, v3, off offset:16
	s_waitcnt vmcnt(0)
	ds_store_b32 v1, v2
.LBB107_263:
	s_or_b32 exec_lo, exec_lo, s0
	s_waitcnt lgkmcnt(0)
	s_waitcnt_vscnt null, 0x0
	s_barrier
	buffer_gl0_inv
	s_clause 0x9
	scratch_load_b128 v[92:95], off, off offset:16
	scratch_load_b128 v[96:99], off, off offset:32
	;; [unrolled: 1-line block ×10, first 2 shown]
	v_mov_b32_e32 v2, 0
	ds_load_2addr_b32 v[132:133], v2 offset0:49 offset1:50
	ds_load_2addr_b32 v[134:135], v2 offset0:51 offset1:52
	ds_load_2addr_b32 v[136:137], v2 offset0:53 offset1:54
	ds_load_2addr_b32 v[138:139], v2 offset0:55 offset1:56
	s_mov_b32 s0, exec_lo
	s_waitcnt vmcnt(9) lgkmcnt(3)
	v_fma_f32 v3, v93, v132, 0
	s_delay_alu instid0(VALU_DEP_1) | instskip(SKIP_4) | instid1(VALU_DEP_1)
	v_fmac_f32_e32 v3, v94, v133
	ds_load_2addr_b32 v[93:94], v2 offset0:57 offset1:58
	s_waitcnt lgkmcnt(3)
	v_fmac_f32_e32 v3, v95, v134
	s_waitcnt vmcnt(8)
	v_fmac_f32_e32 v3, v96, v135
	ds_load_2addr_b32 v[95:96], v2 offset0:59 offset1:60
	s_waitcnt lgkmcnt(3)
	v_fmac_f32_e32 v3, v97, v136
	s_delay_alu instid0(VALU_DEP_1) | instskip(SKIP_1) | instid1(VALU_DEP_1)
	v_fmac_f32_e32 v3, v98, v137
	s_waitcnt lgkmcnt(2)
	v_fmac_f32_e32 v3, v99, v138
	s_waitcnt vmcnt(7)
	s_delay_alu instid0(VALU_DEP_1) | instskip(SKIP_4) | instid1(VALU_DEP_1)
	v_fmac_f32_e32 v3, v100, v139
	ds_load_2addr_b32 v[97:98], v2 offset0:61 offset1:62
	ds_load_2addr_b32 v[99:100], v2 offset0:63 offset1:64
	s_waitcnt lgkmcnt(3)
	v_fmac_f32_e32 v3, v101, v93
	v_fmac_f32_e32 v3, v102, v94
	ds_load_2addr_b32 v[93:94], v2 offset0:65 offset1:66
	s_waitcnt lgkmcnt(3)
	v_fmac_f32_e32 v3, v103, v95
	s_waitcnt vmcnt(6)
	s_delay_alu instid0(VALU_DEP_1) | instskip(SKIP_3) | instid1(VALU_DEP_1)
	v_fmac_f32_e32 v3, v104, v96
	ds_load_2addr_b32 v[95:96], v2 offset0:67 offset1:68
	s_waitcnt lgkmcnt(3)
	v_fmac_f32_e32 v3, v105, v97
	v_fmac_f32_e32 v3, v106, v98
	s_waitcnt lgkmcnt(2)
	s_delay_alu instid0(VALU_DEP_1) | instskip(SKIP_1) | instid1(VALU_DEP_1)
	v_fmac_f32_e32 v3, v107, v99
	s_waitcnt vmcnt(5)
	v_fmac_f32_e32 v3, v108, v100
	ds_load_2addr_b32 v[97:98], v2 offset0:69 offset1:70
	ds_load_2addr_b32 v[99:100], v2 offset0:71 offset1:72
	s_waitcnt lgkmcnt(3)
	v_fmac_f32_e32 v3, v109, v93
	s_delay_alu instid0(VALU_DEP_1) | instskip(SKIP_4) | instid1(VALU_DEP_1)
	v_fmac_f32_e32 v3, v110, v94
	ds_load_2addr_b32 v[93:94], v2 offset0:73 offset1:74
	s_waitcnt lgkmcnt(3)
	v_fmac_f32_e32 v3, v111, v95
	s_waitcnt vmcnt(4)
	v_fmac_f32_e32 v3, v112, v96
	ds_load_2addr_b32 v[95:96], v2 offset0:75 offset1:76
	s_waitcnt lgkmcnt(3)
	v_fmac_f32_e32 v3, v113, v97
	s_delay_alu instid0(VALU_DEP_1) | instskip(SKIP_1) | instid1(VALU_DEP_1)
	v_fmac_f32_e32 v3, v114, v98
	s_waitcnt lgkmcnt(2)
	v_fmac_f32_e32 v3, v115, v99
	s_waitcnt vmcnt(3)
	s_delay_alu instid0(VALU_DEP_1) | instskip(SKIP_4) | instid1(VALU_DEP_1)
	v_fmac_f32_e32 v3, v116, v100
	ds_load_2addr_b32 v[97:98], v2 offset0:77 offset1:78
	ds_load_2addr_b32 v[99:100], v2 offset0:79 offset1:80
	s_waitcnt lgkmcnt(3)
	v_fmac_f32_e32 v3, v117, v93
	v_fmac_f32_e32 v3, v118, v94
	ds_load_2addr_b32 v[93:94], v2 offset0:81 offset1:82
	s_waitcnt lgkmcnt(3)
	v_fmac_f32_e32 v3, v119, v95
	s_waitcnt vmcnt(2)
	s_delay_alu instid0(VALU_DEP_1) | instskip(SKIP_3) | instid1(VALU_DEP_1)
	v_fmac_f32_e32 v3, v120, v96
	ds_load_2addr_b32 v[95:96], v2 offset0:83 offset1:84
	s_waitcnt lgkmcnt(3)
	v_fmac_f32_e32 v3, v121, v97
	v_fmac_f32_e32 v3, v122, v98
	s_waitcnt lgkmcnt(2)
	s_delay_alu instid0(VALU_DEP_1)
	v_fmac_f32_e32 v3, v123, v99
	ds_load_2addr_b32 v[97:98], v2 offset0:85 offset1:86
	ds_load_b32 v99, v2 offset:348
	s_waitcnt vmcnt(1)
	v_fmac_f32_e32 v3, v124, v100
	s_waitcnt lgkmcnt(3)
	s_delay_alu instid0(VALU_DEP_1) | instskip(NEXT) | instid1(VALU_DEP_1)
	v_fmac_f32_e32 v3, v125, v93
	v_fmac_f32_e32 v3, v126, v94
	s_waitcnt lgkmcnt(2)
	s_delay_alu instid0(VALU_DEP_1) | instskip(SKIP_1) | instid1(VALU_DEP_1)
	v_fmac_f32_e32 v3, v127, v95
	s_waitcnt vmcnt(0)
	v_fmac_f32_e32 v3, v128, v96
	s_waitcnt lgkmcnt(1)
	s_delay_alu instid0(VALU_DEP_1) | instskip(NEXT) | instid1(VALU_DEP_1)
	v_fmac_f32_e32 v3, v129, v97
	v_fmac_f32_e32 v3, v130, v98
	s_waitcnt lgkmcnt(0)
	s_delay_alu instid0(VALU_DEP_1) | instskip(NEXT) | instid1(VALU_DEP_1)
	v_fmac_f32_e32 v3, v131, v99
	v_sub_f32_e32 v3, v92, v3
	scratch_store_b32 off, v3, off offset:16
	v_cmpx_lt_u32_e32 3, v0
	s_cbranch_execz .LBB107_265
; %bb.264:
	scratch_load_b32 v3, off, off offset:12
	scratch_store_b32 off, v2, off offset:12
	s_waitcnt vmcnt(0)
	ds_store_b32 v1, v3
.LBB107_265:
	s_or_b32 exec_lo, exec_lo, s0
	s_waitcnt lgkmcnt(0)
	s_waitcnt_vscnt null, 0x0
	s_barrier
	buffer_gl0_inv
	s_clause 0xa
	scratch_load_b128 v[92:95], off, off offset:12
	scratch_load_b128 v[96:99], off, off offset:28
	;; [unrolled: 1-line block ×10, first 2 shown]
	scratch_load_b32 v3, off, off offset:172
	ds_load_b128 v[132:135], v2 offset:192
	ds_load_b128 v[136:139], v2 offset:208
	s_mov_b32 s0, exec_lo
	s_waitcnt vmcnt(10) lgkmcnt(1)
	v_fma_f32 v132, v93, v132, 0
	s_delay_alu instid0(VALU_DEP_1) | instskip(NEXT) | instid1(VALU_DEP_1)
	v_fmac_f32_e32 v132, v94, v133
	v_fmac_f32_e32 v132, v95, v134
	s_waitcnt vmcnt(9)
	s_delay_alu instid0(VALU_DEP_1) | instskip(SKIP_3) | instid1(VALU_DEP_1)
	v_fmac_f32_e32 v132, v96, v135
	ds_load_b128 v[93:96], v2 offset:224
	s_waitcnt lgkmcnt(1)
	v_fmac_f32_e32 v132, v97, v136
	v_fmac_f32_e32 v132, v98, v137
	s_delay_alu instid0(VALU_DEP_1) | instskip(SKIP_1) | instid1(VALU_DEP_1)
	v_fmac_f32_e32 v132, v99, v138
	s_waitcnt vmcnt(8)
	v_fmac_f32_e32 v132, v100, v139
	ds_load_b128 v[97:100], v2 offset:240
	s_waitcnt lgkmcnt(1)
	v_fmac_f32_e32 v132, v101, v93
	s_delay_alu instid0(VALU_DEP_1) | instskip(NEXT) | instid1(VALU_DEP_1)
	v_fmac_f32_e32 v132, v102, v94
	v_fmac_f32_e32 v132, v103, v95
	s_waitcnt vmcnt(7)
	s_delay_alu instid0(VALU_DEP_1) | instskip(SKIP_3) | instid1(VALU_DEP_1)
	v_fmac_f32_e32 v132, v104, v96
	ds_load_b128 v[93:96], v2 offset:256
	s_waitcnt lgkmcnt(1)
	v_fmac_f32_e32 v132, v105, v97
	v_fmac_f32_e32 v132, v106, v98
	s_delay_alu instid0(VALU_DEP_1) | instskip(SKIP_1) | instid1(VALU_DEP_1)
	v_fmac_f32_e32 v132, v107, v99
	s_waitcnt vmcnt(6)
	v_fmac_f32_e32 v132, v108, v100
	ds_load_b128 v[97:100], v2 offset:272
	s_waitcnt lgkmcnt(1)
	v_fmac_f32_e32 v132, v109, v93
	;; [unrolled: 17-line block ×4, first 2 shown]
	s_delay_alu instid0(VALU_DEP_1) | instskip(NEXT) | instid1(VALU_DEP_1)
	v_fmac_f32_e32 v132, v126, v94
	v_fmac_f32_e32 v132, v127, v95
	s_waitcnt vmcnt(1)
	s_delay_alu instid0(VALU_DEP_1) | instskip(SKIP_1) | instid1(VALU_DEP_1)
	v_fmac_f32_e32 v132, v128, v96
	s_waitcnt lgkmcnt(0)
	v_fmac_f32_e32 v132, v129, v97
	s_delay_alu instid0(VALU_DEP_1) | instskip(NEXT) | instid1(VALU_DEP_1)
	v_fmac_f32_e32 v132, v130, v98
	v_fmac_f32_e32 v132, v131, v99
	s_waitcnt vmcnt(0)
	s_delay_alu instid0(VALU_DEP_1) | instskip(NEXT) | instid1(VALU_DEP_1)
	v_fmac_f32_e32 v132, v3, v100
	v_sub_f32_e32 v2, v92, v132
	scratch_store_b32 off, v2, off offset:12
	v_cmpx_lt_u32_e32 2, v0
	s_cbranch_execz .LBB107_267
; %bb.266:
	scratch_load_b32 v2, off, off offset:8
	v_mov_b32_e32 v3, 0
	scratch_store_b32 off, v3, off offset:8
	s_waitcnt vmcnt(0)
	ds_store_b32 v1, v2
.LBB107_267:
	s_or_b32 exec_lo, exec_lo, s0
	s_waitcnt lgkmcnt(0)
	s_waitcnt_vscnt null, 0x0
	s_barrier
	buffer_gl0_inv
	s_clause 0xa
	scratch_load_b128 v[92:95], off, off offset:8
	scratch_load_b128 v[96:99], off, off offset:24
	;; [unrolled: 1-line block ×10, first 2 shown]
	scratch_load_b64 v[132:133], off, off offset:168
	v_mov_b32_e32 v2, 0
	ds_load_2addr_b32 v[134:135], v2 offset0:47 offset1:48
	ds_load_2addr_b32 v[136:137], v2 offset0:49 offset1:50
	;; [unrolled: 1-line block ×4, first 2 shown]
	s_mov_b32 s0, exec_lo
	s_waitcnt vmcnt(10) lgkmcnt(3)
	v_fma_f32 v3, v93, v134, 0
	s_delay_alu instid0(VALU_DEP_1) | instskip(SKIP_4) | instid1(VALU_DEP_1)
	v_fmac_f32_e32 v3, v94, v135
	ds_load_2addr_b32 v[93:94], v2 offset0:55 offset1:56
	s_waitcnt lgkmcnt(3)
	v_fmac_f32_e32 v3, v95, v136
	s_waitcnt vmcnt(9)
	v_fmac_f32_e32 v3, v96, v137
	ds_load_2addr_b32 v[95:96], v2 offset0:57 offset1:58
	s_waitcnt lgkmcnt(3)
	v_fmac_f32_e32 v3, v97, v138
	s_delay_alu instid0(VALU_DEP_1) | instskip(SKIP_1) | instid1(VALU_DEP_1)
	v_fmac_f32_e32 v3, v98, v139
	s_waitcnt lgkmcnt(2)
	v_fmac_f32_e32 v3, v99, v140
	s_waitcnt vmcnt(8)
	s_delay_alu instid0(VALU_DEP_1) | instskip(SKIP_4) | instid1(VALU_DEP_1)
	v_fmac_f32_e32 v3, v100, v141
	ds_load_2addr_b32 v[97:98], v2 offset0:59 offset1:60
	ds_load_2addr_b32 v[99:100], v2 offset0:61 offset1:62
	s_waitcnt lgkmcnt(3)
	v_fmac_f32_e32 v3, v101, v93
	v_fmac_f32_e32 v3, v102, v94
	ds_load_2addr_b32 v[93:94], v2 offset0:63 offset1:64
	s_waitcnt lgkmcnt(3)
	v_fmac_f32_e32 v3, v103, v95
	s_waitcnt vmcnt(7)
	s_delay_alu instid0(VALU_DEP_1) | instskip(SKIP_3) | instid1(VALU_DEP_1)
	v_fmac_f32_e32 v3, v104, v96
	ds_load_2addr_b32 v[95:96], v2 offset0:65 offset1:66
	s_waitcnt lgkmcnt(3)
	v_fmac_f32_e32 v3, v105, v97
	v_fmac_f32_e32 v3, v106, v98
	s_waitcnt lgkmcnt(2)
	s_delay_alu instid0(VALU_DEP_1) | instskip(SKIP_1) | instid1(VALU_DEP_1)
	v_fmac_f32_e32 v3, v107, v99
	s_waitcnt vmcnt(6)
	v_fmac_f32_e32 v3, v108, v100
	ds_load_2addr_b32 v[97:98], v2 offset0:67 offset1:68
	ds_load_2addr_b32 v[99:100], v2 offset0:69 offset1:70
	s_waitcnt lgkmcnt(3)
	v_fmac_f32_e32 v3, v109, v93
	s_delay_alu instid0(VALU_DEP_1) | instskip(SKIP_4) | instid1(VALU_DEP_1)
	v_fmac_f32_e32 v3, v110, v94
	ds_load_2addr_b32 v[93:94], v2 offset0:71 offset1:72
	s_waitcnt lgkmcnt(3)
	v_fmac_f32_e32 v3, v111, v95
	s_waitcnt vmcnt(5)
	v_fmac_f32_e32 v3, v112, v96
	ds_load_2addr_b32 v[95:96], v2 offset0:73 offset1:74
	s_waitcnt lgkmcnt(3)
	v_fmac_f32_e32 v3, v113, v97
	s_delay_alu instid0(VALU_DEP_1) | instskip(SKIP_1) | instid1(VALU_DEP_1)
	v_fmac_f32_e32 v3, v114, v98
	s_waitcnt lgkmcnt(2)
	v_fmac_f32_e32 v3, v115, v99
	s_waitcnt vmcnt(4)
	s_delay_alu instid0(VALU_DEP_1) | instskip(SKIP_4) | instid1(VALU_DEP_1)
	v_fmac_f32_e32 v3, v116, v100
	ds_load_2addr_b32 v[97:98], v2 offset0:75 offset1:76
	ds_load_2addr_b32 v[99:100], v2 offset0:77 offset1:78
	s_waitcnt lgkmcnt(3)
	v_fmac_f32_e32 v3, v117, v93
	v_fmac_f32_e32 v3, v118, v94
	ds_load_2addr_b32 v[93:94], v2 offset0:79 offset1:80
	s_waitcnt lgkmcnt(3)
	v_fmac_f32_e32 v3, v119, v95
	s_waitcnt vmcnt(3)
	s_delay_alu instid0(VALU_DEP_1) | instskip(SKIP_3) | instid1(VALU_DEP_1)
	v_fmac_f32_e32 v3, v120, v96
	ds_load_2addr_b32 v[95:96], v2 offset0:81 offset1:82
	s_waitcnt lgkmcnt(3)
	v_fmac_f32_e32 v3, v121, v97
	v_fmac_f32_e32 v3, v122, v98
	s_waitcnt lgkmcnt(2)
	s_delay_alu instid0(VALU_DEP_1) | instskip(SKIP_1) | instid1(VALU_DEP_1)
	v_fmac_f32_e32 v3, v123, v99
	s_waitcnt vmcnt(2)
	v_fmac_f32_e32 v3, v124, v100
	ds_load_2addr_b32 v[97:98], v2 offset0:83 offset1:84
	ds_load_2addr_b32 v[99:100], v2 offset0:85 offset1:86
	s_waitcnt lgkmcnt(3)
	v_fmac_f32_e32 v3, v125, v93
	ds_load_b32 v93, v2 offset:348
	v_fmac_f32_e32 v3, v126, v94
	s_waitcnt lgkmcnt(3)
	s_delay_alu instid0(VALU_DEP_1) | instskip(SKIP_1) | instid1(VALU_DEP_1)
	v_fmac_f32_e32 v3, v127, v95
	s_waitcnt vmcnt(1)
	v_fmac_f32_e32 v3, v128, v96
	s_waitcnt lgkmcnt(2)
	s_delay_alu instid0(VALU_DEP_1) | instskip(NEXT) | instid1(VALU_DEP_1)
	v_fmac_f32_e32 v3, v129, v97
	v_fmac_f32_e32 v3, v130, v98
	s_waitcnt lgkmcnt(1)
	s_delay_alu instid0(VALU_DEP_1) | instskip(SKIP_1) | instid1(VALU_DEP_1)
	v_fmac_f32_e32 v3, v131, v99
	s_waitcnt vmcnt(0)
	v_fmac_f32_e32 v3, v132, v100
	s_waitcnt lgkmcnt(0)
	s_delay_alu instid0(VALU_DEP_1) | instskip(NEXT) | instid1(VALU_DEP_1)
	v_fmac_f32_e32 v3, v133, v93
	v_sub_f32_e32 v3, v92, v3
	scratch_store_b32 off, v3, off offset:8
	v_cmpx_lt_u32_e32 1, v0
	s_cbranch_execz .LBB107_269
; %bb.268:
	scratch_load_b32 v3, off, off offset:4
	scratch_store_b32 off, v2, off offset:4
	s_waitcnt vmcnt(0)
	ds_store_b32 v1, v3
.LBB107_269:
	s_or_b32 exec_lo, exec_lo, s0
	s_waitcnt lgkmcnt(0)
	s_waitcnt_vscnt null, 0x0
	s_barrier
	buffer_gl0_inv
	s_clause 0xa
	scratch_load_b128 v[92:95], off, off offset:4
	scratch_load_b128 v[96:99], off, off offset:20
	;; [unrolled: 1-line block ×10, first 2 shown]
	scratch_load_b96 v[140:142], off, off offset:164
	ds_load_2addr_b64 v[132:135], v2 offset0:23 offset1:24
	ds_load_2addr_b64 v[136:139], v2 offset0:25 offset1:26
	s_mov_b32 s0, exec_lo
	s_waitcnt vmcnt(10) lgkmcnt(1)
	v_fma_f32 v132, v93, v132, 0
	s_delay_alu instid0(VALU_DEP_1) | instskip(NEXT) | instid1(VALU_DEP_1)
	v_fmac_f32_e32 v132, v94, v133
	v_fmac_f32_e32 v132, v95, v134
	s_waitcnt vmcnt(9)
	s_delay_alu instid0(VALU_DEP_1) | instskip(SKIP_3) | instid1(VALU_DEP_1)
	v_fmac_f32_e32 v132, v96, v135
	ds_load_2addr_b64 v[93:96], v2 offset0:27 offset1:28
	s_waitcnt lgkmcnt(1)
	v_fmac_f32_e32 v132, v97, v136
	v_fmac_f32_e32 v132, v98, v137
	s_delay_alu instid0(VALU_DEP_1) | instskip(SKIP_1) | instid1(VALU_DEP_1)
	v_fmac_f32_e32 v132, v99, v138
	s_waitcnt vmcnt(8)
	v_fmac_f32_e32 v132, v100, v139
	ds_load_2addr_b64 v[97:100], v2 offset0:29 offset1:30
	s_waitcnt lgkmcnt(1)
	v_fmac_f32_e32 v132, v101, v93
	s_delay_alu instid0(VALU_DEP_1) | instskip(NEXT) | instid1(VALU_DEP_1)
	v_fmac_f32_e32 v132, v102, v94
	v_fmac_f32_e32 v132, v103, v95
	s_waitcnt vmcnt(7)
	s_delay_alu instid0(VALU_DEP_1) | instskip(SKIP_3) | instid1(VALU_DEP_1)
	v_fmac_f32_e32 v132, v104, v96
	ds_load_2addr_b64 v[93:96], v2 offset0:31 offset1:32
	s_waitcnt lgkmcnt(1)
	v_fmac_f32_e32 v132, v105, v97
	v_fmac_f32_e32 v132, v106, v98
	s_delay_alu instid0(VALU_DEP_1) | instskip(SKIP_1) | instid1(VALU_DEP_1)
	v_fmac_f32_e32 v132, v107, v99
	s_waitcnt vmcnt(6)
	v_fmac_f32_e32 v132, v108, v100
	ds_load_2addr_b64 v[97:100], v2 offset0:33 offset1:34
	s_waitcnt lgkmcnt(1)
	v_fmac_f32_e32 v132, v109, v93
	;; [unrolled: 17-line block ×3, first 2 shown]
	s_delay_alu instid0(VALU_DEP_1) | instskip(NEXT) | instid1(VALU_DEP_1)
	v_fmac_f32_e32 v132, v118, v94
	v_fmac_f32_e32 v132, v119, v95
	s_waitcnt vmcnt(3)
	s_delay_alu instid0(VALU_DEP_1) | instskip(SKIP_3) | instid1(VALU_DEP_1)
	v_fmac_f32_e32 v132, v120, v96
	ds_load_2addr_b64 v[93:96], v2 offset0:39 offset1:40
	s_waitcnt lgkmcnt(1)
	v_fmac_f32_e32 v132, v121, v97
	v_fmac_f32_e32 v132, v122, v98
	s_delay_alu instid0(VALU_DEP_1) | instskip(SKIP_1) | instid1(VALU_DEP_1)
	v_fmac_f32_e32 v132, v123, v99
	s_waitcnt vmcnt(2)
	v_fmac_f32_e32 v132, v124, v100
	ds_load_2addr_b64 v[97:100], v2 offset0:41 offset1:42
	ds_load_b64 v[2:3], v2 offset:344
	s_waitcnt lgkmcnt(2)
	v_fmac_f32_e32 v132, v125, v93
	s_delay_alu instid0(VALU_DEP_1) | instskip(NEXT) | instid1(VALU_DEP_1)
	v_fmac_f32_e32 v132, v126, v94
	v_fmac_f32_e32 v132, v127, v95
	s_waitcnt vmcnt(1)
	s_delay_alu instid0(VALU_DEP_1) | instskip(SKIP_1) | instid1(VALU_DEP_1)
	v_fmac_f32_e32 v132, v128, v96
	s_waitcnt lgkmcnt(1)
	v_fmac_f32_e32 v132, v129, v97
	s_delay_alu instid0(VALU_DEP_1) | instskip(NEXT) | instid1(VALU_DEP_1)
	v_fmac_f32_e32 v132, v130, v98
	v_fmac_f32_e32 v132, v131, v99
	s_waitcnt vmcnt(0)
	s_delay_alu instid0(VALU_DEP_1) | instskip(SKIP_1) | instid1(VALU_DEP_1)
	v_fmac_f32_e32 v132, v140, v100
	s_waitcnt lgkmcnt(0)
	v_fmac_f32_e32 v132, v141, v2
	s_delay_alu instid0(VALU_DEP_1) | instskip(NEXT) | instid1(VALU_DEP_1)
	v_fmac_f32_e32 v132, v142, v3
	v_sub_f32_e32 v2, v92, v132
	scratch_store_b32 off, v2, off offset:4
	v_cmpx_ne_u32_e32 0, v0
	s_cbranch_execz .LBB107_271
; %bb.270:
	scratch_load_b32 v0, off, off
	v_mov_b32_e32 v2, 0
	scratch_store_b32 off, v2, off
	s_waitcnt vmcnt(0)
	ds_store_b32 v1, v0
.LBB107_271:
	s_or_b32 exec_lo, exec_lo, s0
	s_waitcnt lgkmcnt(0)
	s_waitcnt_vscnt null, 0x0
	s_barrier
	buffer_gl0_inv
	s_clause 0xa
	scratch_load_b128 v[92:95], off, off
	scratch_load_b128 v[96:99], off, off offset:16
	scratch_load_b128 v[100:103], off, off offset:32
	;; [unrolled: 1-line block ×10, first 2 shown]
	v_mov_b32_e32 v140, 0
	ds_load_2addr_b32 v[132:133], v140 offset0:45 offset1:46
	ds_load_2addr_b32 v[134:135], v140 offset0:47 offset1:48
	;; [unrolled: 1-line block ×4, first 2 shown]
	s_and_b32 vcc_lo, exec_lo, s12
	s_waitcnt vmcnt(10) lgkmcnt(3)
	v_fma_f32 v132, v93, v132, 0
	s_delay_alu instid0(VALU_DEP_1) | instskip(SKIP_4) | instid1(VALU_DEP_1)
	v_fmac_f32_e32 v132, v94, v133
	ds_load_2addr_b32 v[93:94], v140 offset0:53 offset1:54
	s_waitcnt lgkmcnt(3)
	v_fmac_f32_e32 v132, v95, v134
	s_waitcnt vmcnt(9)
	v_fmac_f32_e32 v132, v96, v135
	ds_load_2addr_b32 v[95:96], v140 offset0:55 offset1:56
	s_waitcnt lgkmcnt(3)
	v_fmac_f32_e32 v132, v97, v136
	s_delay_alu instid0(VALU_DEP_1) | instskip(SKIP_1) | instid1(VALU_DEP_1)
	v_fmac_f32_e32 v132, v98, v137
	s_waitcnt lgkmcnt(2)
	v_fmac_f32_e32 v132, v99, v138
	s_waitcnt vmcnt(8)
	s_delay_alu instid0(VALU_DEP_1) | instskip(SKIP_4) | instid1(VALU_DEP_1)
	v_fmac_f32_e32 v132, v100, v139
	ds_load_2addr_b32 v[97:98], v140 offset0:57 offset1:58
	ds_load_2addr_b32 v[99:100], v140 offset0:59 offset1:60
	s_waitcnt lgkmcnt(3)
	v_fmac_f32_e32 v132, v101, v93
	v_fmac_f32_e32 v132, v102, v94
	ds_load_2addr_b32 v[93:94], v140 offset0:61 offset1:62
	s_waitcnt lgkmcnt(3)
	v_fmac_f32_e32 v132, v103, v95
	s_waitcnt vmcnt(7)
	s_delay_alu instid0(VALU_DEP_1) | instskip(SKIP_3) | instid1(VALU_DEP_1)
	v_fmac_f32_e32 v132, v104, v96
	ds_load_2addr_b32 v[95:96], v140 offset0:63 offset1:64
	s_waitcnt lgkmcnt(3)
	v_fmac_f32_e32 v132, v105, v97
	v_fmac_f32_e32 v132, v106, v98
	s_waitcnt lgkmcnt(2)
	s_delay_alu instid0(VALU_DEP_1) | instskip(SKIP_1) | instid1(VALU_DEP_1)
	v_fmac_f32_e32 v132, v107, v99
	s_waitcnt vmcnt(6)
	v_fmac_f32_e32 v132, v108, v100
	ds_load_2addr_b32 v[97:98], v140 offset0:65 offset1:66
	ds_load_2addr_b32 v[99:100], v140 offset0:67 offset1:68
	s_waitcnt lgkmcnt(3)
	v_fmac_f32_e32 v132, v109, v93
	s_delay_alu instid0(VALU_DEP_1) | instskip(SKIP_4) | instid1(VALU_DEP_1)
	v_fmac_f32_e32 v132, v110, v94
	ds_load_2addr_b32 v[93:94], v140 offset0:69 offset1:70
	s_waitcnt lgkmcnt(3)
	v_fmac_f32_e32 v132, v111, v95
	s_waitcnt vmcnt(5)
	v_fmac_f32_e32 v132, v112, v96
	ds_load_2addr_b32 v[95:96], v140 offset0:71 offset1:72
	s_waitcnt lgkmcnt(3)
	v_fmac_f32_e32 v132, v113, v97
	s_delay_alu instid0(VALU_DEP_1) | instskip(SKIP_1) | instid1(VALU_DEP_1)
	v_fmac_f32_e32 v132, v114, v98
	s_waitcnt lgkmcnt(2)
	v_fmac_f32_e32 v132, v115, v99
	s_waitcnt vmcnt(4)
	s_delay_alu instid0(VALU_DEP_1) | instskip(SKIP_4) | instid1(VALU_DEP_1)
	v_fmac_f32_e32 v132, v116, v100
	ds_load_2addr_b32 v[97:98], v140 offset0:73 offset1:74
	ds_load_2addr_b32 v[99:100], v140 offset0:75 offset1:76
	s_waitcnt lgkmcnt(3)
	v_fmac_f32_e32 v132, v117, v93
	v_fmac_f32_e32 v132, v118, v94
	ds_load_2addr_b32 v[93:94], v140 offset0:77 offset1:78
	s_waitcnt lgkmcnt(3)
	v_fmac_f32_e32 v132, v119, v95
	s_waitcnt vmcnt(3)
	s_delay_alu instid0(VALU_DEP_1) | instskip(SKIP_3) | instid1(VALU_DEP_1)
	v_fmac_f32_e32 v132, v120, v96
	ds_load_2addr_b32 v[95:96], v140 offset0:79 offset1:80
	s_waitcnt lgkmcnt(3)
	v_fmac_f32_e32 v132, v121, v97
	v_fmac_f32_e32 v132, v122, v98
	s_waitcnt lgkmcnt(2)
	s_delay_alu instid0(VALU_DEP_1) | instskip(SKIP_1) | instid1(VALU_DEP_1)
	v_fmac_f32_e32 v132, v123, v99
	s_waitcnt vmcnt(2)
	v_fmac_f32_e32 v132, v124, v100
	ds_load_2addr_b32 v[97:98], v140 offset0:81 offset1:82
	ds_load_2addr_b32 v[99:100], v140 offset0:83 offset1:84
	s_waitcnt lgkmcnt(3)
	v_fmac_f32_e32 v132, v125, v93
	s_delay_alu instid0(VALU_DEP_1)
	v_fmac_f32_e32 v132, v126, v94
	ds_load_2addr_b32 v[93:94], v140 offset0:85 offset1:86
	s_waitcnt lgkmcnt(3)
	v_fmac_f32_e32 v132, v127, v95
	ds_load_b32 v95, v140 offset:348
	s_waitcnt vmcnt(1)
	v_fmac_f32_e32 v132, v128, v96
	s_waitcnt lgkmcnt(3)
	s_delay_alu instid0(VALU_DEP_1) | instskip(NEXT) | instid1(VALU_DEP_1)
	v_fmac_f32_e32 v132, v129, v97
	v_fmac_f32_e32 v132, v130, v98
	s_waitcnt lgkmcnt(2)
	s_delay_alu instid0(VALU_DEP_1) | instskip(SKIP_1) | instid1(VALU_DEP_1)
	v_fmac_f32_e32 v132, v131, v99
	s_waitcnt vmcnt(0)
	v_fmac_f32_e32 v132, v0, v100
	s_waitcnt lgkmcnt(1)
	s_delay_alu instid0(VALU_DEP_1) | instskip(NEXT) | instid1(VALU_DEP_1)
	v_fmac_f32_e32 v132, v1, v93
	v_fmac_f32_e32 v132, v2, v94
	s_waitcnt lgkmcnt(0)
	s_delay_alu instid0(VALU_DEP_1) | instskip(NEXT) | instid1(VALU_DEP_1)
	v_fmac_f32_e32 v132, v3, v95
	v_sub_f32_e32 v0, v92, v132
	scratch_store_b32 off, v0, off
	s_cbranch_vccz .LBB107_359
; %bb.272:
	v_dual_mov_b32 v0, s2 :: v_dual_mov_b32 v1, s3
	s_mov_b32 s0, exec_lo
	flat_load_b32 v0, v[0:1] offset:168
	s_waitcnt vmcnt(0) lgkmcnt(0)
	v_cmpx_ne_u32_e32 43, v0
	s_cbranch_execz .LBB107_274
; %bb.273:
	v_lshl_add_u32 v0, v0, 2, 0
	scratch_load_b32 v1, v0, off offset:-4
	s_waitcnt vmcnt(0)
	scratch_store_b32 off, v1, off offset:168
	scratch_store_b32 v0, v2, off offset:-4
.LBB107_274:
	s_or_b32 exec_lo, exec_lo, s0
	v_dual_mov_b32 v0, s2 :: v_dual_mov_b32 v1, s3
	s_mov_b32 s0, exec_lo
	flat_load_b32 v0, v[0:1] offset:164
	s_waitcnt vmcnt(0) lgkmcnt(0)
	v_cmpx_ne_u32_e32 42, v0
	s_cbranch_execz .LBB107_276
; %bb.275:
	v_lshl_add_u32 v0, v0, 2, 0
	scratch_load_b32 v1, v0, off offset:-4
	scratch_load_b32 v2, off, off offset:164
	s_waitcnt vmcnt(1)
	scratch_store_b32 off, v1, off offset:164
	s_waitcnt vmcnt(0)
	scratch_store_b32 v0, v2, off offset:-4
.LBB107_276:
	s_or_b32 exec_lo, exec_lo, s0
	v_dual_mov_b32 v0, s2 :: v_dual_mov_b32 v1, s3
	s_mov_b32 s0, exec_lo
	flat_load_b32 v0, v[0:1] offset:160
	s_waitcnt vmcnt(0) lgkmcnt(0)
	v_cmpx_ne_u32_e32 41, v0
	s_cbranch_execz .LBB107_278
; %bb.277:
	v_lshl_add_u32 v0, v0, 2, 0
	scratch_load_b32 v1, v0, off offset:-4
	scratch_load_b32 v2, off, off offset:160
	s_waitcnt vmcnt(1)
	scratch_store_b32 off, v1, off offset:160
	s_waitcnt vmcnt(0)
	scratch_store_b32 v0, v2, off offset:-4
.LBB107_278:
	;; [unrolled: 16-line block ×41, first 2 shown]
	s_or_b32 exec_lo, exec_lo, s0
	v_dual_mov_b32 v0, s2 :: v_dual_mov_b32 v1, s3
	s_mov_b32 s0, exec_lo
	flat_load_b32 v1, v[0:1]
	scratch_load_b32 v0, off, off
	s_waitcnt vmcnt(1) lgkmcnt(0)
	v_cmpx_ne_u32_e32 1, v1
	s_cbranch_execz .LBB107_358
; %bb.357:
	v_lshl_add_u32 v1, v1, 2, 0
	scratch_load_b32 v2, v1, off offset:-4
	s_waitcnt vmcnt(0)
	scratch_store_b32 off, v2, off
	scratch_store_b32 v1, v0, off offset:-4
	scratch_load_b32 v0, off, off
.LBB107_358:
	s_or_b32 exec_lo, exec_lo, s0
.LBB107_359:
	s_clause 0xa
	scratch_load_b128 v[92:95], off, off offset:4
	scratch_load_b128 v[96:99], off, off offset:20
	;; [unrolled: 1-line block ×10, first 2 shown]
	scratch_load_b96 v[1:3], off, off offset:164
	s_waitcnt vmcnt(11)
	global_store_b32 v[4:5], v0, off
	s_waitcnt vmcnt(10)
	s_clause 0x3
	global_store_b32 v[6:7], v92, off
	global_store_b32 v[8:9], v93, off
	global_store_b32 v[10:11], v94, off
	global_store_b32 v[12:13], v95, off
	s_waitcnt vmcnt(9)
	s_clause 0x3
	global_store_b32 v[14:15], v96, off
	global_store_b32 v[16:17], v97, off
	global_store_b32 v[18:19], v98, off
	global_store_b32 v[20:21], v99, off
	s_waitcnt vmcnt(8)
	s_clause 0x3
	global_store_b32 v[22:23], v100, off
	global_store_b32 v[24:25], v101, off
	global_store_b32 v[26:27], v102, off
	global_store_b32 v[28:29], v103, off
	s_waitcnt vmcnt(7)
	s_clause 0x3
	global_store_b32 v[30:31], v104, off
	global_store_b32 v[32:33], v105, off
	global_store_b32 v[34:35], v106, off
	global_store_b32 v[36:37], v107, off
	s_waitcnt vmcnt(6)
	s_clause 0x3
	global_store_b32 v[38:39], v108, off
	global_store_b32 v[40:41], v109, off
	global_store_b32 v[42:43], v110, off
	global_store_b32 v[44:45], v111, off
	s_waitcnt vmcnt(5)
	s_clause 0x3
	global_store_b32 v[46:47], v112, off
	global_store_b32 v[48:49], v113, off
	global_store_b32 v[50:51], v114, off
	global_store_b32 v[52:53], v115, off
	s_waitcnt vmcnt(4)
	s_clause 0x3
	global_store_b32 v[56:57], v116, off
	global_store_b32 v[58:59], v117, off
	global_store_b32 v[60:61], v118, off
	global_store_b32 v[62:63], v119, off
	s_waitcnt vmcnt(3)
	s_clause 0x3
	global_store_b32 v[64:65], v120, off
	global_store_b32 v[66:67], v121, off
	global_store_b32 v[68:69], v122, off
	global_store_b32 v[70:71], v123, off
	s_waitcnt vmcnt(2)
	s_clause 0x3
	global_store_b32 v[72:73], v124, off
	global_store_b32 v[74:75], v125, off
	global_store_b32 v[76:77], v126, off
	global_store_b32 v[78:79], v127, off
	s_waitcnt vmcnt(1)
	s_clause 0x3
	global_store_b32 v[80:81], v128, off
	global_store_b32 v[82:83], v129, off
	global_store_b32 v[84:85], v130, off
	global_store_b32 v[86:87], v131, off
	s_waitcnt vmcnt(0)
	s_clause 0x2
	global_store_b32 v[88:89], v1, off
	global_store_b32 v[90:91], v2, off
	global_store_b32 v[54:55], v3, off
	s_endpgm
	.section	.rodata,"a",@progbits
	.p2align	6, 0x0
	.amdhsa_kernel _ZN9rocsolver6v33100L18getri_kernel_smallILi44EfPKPfEEvT1_iilPiilS6_bb
		.amdhsa_group_segment_fixed_size 356
		.amdhsa_private_segment_fixed_size 192
		.amdhsa_kernarg_size 60
		.amdhsa_user_sgpr_count 15
		.amdhsa_user_sgpr_dispatch_ptr 0
		.amdhsa_user_sgpr_queue_ptr 0
		.amdhsa_user_sgpr_kernarg_segment_ptr 1
		.amdhsa_user_sgpr_dispatch_id 0
		.amdhsa_user_sgpr_private_segment_size 0
		.amdhsa_wavefront_size32 1
		.amdhsa_uses_dynamic_stack 0
		.amdhsa_enable_private_segment 1
		.amdhsa_system_sgpr_workgroup_id_x 1
		.amdhsa_system_sgpr_workgroup_id_y 0
		.amdhsa_system_sgpr_workgroup_id_z 0
		.amdhsa_system_sgpr_workgroup_info 0
		.amdhsa_system_vgpr_workitem_id 0
		.amdhsa_next_free_vgpr 143
		.amdhsa_next_free_sgpr 17
		.amdhsa_reserve_vcc 1
		.amdhsa_float_round_mode_32 0
		.amdhsa_float_round_mode_16_64 0
		.amdhsa_float_denorm_mode_32 3
		.amdhsa_float_denorm_mode_16_64 3
		.amdhsa_dx10_clamp 1
		.amdhsa_ieee_mode 1
		.amdhsa_fp16_overflow 0
		.amdhsa_workgroup_processor_mode 1
		.amdhsa_memory_ordered 1
		.amdhsa_forward_progress 0
		.amdhsa_shared_vgpr_count 0
		.amdhsa_exception_fp_ieee_invalid_op 0
		.amdhsa_exception_fp_denorm_src 0
		.amdhsa_exception_fp_ieee_div_zero 0
		.amdhsa_exception_fp_ieee_overflow 0
		.amdhsa_exception_fp_ieee_underflow 0
		.amdhsa_exception_fp_ieee_inexact 0
		.amdhsa_exception_int_div_zero 0
	.end_amdhsa_kernel
	.section	.text._ZN9rocsolver6v33100L18getri_kernel_smallILi44EfPKPfEEvT1_iilPiilS6_bb,"axG",@progbits,_ZN9rocsolver6v33100L18getri_kernel_smallILi44EfPKPfEEvT1_iilPiilS6_bb,comdat
.Lfunc_end107:
	.size	_ZN9rocsolver6v33100L18getri_kernel_smallILi44EfPKPfEEvT1_iilPiilS6_bb, .Lfunc_end107-_ZN9rocsolver6v33100L18getri_kernel_smallILi44EfPKPfEEvT1_iilPiilS6_bb
                                        ; -- End function
	.section	.AMDGPU.csdata,"",@progbits
; Kernel info:
; codeLenInByte = 30884
; NumSgprs: 19
; NumVgprs: 143
; ScratchSize: 192
; MemoryBound: 0
; FloatMode: 240
; IeeeMode: 1
; LDSByteSize: 356 bytes/workgroup (compile time only)
; SGPRBlocks: 2
; VGPRBlocks: 17
; NumSGPRsForWavesPerEU: 19
; NumVGPRsForWavesPerEU: 143
; Occupancy: 10
; WaveLimiterHint : 1
; COMPUTE_PGM_RSRC2:SCRATCH_EN: 1
; COMPUTE_PGM_RSRC2:USER_SGPR: 15
; COMPUTE_PGM_RSRC2:TRAP_HANDLER: 0
; COMPUTE_PGM_RSRC2:TGID_X_EN: 1
; COMPUTE_PGM_RSRC2:TGID_Y_EN: 0
; COMPUTE_PGM_RSRC2:TGID_Z_EN: 0
; COMPUTE_PGM_RSRC2:TIDIG_COMP_CNT: 0
	.section	.text._ZN9rocsolver6v33100L18getri_kernel_smallILi45EfPKPfEEvT1_iilPiilS6_bb,"axG",@progbits,_ZN9rocsolver6v33100L18getri_kernel_smallILi45EfPKPfEEvT1_iilPiilS6_bb,comdat
	.globl	_ZN9rocsolver6v33100L18getri_kernel_smallILi45EfPKPfEEvT1_iilPiilS6_bb ; -- Begin function _ZN9rocsolver6v33100L18getri_kernel_smallILi45EfPKPfEEvT1_iilPiilS6_bb
	.p2align	8
	.type	_ZN9rocsolver6v33100L18getri_kernel_smallILi45EfPKPfEEvT1_iilPiilS6_bb,@function
_ZN9rocsolver6v33100L18getri_kernel_smallILi45EfPKPfEEvT1_iilPiilS6_bb: ; @_ZN9rocsolver6v33100L18getri_kernel_smallILi45EfPKPfEEvT1_iilPiilS6_bb
; %bb.0:
	s_mov_b32 s2, exec_lo
	v_cmpx_gt_u32_e32 45, v0
	s_cbranch_execz .LBB108_188
; %bb.1:
	s_clause 0x1
	s_load_b32 s13, s[0:1], 0x38
	s_load_b64 s[2:3], s[0:1], 0x0
	s_mov_b32 s8, s15
	s_load_b128 s[4:7], s[0:1], 0x28
	s_waitcnt lgkmcnt(0)
	s_bitcmp1_b32 s13, 8
	s_cselect_b32 s12, -1, 0
	s_ashr_i32 s9, s15, 31
	s_delay_alu instid0(SALU_CYCLE_1) | instskip(NEXT) | instid1(SALU_CYCLE_1)
	s_lshl_b64 s[10:11], s[8:9], 3
	s_add_u32 s2, s2, s10
	s_addc_u32 s3, s3, s11
	s_load_b64 s[10:11], s[2:3], 0x0
	s_bfe_u32 s2, s13, 0x10008
	s_delay_alu instid0(SALU_CYCLE_1)
	s_cmp_eq_u32 s2, 0
                                        ; implicit-def: $sgpr2_sgpr3
	s_cbranch_scc1 .LBB108_3
; %bb.2:
	s_clause 0x1
	s_load_b32 s2, s[0:1], 0x20
	s_load_b64 s[14:15], s[0:1], 0x18
	s_mul_i32 s3, s8, s5
	s_mul_hi_u32 s5, s8, s4
	s_mul_i32 s16, s9, s4
	s_add_i32 s3, s5, s3
	s_mul_i32 s4, s8, s4
	s_add_i32 s5, s3, s16
	s_delay_alu instid0(SALU_CYCLE_1)
	s_lshl_b64 s[4:5], s[4:5], 2
	s_waitcnt lgkmcnt(0)
	s_ashr_i32 s3, s2, 31
	s_add_u32 s4, s14, s4
	s_addc_u32 s5, s15, s5
	s_lshl_b64 s[2:3], s[2:3], 2
	s_delay_alu instid0(SALU_CYCLE_1)
	s_add_u32 s2, s4, s2
	s_addc_u32 s3, s5, s3
.LBB108_3:
	s_load_b64 s[0:1], s[0:1], 0x8
	v_lshlrev_b32_e32 v3, 2, v0
	s_waitcnt lgkmcnt(0)
	v_add3_u32 v1, s1, s1, v0
	s_ashr_i32 s5, s0, 31
	s_mov_b32 s4, s0
	s_mov_b32 s14, s1
	s_lshl_b64 s[4:5], s[4:5], 2
	v_add_nc_u32_e32 v8, s1, v1
	v_ashrrev_i32_e32 v2, 31, v1
	s_add_u32 s4, s10, s4
	s_addc_u32 s5, s11, s5
	v_add_co_u32 v4, s0, s4, v3
	v_add_nc_u32_e32 v10, s1, v8
	s_ashr_i32 s15, s1, 31
	v_add_co_ci_u32_e64 v5, null, s5, 0, s0
	v_ashrrev_i32_e32 v9, 31, v8
	s_delay_alu instid0(VALU_DEP_3)
	v_add_nc_u32_e32 v12, s1, v10
	v_lshlrev_b64 v[1:2], 2, v[1:2]
	s_lshl_b64 s[10:11], s[14:15], 2
	v_ashrrev_i32_e32 v11, 31, v10
	v_add_co_u32 v6, vcc_lo, v4, s10
	v_add_nc_u32_e32 v14, s1, v12
	v_add_co_ci_u32_e32 v7, vcc_lo, s11, v5, vcc_lo
	v_lshlrev_b64 v[39:40], 2, v[8:9]
	v_add_co_u32 v8, vcc_lo, s4, v1
	s_delay_alu instid0(VALU_DEP_4) | instskip(SKIP_3) | instid1(VALU_DEP_4)
	v_add_nc_u32_e32 v16, s1, v14
	v_add_co_ci_u32_e32 v9, vcc_lo, s5, v2, vcc_lo
	v_lshlrev_b64 v[1:2], 2, v[10:11]
	v_ashrrev_i32_e32 v13, 31, v12
	v_add_nc_u32_e32 v18, s1, v16
	v_add_co_u32 v10, vcc_lo, s4, v39
	v_ashrrev_i32_e32 v15, 31, v14
	v_add_co_ci_u32_e32 v11, vcc_lo, s5, v40, vcc_lo
	s_delay_alu instid0(VALU_DEP_4) | instskip(SKIP_3) | instid1(VALU_DEP_4)
	v_add_nc_u32_e32 v20, s1, v18
	v_lshlrev_b64 v[39:40], 2, v[12:13]
	v_add_co_u32 v12, vcc_lo, s4, v1
	v_add_co_ci_u32_e32 v13, vcc_lo, s5, v2, vcc_lo
	v_add_nc_u32_e32 v22, s1, v20
	v_lshlrev_b64 v[1:2], 2, v[14:15]
	v_ashrrev_i32_e32 v17, 31, v16
	v_add_co_u32 v14, vcc_lo, s4, v39
	s_delay_alu instid0(VALU_DEP_4) | instskip(SKIP_3) | instid1(VALU_DEP_4)
	v_add_nc_u32_e32 v24, s1, v22
	v_ashrrev_i32_e32 v19, 31, v18
	v_add_co_ci_u32_e32 v15, vcc_lo, s5, v40, vcc_lo
	v_lshlrev_b64 v[39:40], 2, v[16:17]
	v_add_nc_u32_e32 v26, s1, v24
	v_add_co_u32 v16, vcc_lo, s4, v1
	v_add_co_ci_u32_e32 v17, vcc_lo, s5, v2, vcc_lo
	s_delay_alu instid0(VALU_DEP_3) | instskip(SKIP_3) | instid1(VALU_DEP_4)
	v_add_nc_u32_e32 v28, s1, v26
	v_lshlrev_b64 v[1:2], 2, v[18:19]
	v_ashrrev_i32_e32 v21, 31, v20
	v_add_co_u32 v18, vcc_lo, s4, v39
	v_add_nc_u32_e32 v30, s1, v28
	v_ashrrev_i32_e32 v23, 31, v22
	v_add_co_ci_u32_e32 v19, vcc_lo, s5, v40, vcc_lo
	v_lshlrev_b64 v[39:40], 2, v[20:21]
	s_delay_alu instid0(VALU_DEP_4) | instskip(SKIP_2) | instid1(VALU_DEP_3)
	v_add_nc_u32_e32 v32, s1, v30
	v_add_co_u32 v20, vcc_lo, s4, v1
	v_add_co_ci_u32_e32 v21, vcc_lo, s5, v2, vcc_lo
	v_add_nc_u32_e32 v34, s1, v32
	v_lshlrev_b64 v[1:2], 2, v[22:23]
	v_ashrrev_i32_e32 v25, 31, v24
	v_add_co_u32 v22, vcc_lo, s4, v39
	s_delay_alu instid0(VALU_DEP_4) | instskip(SKIP_3) | instid1(VALU_DEP_4)
	v_add_nc_u32_e32 v36, s1, v34
	v_ashrrev_i32_e32 v27, 31, v26
	v_add_co_ci_u32_e32 v23, vcc_lo, s5, v40, vcc_lo
	v_lshlrev_b64 v[39:40], 2, v[24:25]
	v_add_nc_u32_e32 v38, s1, v36
	v_add_co_u32 v24, vcc_lo, s4, v1
	v_add_co_ci_u32_e32 v25, vcc_lo, s5, v2, vcc_lo
	s_delay_alu instid0(VALU_DEP_3) | instskip(SKIP_3) | instid1(VALU_DEP_4)
	v_add_nc_u32_e32 v41, s1, v38
	v_lshlrev_b64 v[1:2], 2, v[26:27]
	v_ashrrev_i32_e32 v29, 31, v28
	v_add_co_u32 v26, vcc_lo, s4, v39
	v_add_nc_u32_e32 v43, s1, v41
	v_ashrrev_i32_e32 v31, 31, v30
	v_add_co_ci_u32_e32 v27, vcc_lo, s5, v40, vcc_lo
	v_lshlrev_b64 v[39:40], 2, v[28:29]
	s_delay_alu instid0(VALU_DEP_4) | instskip(SKIP_2) | instid1(VALU_DEP_3)
	v_add_nc_u32_e32 v45, s1, v43
	v_add_co_u32 v28, vcc_lo, s4, v1
	v_add_co_ci_u32_e32 v29, vcc_lo, s5, v2, vcc_lo
	v_add_nc_u32_e32 v47, s1, v45
	v_lshlrev_b64 v[1:2], 2, v[30:31]
	v_ashrrev_i32_e32 v33, 31, v32
	v_add_co_u32 v30, vcc_lo, s4, v39
	s_delay_alu instid0(VALU_DEP_4) | instskip(SKIP_3) | instid1(VALU_DEP_4)
	v_add_nc_u32_e32 v49, s1, v47
	v_ashrrev_i32_e32 v35, 31, v34
	v_add_co_ci_u32_e32 v31, vcc_lo, s5, v40, vcc_lo
	v_lshlrev_b64 v[39:40], 2, v[32:33]
	v_add_nc_u32_e32 v51, s1, v49
	v_add_co_u32 v32, vcc_lo, s4, v1
	v_add_co_ci_u32_e32 v33, vcc_lo, s5, v2, vcc_lo
	s_delay_alu instid0(VALU_DEP_3) | instskip(SKIP_3) | instid1(VALU_DEP_4)
	v_add_nc_u32_e32 v53, s1, v51
	v_lshlrev_b64 v[1:2], 2, v[34:35]
	v_ashrrev_i32_e32 v37, 31, v36
	v_add_co_u32 v34, vcc_lo, s4, v39
	v_add_nc_u32_e32 v55, s1, v53
	v_ashrrev_i32_e32 v39, 31, v38
	v_add_co_ci_u32_e32 v35, vcc_lo, s5, v40, vcc_lo
	v_lshlrev_b64 v[56:57], 2, v[36:37]
	s_delay_alu instid0(VALU_DEP_4) | instskip(SKIP_2) | instid1(VALU_DEP_3)
	v_add_nc_u32_e32 v58, s1, v55
	v_add_co_u32 v36, vcc_lo, s4, v1
	v_add_co_ci_u32_e32 v37, vcc_lo, s5, v2, vcc_lo
	v_add_nc_u32_e32 v60, s1, v58
	v_lshlrev_b64 v[1:2], 2, v[38:39]
	v_ashrrev_i32_e32 v42, 31, v41
	v_add_co_u32 v38, vcc_lo, s4, v56
	s_delay_alu instid0(VALU_DEP_4) | instskip(SKIP_3) | instid1(VALU_DEP_4)
	v_add_nc_u32_e32 v62, s1, v60
	v_ashrrev_i32_e32 v44, 31, v43
	v_add_co_ci_u32_e32 v39, vcc_lo, s5, v57, vcc_lo
	v_lshlrev_b64 v[56:57], 2, v[41:42]
	v_add_nc_u32_e32 v64, s1, v62
	v_add_co_u32 v40, vcc_lo, s4, v1
	v_add_co_ci_u32_e32 v41, vcc_lo, s5, v2, vcc_lo
	s_delay_alu instid0(VALU_DEP_3) | instskip(SKIP_3) | instid1(VALU_DEP_4)
	v_add_nc_u32_e32 v66, s1, v64
	v_lshlrev_b64 v[1:2], 2, v[43:44]
	v_ashrrev_i32_e32 v46, 31, v45
	v_add_co_u32 v42, vcc_lo, s4, v56
	v_add_nc_u32_e32 v68, s1, v66
	v_ashrrev_i32_e32 v48, 31, v47
	v_add_co_ci_u32_e32 v43, vcc_lo, s5, v57, vcc_lo
	v_lshlrev_b64 v[56:57], 2, v[45:46]
	s_delay_alu instid0(VALU_DEP_4) | instskip(SKIP_2) | instid1(VALU_DEP_3)
	v_add_nc_u32_e32 v72, s1, v68
	v_add_co_u32 v44, vcc_lo, s4, v1
	v_add_co_ci_u32_e32 v45, vcc_lo, s5, v2, vcc_lo
	v_add_nc_u32_e32 v74, s1, v72
	v_lshlrev_b64 v[1:2], 2, v[47:48]
	v_ashrrev_i32_e32 v50, 31, v49
	v_add_co_u32 v46, vcc_lo, s4, v56
	s_delay_alu instid0(VALU_DEP_4) | instskip(SKIP_3) | instid1(VALU_DEP_4)
	v_add_nc_u32_e32 v76, s1, v74
	v_ashrrev_i32_e32 v52, 31, v51
	v_add_co_ci_u32_e32 v47, vcc_lo, s5, v57, vcc_lo
	v_lshlrev_b64 v[56:57], 2, v[49:50]
	v_add_nc_u32_e32 v78, s1, v76
	v_add_co_u32 v48, vcc_lo, s4, v1
	v_ashrrev_i32_e32 v54, 31, v53
	v_add_co_ci_u32_e32 v49, vcc_lo, s5, v2, vcc_lo
	s_delay_alu instid0(VALU_DEP_4) | instskip(SKIP_3) | instid1(VALU_DEP_4)
	v_add_nc_u32_e32 v80, s1, v78
	v_lshlrev_b64 v[1:2], 2, v[51:52]
	v_add_co_u32 v50, vcc_lo, s4, v56
	v_lshlrev_b64 v[69:70], 2, v[53:54]
	v_add_nc_u32_e32 v82, s1, v80
	v_ashrrev_i32_e32 v56, 31, v55
	v_add_co_ci_u32_e32 v51, vcc_lo, s5, v57, vcc_lo
	v_add_co_u32 v52, vcc_lo, s4, v1
	s_delay_alu instid0(VALU_DEP_4) | instskip(SKIP_3) | instid1(VALU_DEP_4)
	v_add_nc_u32_e32 v84, s1, v82
	v_add_co_ci_u32_e32 v53, vcc_lo, s5, v2, vcc_lo
	v_lshlrev_b64 v[1:2], 2, v[55:56]
	v_ashrrev_i32_e32 v59, 31, v58
	v_add_nc_u32_e32 v86, s1, v84
	v_add_co_u32 v56, vcc_lo, s4, v69
	v_ashrrev_i32_e32 v61, 31, v60
	v_add_co_ci_u32_e32 v57, vcc_lo, s5, v70, vcc_lo
	s_delay_alu instid0(VALU_DEP_4) | instskip(SKIP_3) | instid1(VALU_DEP_4)
	v_add_nc_u32_e32 v88, s1, v86
	v_lshlrev_b64 v[69:70], 2, v[58:59]
	v_add_co_u32 v58, vcc_lo, s4, v1
	v_add_co_ci_u32_e32 v59, vcc_lo, s5, v2, vcc_lo
	v_add_nc_u32_e32 v90, s1, v88
	v_lshlrev_b64 v[1:2], 2, v[60:61]
	v_ashrrev_i32_e32 v63, 31, v62
	v_ashrrev_i32_e32 v65, 31, v64
	;; [unrolled: 1-line block ×3, first 2 shown]
	v_add_nc_u32_e32 v92, s1, v90
	v_ashrrev_i32_e32 v73, 31, v72
	v_ashrrev_i32_e32 v75, 31, v74
	;; [unrolled: 1-line block ×4, first 2 shown]
	v_add_nc_u32_e32 v54, s1, v92
	v_ashrrev_i32_e32 v81, 31, v80
	v_lshlrev_b64 v[74:75], 2, v[74:75]
	v_ashrrev_i32_e32 v83, 31, v82
	v_lshlrev_b64 v[78:79], 2, v[78:79]
	v_ashrrev_i32_e32 v55, 31, v54
	v_ashrrev_i32_e32 v85, 31, v84
	;; [unrolled: 1-line block ×3, first 2 shown]
	v_lshlrev_b64 v[82:83], 2, v[82:83]
	v_ashrrev_i32_e32 v89, 31, v88
	v_lshlrev_b64 v[54:55], 2, v[54:55]
	v_ashrrev_i32_e32 v91, 31, v90
	;; [unrolled: 2-line block ×3, first 2 shown]
	s_clause 0x8
	global_load_b32 v94, v3, s[4:5]
	global_load_b32 v95, v[6:7], off
	global_load_b32 v96, v[8:9], off
	;; [unrolled: 1-line block ×8, first 2 shown]
	v_add_co_u32 v54, vcc_lo, s4, v54
	v_add_co_ci_u32_e32 v55, vcc_lo, s5, v55, vcc_lo
	v_add_co_u32 v60, vcc_lo, s4, v69
	v_add_co_ci_u32_e32 v61, vcc_lo, s5, v70, vcc_lo
	v_lshlrev_b64 v[69:70], 2, v[62:63]
	v_add_co_u32 v62, vcc_lo, s4, v1
	v_add_co_ci_u32_e32 v63, vcc_lo, s5, v2, vcc_lo
	v_lshlrev_b64 v[1:2], 2, v[64:65]
	s_delay_alu instid0(VALU_DEP_4)
	v_add_co_u32 v64, vcc_lo, s4, v69
	v_ashrrev_i32_e32 v69, 31, v68
	v_add_co_ci_u32_e32 v65, vcc_lo, s5, v70, vcc_lo
	v_lshlrev_b64 v[70:71], 2, v[66:67]
	v_add_co_u32 v66, vcc_lo, s4, v1
	v_add_co_ci_u32_e32 v67, vcc_lo, s5, v2, vcc_lo
	v_lshlrev_b64 v[1:2], 2, v[68:69]
	s_delay_alu instid0(VALU_DEP_4) | instskip(SKIP_2) | instid1(VALU_DEP_4)
	v_add_co_u32 v68, vcc_lo, s4, v70
	v_add_co_ci_u32_e32 v69, vcc_lo, s5, v71, vcc_lo
	v_lshlrev_b64 v[90:91], 2, v[90:91]
	v_add_co_u32 v70, vcc_lo, s4, v1
	v_add_co_ci_u32_e32 v71, vcc_lo, s5, v2, vcc_lo
	v_lshlrev_b64 v[1:2], 2, v[72:73]
	s_clause 0x17
	global_load_b32 v103, v[22:23], off
	global_load_b32 v104, v[24:25], off
	;; [unrolled: 1-line block ×24, first 2 shown]
	s_mov_b32 s1, -1
	s_bitcmp0_b32 s13, 0
	v_add_co_u32 v72, vcc_lo, s4, v1
	v_add_co_ci_u32_e32 v73, vcc_lo, s5, v2, vcc_lo
	v_lshlrev_b64 v[1:2], 2, v[76:77]
	v_add_co_u32 v74, vcc_lo, s4, v74
	v_add_co_ci_u32_e32 v75, vcc_lo, s5, v75, vcc_lo
	s_delay_alu instid0(VALU_DEP_3) | instskip(NEXT) | instid1(VALU_DEP_4)
	v_add_co_u32 v76, vcc_lo, s4, v1
	v_add_co_ci_u32_e32 v77, vcc_lo, s5, v2, vcc_lo
	v_lshlrev_b64 v[1:2], 2, v[80:81]
	v_add_co_u32 v78, vcc_lo, s4, v78
	v_add_co_ci_u32_e32 v79, vcc_lo, s5, v79, vcc_lo
	s_delay_alu instid0(VALU_DEP_3) | instskip(NEXT) | instid1(VALU_DEP_4)
	;; [unrolled: 6-line block ×5, first 2 shown]
	v_add_co_u32 v92, vcc_lo, s4, v1
	v_add_co_ci_u32_e32 v93, vcc_lo, s5, v2, vcc_lo
	s_clause 0xb
	global_load_b32 v127, v[72:73], off
	global_load_b32 v128, v[74:75], off
	;; [unrolled: 1-line block ×12, first 2 shown]
	s_waitcnt vmcnt(41)
	scratch_store_b128 off, v[94:97], off
	s_waitcnt vmcnt(37)
	scratch_store_b128 off, v[98:101], off offset:16
	s_waitcnt vmcnt(33)
	scratch_store_b128 off, v[102:105], off offset:32
	;; [unrolled: 2-line block ×10, first 2 shown]
	s_waitcnt vmcnt(0)
	scratch_store_b32 off, v1, off offset:176
	s_cbranch_scc1 .LBB108_186
; %bb.4:
	v_cmp_eq_u32_e64 s0, 0, v0
	s_delay_alu instid0(VALU_DEP_1)
	s_and_saveexec_b32 s1, s0
	s_cbranch_execz .LBB108_6
; %bb.5:
	v_mov_b32_e32 v1, 0
	ds_store_b32 v1, v1 offset:180
.LBB108_6:
	s_or_b32 exec_lo, exec_lo, s1
	s_waitcnt lgkmcnt(0)
	s_waitcnt_vscnt null, 0x0
	s_barrier
	buffer_gl0_inv
	scratch_load_b32 v1, v3, off
	s_mov_b32 s4, exec_lo
	s_waitcnt vmcnt(0)
	v_cmpx_eq_f32_e32 0, v1
	s_cbranch_execz .LBB108_10
; %bb.7:
	v_mov_b32_e32 v1, 0
	s_mov_b32 s5, 0
	ds_load_b32 v2, v1 offset:180
	s_waitcnt lgkmcnt(0)
	v_readfirstlane_b32 s1, v2
	v_add_nc_u32_e32 v2, 1, v0
	s_delay_alu instid0(VALU_DEP_2) | instskip(NEXT) | instid1(VALU_DEP_1)
	s_cmp_eq_u32 s1, 0
	v_cmp_gt_i32_e32 vcc_lo, s1, v2
	s_cselect_b32 s10, -1, 0
	s_delay_alu instid0(SALU_CYCLE_1) | instskip(NEXT) | instid1(SALU_CYCLE_1)
	s_or_b32 s10, s10, vcc_lo
	s_and_b32 exec_lo, exec_lo, s10
	s_cbranch_execz .LBB108_10
; %bb.8:
	v_mov_b32_e32 v94, s1
.LBB108_9:                              ; =>This Inner Loop Header: Depth=1
	ds_cmpstore_rtn_b32 v94, v1, v2, v94 offset:180
	s_waitcnt lgkmcnt(0)
	v_cmp_ne_u32_e32 vcc_lo, 0, v94
	v_cmp_le_i32_e64 s1, v94, v2
	s_delay_alu instid0(VALU_DEP_1) | instskip(NEXT) | instid1(SALU_CYCLE_1)
	s_and_b32 s1, vcc_lo, s1
	s_and_b32 s1, exec_lo, s1
	s_delay_alu instid0(SALU_CYCLE_1) | instskip(NEXT) | instid1(SALU_CYCLE_1)
	s_or_b32 s5, s1, s5
	s_and_not1_b32 exec_lo, exec_lo, s5
	s_cbranch_execnz .LBB108_9
.LBB108_10:
	s_or_b32 exec_lo, exec_lo, s4
	v_mov_b32_e32 v1, 0
	s_barrier
	buffer_gl0_inv
	ds_load_b32 v2, v1 offset:180
	s_and_saveexec_b32 s1, s0
	s_cbranch_execz .LBB108_12
; %bb.11:
	s_lshl_b64 s[4:5], s[8:9], 2
	s_delay_alu instid0(SALU_CYCLE_1)
	s_add_u32 s4, s6, s4
	s_addc_u32 s5, s7, s5
	s_waitcnt lgkmcnt(0)
	global_store_b32 v1, v2, s[4:5]
.LBB108_12:
	s_or_b32 exec_lo, exec_lo, s1
	s_waitcnt lgkmcnt(0)
	v_cmp_ne_u32_e32 vcc_lo, 0, v2
	s_mov_b32 s1, 0
	s_cbranch_vccnz .LBB108_186
; %bb.13:
	v_add_nc_u32_e32 v1, 0, v3
	scratch_load_b32 v2, v1, off
	s_waitcnt vmcnt(0)
	v_div_scale_f32 v94, null, v2, v2, 1.0
	v_div_scale_f32 v97, vcc_lo, 1.0, v2, 1.0
	s_delay_alu instid0(VALU_DEP_2) | instskip(SKIP_2) | instid1(VALU_DEP_1)
	v_rcp_f32_e32 v95, v94
	s_waitcnt_depctr 0xfff
	v_fma_f32 v96, -v94, v95, 1.0
	v_fmac_f32_e32 v95, v96, v95
	s_delay_alu instid0(VALU_DEP_1) | instskip(NEXT) | instid1(VALU_DEP_1)
	v_mul_f32_e32 v96, v97, v95
	v_fma_f32 v98, -v94, v96, v97
	s_delay_alu instid0(VALU_DEP_1) | instskip(NEXT) | instid1(VALU_DEP_1)
	v_fmac_f32_e32 v96, v98, v95
	v_fma_f32 v94, -v94, v96, v97
	s_delay_alu instid0(VALU_DEP_1) | instskip(NEXT) | instid1(VALU_DEP_1)
	v_div_fmas_f32 v94, v94, v95, v96
	v_div_fixup_f32 v2, v94, v2, 1.0
	scratch_store_b32 v1, v2, off
	scratch_load_b32 v94, off, off offset:4
	v_xor_b32_e32 v95, 0x80000000, v2
	v_add_nc_u32_e32 v2, 0xc0, v3
	s_waitcnt vmcnt(0)
	ds_store_2addr_b32 v3, v95, v94 offset1:48
	s_waitcnt lgkmcnt(0)
	s_waitcnt_vscnt null, 0x0
	s_barrier
	buffer_gl0_inv
	s_and_saveexec_b32 s1, s0
	s_cbranch_execz .LBB108_15
; %bb.14:
	scratch_load_b32 v94, v1, off
	ds_load_b32 v95, v2
	v_mov_b32_e32 v96, 0
	ds_load_b32 v96, v96 offset:4
	s_waitcnt vmcnt(0) lgkmcnt(1)
	v_fma_f32 v94, v94, v95, 0
	s_waitcnt lgkmcnt(0)
	s_delay_alu instid0(VALU_DEP_1)
	v_mul_f32_e32 v94, v94, v96
	scratch_store_b32 off, v94, off offset:4
.LBB108_15:
	s_or_b32 exec_lo, exec_lo, s1
	s_waitcnt_vscnt null, 0x0
	s_barrier
	buffer_gl0_inv
	scratch_load_b32 v94, off, off offset:8
	s_mov_b32 s1, exec_lo
	s_waitcnt vmcnt(0)
	ds_store_b32 v2, v94
	s_waitcnt lgkmcnt(0)
	s_barrier
	buffer_gl0_inv
	v_cmpx_gt_u32_e32 2, v0
	s_cbranch_execz .LBB108_17
; %bb.16:
	scratch_load_b32 v96, v1, off
	scratch_load_b32 v97, off, off offset:4
	ds_load_b32 v98, v2
	v_mov_b32_e32 v94, 0
	ds_load_2addr_b32 v[94:95], v94 offset0:2 offset1:49
	s_waitcnt vmcnt(1) lgkmcnt(1)
	v_fma_f32 v96, v96, v98, 0
	s_waitcnt vmcnt(0) lgkmcnt(0)
	s_delay_alu instid0(VALU_DEP_1) | instskip(NEXT) | instid1(VALU_DEP_1)
	v_fma_f32 v95, v97, v95, v96
	v_cndmask_b32_e64 v95, v96, v95, s0
	s_delay_alu instid0(VALU_DEP_1)
	v_mul_f32_e32 v94, v95, v94
	scratch_store_b32 off, v94, off offset:8
.LBB108_17:
	s_or_b32 exec_lo, exec_lo, s1
	s_waitcnt_vscnt null, 0x0
	s_barrier
	buffer_gl0_inv
	scratch_load_b32 v95, off, off offset:12
	v_add_nc_u32_e32 v94, -1, v0
	s_mov_b32 s0, exec_lo
	s_waitcnt vmcnt(0)
	ds_store_b32 v2, v95
	s_waitcnt lgkmcnt(0)
	s_barrier
	buffer_gl0_inv
	v_cmpx_gt_u32_e32 3, v0
	s_cbranch_execz .LBB108_21
; %bb.18:
	v_dual_mov_b32 v95, 0 :: v_dual_add_nc_u32 v96, -1, v0
	v_add_nc_u32_e32 v97, 0xc0, v3
	v_add_nc_u32_e32 v98, 0, v3
	s_mov_b32 s1, 0
.LBB108_19:                             ; =>This Inner Loop Header: Depth=1
	scratch_load_b32 v99, v98, off
	ds_load_b32 v100, v97
	v_add_nc_u32_e32 v96, 1, v96
	v_add_nc_u32_e32 v97, 4, v97
	v_add_nc_u32_e32 v98, 4, v98
	s_delay_alu instid0(VALU_DEP_3)
	v_cmp_lt_u32_e32 vcc_lo, 1, v96
	s_or_b32 s1, vcc_lo, s1
	s_waitcnt vmcnt(0) lgkmcnt(0)
	v_fmac_f32_e32 v95, v99, v100
	s_and_not1_b32 exec_lo, exec_lo, s1
	s_cbranch_execnz .LBB108_19
; %bb.20:
	s_or_b32 exec_lo, exec_lo, s1
	v_mov_b32_e32 v96, 0
	ds_load_b32 v96, v96 offset:12
	s_waitcnt lgkmcnt(0)
	v_mul_f32_e32 v95, v95, v96
	scratch_store_b32 off, v95, off offset:12
.LBB108_21:
	s_or_b32 exec_lo, exec_lo, s0
	s_waitcnt_vscnt null, 0x0
	s_barrier
	buffer_gl0_inv
	scratch_load_b32 v95, off, off offset:16
	s_mov_b32 s0, exec_lo
	s_waitcnt vmcnt(0)
	ds_store_b32 v2, v95
	s_waitcnt lgkmcnt(0)
	s_barrier
	buffer_gl0_inv
	v_cmpx_gt_u32_e32 4, v0
	s_cbranch_execz .LBB108_25
; %bb.22:
	v_dual_mov_b32 v95, 0 :: v_dual_add_nc_u32 v96, -1, v0
	v_add_nc_u32_e32 v97, 0xc0, v3
	v_add_nc_u32_e32 v98, 0, v3
	s_mov_b32 s1, 0
.LBB108_23:                             ; =>This Inner Loop Header: Depth=1
	scratch_load_b32 v99, v98, off
	ds_load_b32 v100, v97
	v_add_nc_u32_e32 v96, 1, v96
	v_add_nc_u32_e32 v97, 4, v97
	v_add_nc_u32_e32 v98, 4, v98
	s_delay_alu instid0(VALU_DEP_3)
	v_cmp_lt_u32_e32 vcc_lo, 2, v96
	s_or_b32 s1, vcc_lo, s1
	s_waitcnt vmcnt(0) lgkmcnt(0)
	v_fmac_f32_e32 v95, v99, v100
	s_and_not1_b32 exec_lo, exec_lo, s1
	s_cbranch_execnz .LBB108_23
; %bb.24:
	s_or_b32 exec_lo, exec_lo, s1
	v_mov_b32_e32 v96, 0
	ds_load_b32 v96, v96 offset:16
	s_waitcnt lgkmcnt(0)
	v_mul_f32_e32 v95, v95, v96
	scratch_store_b32 off, v95, off offset:16
.LBB108_25:
	s_or_b32 exec_lo, exec_lo, s0
	s_waitcnt_vscnt null, 0x0
	s_barrier
	buffer_gl0_inv
	scratch_load_b32 v95, off, off offset:20
	;; [unrolled: 39-line block ×21, first 2 shown]
	s_mov_b32 s0, exec_lo
	s_waitcnt vmcnt(0)
	ds_store_b32 v2, v95
	s_waitcnt lgkmcnt(0)
	s_barrier
	buffer_gl0_inv
	v_cmpx_gt_u32_e32 24, v0
	s_cbranch_execz .LBB108_105
; %bb.102:
	v_dual_mov_b32 v95, 0 :: v_dual_add_nc_u32 v96, -1, v0
	v_add_nc_u32_e32 v97, 0xc0, v3
	v_add_nc_u32_e32 v98, 0, v3
	s_mov_b32 s1, 0
.LBB108_103:                            ; =>This Inner Loop Header: Depth=1
	scratch_load_b32 v99, v98, off
	ds_load_b32 v100, v97
	v_add_nc_u32_e32 v96, 1, v96
	v_add_nc_u32_e32 v97, 4, v97
	v_add_nc_u32_e32 v98, 4, v98
	s_delay_alu instid0(VALU_DEP_3)
	v_cmp_lt_u32_e32 vcc_lo, 22, v96
	s_or_b32 s1, vcc_lo, s1
	s_waitcnt vmcnt(0) lgkmcnt(0)
	v_fmac_f32_e32 v95, v99, v100
	s_and_not1_b32 exec_lo, exec_lo, s1
	s_cbranch_execnz .LBB108_103
; %bb.104:
	s_or_b32 exec_lo, exec_lo, s1
	v_mov_b32_e32 v96, 0
	ds_load_b32 v96, v96 offset:96
	s_waitcnt lgkmcnt(0)
	v_mul_f32_e32 v95, v95, v96
	scratch_store_b32 off, v95, off offset:96
.LBB108_105:
	s_or_b32 exec_lo, exec_lo, s0
	s_waitcnt_vscnt null, 0x0
	s_barrier
	buffer_gl0_inv
	scratch_load_b32 v95, off, off offset:100
	s_mov_b32 s0, exec_lo
	s_waitcnt vmcnt(0)
	ds_store_b32 v2, v95
	s_waitcnt lgkmcnt(0)
	s_barrier
	buffer_gl0_inv
	v_cmpx_gt_u32_e32 25, v0
	s_cbranch_execz .LBB108_109
; %bb.106:
	v_dual_mov_b32 v95, 0 :: v_dual_add_nc_u32 v96, -1, v0
	v_add_nc_u32_e32 v97, 0xc0, v3
	v_add_nc_u32_e32 v98, 0, v3
	s_mov_b32 s1, 0
.LBB108_107:                            ; =>This Inner Loop Header: Depth=1
	scratch_load_b32 v99, v98, off
	ds_load_b32 v100, v97
	v_add_nc_u32_e32 v96, 1, v96
	v_add_nc_u32_e32 v97, 4, v97
	v_add_nc_u32_e32 v98, 4, v98
	s_delay_alu instid0(VALU_DEP_3)
	v_cmp_lt_u32_e32 vcc_lo, 23, v96
	s_or_b32 s1, vcc_lo, s1
	s_waitcnt vmcnt(0) lgkmcnt(0)
	v_fmac_f32_e32 v95, v99, v100
	s_and_not1_b32 exec_lo, exec_lo, s1
	s_cbranch_execnz .LBB108_107
; %bb.108:
	s_or_b32 exec_lo, exec_lo, s1
	v_mov_b32_e32 v96, 0
	ds_load_b32 v96, v96 offset:100
	s_waitcnt lgkmcnt(0)
	v_mul_f32_e32 v95, v95, v96
	scratch_store_b32 off, v95, off offset:100
.LBB108_109:
	s_or_b32 exec_lo, exec_lo, s0
	s_waitcnt_vscnt null, 0x0
	s_barrier
	buffer_gl0_inv
	scratch_load_b32 v95, off, off offset:104
	;; [unrolled: 39-line block ×19, first 2 shown]
	s_mov_b32 s0, exec_lo
	s_waitcnt vmcnt(0)
	ds_store_b32 v2, v95
	s_waitcnt lgkmcnt(0)
	s_barrier
	buffer_gl0_inv
	v_cmpx_gt_u32_e32 43, v0
	s_cbranch_execz .LBB108_181
; %bb.178:
	v_add_nc_u32_e32 v95, -1, v0
	v_add_nc_u32_e32 v96, 0xc0, v3
	v_add_nc_u32_e32 v97, 0, v3
	v_mov_b32_e32 v3, 0
	s_mov_b32 s1, 0
.LBB108_179:                            ; =>This Inner Loop Header: Depth=1
	scratch_load_b32 v98, v97, off
	ds_load_b32 v99, v96
	v_add_nc_u32_e32 v95, 1, v95
	v_add_nc_u32_e32 v96, 4, v96
	;; [unrolled: 1-line block ×3, first 2 shown]
	s_delay_alu instid0(VALU_DEP_3)
	v_cmp_lt_u32_e32 vcc_lo, 41, v95
	s_or_b32 s1, vcc_lo, s1
	s_waitcnt vmcnt(0) lgkmcnt(0)
	v_fmac_f32_e32 v3, v98, v99
	s_and_not1_b32 exec_lo, exec_lo, s1
	s_cbranch_execnz .LBB108_179
; %bb.180:
	s_or_b32 exec_lo, exec_lo, s1
	v_mov_b32_e32 v95, 0
	ds_load_b32 v95, v95 offset:172
	s_waitcnt lgkmcnt(0)
	v_mul_f32_e32 v3, v3, v95
	scratch_store_b32 off, v3, off offset:172
.LBB108_181:
	s_or_b32 exec_lo, exec_lo, s0
	s_waitcnt_vscnt null, 0x0
	s_barrier
	buffer_gl0_inv
	scratch_load_b32 v3, off, off offset:176
	s_mov_b32 s0, exec_lo
	s_waitcnt vmcnt(0)
	ds_store_b32 v2, v3
	s_waitcnt lgkmcnt(0)
	s_barrier
	buffer_gl0_inv
	v_cmpx_ne_u32_e32 44, v0
	s_cbranch_execz .LBB108_185
; %bb.182:
	v_mov_b32_e32 v3, 0
	s_mov_b32 s1, 0
.LBB108_183:                            ; =>This Inner Loop Header: Depth=1
	scratch_load_b32 v95, v1, off
	ds_load_b32 v96, v2
	v_add_nc_u32_e32 v94, 1, v94
	v_add_nc_u32_e32 v2, 4, v2
	;; [unrolled: 1-line block ×3, first 2 shown]
	s_waitcnt vmcnt(0) lgkmcnt(0)
	v_fmac_f32_e32 v3, v95, v96
	v_cmp_lt_u32_e32 vcc_lo, 42, v94
	s_or_b32 s1, vcc_lo, s1
	s_delay_alu instid0(SALU_CYCLE_1)
	s_and_not1_b32 exec_lo, exec_lo, s1
	s_cbranch_execnz .LBB108_183
; %bb.184:
	s_or_b32 exec_lo, exec_lo, s1
	v_mov_b32_e32 v1, 0
	ds_load_b32 v1, v1 offset:176
	s_waitcnt lgkmcnt(0)
	v_mul_f32_e32 v1, v3, v1
	scratch_store_b32 off, v1, off offset:176
.LBB108_185:
	s_or_b32 exec_lo, exec_lo, s0
	s_mov_b32 s1, -1
	s_waitcnt_vscnt null, 0x0
	s_barrier
	buffer_gl0_inv
.LBB108_186:
	s_and_b32 vcc_lo, exec_lo, s1
	s_cbranch_vccz .LBB108_188
; %bb.187:
	s_lshl_b64 s[0:1], s[8:9], 2
	v_mov_b32_e32 v1, 0
	s_add_u32 s0, s6, s0
	s_addc_u32 s1, s7, s1
	global_load_b32 v1, v1, s[0:1]
	s_waitcnt vmcnt(0)
	v_cmp_ne_u32_e32 vcc_lo, 0, v1
	s_cbranch_vccz .LBB108_189
.LBB108_188:
	s_endpgm
.LBB108_189:
	v_lshl_add_u32 v1, v0, 2, 0xc0
	s_mov_b32 s0, exec_lo
	v_cmpx_eq_u32_e32 44, v0
	s_cbranch_execz .LBB108_191
; %bb.190:
	scratch_load_b32 v2, off, off offset:172
	v_mov_b32_e32 v3, 0
	scratch_store_b32 off, v3, off offset:172
	s_waitcnt vmcnt(0)
	ds_store_b32 v1, v2
.LBB108_191:
	s_or_b32 exec_lo, exec_lo, s0
	s_waitcnt lgkmcnt(0)
	s_waitcnt_vscnt null, 0x0
	s_barrier
	buffer_gl0_inv
	scratch_load_b64 v[94:95], off, off offset:172
	v_mov_b32_e32 v2, 0
	s_mov_b32 s0, exec_lo
	ds_load_b32 v3, v2 offset:368
	s_waitcnt vmcnt(0) lgkmcnt(0)
	v_fma_f32 v3, v95, v3, 0
	s_delay_alu instid0(VALU_DEP_1)
	v_sub_f32_e32 v3, v94, v3
	scratch_store_b32 off, v3, off offset:172
	v_cmpx_lt_u32_e32 42, v0
	s_cbranch_execz .LBB108_193
; %bb.192:
	scratch_load_b32 v3, off, off offset:168
	scratch_store_b32 off, v2, off offset:168
	s_waitcnt vmcnt(0)
	ds_store_b32 v1, v3
.LBB108_193:
	s_or_b32 exec_lo, exec_lo, s0
	s_waitcnt lgkmcnt(0)
	s_waitcnt_vscnt null, 0x0
	s_barrier
	buffer_gl0_inv
	scratch_load_b96 v[94:96], off, off offset:168
	ds_load_2addr_b32 v[2:3], v2 offset0:91 offset1:92
	s_mov_b32 s0, exec_lo
	s_waitcnt vmcnt(0) lgkmcnt(0)
	v_fma_f32 v2, v95, v2, 0
	s_delay_alu instid0(VALU_DEP_1) | instskip(NEXT) | instid1(VALU_DEP_1)
	v_fmac_f32_e32 v2, v96, v3
	v_sub_f32_e32 v2, v94, v2
	scratch_store_b32 off, v2, off offset:168
	v_cmpx_lt_u32_e32 41, v0
	s_cbranch_execz .LBB108_195
; %bb.194:
	scratch_load_b32 v2, off, off offset:164
	v_mov_b32_e32 v3, 0
	scratch_store_b32 off, v3, off offset:164
	s_waitcnt vmcnt(0)
	ds_store_b32 v1, v2
.LBB108_195:
	s_or_b32 exec_lo, exec_lo, s0
	s_waitcnt lgkmcnt(0)
	s_waitcnt_vscnt null, 0x0
	s_barrier
	buffer_gl0_inv
	scratch_load_b128 v[94:97], off, off offset:164
	v_mov_b32_e32 v2, 0
	ds_load_b64 v[98:99], v2 offset:360
	ds_load_b32 v3, v2 offset:368
	s_mov_b32 s0, exec_lo
	s_waitcnt vmcnt(0) lgkmcnt(1)
	v_fma_f32 v95, v95, v98, 0
	s_delay_alu instid0(VALU_DEP_1) | instskip(SKIP_1) | instid1(VALU_DEP_1)
	v_fmac_f32_e32 v95, v96, v99
	s_waitcnt lgkmcnt(0)
	v_fmac_f32_e32 v95, v97, v3
	s_delay_alu instid0(VALU_DEP_1)
	v_sub_f32_e32 v3, v94, v95
	scratch_store_b32 off, v3, off offset:164
	v_cmpx_lt_u32_e32 40, v0
	s_cbranch_execz .LBB108_197
; %bb.196:
	scratch_load_b32 v3, off, off offset:160
	scratch_store_b32 off, v2, off offset:160
	s_waitcnt vmcnt(0)
	ds_store_b32 v1, v3
.LBB108_197:
	s_or_b32 exec_lo, exec_lo, s0
	s_waitcnt lgkmcnt(0)
	s_waitcnt_vscnt null, 0x0
	s_barrier
	buffer_gl0_inv
	s_clause 0x1
	scratch_load_b128 v[94:97], off, off offset:160
	scratch_load_b32 v100, off, off offset:176
	ds_load_2addr_b32 v[98:99], v2 offset0:89 offset1:90
	ds_load_2addr_b32 v[2:3], v2 offset0:91 offset1:92
	s_mov_b32 s0, exec_lo
	s_waitcnt vmcnt(1) lgkmcnt(1)
	v_fma_f32 v95, v95, v98, 0
	s_delay_alu instid0(VALU_DEP_1) | instskip(SKIP_1) | instid1(VALU_DEP_1)
	v_fmac_f32_e32 v95, v96, v99
	s_waitcnt lgkmcnt(0)
	v_fmac_f32_e32 v95, v97, v2
	s_waitcnt vmcnt(0)
	s_delay_alu instid0(VALU_DEP_1) | instskip(NEXT) | instid1(VALU_DEP_1)
	v_fmac_f32_e32 v95, v100, v3
	v_sub_f32_e32 v2, v94, v95
	scratch_store_b32 off, v2, off offset:160
	v_cmpx_lt_u32_e32 39, v0
	s_cbranch_execz .LBB108_199
; %bb.198:
	scratch_load_b32 v2, off, off offset:156
	v_mov_b32_e32 v3, 0
	scratch_store_b32 off, v3, off offset:156
	s_waitcnt vmcnt(0)
	ds_store_b32 v1, v2
.LBB108_199:
	s_or_b32 exec_lo, exec_lo, s0
	s_waitcnt lgkmcnt(0)
	s_waitcnt_vscnt null, 0x0
	s_barrier
	buffer_gl0_inv
	s_clause 0x1
	scratch_load_b128 v[94:97], off, off offset:156
	scratch_load_b64 v[102:103], off, off offset:172
	v_mov_b32_e32 v2, 0
	ds_load_b128 v[98:101], v2 offset:352
	ds_load_b32 v3, v2 offset:368
	s_mov_b32 s0, exec_lo
	s_waitcnt vmcnt(1) lgkmcnt(1)
	v_fma_f32 v95, v95, v98, 0
	s_delay_alu instid0(VALU_DEP_1) | instskip(NEXT) | instid1(VALU_DEP_1)
	v_fmac_f32_e32 v95, v96, v99
	v_fmac_f32_e32 v95, v97, v100
	s_waitcnt vmcnt(0)
	s_delay_alu instid0(VALU_DEP_1) | instskip(SKIP_1) | instid1(VALU_DEP_1)
	v_fmac_f32_e32 v95, v102, v101
	s_waitcnt lgkmcnt(0)
	v_fmac_f32_e32 v95, v103, v3
	s_delay_alu instid0(VALU_DEP_1)
	v_sub_f32_e32 v3, v94, v95
	scratch_store_b32 off, v3, off offset:156
	v_cmpx_lt_u32_e32 38, v0
	s_cbranch_execz .LBB108_201
; %bb.200:
	scratch_load_b32 v3, off, off offset:152
	scratch_store_b32 off, v2, off offset:152
	s_waitcnt vmcnt(0)
	ds_store_b32 v1, v3
.LBB108_201:
	s_or_b32 exec_lo, exec_lo, s0
	s_waitcnt lgkmcnt(0)
	s_waitcnt_vscnt null, 0x0
	s_barrier
	buffer_gl0_inv
	s_clause 0x1
	scratch_load_b128 v[94:97], off, off offset:152
	scratch_load_b96 v[98:100], off, off offset:168
	ds_load_2addr_b32 v[101:102], v2 offset0:87 offset1:88
	ds_load_2addr_b32 v[103:104], v2 offset0:89 offset1:90
	;; [unrolled: 1-line block ×3, first 2 shown]
	s_mov_b32 s0, exec_lo
	s_waitcnt vmcnt(1) lgkmcnt(2)
	v_fma_f32 v95, v95, v101, 0
	s_delay_alu instid0(VALU_DEP_1) | instskip(SKIP_1) | instid1(VALU_DEP_1)
	v_fmac_f32_e32 v95, v96, v102
	s_waitcnt lgkmcnt(1)
	v_fmac_f32_e32 v95, v97, v103
	s_waitcnt vmcnt(0)
	s_delay_alu instid0(VALU_DEP_1) | instskip(SKIP_1) | instid1(VALU_DEP_1)
	v_fmac_f32_e32 v95, v98, v104
	s_waitcnt lgkmcnt(0)
	v_fmac_f32_e32 v95, v99, v2
	s_delay_alu instid0(VALU_DEP_1) | instskip(NEXT) | instid1(VALU_DEP_1)
	v_fmac_f32_e32 v95, v100, v3
	v_sub_f32_e32 v2, v94, v95
	scratch_store_b32 off, v2, off offset:152
	v_cmpx_lt_u32_e32 37, v0
	s_cbranch_execz .LBB108_203
; %bb.202:
	scratch_load_b32 v2, off, off offset:148
	v_mov_b32_e32 v3, 0
	scratch_store_b32 off, v3, off offset:148
	s_waitcnt vmcnt(0)
	ds_store_b32 v1, v2
.LBB108_203:
	s_or_b32 exec_lo, exec_lo, s0
	s_waitcnt lgkmcnt(0)
	s_waitcnt_vscnt null, 0x0
	s_barrier
	buffer_gl0_inv
	s_clause 0x1
	scratch_load_b128 v[94:97], off, off offset:148
	scratch_load_b128 v[98:101], off, off offset:164
	v_mov_b32_e32 v2, 0
	ds_load_2addr_b64 v[102:105], v2 offset0:43 offset1:44
	ds_load_b64 v[106:107], v2 offset:360
	s_mov_b32 s0, exec_lo
	s_waitcnt vmcnt(1) lgkmcnt(1)
	v_fma_f32 v3, v95, v102, 0
	s_delay_alu instid0(VALU_DEP_1) | instskip(SKIP_3) | instid1(VALU_DEP_1)
	v_fmac_f32_e32 v3, v96, v103
	ds_load_b32 v95, v2 offset:368
	v_fmac_f32_e32 v3, v97, v104
	s_waitcnt vmcnt(0)
	v_fmac_f32_e32 v3, v98, v105
	s_waitcnt lgkmcnt(1)
	s_delay_alu instid0(VALU_DEP_1) | instskip(NEXT) | instid1(VALU_DEP_1)
	v_fmac_f32_e32 v3, v99, v106
	v_fmac_f32_e32 v3, v100, v107
	s_waitcnt lgkmcnt(0)
	s_delay_alu instid0(VALU_DEP_1) | instskip(NEXT) | instid1(VALU_DEP_1)
	v_fmac_f32_e32 v3, v101, v95
	v_sub_f32_e32 v3, v94, v3
	scratch_store_b32 off, v3, off offset:148
	v_cmpx_lt_u32_e32 36, v0
	s_cbranch_execz .LBB108_205
; %bb.204:
	scratch_load_b32 v3, off, off offset:144
	scratch_store_b32 off, v2, off offset:144
	s_waitcnt vmcnt(0)
	ds_store_b32 v1, v3
.LBB108_205:
	s_or_b32 exec_lo, exec_lo, s0
	s_waitcnt lgkmcnt(0)
	s_waitcnt_vscnt null, 0x0
	s_barrier
	buffer_gl0_inv
	s_clause 0x2
	scratch_load_b128 v[94:97], off, off offset:144
	scratch_load_b128 v[98:101], off, off offset:160
	scratch_load_b32 v108, off, off offset:176
	ds_load_2addr_b32 v[102:103], v2 offset0:85 offset1:86
	ds_load_2addr_b32 v[104:105], v2 offset0:87 offset1:88
	;; [unrolled: 1-line block ×4, first 2 shown]
	s_mov_b32 s0, exec_lo
	s_waitcnt vmcnt(2) lgkmcnt(3)
	v_fma_f32 v95, v95, v102, 0
	s_delay_alu instid0(VALU_DEP_1) | instskip(SKIP_1) | instid1(VALU_DEP_1)
	v_fmac_f32_e32 v95, v96, v103
	s_waitcnt lgkmcnt(2)
	v_fmac_f32_e32 v95, v97, v104
	s_waitcnt vmcnt(1)
	s_delay_alu instid0(VALU_DEP_1) | instskip(SKIP_1) | instid1(VALU_DEP_1)
	v_fmac_f32_e32 v95, v98, v105
	s_waitcnt lgkmcnt(1)
	v_fmac_f32_e32 v95, v99, v106
	s_delay_alu instid0(VALU_DEP_1) | instskip(SKIP_1) | instid1(VALU_DEP_1)
	v_fmac_f32_e32 v95, v100, v107
	s_waitcnt lgkmcnt(0)
	v_fmac_f32_e32 v95, v101, v2
	s_waitcnt vmcnt(0)
	s_delay_alu instid0(VALU_DEP_1) | instskip(NEXT) | instid1(VALU_DEP_1)
	v_fmac_f32_e32 v95, v108, v3
	v_sub_f32_e32 v2, v94, v95
	scratch_store_b32 off, v2, off offset:144
	v_cmpx_lt_u32_e32 35, v0
	s_cbranch_execz .LBB108_207
; %bb.206:
	scratch_load_b32 v2, off, off offset:140
	v_mov_b32_e32 v3, 0
	scratch_store_b32 off, v3, off offset:140
	s_waitcnt vmcnt(0)
	ds_store_b32 v1, v2
.LBB108_207:
	s_or_b32 exec_lo, exec_lo, s0
	s_waitcnt lgkmcnt(0)
	s_waitcnt_vscnt null, 0x0
	s_barrier
	buffer_gl0_inv
	s_clause 0x2
	scratch_load_b128 v[94:97], off, off offset:140
	scratch_load_b128 v[98:101], off, off offset:156
	scratch_load_b64 v[110:111], off, off offset:172
	v_mov_b32_e32 v2, 0
	ds_load_b128 v[102:105], v2 offset:336
	ds_load_b128 v[106:109], v2 offset:352
	s_mov_b32 s0, exec_lo
	s_waitcnt vmcnt(2) lgkmcnt(1)
	v_fma_f32 v3, v95, v102, 0
	s_delay_alu instid0(VALU_DEP_1) | instskip(SKIP_3) | instid1(VALU_DEP_1)
	v_fmac_f32_e32 v3, v96, v103
	ds_load_b32 v95, v2 offset:368
	v_fmac_f32_e32 v3, v97, v104
	s_waitcnt vmcnt(1)
	v_fmac_f32_e32 v3, v98, v105
	s_waitcnt lgkmcnt(1)
	s_delay_alu instid0(VALU_DEP_1) | instskip(NEXT) | instid1(VALU_DEP_1)
	v_fmac_f32_e32 v3, v99, v106
	v_fmac_f32_e32 v3, v100, v107
	s_delay_alu instid0(VALU_DEP_1) | instskip(SKIP_1) | instid1(VALU_DEP_1)
	v_fmac_f32_e32 v3, v101, v108
	s_waitcnt vmcnt(0)
	v_fmac_f32_e32 v3, v110, v109
	s_waitcnt lgkmcnt(0)
	s_delay_alu instid0(VALU_DEP_1) | instskip(NEXT) | instid1(VALU_DEP_1)
	v_fmac_f32_e32 v3, v111, v95
	v_sub_f32_e32 v3, v94, v3
	scratch_store_b32 off, v3, off offset:140
	v_cmpx_lt_u32_e32 34, v0
	s_cbranch_execz .LBB108_209
; %bb.208:
	scratch_load_b32 v3, off, off offset:136
	scratch_store_b32 off, v2, off offset:136
	s_waitcnt vmcnt(0)
	ds_store_b32 v1, v3
.LBB108_209:
	s_or_b32 exec_lo, exec_lo, s0
	s_waitcnt lgkmcnt(0)
	s_waitcnt_vscnt null, 0x0
	s_barrier
	buffer_gl0_inv
	s_clause 0x2
	scratch_load_b128 v[94:97], off, off offset:136
	scratch_load_b128 v[98:101], off, off offset:152
	scratch_load_b96 v[102:104], off, off offset:168
	ds_load_2addr_b32 v[105:106], v2 offset0:83 offset1:84
	ds_load_2addr_b32 v[107:108], v2 offset0:85 offset1:86
	;; [unrolled: 1-line block ×5, first 2 shown]
	s_mov_b32 s0, exec_lo
	s_waitcnt vmcnt(2) lgkmcnt(4)
	v_fma_f32 v95, v95, v105, 0
	s_delay_alu instid0(VALU_DEP_1) | instskip(SKIP_1) | instid1(VALU_DEP_1)
	v_fmac_f32_e32 v95, v96, v106
	s_waitcnt lgkmcnt(3)
	v_fmac_f32_e32 v95, v97, v107
	s_waitcnt vmcnt(1)
	s_delay_alu instid0(VALU_DEP_1) | instskip(SKIP_1) | instid1(VALU_DEP_1)
	v_fmac_f32_e32 v95, v98, v108
	s_waitcnt lgkmcnt(2)
	v_fmac_f32_e32 v95, v99, v109
	s_delay_alu instid0(VALU_DEP_1) | instskip(SKIP_1) | instid1(VALU_DEP_1)
	v_fmac_f32_e32 v95, v100, v110
	s_waitcnt lgkmcnt(1)
	v_fmac_f32_e32 v95, v101, v111
	s_waitcnt vmcnt(0)
	s_delay_alu instid0(VALU_DEP_1) | instskip(SKIP_1) | instid1(VALU_DEP_1)
	v_fmac_f32_e32 v95, v102, v112
	s_waitcnt lgkmcnt(0)
	v_fmac_f32_e32 v95, v103, v2
	s_delay_alu instid0(VALU_DEP_1) | instskip(NEXT) | instid1(VALU_DEP_1)
	v_fmac_f32_e32 v95, v104, v3
	v_sub_f32_e32 v2, v94, v95
	scratch_store_b32 off, v2, off offset:136
	v_cmpx_lt_u32_e32 33, v0
	s_cbranch_execz .LBB108_211
; %bb.210:
	scratch_load_b32 v2, off, off offset:132
	v_mov_b32_e32 v3, 0
	scratch_store_b32 off, v3, off offset:132
	s_waitcnt vmcnt(0)
	ds_store_b32 v1, v2
.LBB108_211:
	s_or_b32 exec_lo, exec_lo, s0
	s_waitcnt lgkmcnt(0)
	s_waitcnt_vscnt null, 0x0
	s_barrier
	buffer_gl0_inv
	s_clause 0x2
	scratch_load_b128 v[94:97], off, off offset:132
	scratch_load_b128 v[98:101], off, off offset:148
	;; [unrolled: 1-line block ×3, first 2 shown]
	v_mov_b32_e32 v2, 0
	ds_load_2addr_b64 v[106:109], v2 offset0:41 offset1:42
	ds_load_2addr_b64 v[110:113], v2 offset0:43 offset1:44
	s_mov_b32 s0, exec_lo
	s_waitcnt vmcnt(2) lgkmcnt(1)
	v_fma_f32 v3, v95, v106, 0
	s_delay_alu instid0(VALU_DEP_1)
	v_fmac_f32_e32 v3, v96, v107
	ds_load_b64 v[95:96], v2 offset:360
	v_fmac_f32_e32 v3, v97, v108
	ds_load_b32 v97, v2 offset:368
	s_waitcnt vmcnt(1)
	v_fmac_f32_e32 v3, v98, v109
	s_waitcnt lgkmcnt(2)
	s_delay_alu instid0(VALU_DEP_1) | instskip(NEXT) | instid1(VALU_DEP_1)
	v_fmac_f32_e32 v3, v99, v110
	v_fmac_f32_e32 v3, v100, v111
	s_delay_alu instid0(VALU_DEP_1) | instskip(SKIP_1) | instid1(VALU_DEP_1)
	v_fmac_f32_e32 v3, v101, v112
	s_waitcnt vmcnt(0)
	v_fmac_f32_e32 v3, v102, v113
	s_waitcnt lgkmcnt(1)
	s_delay_alu instid0(VALU_DEP_1) | instskip(NEXT) | instid1(VALU_DEP_1)
	v_fmac_f32_e32 v3, v103, v95
	v_fmac_f32_e32 v3, v104, v96
	s_waitcnt lgkmcnt(0)
	s_delay_alu instid0(VALU_DEP_1) | instskip(NEXT) | instid1(VALU_DEP_1)
	v_fmac_f32_e32 v3, v105, v97
	v_sub_f32_e32 v3, v94, v3
	scratch_store_b32 off, v3, off offset:132
	v_cmpx_lt_u32_e32 32, v0
	s_cbranch_execz .LBB108_213
; %bb.212:
	scratch_load_b32 v3, off, off offset:128
	scratch_store_b32 off, v2, off offset:128
	s_waitcnt vmcnt(0)
	ds_store_b32 v1, v3
.LBB108_213:
	s_or_b32 exec_lo, exec_lo, s0
	s_waitcnt lgkmcnt(0)
	s_waitcnt_vscnt null, 0x0
	s_barrier
	buffer_gl0_inv
	s_clause 0x3
	scratch_load_b128 v[94:97], off, off offset:128
	scratch_load_b128 v[98:101], off, off offset:144
	;; [unrolled: 1-line block ×3, first 2 shown]
	scratch_load_b32 v114, off, off offset:176
	ds_load_2addr_b32 v[106:107], v2 offset0:81 offset1:82
	ds_load_2addr_b32 v[108:109], v2 offset0:83 offset1:84
	;; [unrolled: 1-line block ×4, first 2 shown]
	s_mov_b32 s0, exec_lo
	s_waitcnt vmcnt(3) lgkmcnt(3)
	v_fma_f32 v106, v95, v106, 0
	s_delay_alu instid0(VALU_DEP_1)
	v_fmac_f32_e32 v106, v96, v107
	ds_load_2addr_b32 v[95:96], v2 offset0:89 offset1:90
	ds_load_2addr_b32 v[2:3], v2 offset0:91 offset1:92
	s_waitcnt lgkmcnt(4)
	v_fmac_f32_e32 v106, v97, v108
	s_waitcnt vmcnt(2)
	s_delay_alu instid0(VALU_DEP_1) | instskip(SKIP_1) | instid1(VALU_DEP_1)
	v_fmac_f32_e32 v106, v98, v109
	s_waitcnt lgkmcnt(3)
	v_fmac_f32_e32 v106, v99, v110
	s_delay_alu instid0(VALU_DEP_1) | instskip(SKIP_1) | instid1(VALU_DEP_1)
	v_fmac_f32_e32 v106, v100, v111
	s_waitcnt lgkmcnt(2)
	v_fmac_f32_e32 v106, v101, v112
	s_waitcnt vmcnt(1)
	s_delay_alu instid0(VALU_DEP_1) | instskip(SKIP_1) | instid1(VALU_DEP_1)
	v_fmac_f32_e32 v106, v102, v113
	s_waitcnt lgkmcnt(1)
	v_fmac_f32_e32 v106, v103, v95
	s_delay_alu instid0(VALU_DEP_1) | instskip(SKIP_1) | instid1(VALU_DEP_1)
	v_fmac_f32_e32 v106, v104, v96
	s_waitcnt lgkmcnt(0)
	v_fmac_f32_e32 v106, v105, v2
	s_waitcnt vmcnt(0)
	s_delay_alu instid0(VALU_DEP_1) | instskip(NEXT) | instid1(VALU_DEP_1)
	v_fmac_f32_e32 v106, v114, v3
	v_sub_f32_e32 v2, v94, v106
	scratch_store_b32 off, v2, off offset:128
	v_cmpx_lt_u32_e32 31, v0
	s_cbranch_execz .LBB108_215
; %bb.214:
	scratch_load_b32 v2, off, off offset:124
	v_mov_b32_e32 v3, 0
	scratch_store_b32 off, v3, off offset:124
	s_waitcnt vmcnt(0)
	ds_store_b32 v1, v2
.LBB108_215:
	s_or_b32 exec_lo, exec_lo, s0
	s_waitcnt lgkmcnt(0)
	s_waitcnt_vscnt null, 0x0
	s_barrier
	buffer_gl0_inv
	s_clause 0x3
	scratch_load_b128 v[94:97], off, off offset:124
	scratch_load_b128 v[98:101], off, off offset:140
	scratch_load_b128 v[102:105], off, off offset:156
	scratch_load_b64 v[114:115], off, off offset:172
	v_mov_b32_e32 v2, 0
	ds_load_b128 v[106:109], v2 offset:320
	ds_load_b128 v[110:113], v2 offset:336
	s_mov_b32 s0, exec_lo
	s_waitcnt vmcnt(3) lgkmcnt(1)
	v_fma_f32 v3, v95, v106, 0
	s_delay_alu instid0(VALU_DEP_1) | instskip(NEXT) | instid1(VALU_DEP_1)
	v_fmac_f32_e32 v3, v96, v107
	v_fmac_f32_e32 v3, v97, v108
	s_waitcnt vmcnt(2)
	s_delay_alu instid0(VALU_DEP_1)
	v_fmac_f32_e32 v3, v98, v109
	ds_load_b128 v[95:98], v2 offset:352
	s_waitcnt lgkmcnt(1)
	v_fmac_f32_e32 v3, v99, v110
	ds_load_b32 v99, v2 offset:368
	v_fmac_f32_e32 v3, v100, v111
	s_delay_alu instid0(VALU_DEP_1) | instskip(SKIP_1) | instid1(VALU_DEP_1)
	v_fmac_f32_e32 v3, v101, v112
	s_waitcnt vmcnt(1)
	v_fmac_f32_e32 v3, v102, v113
	s_waitcnt lgkmcnt(1)
	s_delay_alu instid0(VALU_DEP_1) | instskip(NEXT) | instid1(VALU_DEP_1)
	v_fmac_f32_e32 v3, v103, v95
	v_fmac_f32_e32 v3, v104, v96
	s_delay_alu instid0(VALU_DEP_1) | instskip(SKIP_1) | instid1(VALU_DEP_1)
	v_fmac_f32_e32 v3, v105, v97
	s_waitcnt vmcnt(0)
	v_fmac_f32_e32 v3, v114, v98
	s_waitcnt lgkmcnt(0)
	s_delay_alu instid0(VALU_DEP_1) | instskip(NEXT) | instid1(VALU_DEP_1)
	v_fmac_f32_e32 v3, v115, v99
	v_sub_f32_e32 v3, v94, v3
	scratch_store_b32 off, v3, off offset:124
	v_cmpx_lt_u32_e32 30, v0
	s_cbranch_execz .LBB108_217
; %bb.216:
	scratch_load_b32 v3, off, off offset:120
	scratch_store_b32 off, v2, off offset:120
	s_waitcnt vmcnt(0)
	ds_store_b32 v1, v3
.LBB108_217:
	s_or_b32 exec_lo, exec_lo, s0
	s_waitcnt lgkmcnt(0)
	s_waitcnt_vscnt null, 0x0
	s_barrier
	buffer_gl0_inv
	s_clause 0x3
	scratch_load_b128 v[94:97], off, off offset:120
	scratch_load_b128 v[98:101], off, off offset:136
	;; [unrolled: 1-line block ×3, first 2 shown]
	scratch_load_b96 v[106:108], off, off offset:168
	ds_load_2addr_b32 v[109:110], v2 offset0:79 offset1:80
	ds_load_2addr_b32 v[111:112], v2 offset0:81 offset1:82
	;; [unrolled: 1-line block ×4, first 2 shown]
	s_mov_b32 s0, exec_lo
	s_waitcnt vmcnt(3) lgkmcnt(3)
	v_fma_f32 v109, v95, v109, 0
	s_delay_alu instid0(VALU_DEP_1) | instskip(SKIP_4) | instid1(VALU_DEP_1)
	v_fmac_f32_e32 v109, v96, v110
	ds_load_2addr_b32 v[95:96], v2 offset0:87 offset1:88
	s_waitcnt lgkmcnt(3)
	v_fmac_f32_e32 v109, v97, v111
	s_waitcnt vmcnt(2)
	v_fmac_f32_e32 v109, v98, v112
	ds_load_2addr_b32 v[97:98], v2 offset0:89 offset1:90
	ds_load_2addr_b32 v[2:3], v2 offset0:91 offset1:92
	s_waitcnt lgkmcnt(4)
	v_fmac_f32_e32 v109, v99, v113
	s_delay_alu instid0(VALU_DEP_1) | instskip(SKIP_1) | instid1(VALU_DEP_1)
	v_fmac_f32_e32 v109, v100, v114
	s_waitcnt lgkmcnt(3)
	v_fmac_f32_e32 v109, v101, v115
	s_waitcnt vmcnt(1)
	s_delay_alu instid0(VALU_DEP_1) | instskip(SKIP_1) | instid1(VALU_DEP_1)
	v_fmac_f32_e32 v109, v102, v116
	s_waitcnt lgkmcnt(2)
	v_fmac_f32_e32 v109, v103, v95
	s_delay_alu instid0(VALU_DEP_1) | instskip(SKIP_1) | instid1(VALU_DEP_1)
	v_fmac_f32_e32 v109, v104, v96
	s_waitcnt lgkmcnt(1)
	v_fmac_f32_e32 v109, v105, v97
	s_waitcnt vmcnt(0)
	s_delay_alu instid0(VALU_DEP_1) | instskip(SKIP_1) | instid1(VALU_DEP_1)
	v_fmac_f32_e32 v109, v106, v98
	s_waitcnt lgkmcnt(0)
	v_fmac_f32_e32 v109, v107, v2
	s_delay_alu instid0(VALU_DEP_1) | instskip(NEXT) | instid1(VALU_DEP_1)
	v_fmac_f32_e32 v109, v108, v3
	v_sub_f32_e32 v2, v94, v109
	scratch_store_b32 off, v2, off offset:120
	v_cmpx_lt_u32_e32 29, v0
	s_cbranch_execz .LBB108_219
; %bb.218:
	scratch_load_b32 v2, off, off offset:116
	v_mov_b32_e32 v3, 0
	scratch_store_b32 off, v3, off offset:116
	s_waitcnt vmcnt(0)
	ds_store_b32 v1, v2
.LBB108_219:
	s_or_b32 exec_lo, exec_lo, s0
	s_waitcnt lgkmcnt(0)
	s_waitcnt_vscnt null, 0x0
	s_barrier
	buffer_gl0_inv
	s_clause 0x3
	scratch_load_b128 v[94:97], off, off offset:116
	scratch_load_b128 v[98:101], off, off offset:132
	;; [unrolled: 1-line block ×4, first 2 shown]
	v_mov_b32_e32 v2, 0
	ds_load_2addr_b64 v[110:113], v2 offset0:39 offset1:40
	ds_load_2addr_b64 v[114:117], v2 offset0:41 offset1:42
	s_mov_b32 s0, exec_lo
	s_waitcnt vmcnt(3) lgkmcnt(1)
	v_fma_f32 v3, v95, v110, 0
	s_delay_alu instid0(VALU_DEP_1) | instskip(NEXT) | instid1(VALU_DEP_1)
	v_fmac_f32_e32 v3, v96, v111
	v_fmac_f32_e32 v3, v97, v112
	s_waitcnt vmcnt(2)
	s_delay_alu instid0(VALU_DEP_1) | instskip(SKIP_3) | instid1(VALU_DEP_1)
	v_fmac_f32_e32 v3, v98, v113
	ds_load_2addr_b64 v[95:98], v2 offset0:43 offset1:44
	s_waitcnt lgkmcnt(1)
	v_fmac_f32_e32 v3, v99, v114
	v_fmac_f32_e32 v3, v100, v115
	ds_load_b64 v[99:100], v2 offset:360
	v_fmac_f32_e32 v3, v101, v116
	s_waitcnt vmcnt(1)
	s_delay_alu instid0(VALU_DEP_1) | instskip(SKIP_1) | instid1(VALU_DEP_1)
	v_fmac_f32_e32 v3, v102, v117
	s_waitcnt lgkmcnt(1)
	v_fmac_f32_e32 v3, v103, v95
	ds_load_b32 v95, v2 offset:368
	v_fmac_f32_e32 v3, v104, v96
	s_delay_alu instid0(VALU_DEP_1) | instskip(SKIP_1) | instid1(VALU_DEP_1)
	v_fmac_f32_e32 v3, v105, v97
	s_waitcnt vmcnt(0)
	v_fmac_f32_e32 v3, v106, v98
	s_waitcnt lgkmcnt(1)
	s_delay_alu instid0(VALU_DEP_1) | instskip(NEXT) | instid1(VALU_DEP_1)
	v_fmac_f32_e32 v3, v107, v99
	v_fmac_f32_e32 v3, v108, v100
	s_waitcnt lgkmcnt(0)
	s_delay_alu instid0(VALU_DEP_1) | instskip(NEXT) | instid1(VALU_DEP_1)
	v_fmac_f32_e32 v3, v109, v95
	v_sub_f32_e32 v3, v94, v3
	scratch_store_b32 off, v3, off offset:116
	v_cmpx_lt_u32_e32 28, v0
	s_cbranch_execz .LBB108_221
; %bb.220:
	scratch_load_b32 v3, off, off offset:112
	scratch_store_b32 off, v2, off offset:112
	s_waitcnt vmcnt(0)
	ds_store_b32 v1, v3
.LBB108_221:
	s_or_b32 exec_lo, exec_lo, s0
	s_waitcnt lgkmcnt(0)
	s_waitcnt_vscnt null, 0x0
	s_barrier
	buffer_gl0_inv
	s_clause 0x4
	scratch_load_b128 v[94:97], off, off offset:112
	scratch_load_b128 v[98:101], off, off offset:128
	;; [unrolled: 1-line block ×4, first 2 shown]
	scratch_load_b32 v118, off, off offset:176
	ds_load_2addr_b32 v[110:111], v2 offset0:77 offset1:78
	ds_load_2addr_b32 v[112:113], v2 offset0:79 offset1:80
	;; [unrolled: 1-line block ×4, first 2 shown]
	s_mov_b32 s0, exec_lo
	s_waitcnt vmcnt(4) lgkmcnt(3)
	v_fma_f32 v110, v95, v110, 0
	s_delay_alu instid0(VALU_DEP_1) | instskip(SKIP_4) | instid1(VALU_DEP_1)
	v_fmac_f32_e32 v110, v96, v111
	ds_load_2addr_b32 v[95:96], v2 offset0:85 offset1:86
	s_waitcnt lgkmcnt(3)
	v_fmac_f32_e32 v110, v97, v112
	s_waitcnt vmcnt(3)
	v_fmac_f32_e32 v110, v98, v113
	ds_load_2addr_b32 v[97:98], v2 offset0:87 offset1:88
	s_waitcnt lgkmcnt(3)
	v_fmac_f32_e32 v110, v99, v114
	s_delay_alu instid0(VALU_DEP_1)
	v_fmac_f32_e32 v110, v100, v115
	ds_load_2addr_b32 v[99:100], v2 offset0:89 offset1:90
	ds_load_2addr_b32 v[2:3], v2 offset0:91 offset1:92
	s_waitcnt lgkmcnt(4)
	v_fmac_f32_e32 v110, v101, v116
	s_waitcnt vmcnt(2)
	s_delay_alu instid0(VALU_DEP_1) | instskip(SKIP_1) | instid1(VALU_DEP_1)
	v_fmac_f32_e32 v110, v102, v117
	s_waitcnt lgkmcnt(3)
	v_fmac_f32_e32 v110, v103, v95
	s_delay_alu instid0(VALU_DEP_1) | instskip(SKIP_1) | instid1(VALU_DEP_1)
	v_fmac_f32_e32 v110, v104, v96
	s_waitcnt lgkmcnt(2)
	v_fmac_f32_e32 v110, v105, v97
	s_waitcnt vmcnt(1)
	s_delay_alu instid0(VALU_DEP_1) | instskip(SKIP_1) | instid1(VALU_DEP_1)
	v_fmac_f32_e32 v110, v106, v98
	s_waitcnt lgkmcnt(1)
	v_fmac_f32_e32 v110, v107, v99
	s_delay_alu instid0(VALU_DEP_1) | instskip(SKIP_1) | instid1(VALU_DEP_1)
	v_fmac_f32_e32 v110, v108, v100
	s_waitcnt lgkmcnt(0)
	v_fmac_f32_e32 v110, v109, v2
	s_waitcnt vmcnt(0)
	s_delay_alu instid0(VALU_DEP_1) | instskip(NEXT) | instid1(VALU_DEP_1)
	v_fmac_f32_e32 v110, v118, v3
	v_sub_f32_e32 v2, v94, v110
	scratch_store_b32 off, v2, off offset:112
	v_cmpx_lt_u32_e32 27, v0
	s_cbranch_execz .LBB108_223
; %bb.222:
	scratch_load_b32 v2, off, off offset:108
	v_mov_b32_e32 v3, 0
	scratch_store_b32 off, v3, off offset:108
	s_waitcnt vmcnt(0)
	ds_store_b32 v1, v2
.LBB108_223:
	s_or_b32 exec_lo, exec_lo, s0
	s_waitcnt lgkmcnt(0)
	s_waitcnt_vscnt null, 0x0
	s_barrier
	buffer_gl0_inv
	s_clause 0x4
	scratch_load_b128 v[94:97], off, off offset:108
	scratch_load_b128 v[98:101], off, off offset:124
	;; [unrolled: 1-line block ×4, first 2 shown]
	scratch_load_b64 v[118:119], off, off offset:172
	v_mov_b32_e32 v2, 0
	ds_load_b128 v[110:113], v2 offset:304
	ds_load_b128 v[114:117], v2 offset:320
	s_mov_b32 s0, exec_lo
	s_waitcnt vmcnt(4) lgkmcnt(1)
	v_fma_f32 v3, v95, v110, 0
	s_delay_alu instid0(VALU_DEP_1) | instskip(NEXT) | instid1(VALU_DEP_1)
	v_fmac_f32_e32 v3, v96, v111
	v_fmac_f32_e32 v3, v97, v112
	s_waitcnt vmcnt(3)
	s_delay_alu instid0(VALU_DEP_1) | instskip(SKIP_3) | instid1(VALU_DEP_1)
	v_fmac_f32_e32 v3, v98, v113
	ds_load_b128 v[95:98], v2 offset:336
	s_waitcnt lgkmcnt(1)
	v_fmac_f32_e32 v3, v99, v114
	v_fmac_f32_e32 v3, v100, v115
	s_delay_alu instid0(VALU_DEP_1) | instskip(SKIP_1) | instid1(VALU_DEP_1)
	v_fmac_f32_e32 v3, v101, v116
	s_waitcnt vmcnt(2)
	v_fmac_f32_e32 v3, v102, v117
	ds_load_b128 v[99:102], v2 offset:352
	s_waitcnt lgkmcnt(1)
	v_fmac_f32_e32 v3, v103, v95
	ds_load_b32 v95, v2 offset:368
	v_fmac_f32_e32 v3, v104, v96
	s_delay_alu instid0(VALU_DEP_1) | instskip(SKIP_1) | instid1(VALU_DEP_1)
	v_fmac_f32_e32 v3, v105, v97
	s_waitcnt vmcnt(1)
	v_fmac_f32_e32 v3, v106, v98
	s_waitcnt lgkmcnt(1)
	s_delay_alu instid0(VALU_DEP_1) | instskip(NEXT) | instid1(VALU_DEP_1)
	v_fmac_f32_e32 v3, v107, v99
	v_fmac_f32_e32 v3, v108, v100
	s_delay_alu instid0(VALU_DEP_1) | instskip(SKIP_1) | instid1(VALU_DEP_1)
	v_fmac_f32_e32 v3, v109, v101
	s_waitcnt vmcnt(0)
	v_fmac_f32_e32 v3, v118, v102
	s_waitcnt lgkmcnt(0)
	s_delay_alu instid0(VALU_DEP_1) | instskip(NEXT) | instid1(VALU_DEP_1)
	v_fmac_f32_e32 v3, v119, v95
	v_sub_f32_e32 v3, v94, v3
	scratch_store_b32 off, v3, off offset:108
	v_cmpx_lt_u32_e32 26, v0
	s_cbranch_execz .LBB108_225
; %bb.224:
	scratch_load_b32 v3, off, off offset:104
	scratch_store_b32 off, v2, off offset:104
	s_waitcnt vmcnt(0)
	ds_store_b32 v1, v3
.LBB108_225:
	s_or_b32 exec_lo, exec_lo, s0
	s_waitcnt lgkmcnt(0)
	s_waitcnt_vscnt null, 0x0
	s_barrier
	buffer_gl0_inv
	s_clause 0x4
	scratch_load_b128 v[94:97], off, off offset:104
	scratch_load_b128 v[98:101], off, off offset:120
	;; [unrolled: 1-line block ×4, first 2 shown]
	scratch_load_b96 v[110:112], off, off offset:168
	ds_load_2addr_b32 v[113:114], v2 offset0:75 offset1:76
	ds_load_2addr_b32 v[115:116], v2 offset0:77 offset1:78
	;; [unrolled: 1-line block ×4, first 2 shown]
	s_mov_b32 s0, exec_lo
	s_waitcnt vmcnt(4) lgkmcnt(3)
	v_fma_f32 v113, v95, v113, 0
	s_delay_alu instid0(VALU_DEP_1) | instskip(SKIP_4) | instid1(VALU_DEP_1)
	v_fmac_f32_e32 v113, v96, v114
	ds_load_2addr_b32 v[95:96], v2 offset0:83 offset1:84
	s_waitcnt lgkmcnt(3)
	v_fmac_f32_e32 v113, v97, v115
	s_waitcnt vmcnt(3)
	v_fmac_f32_e32 v113, v98, v116
	ds_load_2addr_b32 v[97:98], v2 offset0:85 offset1:86
	s_waitcnt lgkmcnt(3)
	v_fmac_f32_e32 v113, v99, v117
	s_delay_alu instid0(VALU_DEP_1) | instskip(SKIP_1) | instid1(VALU_DEP_1)
	v_fmac_f32_e32 v113, v100, v118
	s_waitcnt lgkmcnt(2)
	v_fmac_f32_e32 v113, v101, v119
	s_waitcnt vmcnt(2)
	s_delay_alu instid0(VALU_DEP_1)
	v_fmac_f32_e32 v113, v102, v120
	ds_load_2addr_b32 v[99:100], v2 offset0:87 offset1:88
	ds_load_2addr_b32 v[101:102], v2 offset0:89 offset1:90
	;; [unrolled: 1-line block ×3, first 2 shown]
	s_waitcnt lgkmcnt(4)
	v_fmac_f32_e32 v113, v103, v95
	s_delay_alu instid0(VALU_DEP_1) | instskip(SKIP_1) | instid1(VALU_DEP_1)
	v_fmac_f32_e32 v113, v104, v96
	s_waitcnt lgkmcnt(3)
	v_fmac_f32_e32 v113, v105, v97
	s_waitcnt vmcnt(1)
	s_delay_alu instid0(VALU_DEP_1) | instskip(SKIP_1) | instid1(VALU_DEP_1)
	v_fmac_f32_e32 v113, v106, v98
	s_waitcnt lgkmcnt(2)
	v_fmac_f32_e32 v113, v107, v99
	s_delay_alu instid0(VALU_DEP_1) | instskip(SKIP_1) | instid1(VALU_DEP_1)
	v_fmac_f32_e32 v113, v108, v100
	s_waitcnt lgkmcnt(1)
	v_fmac_f32_e32 v113, v109, v101
	s_waitcnt vmcnt(0)
	s_delay_alu instid0(VALU_DEP_1) | instskip(SKIP_1) | instid1(VALU_DEP_1)
	v_fmac_f32_e32 v113, v110, v102
	s_waitcnt lgkmcnt(0)
	v_fmac_f32_e32 v113, v111, v2
	s_delay_alu instid0(VALU_DEP_1) | instskip(NEXT) | instid1(VALU_DEP_1)
	v_fmac_f32_e32 v113, v112, v3
	v_sub_f32_e32 v2, v94, v113
	scratch_store_b32 off, v2, off offset:104
	v_cmpx_lt_u32_e32 25, v0
	s_cbranch_execz .LBB108_227
; %bb.226:
	scratch_load_b32 v2, off, off offset:100
	v_mov_b32_e32 v3, 0
	scratch_store_b32 off, v3, off offset:100
	s_waitcnt vmcnt(0)
	ds_store_b32 v1, v2
.LBB108_227:
	s_or_b32 exec_lo, exec_lo, s0
	s_waitcnt lgkmcnt(0)
	s_waitcnt_vscnt null, 0x0
	s_barrier
	buffer_gl0_inv
	s_clause 0x4
	scratch_load_b128 v[94:97], off, off offset:100
	scratch_load_b128 v[98:101], off, off offset:116
	;; [unrolled: 1-line block ×5, first 2 shown]
	v_mov_b32_e32 v2, 0
	ds_load_2addr_b64 v[114:117], v2 offset0:37 offset1:38
	ds_load_2addr_b64 v[118:121], v2 offset0:39 offset1:40
	s_mov_b32 s0, exec_lo
	s_waitcnt vmcnt(4) lgkmcnt(1)
	v_fma_f32 v3, v95, v114, 0
	s_delay_alu instid0(VALU_DEP_1) | instskip(NEXT) | instid1(VALU_DEP_1)
	v_fmac_f32_e32 v3, v96, v115
	v_fmac_f32_e32 v3, v97, v116
	s_waitcnt vmcnt(3)
	s_delay_alu instid0(VALU_DEP_1) | instskip(SKIP_3) | instid1(VALU_DEP_1)
	v_fmac_f32_e32 v3, v98, v117
	ds_load_2addr_b64 v[95:98], v2 offset0:41 offset1:42
	s_waitcnt lgkmcnt(1)
	v_fmac_f32_e32 v3, v99, v118
	v_fmac_f32_e32 v3, v100, v119
	s_delay_alu instid0(VALU_DEP_1) | instskip(SKIP_1) | instid1(VALU_DEP_1)
	v_fmac_f32_e32 v3, v101, v120
	s_waitcnt vmcnt(2)
	v_fmac_f32_e32 v3, v102, v121
	ds_load_2addr_b64 v[99:102], v2 offset0:43 offset1:44
	s_waitcnt lgkmcnt(1)
	v_fmac_f32_e32 v3, v103, v95
	s_delay_alu instid0(VALU_DEP_1)
	v_fmac_f32_e32 v3, v104, v96
	ds_load_b64 v[95:96], v2 offset:360
	v_fmac_f32_e32 v3, v105, v97
	ds_load_b32 v97, v2 offset:368
	s_waitcnt vmcnt(1)
	v_fmac_f32_e32 v3, v106, v98
	s_waitcnt lgkmcnt(2)
	s_delay_alu instid0(VALU_DEP_1) | instskip(NEXT) | instid1(VALU_DEP_1)
	v_fmac_f32_e32 v3, v107, v99
	v_fmac_f32_e32 v3, v108, v100
	s_delay_alu instid0(VALU_DEP_1) | instskip(SKIP_1) | instid1(VALU_DEP_1)
	v_fmac_f32_e32 v3, v109, v101
	s_waitcnt vmcnt(0)
	v_fmac_f32_e32 v3, v110, v102
	s_waitcnt lgkmcnt(1)
	s_delay_alu instid0(VALU_DEP_1) | instskip(NEXT) | instid1(VALU_DEP_1)
	v_fmac_f32_e32 v3, v111, v95
	v_fmac_f32_e32 v3, v112, v96
	s_waitcnt lgkmcnt(0)
	s_delay_alu instid0(VALU_DEP_1) | instskip(NEXT) | instid1(VALU_DEP_1)
	v_fmac_f32_e32 v3, v113, v97
	v_sub_f32_e32 v3, v94, v3
	scratch_store_b32 off, v3, off offset:100
	v_cmpx_lt_u32_e32 24, v0
	s_cbranch_execz .LBB108_229
; %bb.228:
	scratch_load_b32 v3, off, off offset:96
	scratch_store_b32 off, v2, off offset:96
	s_waitcnt vmcnt(0)
	ds_store_b32 v1, v3
.LBB108_229:
	s_or_b32 exec_lo, exec_lo, s0
	s_waitcnt lgkmcnt(0)
	s_waitcnt_vscnt null, 0x0
	s_barrier
	buffer_gl0_inv
	s_clause 0x5
	scratch_load_b128 v[94:97], off, off offset:96
	scratch_load_b128 v[98:101], off, off offset:112
	;; [unrolled: 1-line block ×5, first 2 shown]
	scratch_load_b32 v122, off, off offset:176
	ds_load_2addr_b32 v[114:115], v2 offset0:73 offset1:74
	ds_load_2addr_b32 v[116:117], v2 offset0:75 offset1:76
	;; [unrolled: 1-line block ×4, first 2 shown]
	s_mov_b32 s0, exec_lo
	s_waitcnt vmcnt(5) lgkmcnt(3)
	v_fma_f32 v114, v95, v114, 0
	s_delay_alu instid0(VALU_DEP_1) | instskip(SKIP_4) | instid1(VALU_DEP_1)
	v_fmac_f32_e32 v114, v96, v115
	ds_load_2addr_b32 v[95:96], v2 offset0:81 offset1:82
	s_waitcnt lgkmcnt(3)
	v_fmac_f32_e32 v114, v97, v116
	s_waitcnt vmcnt(4)
	v_fmac_f32_e32 v114, v98, v117
	ds_load_2addr_b32 v[97:98], v2 offset0:83 offset1:84
	s_waitcnt lgkmcnt(3)
	v_fmac_f32_e32 v114, v99, v118
	s_delay_alu instid0(VALU_DEP_1) | instskip(SKIP_1) | instid1(VALU_DEP_1)
	v_fmac_f32_e32 v114, v100, v119
	s_waitcnt lgkmcnt(2)
	v_fmac_f32_e32 v114, v101, v120
	s_waitcnt vmcnt(3)
	s_delay_alu instid0(VALU_DEP_1) | instskip(SKIP_4) | instid1(VALU_DEP_1)
	v_fmac_f32_e32 v114, v102, v121
	ds_load_2addr_b32 v[99:100], v2 offset0:85 offset1:86
	ds_load_2addr_b32 v[101:102], v2 offset0:87 offset1:88
	s_waitcnt lgkmcnt(3)
	v_fmac_f32_e32 v114, v103, v95
	v_fmac_f32_e32 v114, v104, v96
	ds_load_2addr_b32 v[95:96], v2 offset0:89 offset1:90
	ds_load_2addr_b32 v[2:3], v2 offset0:91 offset1:92
	s_waitcnt lgkmcnt(4)
	v_fmac_f32_e32 v114, v105, v97
	s_waitcnt vmcnt(2)
	s_delay_alu instid0(VALU_DEP_1) | instskip(SKIP_1) | instid1(VALU_DEP_1)
	v_fmac_f32_e32 v114, v106, v98
	s_waitcnt lgkmcnt(3)
	v_fmac_f32_e32 v114, v107, v99
	s_delay_alu instid0(VALU_DEP_1) | instskip(SKIP_1) | instid1(VALU_DEP_1)
	v_fmac_f32_e32 v114, v108, v100
	s_waitcnt lgkmcnt(2)
	v_fmac_f32_e32 v114, v109, v101
	s_waitcnt vmcnt(1)
	s_delay_alu instid0(VALU_DEP_1) | instskip(SKIP_1) | instid1(VALU_DEP_1)
	v_fmac_f32_e32 v114, v110, v102
	s_waitcnt lgkmcnt(1)
	v_fmac_f32_e32 v114, v111, v95
	s_delay_alu instid0(VALU_DEP_1) | instskip(SKIP_1) | instid1(VALU_DEP_1)
	v_fmac_f32_e32 v114, v112, v96
	s_waitcnt lgkmcnt(0)
	v_fmac_f32_e32 v114, v113, v2
	s_waitcnt vmcnt(0)
	s_delay_alu instid0(VALU_DEP_1) | instskip(NEXT) | instid1(VALU_DEP_1)
	v_fmac_f32_e32 v114, v122, v3
	v_sub_f32_e32 v2, v94, v114
	scratch_store_b32 off, v2, off offset:96
	v_cmpx_lt_u32_e32 23, v0
	s_cbranch_execz .LBB108_231
; %bb.230:
	scratch_load_b32 v2, off, off offset:92
	v_mov_b32_e32 v3, 0
	scratch_store_b32 off, v3, off offset:92
	s_waitcnt vmcnt(0)
	ds_store_b32 v1, v2
.LBB108_231:
	s_or_b32 exec_lo, exec_lo, s0
	s_waitcnt lgkmcnt(0)
	s_waitcnt_vscnt null, 0x0
	s_barrier
	buffer_gl0_inv
	s_clause 0x5
	scratch_load_b128 v[94:97], off, off offset:92
	scratch_load_b128 v[98:101], off, off offset:108
	;; [unrolled: 1-line block ×5, first 2 shown]
	scratch_load_b64 v[122:123], off, off offset:172
	v_mov_b32_e32 v2, 0
	ds_load_b128 v[114:117], v2 offset:288
	ds_load_b128 v[118:121], v2 offset:304
	s_mov_b32 s0, exec_lo
	s_waitcnt vmcnt(5) lgkmcnt(1)
	v_fma_f32 v3, v95, v114, 0
	s_delay_alu instid0(VALU_DEP_1) | instskip(NEXT) | instid1(VALU_DEP_1)
	v_fmac_f32_e32 v3, v96, v115
	v_fmac_f32_e32 v3, v97, v116
	s_waitcnt vmcnt(4)
	s_delay_alu instid0(VALU_DEP_1) | instskip(SKIP_3) | instid1(VALU_DEP_1)
	v_fmac_f32_e32 v3, v98, v117
	ds_load_b128 v[95:98], v2 offset:320
	s_waitcnt lgkmcnt(1)
	v_fmac_f32_e32 v3, v99, v118
	v_fmac_f32_e32 v3, v100, v119
	s_delay_alu instid0(VALU_DEP_1) | instskip(SKIP_1) | instid1(VALU_DEP_1)
	v_fmac_f32_e32 v3, v101, v120
	s_waitcnt vmcnt(3)
	v_fmac_f32_e32 v3, v102, v121
	ds_load_b128 v[99:102], v2 offset:336
	s_waitcnt lgkmcnt(1)
	v_fmac_f32_e32 v3, v103, v95
	s_delay_alu instid0(VALU_DEP_1) | instskip(NEXT) | instid1(VALU_DEP_1)
	v_fmac_f32_e32 v3, v104, v96
	v_fmac_f32_e32 v3, v105, v97
	s_waitcnt vmcnt(2)
	s_delay_alu instid0(VALU_DEP_1)
	v_fmac_f32_e32 v3, v106, v98
	ds_load_b128 v[95:98], v2 offset:352
	s_waitcnt lgkmcnt(1)
	v_fmac_f32_e32 v3, v107, v99
	ds_load_b32 v99, v2 offset:368
	v_fmac_f32_e32 v3, v108, v100
	s_delay_alu instid0(VALU_DEP_1) | instskip(SKIP_1) | instid1(VALU_DEP_1)
	v_fmac_f32_e32 v3, v109, v101
	s_waitcnt vmcnt(1)
	v_fmac_f32_e32 v3, v110, v102
	s_waitcnt lgkmcnt(1)
	s_delay_alu instid0(VALU_DEP_1) | instskip(NEXT) | instid1(VALU_DEP_1)
	v_fmac_f32_e32 v3, v111, v95
	v_fmac_f32_e32 v3, v112, v96
	s_delay_alu instid0(VALU_DEP_1) | instskip(SKIP_1) | instid1(VALU_DEP_1)
	v_fmac_f32_e32 v3, v113, v97
	s_waitcnt vmcnt(0)
	v_fmac_f32_e32 v3, v122, v98
	s_waitcnt lgkmcnt(0)
	s_delay_alu instid0(VALU_DEP_1) | instskip(NEXT) | instid1(VALU_DEP_1)
	v_fmac_f32_e32 v3, v123, v99
	v_sub_f32_e32 v3, v94, v3
	scratch_store_b32 off, v3, off offset:92
	v_cmpx_lt_u32_e32 22, v0
	s_cbranch_execz .LBB108_233
; %bb.232:
	scratch_load_b32 v3, off, off offset:88
	scratch_store_b32 off, v2, off offset:88
	s_waitcnt vmcnt(0)
	ds_store_b32 v1, v3
.LBB108_233:
	s_or_b32 exec_lo, exec_lo, s0
	s_waitcnt lgkmcnt(0)
	s_waitcnt_vscnt null, 0x0
	s_barrier
	buffer_gl0_inv
	s_clause 0x5
	scratch_load_b128 v[94:97], off, off offset:88
	scratch_load_b128 v[98:101], off, off offset:104
	;; [unrolled: 1-line block ×5, first 2 shown]
	scratch_load_b96 v[114:116], off, off offset:168
	ds_load_2addr_b32 v[117:118], v2 offset0:71 offset1:72
	ds_load_2addr_b32 v[119:120], v2 offset0:73 offset1:74
	ds_load_2addr_b32 v[121:122], v2 offset0:75 offset1:76
	ds_load_2addr_b32 v[123:124], v2 offset0:77 offset1:78
	s_mov_b32 s0, exec_lo
	s_waitcnt vmcnt(5) lgkmcnt(3)
	v_fma_f32 v117, v95, v117, 0
	s_delay_alu instid0(VALU_DEP_1) | instskip(SKIP_4) | instid1(VALU_DEP_1)
	v_fmac_f32_e32 v117, v96, v118
	ds_load_2addr_b32 v[95:96], v2 offset0:79 offset1:80
	s_waitcnt lgkmcnt(3)
	v_fmac_f32_e32 v117, v97, v119
	s_waitcnt vmcnt(4)
	v_fmac_f32_e32 v117, v98, v120
	ds_load_2addr_b32 v[97:98], v2 offset0:81 offset1:82
	s_waitcnt lgkmcnt(3)
	v_fmac_f32_e32 v117, v99, v121
	s_delay_alu instid0(VALU_DEP_1) | instskip(SKIP_1) | instid1(VALU_DEP_1)
	v_fmac_f32_e32 v117, v100, v122
	s_waitcnt lgkmcnt(2)
	v_fmac_f32_e32 v117, v101, v123
	s_waitcnt vmcnt(3)
	s_delay_alu instid0(VALU_DEP_1) | instskip(SKIP_4) | instid1(VALU_DEP_1)
	v_fmac_f32_e32 v117, v102, v124
	ds_load_2addr_b32 v[99:100], v2 offset0:83 offset1:84
	ds_load_2addr_b32 v[101:102], v2 offset0:85 offset1:86
	s_waitcnt lgkmcnt(3)
	v_fmac_f32_e32 v117, v103, v95
	v_fmac_f32_e32 v117, v104, v96
	ds_load_2addr_b32 v[95:96], v2 offset0:87 offset1:88
	s_waitcnt lgkmcnt(3)
	v_fmac_f32_e32 v117, v105, v97
	s_waitcnt vmcnt(2)
	s_delay_alu instid0(VALU_DEP_1) | instskip(SKIP_4) | instid1(VALU_DEP_1)
	v_fmac_f32_e32 v117, v106, v98
	ds_load_2addr_b32 v[97:98], v2 offset0:89 offset1:90
	ds_load_2addr_b32 v[2:3], v2 offset0:91 offset1:92
	s_waitcnt lgkmcnt(4)
	v_fmac_f32_e32 v117, v107, v99
	v_fmac_f32_e32 v117, v108, v100
	s_waitcnt lgkmcnt(3)
	s_delay_alu instid0(VALU_DEP_1) | instskip(SKIP_1) | instid1(VALU_DEP_1)
	v_fmac_f32_e32 v117, v109, v101
	s_waitcnt vmcnt(1)
	v_fmac_f32_e32 v117, v110, v102
	s_waitcnt lgkmcnt(2)
	s_delay_alu instid0(VALU_DEP_1) | instskip(NEXT) | instid1(VALU_DEP_1)
	v_fmac_f32_e32 v117, v111, v95
	v_fmac_f32_e32 v117, v112, v96
	s_waitcnt lgkmcnt(1)
	s_delay_alu instid0(VALU_DEP_1) | instskip(SKIP_1) | instid1(VALU_DEP_1)
	v_fmac_f32_e32 v117, v113, v97
	s_waitcnt vmcnt(0)
	v_fmac_f32_e32 v117, v114, v98
	s_waitcnt lgkmcnt(0)
	s_delay_alu instid0(VALU_DEP_1) | instskip(NEXT) | instid1(VALU_DEP_1)
	v_fmac_f32_e32 v117, v115, v2
	v_fmac_f32_e32 v117, v116, v3
	s_delay_alu instid0(VALU_DEP_1)
	v_sub_f32_e32 v2, v94, v117
	scratch_store_b32 off, v2, off offset:88
	v_cmpx_lt_u32_e32 21, v0
	s_cbranch_execz .LBB108_235
; %bb.234:
	scratch_load_b32 v2, off, off offset:84
	v_mov_b32_e32 v3, 0
	scratch_store_b32 off, v3, off offset:84
	s_waitcnt vmcnt(0)
	ds_store_b32 v1, v2
.LBB108_235:
	s_or_b32 exec_lo, exec_lo, s0
	s_waitcnt lgkmcnt(0)
	s_waitcnt_vscnt null, 0x0
	s_barrier
	buffer_gl0_inv
	s_clause 0x5
	scratch_load_b128 v[94:97], off, off offset:84
	scratch_load_b128 v[98:101], off, off offset:100
	;; [unrolled: 1-line block ×6, first 2 shown]
	v_mov_b32_e32 v2, 0
	ds_load_2addr_b64 v[118:121], v2 offset0:35 offset1:36
	ds_load_2addr_b64 v[122:125], v2 offset0:37 offset1:38
	s_mov_b32 s0, exec_lo
	s_waitcnt vmcnt(5) lgkmcnt(1)
	v_fma_f32 v3, v95, v118, 0
	s_delay_alu instid0(VALU_DEP_1) | instskip(NEXT) | instid1(VALU_DEP_1)
	v_fmac_f32_e32 v3, v96, v119
	v_fmac_f32_e32 v3, v97, v120
	s_waitcnt vmcnt(4)
	s_delay_alu instid0(VALU_DEP_1) | instskip(SKIP_3) | instid1(VALU_DEP_1)
	v_fmac_f32_e32 v3, v98, v121
	ds_load_2addr_b64 v[95:98], v2 offset0:39 offset1:40
	s_waitcnt lgkmcnt(1)
	v_fmac_f32_e32 v3, v99, v122
	v_fmac_f32_e32 v3, v100, v123
	s_delay_alu instid0(VALU_DEP_1) | instskip(SKIP_1) | instid1(VALU_DEP_1)
	v_fmac_f32_e32 v3, v101, v124
	s_waitcnt vmcnt(3)
	v_fmac_f32_e32 v3, v102, v125
	ds_load_2addr_b64 v[99:102], v2 offset0:41 offset1:42
	s_waitcnt lgkmcnt(1)
	v_fmac_f32_e32 v3, v103, v95
	s_delay_alu instid0(VALU_DEP_1) | instskip(NEXT) | instid1(VALU_DEP_1)
	v_fmac_f32_e32 v3, v104, v96
	v_fmac_f32_e32 v3, v105, v97
	s_waitcnt vmcnt(2)
	s_delay_alu instid0(VALU_DEP_1) | instskip(SKIP_3) | instid1(VALU_DEP_1)
	v_fmac_f32_e32 v3, v106, v98
	ds_load_2addr_b64 v[95:98], v2 offset0:43 offset1:44
	s_waitcnt lgkmcnt(1)
	v_fmac_f32_e32 v3, v107, v99
	v_fmac_f32_e32 v3, v108, v100
	ds_load_b64 v[99:100], v2 offset:360
	v_fmac_f32_e32 v3, v109, v101
	s_waitcnt vmcnt(1)
	s_delay_alu instid0(VALU_DEP_1) | instskip(SKIP_1) | instid1(VALU_DEP_1)
	v_fmac_f32_e32 v3, v110, v102
	s_waitcnt lgkmcnt(1)
	v_fmac_f32_e32 v3, v111, v95
	ds_load_b32 v95, v2 offset:368
	v_fmac_f32_e32 v3, v112, v96
	s_delay_alu instid0(VALU_DEP_1) | instskip(SKIP_1) | instid1(VALU_DEP_1)
	v_fmac_f32_e32 v3, v113, v97
	s_waitcnt vmcnt(0)
	v_fmac_f32_e32 v3, v114, v98
	s_waitcnt lgkmcnt(1)
	s_delay_alu instid0(VALU_DEP_1) | instskip(NEXT) | instid1(VALU_DEP_1)
	v_fmac_f32_e32 v3, v115, v99
	v_fmac_f32_e32 v3, v116, v100
	s_waitcnt lgkmcnt(0)
	s_delay_alu instid0(VALU_DEP_1) | instskip(NEXT) | instid1(VALU_DEP_1)
	v_fmac_f32_e32 v3, v117, v95
	v_sub_f32_e32 v3, v94, v3
	scratch_store_b32 off, v3, off offset:84
	v_cmpx_lt_u32_e32 20, v0
	s_cbranch_execz .LBB108_237
; %bb.236:
	scratch_load_b32 v3, off, off offset:80
	scratch_store_b32 off, v2, off offset:80
	s_waitcnt vmcnt(0)
	ds_store_b32 v1, v3
.LBB108_237:
	s_or_b32 exec_lo, exec_lo, s0
	s_waitcnt lgkmcnt(0)
	s_waitcnt_vscnt null, 0x0
	s_barrier
	buffer_gl0_inv
	s_clause 0x6
	scratch_load_b128 v[94:97], off, off offset:80
	scratch_load_b128 v[98:101], off, off offset:96
	;; [unrolled: 1-line block ×6, first 2 shown]
	scratch_load_b32 v126, off, off offset:176
	ds_load_2addr_b32 v[118:119], v2 offset0:69 offset1:70
	ds_load_2addr_b32 v[120:121], v2 offset0:71 offset1:72
	;; [unrolled: 1-line block ×4, first 2 shown]
	s_mov_b32 s0, exec_lo
	s_waitcnt vmcnt(6) lgkmcnt(3)
	v_fma_f32 v118, v95, v118, 0
	s_delay_alu instid0(VALU_DEP_1) | instskip(SKIP_4) | instid1(VALU_DEP_1)
	v_fmac_f32_e32 v118, v96, v119
	ds_load_2addr_b32 v[95:96], v2 offset0:77 offset1:78
	s_waitcnt lgkmcnt(3)
	v_fmac_f32_e32 v118, v97, v120
	s_waitcnt vmcnt(5)
	v_fmac_f32_e32 v118, v98, v121
	ds_load_2addr_b32 v[97:98], v2 offset0:79 offset1:80
	s_waitcnt lgkmcnt(3)
	v_fmac_f32_e32 v118, v99, v122
	s_delay_alu instid0(VALU_DEP_1) | instskip(SKIP_1) | instid1(VALU_DEP_1)
	v_fmac_f32_e32 v118, v100, v123
	s_waitcnt lgkmcnt(2)
	v_fmac_f32_e32 v118, v101, v124
	s_waitcnt vmcnt(4)
	s_delay_alu instid0(VALU_DEP_1) | instskip(SKIP_4) | instid1(VALU_DEP_1)
	v_fmac_f32_e32 v118, v102, v125
	ds_load_2addr_b32 v[99:100], v2 offset0:81 offset1:82
	ds_load_2addr_b32 v[101:102], v2 offset0:83 offset1:84
	s_waitcnt lgkmcnt(3)
	v_fmac_f32_e32 v118, v103, v95
	v_fmac_f32_e32 v118, v104, v96
	ds_load_2addr_b32 v[95:96], v2 offset0:85 offset1:86
	s_waitcnt lgkmcnt(3)
	v_fmac_f32_e32 v118, v105, v97
	s_waitcnt vmcnt(3)
	s_delay_alu instid0(VALU_DEP_1) | instskip(SKIP_3) | instid1(VALU_DEP_1)
	v_fmac_f32_e32 v118, v106, v98
	ds_load_2addr_b32 v[97:98], v2 offset0:87 offset1:88
	s_waitcnt lgkmcnt(3)
	v_fmac_f32_e32 v118, v107, v99
	v_fmac_f32_e32 v118, v108, v100
	ds_load_2addr_b32 v[99:100], v2 offset0:89 offset1:90
	ds_load_2addr_b32 v[2:3], v2 offset0:91 offset1:92
	s_waitcnt lgkmcnt(4)
	v_fmac_f32_e32 v118, v109, v101
	s_waitcnt vmcnt(2)
	s_delay_alu instid0(VALU_DEP_1) | instskip(SKIP_1) | instid1(VALU_DEP_1)
	v_fmac_f32_e32 v118, v110, v102
	s_waitcnt lgkmcnt(3)
	v_fmac_f32_e32 v118, v111, v95
	s_delay_alu instid0(VALU_DEP_1) | instskip(SKIP_1) | instid1(VALU_DEP_1)
	v_fmac_f32_e32 v118, v112, v96
	s_waitcnt lgkmcnt(2)
	v_fmac_f32_e32 v118, v113, v97
	s_waitcnt vmcnt(1)
	s_delay_alu instid0(VALU_DEP_1) | instskip(SKIP_1) | instid1(VALU_DEP_1)
	v_fmac_f32_e32 v118, v114, v98
	s_waitcnt lgkmcnt(1)
	v_fmac_f32_e32 v118, v115, v99
	s_delay_alu instid0(VALU_DEP_1) | instskip(SKIP_1) | instid1(VALU_DEP_1)
	v_fmac_f32_e32 v118, v116, v100
	s_waitcnt lgkmcnt(0)
	v_fmac_f32_e32 v118, v117, v2
	s_waitcnt vmcnt(0)
	s_delay_alu instid0(VALU_DEP_1) | instskip(NEXT) | instid1(VALU_DEP_1)
	v_fmac_f32_e32 v118, v126, v3
	v_sub_f32_e32 v2, v94, v118
	scratch_store_b32 off, v2, off offset:80
	v_cmpx_lt_u32_e32 19, v0
	s_cbranch_execz .LBB108_239
; %bb.238:
	scratch_load_b32 v2, off, off offset:76
	v_mov_b32_e32 v3, 0
	scratch_store_b32 off, v3, off offset:76
	s_waitcnt vmcnt(0)
	ds_store_b32 v1, v2
.LBB108_239:
	s_or_b32 exec_lo, exec_lo, s0
	s_waitcnt lgkmcnt(0)
	s_waitcnt_vscnt null, 0x0
	s_barrier
	buffer_gl0_inv
	s_clause 0x6
	scratch_load_b128 v[94:97], off, off offset:76
	scratch_load_b128 v[98:101], off, off offset:92
	;; [unrolled: 1-line block ×6, first 2 shown]
	scratch_load_b64 v[126:127], off, off offset:172
	v_mov_b32_e32 v2, 0
	ds_load_b128 v[118:121], v2 offset:272
	ds_load_b128 v[122:125], v2 offset:288
	s_mov_b32 s0, exec_lo
	s_waitcnt vmcnt(6) lgkmcnt(1)
	v_fma_f32 v3, v95, v118, 0
	s_delay_alu instid0(VALU_DEP_1) | instskip(NEXT) | instid1(VALU_DEP_1)
	v_fmac_f32_e32 v3, v96, v119
	v_fmac_f32_e32 v3, v97, v120
	s_waitcnt vmcnt(5)
	s_delay_alu instid0(VALU_DEP_1) | instskip(SKIP_3) | instid1(VALU_DEP_1)
	v_fmac_f32_e32 v3, v98, v121
	ds_load_b128 v[95:98], v2 offset:304
	s_waitcnt lgkmcnt(1)
	v_fmac_f32_e32 v3, v99, v122
	v_fmac_f32_e32 v3, v100, v123
	s_delay_alu instid0(VALU_DEP_1) | instskip(SKIP_1) | instid1(VALU_DEP_1)
	v_fmac_f32_e32 v3, v101, v124
	s_waitcnt vmcnt(4)
	v_fmac_f32_e32 v3, v102, v125
	ds_load_b128 v[99:102], v2 offset:320
	s_waitcnt lgkmcnt(1)
	v_fmac_f32_e32 v3, v103, v95
	s_delay_alu instid0(VALU_DEP_1) | instskip(NEXT) | instid1(VALU_DEP_1)
	v_fmac_f32_e32 v3, v104, v96
	v_fmac_f32_e32 v3, v105, v97
	s_waitcnt vmcnt(3)
	s_delay_alu instid0(VALU_DEP_1) | instskip(SKIP_3) | instid1(VALU_DEP_1)
	v_fmac_f32_e32 v3, v106, v98
	ds_load_b128 v[95:98], v2 offset:336
	s_waitcnt lgkmcnt(1)
	v_fmac_f32_e32 v3, v107, v99
	v_fmac_f32_e32 v3, v108, v100
	s_delay_alu instid0(VALU_DEP_1) | instskip(SKIP_1) | instid1(VALU_DEP_1)
	v_fmac_f32_e32 v3, v109, v101
	s_waitcnt vmcnt(2)
	v_fmac_f32_e32 v3, v110, v102
	ds_load_b128 v[99:102], v2 offset:352
	s_waitcnt lgkmcnt(1)
	v_fmac_f32_e32 v3, v111, v95
	ds_load_b32 v95, v2 offset:368
	v_fmac_f32_e32 v3, v112, v96
	s_delay_alu instid0(VALU_DEP_1) | instskip(SKIP_1) | instid1(VALU_DEP_1)
	v_fmac_f32_e32 v3, v113, v97
	s_waitcnt vmcnt(1)
	v_fmac_f32_e32 v3, v114, v98
	s_waitcnt lgkmcnt(1)
	s_delay_alu instid0(VALU_DEP_1) | instskip(NEXT) | instid1(VALU_DEP_1)
	v_fmac_f32_e32 v3, v115, v99
	v_fmac_f32_e32 v3, v116, v100
	s_delay_alu instid0(VALU_DEP_1) | instskip(SKIP_1) | instid1(VALU_DEP_1)
	v_fmac_f32_e32 v3, v117, v101
	s_waitcnt vmcnt(0)
	v_fmac_f32_e32 v3, v126, v102
	s_waitcnt lgkmcnt(0)
	s_delay_alu instid0(VALU_DEP_1) | instskip(NEXT) | instid1(VALU_DEP_1)
	v_fmac_f32_e32 v3, v127, v95
	v_sub_f32_e32 v3, v94, v3
	scratch_store_b32 off, v3, off offset:76
	v_cmpx_lt_u32_e32 18, v0
	s_cbranch_execz .LBB108_241
; %bb.240:
	scratch_load_b32 v3, off, off offset:72
	scratch_store_b32 off, v2, off offset:72
	s_waitcnt vmcnt(0)
	ds_store_b32 v1, v3
.LBB108_241:
	s_or_b32 exec_lo, exec_lo, s0
	s_waitcnt lgkmcnt(0)
	s_waitcnt_vscnt null, 0x0
	s_barrier
	buffer_gl0_inv
	s_clause 0x6
	scratch_load_b128 v[94:97], off, off offset:72
	scratch_load_b128 v[98:101], off, off offset:88
	;; [unrolled: 1-line block ×6, first 2 shown]
	scratch_load_b96 v[118:120], off, off offset:168
	ds_load_2addr_b32 v[121:122], v2 offset0:67 offset1:68
	ds_load_2addr_b32 v[123:124], v2 offset0:69 offset1:70
	;; [unrolled: 1-line block ×4, first 2 shown]
	s_mov_b32 s0, exec_lo
	s_waitcnt vmcnt(6) lgkmcnt(3)
	v_fma_f32 v121, v95, v121, 0
	s_delay_alu instid0(VALU_DEP_1) | instskip(SKIP_4) | instid1(VALU_DEP_1)
	v_fmac_f32_e32 v121, v96, v122
	ds_load_2addr_b32 v[95:96], v2 offset0:75 offset1:76
	s_waitcnt lgkmcnt(3)
	v_fmac_f32_e32 v121, v97, v123
	s_waitcnt vmcnt(5)
	v_fmac_f32_e32 v121, v98, v124
	ds_load_2addr_b32 v[97:98], v2 offset0:77 offset1:78
	s_waitcnt lgkmcnt(3)
	v_fmac_f32_e32 v121, v99, v125
	s_delay_alu instid0(VALU_DEP_1) | instskip(SKIP_1) | instid1(VALU_DEP_1)
	v_fmac_f32_e32 v121, v100, v126
	s_waitcnt lgkmcnt(2)
	v_fmac_f32_e32 v121, v101, v127
	s_waitcnt vmcnt(4)
	s_delay_alu instid0(VALU_DEP_1) | instskip(SKIP_4) | instid1(VALU_DEP_1)
	v_fmac_f32_e32 v121, v102, v128
	ds_load_2addr_b32 v[99:100], v2 offset0:79 offset1:80
	ds_load_2addr_b32 v[101:102], v2 offset0:81 offset1:82
	s_waitcnt lgkmcnt(3)
	v_fmac_f32_e32 v121, v103, v95
	v_fmac_f32_e32 v121, v104, v96
	ds_load_2addr_b32 v[95:96], v2 offset0:83 offset1:84
	s_waitcnt lgkmcnt(3)
	v_fmac_f32_e32 v121, v105, v97
	s_waitcnt vmcnt(3)
	s_delay_alu instid0(VALU_DEP_1) | instskip(SKIP_3) | instid1(VALU_DEP_1)
	v_fmac_f32_e32 v121, v106, v98
	ds_load_2addr_b32 v[97:98], v2 offset0:85 offset1:86
	s_waitcnt lgkmcnt(3)
	v_fmac_f32_e32 v121, v107, v99
	v_fmac_f32_e32 v121, v108, v100
	s_waitcnt lgkmcnt(2)
	s_delay_alu instid0(VALU_DEP_1) | instskip(SKIP_1) | instid1(VALU_DEP_1)
	v_fmac_f32_e32 v121, v109, v101
	s_waitcnt vmcnt(2)
	v_fmac_f32_e32 v121, v110, v102
	ds_load_2addr_b32 v[99:100], v2 offset0:87 offset1:88
	ds_load_2addr_b32 v[101:102], v2 offset0:89 offset1:90
	;; [unrolled: 1-line block ×3, first 2 shown]
	s_waitcnt lgkmcnt(4)
	v_fmac_f32_e32 v121, v111, v95
	s_delay_alu instid0(VALU_DEP_1) | instskip(SKIP_1) | instid1(VALU_DEP_1)
	v_fmac_f32_e32 v121, v112, v96
	s_waitcnt lgkmcnt(3)
	v_fmac_f32_e32 v121, v113, v97
	s_waitcnt vmcnt(1)
	s_delay_alu instid0(VALU_DEP_1) | instskip(SKIP_1) | instid1(VALU_DEP_1)
	v_fmac_f32_e32 v121, v114, v98
	s_waitcnt lgkmcnt(2)
	v_fmac_f32_e32 v121, v115, v99
	s_delay_alu instid0(VALU_DEP_1) | instskip(SKIP_1) | instid1(VALU_DEP_1)
	v_fmac_f32_e32 v121, v116, v100
	s_waitcnt lgkmcnt(1)
	v_fmac_f32_e32 v121, v117, v101
	s_waitcnt vmcnt(0)
	s_delay_alu instid0(VALU_DEP_1) | instskip(SKIP_1) | instid1(VALU_DEP_1)
	v_fmac_f32_e32 v121, v118, v102
	s_waitcnt lgkmcnt(0)
	v_fmac_f32_e32 v121, v119, v2
	s_delay_alu instid0(VALU_DEP_1) | instskip(NEXT) | instid1(VALU_DEP_1)
	v_fmac_f32_e32 v121, v120, v3
	v_sub_f32_e32 v2, v94, v121
	scratch_store_b32 off, v2, off offset:72
	v_cmpx_lt_u32_e32 17, v0
	s_cbranch_execz .LBB108_243
; %bb.242:
	scratch_load_b32 v2, off, off offset:68
	v_mov_b32_e32 v3, 0
	scratch_store_b32 off, v3, off offset:68
	s_waitcnt vmcnt(0)
	ds_store_b32 v1, v2
.LBB108_243:
	s_or_b32 exec_lo, exec_lo, s0
	s_waitcnt lgkmcnt(0)
	s_waitcnt_vscnt null, 0x0
	s_barrier
	buffer_gl0_inv
	s_clause 0x6
	scratch_load_b128 v[94:97], off, off offset:68
	scratch_load_b128 v[98:101], off, off offset:84
	;; [unrolled: 1-line block ×7, first 2 shown]
	v_mov_b32_e32 v2, 0
	ds_load_2addr_b64 v[122:125], v2 offset0:33 offset1:34
	ds_load_2addr_b64 v[126:129], v2 offset0:35 offset1:36
	s_mov_b32 s0, exec_lo
	s_waitcnt vmcnt(6) lgkmcnt(1)
	v_fma_f32 v3, v95, v122, 0
	s_delay_alu instid0(VALU_DEP_1) | instskip(NEXT) | instid1(VALU_DEP_1)
	v_fmac_f32_e32 v3, v96, v123
	v_fmac_f32_e32 v3, v97, v124
	s_waitcnt vmcnt(5)
	s_delay_alu instid0(VALU_DEP_1) | instskip(SKIP_3) | instid1(VALU_DEP_1)
	v_fmac_f32_e32 v3, v98, v125
	ds_load_2addr_b64 v[95:98], v2 offset0:37 offset1:38
	s_waitcnt lgkmcnt(1)
	v_fmac_f32_e32 v3, v99, v126
	v_fmac_f32_e32 v3, v100, v127
	s_delay_alu instid0(VALU_DEP_1) | instskip(SKIP_1) | instid1(VALU_DEP_1)
	v_fmac_f32_e32 v3, v101, v128
	s_waitcnt vmcnt(4)
	v_fmac_f32_e32 v3, v102, v129
	ds_load_2addr_b64 v[99:102], v2 offset0:39 offset1:40
	s_waitcnt lgkmcnt(1)
	v_fmac_f32_e32 v3, v103, v95
	s_delay_alu instid0(VALU_DEP_1) | instskip(NEXT) | instid1(VALU_DEP_1)
	v_fmac_f32_e32 v3, v104, v96
	v_fmac_f32_e32 v3, v105, v97
	s_waitcnt vmcnt(3)
	s_delay_alu instid0(VALU_DEP_1) | instskip(SKIP_3) | instid1(VALU_DEP_1)
	v_fmac_f32_e32 v3, v106, v98
	ds_load_2addr_b64 v[95:98], v2 offset0:41 offset1:42
	s_waitcnt lgkmcnt(1)
	v_fmac_f32_e32 v3, v107, v99
	v_fmac_f32_e32 v3, v108, v100
	s_delay_alu instid0(VALU_DEP_1) | instskip(SKIP_1) | instid1(VALU_DEP_1)
	v_fmac_f32_e32 v3, v109, v101
	s_waitcnt vmcnt(2)
	v_fmac_f32_e32 v3, v110, v102
	ds_load_2addr_b64 v[99:102], v2 offset0:43 offset1:44
	s_waitcnt lgkmcnt(1)
	v_fmac_f32_e32 v3, v111, v95
	s_delay_alu instid0(VALU_DEP_1)
	v_fmac_f32_e32 v3, v112, v96
	ds_load_b64 v[95:96], v2 offset:360
	v_fmac_f32_e32 v3, v113, v97
	ds_load_b32 v97, v2 offset:368
	s_waitcnt vmcnt(1)
	v_fmac_f32_e32 v3, v114, v98
	s_waitcnt lgkmcnt(2)
	s_delay_alu instid0(VALU_DEP_1) | instskip(NEXT) | instid1(VALU_DEP_1)
	v_fmac_f32_e32 v3, v115, v99
	v_fmac_f32_e32 v3, v116, v100
	s_delay_alu instid0(VALU_DEP_1) | instskip(SKIP_1) | instid1(VALU_DEP_1)
	v_fmac_f32_e32 v3, v117, v101
	s_waitcnt vmcnt(0)
	v_fmac_f32_e32 v3, v118, v102
	s_waitcnt lgkmcnt(1)
	s_delay_alu instid0(VALU_DEP_1) | instskip(NEXT) | instid1(VALU_DEP_1)
	v_fmac_f32_e32 v3, v119, v95
	v_fmac_f32_e32 v3, v120, v96
	s_waitcnt lgkmcnt(0)
	s_delay_alu instid0(VALU_DEP_1) | instskip(NEXT) | instid1(VALU_DEP_1)
	v_fmac_f32_e32 v3, v121, v97
	v_sub_f32_e32 v3, v94, v3
	scratch_store_b32 off, v3, off offset:68
	v_cmpx_lt_u32_e32 16, v0
	s_cbranch_execz .LBB108_245
; %bb.244:
	scratch_load_b32 v3, off, off offset:64
	scratch_store_b32 off, v2, off offset:64
	s_waitcnt vmcnt(0)
	ds_store_b32 v1, v3
.LBB108_245:
	s_or_b32 exec_lo, exec_lo, s0
	s_waitcnt lgkmcnt(0)
	s_waitcnt_vscnt null, 0x0
	s_barrier
	buffer_gl0_inv
	s_clause 0x7
	scratch_load_b128 v[94:97], off, off offset:64
	scratch_load_b128 v[98:101], off, off offset:80
	;; [unrolled: 1-line block ×7, first 2 shown]
	scratch_load_b32 v130, off, off offset:176
	ds_load_2addr_b32 v[122:123], v2 offset0:65 offset1:66
	ds_load_2addr_b32 v[124:125], v2 offset0:67 offset1:68
	;; [unrolled: 1-line block ×4, first 2 shown]
	s_mov_b32 s0, exec_lo
	s_waitcnt vmcnt(7) lgkmcnt(3)
	v_fma_f32 v122, v95, v122, 0
	s_delay_alu instid0(VALU_DEP_1) | instskip(SKIP_4) | instid1(VALU_DEP_1)
	v_fmac_f32_e32 v122, v96, v123
	ds_load_2addr_b32 v[95:96], v2 offset0:73 offset1:74
	s_waitcnt lgkmcnt(3)
	v_fmac_f32_e32 v122, v97, v124
	s_waitcnt vmcnt(6)
	v_fmac_f32_e32 v122, v98, v125
	ds_load_2addr_b32 v[97:98], v2 offset0:75 offset1:76
	s_waitcnt lgkmcnt(3)
	v_fmac_f32_e32 v122, v99, v126
	s_delay_alu instid0(VALU_DEP_1) | instskip(SKIP_1) | instid1(VALU_DEP_1)
	v_fmac_f32_e32 v122, v100, v127
	s_waitcnt lgkmcnt(2)
	v_fmac_f32_e32 v122, v101, v128
	s_waitcnt vmcnt(5)
	s_delay_alu instid0(VALU_DEP_1) | instskip(SKIP_4) | instid1(VALU_DEP_1)
	v_fmac_f32_e32 v122, v102, v129
	ds_load_2addr_b32 v[99:100], v2 offset0:77 offset1:78
	ds_load_2addr_b32 v[101:102], v2 offset0:79 offset1:80
	s_waitcnt lgkmcnt(3)
	v_fmac_f32_e32 v122, v103, v95
	v_fmac_f32_e32 v122, v104, v96
	ds_load_2addr_b32 v[95:96], v2 offset0:81 offset1:82
	s_waitcnt lgkmcnt(3)
	v_fmac_f32_e32 v122, v105, v97
	s_waitcnt vmcnt(4)
	s_delay_alu instid0(VALU_DEP_1) | instskip(SKIP_3) | instid1(VALU_DEP_1)
	v_fmac_f32_e32 v122, v106, v98
	ds_load_2addr_b32 v[97:98], v2 offset0:83 offset1:84
	s_waitcnt lgkmcnt(3)
	v_fmac_f32_e32 v122, v107, v99
	v_fmac_f32_e32 v122, v108, v100
	s_waitcnt lgkmcnt(2)
	s_delay_alu instid0(VALU_DEP_1) | instskip(SKIP_1) | instid1(VALU_DEP_1)
	v_fmac_f32_e32 v122, v109, v101
	s_waitcnt vmcnt(3)
	v_fmac_f32_e32 v122, v110, v102
	ds_load_2addr_b32 v[99:100], v2 offset0:85 offset1:86
	ds_load_2addr_b32 v[101:102], v2 offset0:87 offset1:88
	s_waitcnt lgkmcnt(3)
	v_fmac_f32_e32 v122, v111, v95
	s_delay_alu instid0(VALU_DEP_1)
	v_fmac_f32_e32 v122, v112, v96
	ds_load_2addr_b32 v[95:96], v2 offset0:89 offset1:90
	ds_load_2addr_b32 v[2:3], v2 offset0:91 offset1:92
	s_waitcnt lgkmcnt(4)
	v_fmac_f32_e32 v122, v113, v97
	s_waitcnt vmcnt(2)
	s_delay_alu instid0(VALU_DEP_1) | instskip(SKIP_1) | instid1(VALU_DEP_1)
	v_fmac_f32_e32 v122, v114, v98
	s_waitcnt lgkmcnt(3)
	v_fmac_f32_e32 v122, v115, v99
	s_delay_alu instid0(VALU_DEP_1) | instskip(SKIP_1) | instid1(VALU_DEP_1)
	v_fmac_f32_e32 v122, v116, v100
	s_waitcnt lgkmcnt(2)
	v_fmac_f32_e32 v122, v117, v101
	s_waitcnt vmcnt(1)
	s_delay_alu instid0(VALU_DEP_1) | instskip(SKIP_1) | instid1(VALU_DEP_1)
	v_fmac_f32_e32 v122, v118, v102
	s_waitcnt lgkmcnt(1)
	v_fmac_f32_e32 v122, v119, v95
	s_delay_alu instid0(VALU_DEP_1) | instskip(SKIP_1) | instid1(VALU_DEP_1)
	v_fmac_f32_e32 v122, v120, v96
	s_waitcnt lgkmcnt(0)
	v_fmac_f32_e32 v122, v121, v2
	s_waitcnt vmcnt(0)
	s_delay_alu instid0(VALU_DEP_1) | instskip(NEXT) | instid1(VALU_DEP_1)
	v_fmac_f32_e32 v122, v130, v3
	v_sub_f32_e32 v2, v94, v122
	scratch_store_b32 off, v2, off offset:64
	v_cmpx_lt_u32_e32 15, v0
	s_cbranch_execz .LBB108_247
; %bb.246:
	scratch_load_b32 v2, off, off offset:60
	v_mov_b32_e32 v3, 0
	scratch_store_b32 off, v3, off offset:60
	s_waitcnt vmcnt(0)
	ds_store_b32 v1, v2
.LBB108_247:
	s_or_b32 exec_lo, exec_lo, s0
	s_waitcnt lgkmcnt(0)
	s_waitcnt_vscnt null, 0x0
	s_barrier
	buffer_gl0_inv
	s_clause 0x7
	scratch_load_b128 v[94:97], off, off offset:60
	scratch_load_b128 v[98:101], off, off offset:76
	;; [unrolled: 1-line block ×7, first 2 shown]
	scratch_load_b64 v[130:131], off, off offset:172
	v_mov_b32_e32 v2, 0
	ds_load_b128 v[122:125], v2 offset:256
	ds_load_b128 v[126:129], v2 offset:272
	s_mov_b32 s0, exec_lo
	s_waitcnt vmcnt(7) lgkmcnt(1)
	v_fma_f32 v3, v95, v122, 0
	s_delay_alu instid0(VALU_DEP_1) | instskip(NEXT) | instid1(VALU_DEP_1)
	v_fmac_f32_e32 v3, v96, v123
	v_fmac_f32_e32 v3, v97, v124
	s_waitcnt vmcnt(6)
	s_delay_alu instid0(VALU_DEP_1) | instskip(SKIP_3) | instid1(VALU_DEP_1)
	v_fmac_f32_e32 v3, v98, v125
	ds_load_b128 v[95:98], v2 offset:288
	s_waitcnt lgkmcnt(1)
	v_fmac_f32_e32 v3, v99, v126
	v_fmac_f32_e32 v3, v100, v127
	s_delay_alu instid0(VALU_DEP_1) | instskip(SKIP_1) | instid1(VALU_DEP_1)
	v_fmac_f32_e32 v3, v101, v128
	s_waitcnt vmcnt(5)
	v_fmac_f32_e32 v3, v102, v129
	ds_load_b128 v[99:102], v2 offset:304
	s_waitcnt lgkmcnt(1)
	v_fmac_f32_e32 v3, v103, v95
	s_delay_alu instid0(VALU_DEP_1) | instskip(NEXT) | instid1(VALU_DEP_1)
	v_fmac_f32_e32 v3, v104, v96
	v_fmac_f32_e32 v3, v105, v97
	s_waitcnt vmcnt(4)
	s_delay_alu instid0(VALU_DEP_1) | instskip(SKIP_3) | instid1(VALU_DEP_1)
	v_fmac_f32_e32 v3, v106, v98
	ds_load_b128 v[95:98], v2 offset:320
	s_waitcnt lgkmcnt(1)
	v_fmac_f32_e32 v3, v107, v99
	v_fmac_f32_e32 v3, v108, v100
	s_delay_alu instid0(VALU_DEP_1) | instskip(SKIP_1) | instid1(VALU_DEP_1)
	v_fmac_f32_e32 v3, v109, v101
	s_waitcnt vmcnt(3)
	v_fmac_f32_e32 v3, v110, v102
	ds_load_b128 v[99:102], v2 offset:336
	s_waitcnt lgkmcnt(1)
	v_fmac_f32_e32 v3, v111, v95
	s_delay_alu instid0(VALU_DEP_1) | instskip(NEXT) | instid1(VALU_DEP_1)
	v_fmac_f32_e32 v3, v112, v96
	v_fmac_f32_e32 v3, v113, v97
	s_waitcnt vmcnt(2)
	s_delay_alu instid0(VALU_DEP_1)
	v_fmac_f32_e32 v3, v114, v98
	ds_load_b128 v[95:98], v2 offset:352
	s_waitcnt lgkmcnt(1)
	v_fmac_f32_e32 v3, v115, v99
	ds_load_b32 v99, v2 offset:368
	v_fmac_f32_e32 v3, v116, v100
	s_delay_alu instid0(VALU_DEP_1) | instskip(SKIP_1) | instid1(VALU_DEP_1)
	v_fmac_f32_e32 v3, v117, v101
	s_waitcnt vmcnt(1)
	v_fmac_f32_e32 v3, v118, v102
	s_waitcnt lgkmcnt(1)
	s_delay_alu instid0(VALU_DEP_1) | instskip(NEXT) | instid1(VALU_DEP_1)
	v_fmac_f32_e32 v3, v119, v95
	v_fmac_f32_e32 v3, v120, v96
	s_delay_alu instid0(VALU_DEP_1) | instskip(SKIP_1) | instid1(VALU_DEP_1)
	v_fmac_f32_e32 v3, v121, v97
	s_waitcnt vmcnt(0)
	v_fmac_f32_e32 v3, v130, v98
	s_waitcnt lgkmcnt(0)
	s_delay_alu instid0(VALU_DEP_1) | instskip(NEXT) | instid1(VALU_DEP_1)
	v_fmac_f32_e32 v3, v131, v99
	v_sub_f32_e32 v3, v94, v3
	scratch_store_b32 off, v3, off offset:60
	v_cmpx_lt_u32_e32 14, v0
	s_cbranch_execz .LBB108_249
; %bb.248:
	scratch_load_b32 v3, off, off offset:56
	scratch_store_b32 off, v2, off offset:56
	s_waitcnt vmcnt(0)
	ds_store_b32 v1, v3
.LBB108_249:
	s_or_b32 exec_lo, exec_lo, s0
	s_waitcnt lgkmcnt(0)
	s_waitcnt_vscnt null, 0x0
	s_barrier
	buffer_gl0_inv
	s_clause 0x7
	scratch_load_b128 v[94:97], off, off offset:56
	scratch_load_b128 v[98:101], off, off offset:72
	;; [unrolled: 1-line block ×7, first 2 shown]
	scratch_load_b96 v[122:124], off, off offset:168
	ds_load_2addr_b32 v[125:126], v2 offset0:63 offset1:64
	ds_load_2addr_b32 v[127:128], v2 offset0:65 offset1:66
	;; [unrolled: 1-line block ×4, first 2 shown]
	s_mov_b32 s0, exec_lo
	s_waitcnt vmcnt(7) lgkmcnt(3)
	v_fma_f32 v125, v95, v125, 0
	s_delay_alu instid0(VALU_DEP_1) | instskip(SKIP_4) | instid1(VALU_DEP_1)
	v_fmac_f32_e32 v125, v96, v126
	ds_load_2addr_b32 v[95:96], v2 offset0:71 offset1:72
	s_waitcnt lgkmcnt(3)
	v_fmac_f32_e32 v125, v97, v127
	s_waitcnt vmcnt(6)
	v_fmac_f32_e32 v125, v98, v128
	ds_load_2addr_b32 v[97:98], v2 offset0:73 offset1:74
	s_waitcnt lgkmcnt(3)
	v_fmac_f32_e32 v125, v99, v129
	s_delay_alu instid0(VALU_DEP_1) | instskip(SKIP_1) | instid1(VALU_DEP_1)
	v_fmac_f32_e32 v125, v100, v130
	s_waitcnt lgkmcnt(2)
	v_fmac_f32_e32 v125, v101, v131
	s_waitcnt vmcnt(5)
	s_delay_alu instid0(VALU_DEP_1) | instskip(SKIP_4) | instid1(VALU_DEP_1)
	v_fmac_f32_e32 v125, v102, v132
	ds_load_2addr_b32 v[99:100], v2 offset0:75 offset1:76
	ds_load_2addr_b32 v[101:102], v2 offset0:77 offset1:78
	s_waitcnt lgkmcnt(3)
	v_fmac_f32_e32 v125, v103, v95
	v_fmac_f32_e32 v125, v104, v96
	ds_load_2addr_b32 v[95:96], v2 offset0:79 offset1:80
	s_waitcnt lgkmcnt(3)
	v_fmac_f32_e32 v125, v105, v97
	s_waitcnt vmcnt(4)
	s_delay_alu instid0(VALU_DEP_1) | instskip(SKIP_3) | instid1(VALU_DEP_1)
	v_fmac_f32_e32 v125, v106, v98
	ds_load_2addr_b32 v[97:98], v2 offset0:81 offset1:82
	s_waitcnt lgkmcnt(3)
	v_fmac_f32_e32 v125, v107, v99
	v_fmac_f32_e32 v125, v108, v100
	s_waitcnt lgkmcnt(2)
	s_delay_alu instid0(VALU_DEP_1) | instskip(SKIP_1) | instid1(VALU_DEP_1)
	v_fmac_f32_e32 v125, v109, v101
	s_waitcnt vmcnt(3)
	v_fmac_f32_e32 v125, v110, v102
	ds_load_2addr_b32 v[99:100], v2 offset0:83 offset1:84
	ds_load_2addr_b32 v[101:102], v2 offset0:85 offset1:86
	s_waitcnt lgkmcnt(3)
	v_fmac_f32_e32 v125, v111, v95
	s_delay_alu instid0(VALU_DEP_1) | instskip(SKIP_4) | instid1(VALU_DEP_1)
	v_fmac_f32_e32 v125, v112, v96
	ds_load_2addr_b32 v[95:96], v2 offset0:87 offset1:88
	s_waitcnt lgkmcnt(3)
	v_fmac_f32_e32 v125, v113, v97
	s_waitcnt vmcnt(2)
	v_fmac_f32_e32 v125, v114, v98
	ds_load_2addr_b32 v[97:98], v2 offset0:89 offset1:90
	ds_load_2addr_b32 v[2:3], v2 offset0:91 offset1:92
	s_waitcnt lgkmcnt(4)
	v_fmac_f32_e32 v125, v115, v99
	s_delay_alu instid0(VALU_DEP_1) | instskip(SKIP_1) | instid1(VALU_DEP_1)
	v_fmac_f32_e32 v125, v116, v100
	s_waitcnt lgkmcnt(3)
	v_fmac_f32_e32 v125, v117, v101
	s_waitcnt vmcnt(1)
	s_delay_alu instid0(VALU_DEP_1) | instskip(SKIP_1) | instid1(VALU_DEP_1)
	v_fmac_f32_e32 v125, v118, v102
	s_waitcnt lgkmcnt(2)
	v_fmac_f32_e32 v125, v119, v95
	s_delay_alu instid0(VALU_DEP_1) | instskip(SKIP_1) | instid1(VALU_DEP_1)
	v_fmac_f32_e32 v125, v120, v96
	s_waitcnt lgkmcnt(1)
	v_fmac_f32_e32 v125, v121, v97
	s_waitcnt vmcnt(0)
	s_delay_alu instid0(VALU_DEP_1) | instskip(SKIP_1) | instid1(VALU_DEP_1)
	v_fmac_f32_e32 v125, v122, v98
	s_waitcnt lgkmcnt(0)
	v_fmac_f32_e32 v125, v123, v2
	s_delay_alu instid0(VALU_DEP_1) | instskip(NEXT) | instid1(VALU_DEP_1)
	v_fmac_f32_e32 v125, v124, v3
	v_sub_f32_e32 v2, v94, v125
	scratch_store_b32 off, v2, off offset:56
	v_cmpx_lt_u32_e32 13, v0
	s_cbranch_execz .LBB108_251
; %bb.250:
	scratch_load_b32 v2, off, off offset:52
	v_mov_b32_e32 v3, 0
	scratch_store_b32 off, v3, off offset:52
	s_waitcnt vmcnt(0)
	ds_store_b32 v1, v2
.LBB108_251:
	s_or_b32 exec_lo, exec_lo, s0
	s_waitcnt lgkmcnt(0)
	s_waitcnt_vscnt null, 0x0
	s_barrier
	buffer_gl0_inv
	s_clause 0x7
	scratch_load_b128 v[94:97], off, off offset:52
	scratch_load_b128 v[98:101], off, off offset:68
	;; [unrolled: 1-line block ×8, first 2 shown]
	v_mov_b32_e32 v2, 0
	ds_load_2addr_b64 v[126:129], v2 offset0:31 offset1:32
	ds_load_2addr_b64 v[130:133], v2 offset0:33 offset1:34
	s_mov_b32 s0, exec_lo
	s_waitcnt vmcnt(7) lgkmcnt(1)
	v_fma_f32 v3, v95, v126, 0
	s_delay_alu instid0(VALU_DEP_1) | instskip(NEXT) | instid1(VALU_DEP_1)
	v_fmac_f32_e32 v3, v96, v127
	v_fmac_f32_e32 v3, v97, v128
	s_waitcnt vmcnt(6)
	s_delay_alu instid0(VALU_DEP_1) | instskip(SKIP_3) | instid1(VALU_DEP_1)
	v_fmac_f32_e32 v3, v98, v129
	ds_load_2addr_b64 v[95:98], v2 offset0:35 offset1:36
	s_waitcnt lgkmcnt(1)
	v_fmac_f32_e32 v3, v99, v130
	v_fmac_f32_e32 v3, v100, v131
	s_delay_alu instid0(VALU_DEP_1) | instskip(SKIP_1) | instid1(VALU_DEP_1)
	v_fmac_f32_e32 v3, v101, v132
	s_waitcnt vmcnt(5)
	v_fmac_f32_e32 v3, v102, v133
	ds_load_2addr_b64 v[99:102], v2 offset0:37 offset1:38
	s_waitcnt lgkmcnt(1)
	v_fmac_f32_e32 v3, v103, v95
	s_delay_alu instid0(VALU_DEP_1) | instskip(NEXT) | instid1(VALU_DEP_1)
	v_fmac_f32_e32 v3, v104, v96
	v_fmac_f32_e32 v3, v105, v97
	s_waitcnt vmcnt(4)
	s_delay_alu instid0(VALU_DEP_1) | instskip(SKIP_3) | instid1(VALU_DEP_1)
	v_fmac_f32_e32 v3, v106, v98
	ds_load_2addr_b64 v[95:98], v2 offset0:39 offset1:40
	s_waitcnt lgkmcnt(1)
	v_fmac_f32_e32 v3, v107, v99
	v_fmac_f32_e32 v3, v108, v100
	s_delay_alu instid0(VALU_DEP_1) | instskip(SKIP_1) | instid1(VALU_DEP_1)
	v_fmac_f32_e32 v3, v109, v101
	s_waitcnt vmcnt(3)
	v_fmac_f32_e32 v3, v110, v102
	ds_load_2addr_b64 v[99:102], v2 offset0:41 offset1:42
	s_waitcnt lgkmcnt(1)
	v_fmac_f32_e32 v3, v111, v95
	s_delay_alu instid0(VALU_DEP_1) | instskip(NEXT) | instid1(VALU_DEP_1)
	v_fmac_f32_e32 v3, v112, v96
	v_fmac_f32_e32 v3, v113, v97
	s_waitcnt vmcnt(2)
	s_delay_alu instid0(VALU_DEP_1) | instskip(SKIP_3) | instid1(VALU_DEP_1)
	v_fmac_f32_e32 v3, v114, v98
	ds_load_2addr_b64 v[95:98], v2 offset0:43 offset1:44
	s_waitcnt lgkmcnt(1)
	v_fmac_f32_e32 v3, v115, v99
	v_fmac_f32_e32 v3, v116, v100
	ds_load_b64 v[99:100], v2 offset:360
	v_fmac_f32_e32 v3, v117, v101
	s_waitcnt vmcnt(1)
	s_delay_alu instid0(VALU_DEP_1) | instskip(SKIP_1) | instid1(VALU_DEP_1)
	v_fmac_f32_e32 v3, v118, v102
	s_waitcnt lgkmcnt(1)
	v_fmac_f32_e32 v3, v119, v95
	ds_load_b32 v95, v2 offset:368
	v_fmac_f32_e32 v3, v120, v96
	s_delay_alu instid0(VALU_DEP_1) | instskip(SKIP_1) | instid1(VALU_DEP_1)
	v_fmac_f32_e32 v3, v121, v97
	s_waitcnt vmcnt(0)
	v_fmac_f32_e32 v3, v122, v98
	s_waitcnt lgkmcnt(1)
	s_delay_alu instid0(VALU_DEP_1) | instskip(NEXT) | instid1(VALU_DEP_1)
	v_fmac_f32_e32 v3, v123, v99
	v_fmac_f32_e32 v3, v124, v100
	s_waitcnt lgkmcnt(0)
	s_delay_alu instid0(VALU_DEP_1) | instskip(NEXT) | instid1(VALU_DEP_1)
	v_fmac_f32_e32 v3, v125, v95
	v_sub_f32_e32 v3, v94, v3
	scratch_store_b32 off, v3, off offset:52
	v_cmpx_lt_u32_e32 12, v0
	s_cbranch_execz .LBB108_253
; %bb.252:
	scratch_load_b32 v3, off, off offset:48
	scratch_store_b32 off, v2, off offset:48
	s_waitcnt vmcnt(0)
	ds_store_b32 v1, v3
.LBB108_253:
	s_or_b32 exec_lo, exec_lo, s0
	s_waitcnt lgkmcnt(0)
	s_waitcnt_vscnt null, 0x0
	s_barrier
	buffer_gl0_inv
	s_clause 0x8
	scratch_load_b128 v[94:97], off, off offset:48
	scratch_load_b128 v[98:101], off, off offset:64
	scratch_load_b128 v[102:105], off, off offset:80
	scratch_load_b128 v[106:109], off, off offset:96
	scratch_load_b128 v[110:113], off, off offset:112
	scratch_load_b128 v[114:117], off, off offset:128
	scratch_load_b128 v[118:121], off, off offset:144
	scratch_load_b128 v[122:125], off, off offset:160
	scratch_load_b32 v134, off, off offset:176
	ds_load_2addr_b32 v[126:127], v2 offset0:61 offset1:62
	ds_load_2addr_b32 v[128:129], v2 offset0:63 offset1:64
	;; [unrolled: 1-line block ×4, first 2 shown]
	s_mov_b32 s0, exec_lo
	s_waitcnt vmcnt(8) lgkmcnt(3)
	v_fma_f32 v126, v95, v126, 0
	s_delay_alu instid0(VALU_DEP_1) | instskip(SKIP_4) | instid1(VALU_DEP_1)
	v_fmac_f32_e32 v126, v96, v127
	ds_load_2addr_b32 v[95:96], v2 offset0:69 offset1:70
	s_waitcnt lgkmcnt(3)
	v_fmac_f32_e32 v126, v97, v128
	s_waitcnt vmcnt(7)
	v_fmac_f32_e32 v126, v98, v129
	ds_load_2addr_b32 v[97:98], v2 offset0:71 offset1:72
	s_waitcnt lgkmcnt(3)
	v_fmac_f32_e32 v126, v99, v130
	s_delay_alu instid0(VALU_DEP_1) | instskip(SKIP_1) | instid1(VALU_DEP_1)
	v_fmac_f32_e32 v126, v100, v131
	s_waitcnt lgkmcnt(2)
	v_fmac_f32_e32 v126, v101, v132
	s_waitcnt vmcnt(6)
	s_delay_alu instid0(VALU_DEP_1) | instskip(SKIP_4) | instid1(VALU_DEP_1)
	v_fmac_f32_e32 v126, v102, v133
	ds_load_2addr_b32 v[99:100], v2 offset0:73 offset1:74
	ds_load_2addr_b32 v[101:102], v2 offset0:75 offset1:76
	s_waitcnt lgkmcnt(3)
	v_fmac_f32_e32 v126, v103, v95
	v_fmac_f32_e32 v126, v104, v96
	ds_load_2addr_b32 v[95:96], v2 offset0:77 offset1:78
	s_waitcnt lgkmcnt(3)
	v_fmac_f32_e32 v126, v105, v97
	s_waitcnt vmcnt(5)
	s_delay_alu instid0(VALU_DEP_1) | instskip(SKIP_3) | instid1(VALU_DEP_1)
	v_fmac_f32_e32 v126, v106, v98
	ds_load_2addr_b32 v[97:98], v2 offset0:79 offset1:80
	s_waitcnt lgkmcnt(3)
	v_fmac_f32_e32 v126, v107, v99
	v_fmac_f32_e32 v126, v108, v100
	s_waitcnt lgkmcnt(2)
	s_delay_alu instid0(VALU_DEP_1) | instskip(SKIP_1) | instid1(VALU_DEP_1)
	v_fmac_f32_e32 v126, v109, v101
	s_waitcnt vmcnt(4)
	v_fmac_f32_e32 v126, v110, v102
	ds_load_2addr_b32 v[99:100], v2 offset0:81 offset1:82
	ds_load_2addr_b32 v[101:102], v2 offset0:83 offset1:84
	s_waitcnt lgkmcnt(3)
	v_fmac_f32_e32 v126, v111, v95
	s_delay_alu instid0(VALU_DEP_1) | instskip(SKIP_4) | instid1(VALU_DEP_1)
	v_fmac_f32_e32 v126, v112, v96
	ds_load_2addr_b32 v[95:96], v2 offset0:85 offset1:86
	s_waitcnt lgkmcnt(3)
	v_fmac_f32_e32 v126, v113, v97
	s_waitcnt vmcnt(3)
	v_fmac_f32_e32 v126, v114, v98
	ds_load_2addr_b32 v[97:98], v2 offset0:87 offset1:88
	s_waitcnt lgkmcnt(3)
	v_fmac_f32_e32 v126, v115, v99
	s_delay_alu instid0(VALU_DEP_1)
	v_fmac_f32_e32 v126, v116, v100
	ds_load_2addr_b32 v[99:100], v2 offset0:89 offset1:90
	ds_load_2addr_b32 v[2:3], v2 offset0:91 offset1:92
	s_waitcnt lgkmcnt(4)
	v_fmac_f32_e32 v126, v117, v101
	s_waitcnt vmcnt(2)
	s_delay_alu instid0(VALU_DEP_1) | instskip(SKIP_1) | instid1(VALU_DEP_1)
	v_fmac_f32_e32 v126, v118, v102
	s_waitcnt lgkmcnt(3)
	v_fmac_f32_e32 v126, v119, v95
	s_delay_alu instid0(VALU_DEP_1) | instskip(SKIP_1) | instid1(VALU_DEP_1)
	v_fmac_f32_e32 v126, v120, v96
	s_waitcnt lgkmcnt(2)
	v_fmac_f32_e32 v126, v121, v97
	s_waitcnt vmcnt(1)
	s_delay_alu instid0(VALU_DEP_1) | instskip(SKIP_1) | instid1(VALU_DEP_1)
	v_fmac_f32_e32 v126, v122, v98
	s_waitcnt lgkmcnt(1)
	v_fmac_f32_e32 v126, v123, v99
	s_delay_alu instid0(VALU_DEP_1) | instskip(SKIP_1) | instid1(VALU_DEP_1)
	v_fmac_f32_e32 v126, v124, v100
	s_waitcnt lgkmcnt(0)
	v_fmac_f32_e32 v126, v125, v2
	s_waitcnt vmcnt(0)
	s_delay_alu instid0(VALU_DEP_1) | instskip(NEXT) | instid1(VALU_DEP_1)
	v_fmac_f32_e32 v126, v134, v3
	v_sub_f32_e32 v2, v94, v126
	scratch_store_b32 off, v2, off offset:48
	v_cmpx_lt_u32_e32 11, v0
	s_cbranch_execz .LBB108_255
; %bb.254:
	scratch_load_b32 v2, off, off offset:44
	v_mov_b32_e32 v3, 0
	scratch_store_b32 off, v3, off offset:44
	s_waitcnt vmcnt(0)
	ds_store_b32 v1, v2
.LBB108_255:
	s_or_b32 exec_lo, exec_lo, s0
	s_waitcnt lgkmcnt(0)
	s_waitcnt_vscnt null, 0x0
	s_barrier
	buffer_gl0_inv
	s_clause 0x8
	scratch_load_b128 v[94:97], off, off offset:44
	scratch_load_b128 v[98:101], off, off offset:60
	;; [unrolled: 1-line block ×8, first 2 shown]
	scratch_load_b64 v[134:135], off, off offset:172
	v_mov_b32_e32 v2, 0
	ds_load_b128 v[126:129], v2 offset:240
	ds_load_b128 v[130:133], v2 offset:256
	s_mov_b32 s0, exec_lo
	s_waitcnt vmcnt(8) lgkmcnt(1)
	v_fma_f32 v3, v95, v126, 0
	s_delay_alu instid0(VALU_DEP_1) | instskip(NEXT) | instid1(VALU_DEP_1)
	v_fmac_f32_e32 v3, v96, v127
	v_fmac_f32_e32 v3, v97, v128
	s_waitcnt vmcnt(7)
	s_delay_alu instid0(VALU_DEP_1) | instskip(SKIP_3) | instid1(VALU_DEP_1)
	v_fmac_f32_e32 v3, v98, v129
	ds_load_b128 v[95:98], v2 offset:272
	s_waitcnt lgkmcnt(1)
	v_fmac_f32_e32 v3, v99, v130
	v_fmac_f32_e32 v3, v100, v131
	s_delay_alu instid0(VALU_DEP_1) | instskip(SKIP_1) | instid1(VALU_DEP_1)
	v_fmac_f32_e32 v3, v101, v132
	s_waitcnt vmcnt(6)
	v_fmac_f32_e32 v3, v102, v133
	ds_load_b128 v[99:102], v2 offset:288
	s_waitcnt lgkmcnt(1)
	v_fmac_f32_e32 v3, v103, v95
	s_delay_alu instid0(VALU_DEP_1) | instskip(NEXT) | instid1(VALU_DEP_1)
	v_fmac_f32_e32 v3, v104, v96
	v_fmac_f32_e32 v3, v105, v97
	s_waitcnt vmcnt(5)
	s_delay_alu instid0(VALU_DEP_1) | instskip(SKIP_3) | instid1(VALU_DEP_1)
	v_fmac_f32_e32 v3, v106, v98
	ds_load_b128 v[95:98], v2 offset:304
	s_waitcnt lgkmcnt(1)
	v_fmac_f32_e32 v3, v107, v99
	v_fmac_f32_e32 v3, v108, v100
	s_delay_alu instid0(VALU_DEP_1) | instskip(SKIP_1) | instid1(VALU_DEP_1)
	v_fmac_f32_e32 v3, v109, v101
	s_waitcnt vmcnt(4)
	v_fmac_f32_e32 v3, v110, v102
	ds_load_b128 v[99:102], v2 offset:320
	s_waitcnt lgkmcnt(1)
	v_fmac_f32_e32 v3, v111, v95
	s_delay_alu instid0(VALU_DEP_1) | instskip(NEXT) | instid1(VALU_DEP_1)
	v_fmac_f32_e32 v3, v112, v96
	v_fmac_f32_e32 v3, v113, v97
	s_waitcnt vmcnt(3)
	s_delay_alu instid0(VALU_DEP_1) | instskip(SKIP_3) | instid1(VALU_DEP_1)
	v_fmac_f32_e32 v3, v114, v98
	ds_load_b128 v[95:98], v2 offset:336
	s_waitcnt lgkmcnt(1)
	v_fmac_f32_e32 v3, v115, v99
	v_fmac_f32_e32 v3, v116, v100
	s_delay_alu instid0(VALU_DEP_1) | instskip(SKIP_1) | instid1(VALU_DEP_1)
	v_fmac_f32_e32 v3, v117, v101
	s_waitcnt vmcnt(2)
	v_fmac_f32_e32 v3, v118, v102
	ds_load_b128 v[99:102], v2 offset:352
	s_waitcnt lgkmcnt(1)
	v_fmac_f32_e32 v3, v119, v95
	ds_load_b32 v95, v2 offset:368
	v_fmac_f32_e32 v3, v120, v96
	s_delay_alu instid0(VALU_DEP_1) | instskip(SKIP_1) | instid1(VALU_DEP_1)
	v_fmac_f32_e32 v3, v121, v97
	s_waitcnt vmcnt(1)
	v_fmac_f32_e32 v3, v122, v98
	s_waitcnt lgkmcnt(1)
	s_delay_alu instid0(VALU_DEP_1) | instskip(NEXT) | instid1(VALU_DEP_1)
	v_fmac_f32_e32 v3, v123, v99
	v_fmac_f32_e32 v3, v124, v100
	s_delay_alu instid0(VALU_DEP_1) | instskip(SKIP_1) | instid1(VALU_DEP_1)
	v_fmac_f32_e32 v3, v125, v101
	s_waitcnt vmcnt(0)
	v_fmac_f32_e32 v3, v134, v102
	s_waitcnt lgkmcnt(0)
	s_delay_alu instid0(VALU_DEP_1) | instskip(NEXT) | instid1(VALU_DEP_1)
	v_fmac_f32_e32 v3, v135, v95
	v_sub_f32_e32 v3, v94, v3
	scratch_store_b32 off, v3, off offset:44
	v_cmpx_lt_u32_e32 10, v0
	s_cbranch_execz .LBB108_257
; %bb.256:
	scratch_load_b32 v3, off, off offset:40
	scratch_store_b32 off, v2, off offset:40
	s_waitcnt vmcnt(0)
	ds_store_b32 v1, v3
.LBB108_257:
	s_or_b32 exec_lo, exec_lo, s0
	s_waitcnt lgkmcnt(0)
	s_waitcnt_vscnt null, 0x0
	s_barrier
	buffer_gl0_inv
	s_clause 0x8
	scratch_load_b128 v[94:97], off, off offset:40
	scratch_load_b128 v[98:101], off, off offset:56
	;; [unrolled: 1-line block ×8, first 2 shown]
	scratch_load_b96 v[126:128], off, off offset:168
	ds_load_2addr_b32 v[129:130], v2 offset0:59 offset1:60
	ds_load_2addr_b32 v[131:132], v2 offset0:61 offset1:62
	;; [unrolled: 1-line block ×4, first 2 shown]
	s_mov_b32 s0, exec_lo
	s_waitcnt vmcnt(8) lgkmcnt(3)
	v_fma_f32 v129, v95, v129, 0
	s_delay_alu instid0(VALU_DEP_1) | instskip(SKIP_4) | instid1(VALU_DEP_1)
	v_fmac_f32_e32 v129, v96, v130
	ds_load_2addr_b32 v[95:96], v2 offset0:67 offset1:68
	s_waitcnt lgkmcnt(3)
	v_fmac_f32_e32 v129, v97, v131
	s_waitcnt vmcnt(7)
	v_fmac_f32_e32 v129, v98, v132
	ds_load_2addr_b32 v[97:98], v2 offset0:69 offset1:70
	s_waitcnt lgkmcnt(3)
	v_fmac_f32_e32 v129, v99, v133
	s_delay_alu instid0(VALU_DEP_1) | instskip(SKIP_1) | instid1(VALU_DEP_1)
	v_fmac_f32_e32 v129, v100, v134
	s_waitcnt lgkmcnt(2)
	v_fmac_f32_e32 v129, v101, v135
	s_waitcnt vmcnt(6)
	s_delay_alu instid0(VALU_DEP_1) | instskip(SKIP_4) | instid1(VALU_DEP_1)
	v_fmac_f32_e32 v129, v102, v136
	ds_load_2addr_b32 v[99:100], v2 offset0:71 offset1:72
	ds_load_2addr_b32 v[101:102], v2 offset0:73 offset1:74
	s_waitcnt lgkmcnt(3)
	v_fmac_f32_e32 v129, v103, v95
	v_fmac_f32_e32 v129, v104, v96
	ds_load_2addr_b32 v[95:96], v2 offset0:75 offset1:76
	s_waitcnt lgkmcnt(3)
	v_fmac_f32_e32 v129, v105, v97
	s_waitcnt vmcnt(5)
	s_delay_alu instid0(VALU_DEP_1) | instskip(SKIP_3) | instid1(VALU_DEP_1)
	v_fmac_f32_e32 v129, v106, v98
	ds_load_2addr_b32 v[97:98], v2 offset0:77 offset1:78
	s_waitcnt lgkmcnt(3)
	v_fmac_f32_e32 v129, v107, v99
	v_fmac_f32_e32 v129, v108, v100
	s_waitcnt lgkmcnt(2)
	s_delay_alu instid0(VALU_DEP_1) | instskip(SKIP_1) | instid1(VALU_DEP_1)
	v_fmac_f32_e32 v129, v109, v101
	s_waitcnt vmcnt(4)
	v_fmac_f32_e32 v129, v110, v102
	ds_load_2addr_b32 v[99:100], v2 offset0:79 offset1:80
	ds_load_2addr_b32 v[101:102], v2 offset0:81 offset1:82
	s_waitcnt lgkmcnt(3)
	v_fmac_f32_e32 v129, v111, v95
	s_delay_alu instid0(VALU_DEP_1) | instskip(SKIP_4) | instid1(VALU_DEP_1)
	v_fmac_f32_e32 v129, v112, v96
	ds_load_2addr_b32 v[95:96], v2 offset0:83 offset1:84
	s_waitcnt lgkmcnt(3)
	v_fmac_f32_e32 v129, v113, v97
	s_waitcnt vmcnt(3)
	v_fmac_f32_e32 v129, v114, v98
	ds_load_2addr_b32 v[97:98], v2 offset0:85 offset1:86
	s_waitcnt lgkmcnt(3)
	v_fmac_f32_e32 v129, v115, v99
	s_delay_alu instid0(VALU_DEP_1) | instskip(SKIP_1) | instid1(VALU_DEP_1)
	v_fmac_f32_e32 v129, v116, v100
	s_waitcnt lgkmcnt(2)
	v_fmac_f32_e32 v129, v117, v101
	s_waitcnt vmcnt(2)
	s_delay_alu instid0(VALU_DEP_1)
	v_fmac_f32_e32 v129, v118, v102
	ds_load_2addr_b32 v[99:100], v2 offset0:87 offset1:88
	ds_load_2addr_b32 v[101:102], v2 offset0:89 offset1:90
	;; [unrolled: 1-line block ×3, first 2 shown]
	s_waitcnt lgkmcnt(4)
	v_fmac_f32_e32 v129, v119, v95
	s_delay_alu instid0(VALU_DEP_1) | instskip(SKIP_1) | instid1(VALU_DEP_1)
	v_fmac_f32_e32 v129, v120, v96
	s_waitcnt lgkmcnt(3)
	v_fmac_f32_e32 v129, v121, v97
	s_waitcnt vmcnt(1)
	s_delay_alu instid0(VALU_DEP_1) | instskip(SKIP_1) | instid1(VALU_DEP_1)
	v_fmac_f32_e32 v129, v122, v98
	s_waitcnt lgkmcnt(2)
	v_fmac_f32_e32 v129, v123, v99
	s_delay_alu instid0(VALU_DEP_1) | instskip(SKIP_1) | instid1(VALU_DEP_1)
	v_fmac_f32_e32 v129, v124, v100
	s_waitcnt lgkmcnt(1)
	v_fmac_f32_e32 v129, v125, v101
	s_waitcnt vmcnt(0)
	s_delay_alu instid0(VALU_DEP_1) | instskip(SKIP_1) | instid1(VALU_DEP_1)
	v_fmac_f32_e32 v129, v126, v102
	s_waitcnt lgkmcnt(0)
	v_fmac_f32_e32 v129, v127, v2
	s_delay_alu instid0(VALU_DEP_1) | instskip(NEXT) | instid1(VALU_DEP_1)
	v_fmac_f32_e32 v129, v128, v3
	v_sub_f32_e32 v2, v94, v129
	scratch_store_b32 off, v2, off offset:40
	v_cmpx_lt_u32_e32 9, v0
	s_cbranch_execz .LBB108_259
; %bb.258:
	scratch_load_b32 v2, off, off offset:36
	v_mov_b32_e32 v3, 0
	scratch_store_b32 off, v3, off offset:36
	s_waitcnt vmcnt(0)
	ds_store_b32 v1, v2
.LBB108_259:
	s_or_b32 exec_lo, exec_lo, s0
	s_waitcnt lgkmcnt(0)
	s_waitcnt_vscnt null, 0x0
	s_barrier
	buffer_gl0_inv
	s_clause 0x8
	scratch_load_b128 v[94:97], off, off offset:36
	scratch_load_b128 v[98:101], off, off offset:52
	;; [unrolled: 1-line block ×9, first 2 shown]
	v_mov_b32_e32 v2, 0
	ds_load_2addr_b64 v[130:133], v2 offset0:29 offset1:30
	ds_load_2addr_b64 v[134:137], v2 offset0:31 offset1:32
	s_mov_b32 s0, exec_lo
	s_waitcnt vmcnt(8) lgkmcnt(1)
	v_fma_f32 v3, v95, v130, 0
	s_delay_alu instid0(VALU_DEP_1) | instskip(NEXT) | instid1(VALU_DEP_1)
	v_fmac_f32_e32 v3, v96, v131
	v_fmac_f32_e32 v3, v97, v132
	s_waitcnt vmcnt(7)
	s_delay_alu instid0(VALU_DEP_1) | instskip(SKIP_3) | instid1(VALU_DEP_1)
	v_fmac_f32_e32 v3, v98, v133
	ds_load_2addr_b64 v[95:98], v2 offset0:33 offset1:34
	s_waitcnt lgkmcnt(1)
	v_fmac_f32_e32 v3, v99, v134
	v_fmac_f32_e32 v3, v100, v135
	s_delay_alu instid0(VALU_DEP_1) | instskip(SKIP_1) | instid1(VALU_DEP_1)
	v_fmac_f32_e32 v3, v101, v136
	s_waitcnt vmcnt(6)
	v_fmac_f32_e32 v3, v102, v137
	ds_load_2addr_b64 v[99:102], v2 offset0:35 offset1:36
	s_waitcnt lgkmcnt(1)
	v_fmac_f32_e32 v3, v103, v95
	s_delay_alu instid0(VALU_DEP_1) | instskip(NEXT) | instid1(VALU_DEP_1)
	v_fmac_f32_e32 v3, v104, v96
	v_fmac_f32_e32 v3, v105, v97
	s_waitcnt vmcnt(5)
	s_delay_alu instid0(VALU_DEP_1) | instskip(SKIP_3) | instid1(VALU_DEP_1)
	v_fmac_f32_e32 v3, v106, v98
	ds_load_2addr_b64 v[95:98], v2 offset0:37 offset1:38
	s_waitcnt lgkmcnt(1)
	v_fmac_f32_e32 v3, v107, v99
	v_fmac_f32_e32 v3, v108, v100
	s_delay_alu instid0(VALU_DEP_1) | instskip(SKIP_1) | instid1(VALU_DEP_1)
	v_fmac_f32_e32 v3, v109, v101
	s_waitcnt vmcnt(4)
	v_fmac_f32_e32 v3, v110, v102
	ds_load_2addr_b64 v[99:102], v2 offset0:39 offset1:40
	s_waitcnt lgkmcnt(1)
	v_fmac_f32_e32 v3, v111, v95
	;; [unrolled: 17-line block ×3, first 2 shown]
	s_delay_alu instid0(VALU_DEP_1)
	v_fmac_f32_e32 v3, v120, v96
	ds_load_b64 v[95:96], v2 offset:360
	v_fmac_f32_e32 v3, v121, v97
	ds_load_b32 v97, v2 offset:368
	s_waitcnt vmcnt(1)
	v_fmac_f32_e32 v3, v122, v98
	s_waitcnt lgkmcnt(2)
	s_delay_alu instid0(VALU_DEP_1) | instskip(NEXT) | instid1(VALU_DEP_1)
	v_fmac_f32_e32 v3, v123, v99
	v_fmac_f32_e32 v3, v124, v100
	s_delay_alu instid0(VALU_DEP_1) | instskip(SKIP_1) | instid1(VALU_DEP_1)
	v_fmac_f32_e32 v3, v125, v101
	s_waitcnt vmcnt(0)
	v_fmac_f32_e32 v3, v126, v102
	s_waitcnt lgkmcnt(1)
	s_delay_alu instid0(VALU_DEP_1) | instskip(NEXT) | instid1(VALU_DEP_1)
	v_fmac_f32_e32 v3, v127, v95
	v_fmac_f32_e32 v3, v128, v96
	s_waitcnt lgkmcnt(0)
	s_delay_alu instid0(VALU_DEP_1) | instskip(NEXT) | instid1(VALU_DEP_1)
	v_fmac_f32_e32 v3, v129, v97
	v_sub_f32_e32 v3, v94, v3
	scratch_store_b32 off, v3, off offset:36
	v_cmpx_lt_u32_e32 8, v0
	s_cbranch_execz .LBB108_261
; %bb.260:
	scratch_load_b32 v3, off, off offset:32
	scratch_store_b32 off, v2, off offset:32
	s_waitcnt vmcnt(0)
	ds_store_b32 v1, v3
.LBB108_261:
	s_or_b32 exec_lo, exec_lo, s0
	s_waitcnt lgkmcnt(0)
	s_waitcnt_vscnt null, 0x0
	s_barrier
	buffer_gl0_inv
	s_clause 0x9
	scratch_load_b128 v[94:97], off, off offset:32
	scratch_load_b128 v[98:101], off, off offset:48
	;; [unrolled: 1-line block ×9, first 2 shown]
	scratch_load_b32 v138, off, off offset:176
	ds_load_2addr_b32 v[130:131], v2 offset0:57 offset1:58
	ds_load_2addr_b32 v[132:133], v2 offset0:59 offset1:60
	;; [unrolled: 1-line block ×4, first 2 shown]
	s_mov_b32 s0, exec_lo
	s_waitcnt vmcnt(9) lgkmcnt(3)
	v_fma_f32 v130, v95, v130, 0
	s_delay_alu instid0(VALU_DEP_1) | instskip(SKIP_4) | instid1(VALU_DEP_1)
	v_fmac_f32_e32 v130, v96, v131
	ds_load_2addr_b32 v[95:96], v2 offset0:65 offset1:66
	s_waitcnt lgkmcnt(3)
	v_fmac_f32_e32 v130, v97, v132
	s_waitcnt vmcnt(8)
	v_fmac_f32_e32 v130, v98, v133
	ds_load_2addr_b32 v[97:98], v2 offset0:67 offset1:68
	s_waitcnt lgkmcnt(3)
	v_fmac_f32_e32 v130, v99, v134
	s_delay_alu instid0(VALU_DEP_1) | instskip(SKIP_1) | instid1(VALU_DEP_1)
	v_fmac_f32_e32 v130, v100, v135
	s_waitcnt lgkmcnt(2)
	v_fmac_f32_e32 v130, v101, v136
	s_waitcnt vmcnt(7)
	s_delay_alu instid0(VALU_DEP_1) | instskip(SKIP_4) | instid1(VALU_DEP_1)
	v_fmac_f32_e32 v130, v102, v137
	ds_load_2addr_b32 v[99:100], v2 offset0:69 offset1:70
	ds_load_2addr_b32 v[101:102], v2 offset0:71 offset1:72
	s_waitcnt lgkmcnt(3)
	v_fmac_f32_e32 v130, v103, v95
	v_fmac_f32_e32 v130, v104, v96
	ds_load_2addr_b32 v[95:96], v2 offset0:73 offset1:74
	s_waitcnt lgkmcnt(3)
	v_fmac_f32_e32 v130, v105, v97
	s_waitcnt vmcnt(6)
	s_delay_alu instid0(VALU_DEP_1) | instskip(SKIP_3) | instid1(VALU_DEP_1)
	v_fmac_f32_e32 v130, v106, v98
	ds_load_2addr_b32 v[97:98], v2 offset0:75 offset1:76
	s_waitcnt lgkmcnt(3)
	v_fmac_f32_e32 v130, v107, v99
	v_fmac_f32_e32 v130, v108, v100
	s_waitcnt lgkmcnt(2)
	s_delay_alu instid0(VALU_DEP_1) | instskip(SKIP_1) | instid1(VALU_DEP_1)
	v_fmac_f32_e32 v130, v109, v101
	s_waitcnt vmcnt(5)
	v_fmac_f32_e32 v130, v110, v102
	ds_load_2addr_b32 v[99:100], v2 offset0:77 offset1:78
	ds_load_2addr_b32 v[101:102], v2 offset0:79 offset1:80
	s_waitcnt lgkmcnt(3)
	v_fmac_f32_e32 v130, v111, v95
	s_delay_alu instid0(VALU_DEP_1) | instskip(SKIP_4) | instid1(VALU_DEP_1)
	v_fmac_f32_e32 v130, v112, v96
	ds_load_2addr_b32 v[95:96], v2 offset0:81 offset1:82
	s_waitcnt lgkmcnt(3)
	v_fmac_f32_e32 v130, v113, v97
	s_waitcnt vmcnt(4)
	v_fmac_f32_e32 v130, v114, v98
	ds_load_2addr_b32 v[97:98], v2 offset0:83 offset1:84
	s_waitcnt lgkmcnt(3)
	v_fmac_f32_e32 v130, v115, v99
	s_delay_alu instid0(VALU_DEP_1) | instskip(SKIP_1) | instid1(VALU_DEP_1)
	v_fmac_f32_e32 v130, v116, v100
	s_waitcnt lgkmcnt(2)
	v_fmac_f32_e32 v130, v117, v101
	s_waitcnt vmcnt(3)
	s_delay_alu instid0(VALU_DEP_1) | instskip(SKIP_4) | instid1(VALU_DEP_1)
	v_fmac_f32_e32 v130, v118, v102
	ds_load_2addr_b32 v[99:100], v2 offset0:85 offset1:86
	ds_load_2addr_b32 v[101:102], v2 offset0:87 offset1:88
	s_waitcnt lgkmcnt(3)
	v_fmac_f32_e32 v130, v119, v95
	v_fmac_f32_e32 v130, v120, v96
	ds_load_2addr_b32 v[95:96], v2 offset0:89 offset1:90
	ds_load_2addr_b32 v[2:3], v2 offset0:91 offset1:92
	s_waitcnt lgkmcnt(4)
	v_fmac_f32_e32 v130, v121, v97
	s_waitcnt vmcnt(2)
	s_delay_alu instid0(VALU_DEP_1) | instskip(SKIP_1) | instid1(VALU_DEP_1)
	v_fmac_f32_e32 v130, v122, v98
	s_waitcnt lgkmcnt(3)
	v_fmac_f32_e32 v130, v123, v99
	s_delay_alu instid0(VALU_DEP_1) | instskip(SKIP_1) | instid1(VALU_DEP_1)
	v_fmac_f32_e32 v130, v124, v100
	s_waitcnt lgkmcnt(2)
	v_fmac_f32_e32 v130, v125, v101
	s_waitcnt vmcnt(1)
	s_delay_alu instid0(VALU_DEP_1) | instskip(SKIP_1) | instid1(VALU_DEP_1)
	v_fmac_f32_e32 v130, v126, v102
	s_waitcnt lgkmcnt(1)
	v_fmac_f32_e32 v130, v127, v95
	s_delay_alu instid0(VALU_DEP_1) | instskip(SKIP_1) | instid1(VALU_DEP_1)
	v_fmac_f32_e32 v130, v128, v96
	s_waitcnt lgkmcnt(0)
	v_fmac_f32_e32 v130, v129, v2
	s_waitcnt vmcnt(0)
	s_delay_alu instid0(VALU_DEP_1) | instskip(NEXT) | instid1(VALU_DEP_1)
	v_fmac_f32_e32 v130, v138, v3
	v_sub_f32_e32 v2, v94, v130
	scratch_store_b32 off, v2, off offset:32
	v_cmpx_lt_u32_e32 7, v0
	s_cbranch_execz .LBB108_263
; %bb.262:
	scratch_load_b32 v2, off, off offset:28
	v_mov_b32_e32 v3, 0
	scratch_store_b32 off, v3, off offset:28
	s_waitcnt vmcnt(0)
	ds_store_b32 v1, v2
.LBB108_263:
	s_or_b32 exec_lo, exec_lo, s0
	s_waitcnt lgkmcnt(0)
	s_waitcnt_vscnt null, 0x0
	s_barrier
	buffer_gl0_inv
	s_clause 0x9
	scratch_load_b128 v[94:97], off, off offset:28
	scratch_load_b128 v[98:101], off, off offset:44
	;; [unrolled: 1-line block ×9, first 2 shown]
	scratch_load_b64 v[138:139], off, off offset:172
	v_mov_b32_e32 v2, 0
	ds_load_b128 v[130:133], v2 offset:224
	ds_load_b128 v[134:137], v2 offset:240
	s_mov_b32 s0, exec_lo
	s_waitcnt vmcnt(9) lgkmcnt(1)
	v_fma_f32 v3, v95, v130, 0
	s_delay_alu instid0(VALU_DEP_1) | instskip(NEXT) | instid1(VALU_DEP_1)
	v_fmac_f32_e32 v3, v96, v131
	v_fmac_f32_e32 v3, v97, v132
	s_waitcnt vmcnt(8)
	s_delay_alu instid0(VALU_DEP_1) | instskip(SKIP_3) | instid1(VALU_DEP_1)
	v_fmac_f32_e32 v3, v98, v133
	ds_load_b128 v[95:98], v2 offset:256
	s_waitcnt lgkmcnt(1)
	v_fmac_f32_e32 v3, v99, v134
	v_fmac_f32_e32 v3, v100, v135
	s_delay_alu instid0(VALU_DEP_1) | instskip(SKIP_1) | instid1(VALU_DEP_1)
	v_fmac_f32_e32 v3, v101, v136
	s_waitcnt vmcnt(7)
	v_fmac_f32_e32 v3, v102, v137
	ds_load_b128 v[99:102], v2 offset:272
	s_waitcnt lgkmcnt(1)
	v_fmac_f32_e32 v3, v103, v95
	s_delay_alu instid0(VALU_DEP_1) | instskip(NEXT) | instid1(VALU_DEP_1)
	v_fmac_f32_e32 v3, v104, v96
	v_fmac_f32_e32 v3, v105, v97
	s_waitcnt vmcnt(6)
	s_delay_alu instid0(VALU_DEP_1) | instskip(SKIP_3) | instid1(VALU_DEP_1)
	v_fmac_f32_e32 v3, v106, v98
	ds_load_b128 v[95:98], v2 offset:288
	s_waitcnt lgkmcnt(1)
	v_fmac_f32_e32 v3, v107, v99
	v_fmac_f32_e32 v3, v108, v100
	s_delay_alu instid0(VALU_DEP_1) | instskip(SKIP_1) | instid1(VALU_DEP_1)
	v_fmac_f32_e32 v3, v109, v101
	s_waitcnt vmcnt(5)
	v_fmac_f32_e32 v3, v110, v102
	ds_load_b128 v[99:102], v2 offset:304
	s_waitcnt lgkmcnt(1)
	v_fmac_f32_e32 v3, v111, v95
	;; [unrolled: 17-line block ×3, first 2 shown]
	s_delay_alu instid0(VALU_DEP_1) | instskip(NEXT) | instid1(VALU_DEP_1)
	v_fmac_f32_e32 v3, v120, v96
	v_fmac_f32_e32 v3, v121, v97
	s_waitcnt vmcnt(2)
	s_delay_alu instid0(VALU_DEP_1)
	v_fmac_f32_e32 v3, v122, v98
	ds_load_b128 v[95:98], v2 offset:352
	s_waitcnt lgkmcnt(1)
	v_fmac_f32_e32 v3, v123, v99
	ds_load_b32 v99, v2 offset:368
	v_fmac_f32_e32 v3, v124, v100
	s_delay_alu instid0(VALU_DEP_1) | instskip(SKIP_1) | instid1(VALU_DEP_1)
	v_fmac_f32_e32 v3, v125, v101
	s_waitcnt vmcnt(1)
	v_fmac_f32_e32 v3, v126, v102
	s_waitcnt lgkmcnt(1)
	s_delay_alu instid0(VALU_DEP_1) | instskip(NEXT) | instid1(VALU_DEP_1)
	v_fmac_f32_e32 v3, v127, v95
	v_fmac_f32_e32 v3, v128, v96
	s_delay_alu instid0(VALU_DEP_1) | instskip(SKIP_1) | instid1(VALU_DEP_1)
	v_fmac_f32_e32 v3, v129, v97
	s_waitcnt vmcnt(0)
	v_fmac_f32_e32 v3, v138, v98
	s_waitcnt lgkmcnt(0)
	s_delay_alu instid0(VALU_DEP_1) | instskip(NEXT) | instid1(VALU_DEP_1)
	v_fmac_f32_e32 v3, v139, v99
	v_sub_f32_e32 v3, v94, v3
	scratch_store_b32 off, v3, off offset:28
	v_cmpx_lt_u32_e32 6, v0
	s_cbranch_execz .LBB108_265
; %bb.264:
	scratch_load_b32 v3, off, off offset:24
	scratch_store_b32 off, v2, off offset:24
	s_waitcnt vmcnt(0)
	ds_store_b32 v1, v3
.LBB108_265:
	s_or_b32 exec_lo, exec_lo, s0
	s_waitcnt lgkmcnt(0)
	s_waitcnt_vscnt null, 0x0
	s_barrier
	buffer_gl0_inv
	s_clause 0x9
	scratch_load_b128 v[94:97], off, off offset:24
	scratch_load_b128 v[98:101], off, off offset:40
	;; [unrolled: 1-line block ×9, first 2 shown]
	scratch_load_b96 v[130:132], off, off offset:168
	ds_load_2addr_b32 v[133:134], v2 offset0:55 offset1:56
	ds_load_2addr_b32 v[135:136], v2 offset0:57 offset1:58
	;; [unrolled: 1-line block ×4, first 2 shown]
	s_mov_b32 s0, exec_lo
	s_waitcnt vmcnt(9) lgkmcnt(3)
	v_fma_f32 v133, v95, v133, 0
	s_delay_alu instid0(VALU_DEP_1) | instskip(SKIP_4) | instid1(VALU_DEP_1)
	v_fmac_f32_e32 v133, v96, v134
	ds_load_2addr_b32 v[95:96], v2 offset0:63 offset1:64
	s_waitcnt lgkmcnt(3)
	v_fmac_f32_e32 v133, v97, v135
	s_waitcnt vmcnt(8)
	v_fmac_f32_e32 v133, v98, v136
	ds_load_2addr_b32 v[97:98], v2 offset0:65 offset1:66
	s_waitcnt lgkmcnt(3)
	v_fmac_f32_e32 v133, v99, v137
	s_delay_alu instid0(VALU_DEP_1) | instskip(SKIP_1) | instid1(VALU_DEP_1)
	v_fmac_f32_e32 v133, v100, v138
	s_waitcnt lgkmcnt(2)
	v_fmac_f32_e32 v133, v101, v139
	s_waitcnt vmcnt(7)
	s_delay_alu instid0(VALU_DEP_1) | instskip(SKIP_4) | instid1(VALU_DEP_1)
	v_fmac_f32_e32 v133, v102, v140
	ds_load_2addr_b32 v[99:100], v2 offset0:67 offset1:68
	ds_load_2addr_b32 v[101:102], v2 offset0:69 offset1:70
	s_waitcnt lgkmcnt(3)
	v_fmac_f32_e32 v133, v103, v95
	v_fmac_f32_e32 v133, v104, v96
	ds_load_2addr_b32 v[95:96], v2 offset0:71 offset1:72
	s_waitcnt lgkmcnt(3)
	v_fmac_f32_e32 v133, v105, v97
	s_waitcnt vmcnt(6)
	s_delay_alu instid0(VALU_DEP_1) | instskip(SKIP_3) | instid1(VALU_DEP_1)
	v_fmac_f32_e32 v133, v106, v98
	ds_load_2addr_b32 v[97:98], v2 offset0:73 offset1:74
	s_waitcnt lgkmcnt(3)
	v_fmac_f32_e32 v133, v107, v99
	v_fmac_f32_e32 v133, v108, v100
	s_waitcnt lgkmcnt(2)
	s_delay_alu instid0(VALU_DEP_1) | instskip(SKIP_1) | instid1(VALU_DEP_1)
	v_fmac_f32_e32 v133, v109, v101
	s_waitcnt vmcnt(5)
	v_fmac_f32_e32 v133, v110, v102
	ds_load_2addr_b32 v[99:100], v2 offset0:75 offset1:76
	ds_load_2addr_b32 v[101:102], v2 offset0:77 offset1:78
	s_waitcnt lgkmcnt(3)
	v_fmac_f32_e32 v133, v111, v95
	s_delay_alu instid0(VALU_DEP_1) | instskip(SKIP_4) | instid1(VALU_DEP_1)
	v_fmac_f32_e32 v133, v112, v96
	ds_load_2addr_b32 v[95:96], v2 offset0:79 offset1:80
	s_waitcnt lgkmcnt(3)
	v_fmac_f32_e32 v133, v113, v97
	s_waitcnt vmcnt(4)
	v_fmac_f32_e32 v133, v114, v98
	ds_load_2addr_b32 v[97:98], v2 offset0:81 offset1:82
	s_waitcnt lgkmcnt(3)
	v_fmac_f32_e32 v133, v115, v99
	s_delay_alu instid0(VALU_DEP_1) | instskip(SKIP_1) | instid1(VALU_DEP_1)
	v_fmac_f32_e32 v133, v116, v100
	s_waitcnt lgkmcnt(2)
	v_fmac_f32_e32 v133, v117, v101
	s_waitcnt vmcnt(3)
	s_delay_alu instid0(VALU_DEP_1) | instskip(SKIP_4) | instid1(VALU_DEP_1)
	v_fmac_f32_e32 v133, v118, v102
	ds_load_2addr_b32 v[99:100], v2 offset0:83 offset1:84
	ds_load_2addr_b32 v[101:102], v2 offset0:85 offset1:86
	s_waitcnt lgkmcnt(3)
	v_fmac_f32_e32 v133, v119, v95
	v_fmac_f32_e32 v133, v120, v96
	ds_load_2addr_b32 v[95:96], v2 offset0:87 offset1:88
	s_waitcnt lgkmcnt(3)
	v_fmac_f32_e32 v133, v121, v97
	s_waitcnt vmcnt(2)
	s_delay_alu instid0(VALU_DEP_1) | instskip(SKIP_4) | instid1(VALU_DEP_1)
	v_fmac_f32_e32 v133, v122, v98
	ds_load_2addr_b32 v[97:98], v2 offset0:89 offset1:90
	ds_load_2addr_b32 v[2:3], v2 offset0:91 offset1:92
	s_waitcnt lgkmcnt(4)
	v_fmac_f32_e32 v133, v123, v99
	v_fmac_f32_e32 v133, v124, v100
	s_waitcnt lgkmcnt(3)
	s_delay_alu instid0(VALU_DEP_1) | instskip(SKIP_1) | instid1(VALU_DEP_1)
	v_fmac_f32_e32 v133, v125, v101
	s_waitcnt vmcnt(1)
	v_fmac_f32_e32 v133, v126, v102
	s_waitcnt lgkmcnt(2)
	s_delay_alu instid0(VALU_DEP_1) | instskip(NEXT) | instid1(VALU_DEP_1)
	v_fmac_f32_e32 v133, v127, v95
	v_fmac_f32_e32 v133, v128, v96
	s_waitcnt lgkmcnt(1)
	s_delay_alu instid0(VALU_DEP_1) | instskip(SKIP_1) | instid1(VALU_DEP_1)
	v_fmac_f32_e32 v133, v129, v97
	s_waitcnt vmcnt(0)
	v_fmac_f32_e32 v133, v130, v98
	s_waitcnt lgkmcnt(0)
	s_delay_alu instid0(VALU_DEP_1) | instskip(NEXT) | instid1(VALU_DEP_1)
	v_fmac_f32_e32 v133, v131, v2
	v_fmac_f32_e32 v133, v132, v3
	s_delay_alu instid0(VALU_DEP_1)
	v_sub_f32_e32 v2, v94, v133
	scratch_store_b32 off, v2, off offset:24
	v_cmpx_lt_u32_e32 5, v0
	s_cbranch_execz .LBB108_267
; %bb.266:
	scratch_load_b32 v2, off, off offset:20
	v_mov_b32_e32 v3, 0
	scratch_store_b32 off, v3, off offset:20
	s_waitcnt vmcnt(0)
	ds_store_b32 v1, v2
.LBB108_267:
	s_or_b32 exec_lo, exec_lo, s0
	s_waitcnt lgkmcnt(0)
	s_waitcnt_vscnt null, 0x0
	s_barrier
	buffer_gl0_inv
	s_clause 0x9
	scratch_load_b128 v[94:97], off, off offset:20
	scratch_load_b128 v[98:101], off, off offset:36
	;; [unrolled: 1-line block ×10, first 2 shown]
	v_mov_b32_e32 v2, 0
	ds_load_2addr_b64 v[134:137], v2 offset0:27 offset1:28
	ds_load_2addr_b64 v[138:141], v2 offset0:29 offset1:30
	s_mov_b32 s0, exec_lo
	s_waitcnt vmcnt(9) lgkmcnt(1)
	v_fma_f32 v3, v95, v134, 0
	s_delay_alu instid0(VALU_DEP_1) | instskip(NEXT) | instid1(VALU_DEP_1)
	v_fmac_f32_e32 v3, v96, v135
	v_fmac_f32_e32 v3, v97, v136
	s_waitcnt vmcnt(8)
	s_delay_alu instid0(VALU_DEP_1) | instskip(SKIP_3) | instid1(VALU_DEP_1)
	v_fmac_f32_e32 v3, v98, v137
	ds_load_2addr_b64 v[95:98], v2 offset0:31 offset1:32
	s_waitcnt lgkmcnt(1)
	v_fmac_f32_e32 v3, v99, v138
	v_fmac_f32_e32 v3, v100, v139
	s_delay_alu instid0(VALU_DEP_1) | instskip(SKIP_1) | instid1(VALU_DEP_1)
	v_fmac_f32_e32 v3, v101, v140
	s_waitcnt vmcnt(7)
	v_fmac_f32_e32 v3, v102, v141
	ds_load_2addr_b64 v[99:102], v2 offset0:33 offset1:34
	s_waitcnt lgkmcnt(1)
	v_fmac_f32_e32 v3, v103, v95
	s_delay_alu instid0(VALU_DEP_1) | instskip(NEXT) | instid1(VALU_DEP_1)
	v_fmac_f32_e32 v3, v104, v96
	v_fmac_f32_e32 v3, v105, v97
	s_waitcnt vmcnt(6)
	s_delay_alu instid0(VALU_DEP_1) | instskip(SKIP_3) | instid1(VALU_DEP_1)
	v_fmac_f32_e32 v3, v106, v98
	ds_load_2addr_b64 v[95:98], v2 offset0:35 offset1:36
	s_waitcnt lgkmcnt(1)
	v_fmac_f32_e32 v3, v107, v99
	v_fmac_f32_e32 v3, v108, v100
	s_delay_alu instid0(VALU_DEP_1) | instskip(SKIP_1) | instid1(VALU_DEP_1)
	v_fmac_f32_e32 v3, v109, v101
	s_waitcnt vmcnt(5)
	v_fmac_f32_e32 v3, v110, v102
	ds_load_2addr_b64 v[99:102], v2 offset0:37 offset1:38
	s_waitcnt lgkmcnt(1)
	v_fmac_f32_e32 v3, v111, v95
	;; [unrolled: 17-line block ×3, first 2 shown]
	s_delay_alu instid0(VALU_DEP_1) | instskip(NEXT) | instid1(VALU_DEP_1)
	v_fmac_f32_e32 v3, v120, v96
	v_fmac_f32_e32 v3, v121, v97
	s_waitcnt vmcnt(2)
	s_delay_alu instid0(VALU_DEP_1) | instskip(SKIP_3) | instid1(VALU_DEP_1)
	v_fmac_f32_e32 v3, v122, v98
	ds_load_2addr_b64 v[95:98], v2 offset0:43 offset1:44
	s_waitcnt lgkmcnt(1)
	v_fmac_f32_e32 v3, v123, v99
	v_fmac_f32_e32 v3, v124, v100
	ds_load_b64 v[99:100], v2 offset:360
	v_fmac_f32_e32 v3, v125, v101
	s_waitcnt vmcnt(1)
	s_delay_alu instid0(VALU_DEP_1) | instskip(SKIP_1) | instid1(VALU_DEP_1)
	v_fmac_f32_e32 v3, v126, v102
	s_waitcnt lgkmcnt(1)
	v_fmac_f32_e32 v3, v127, v95
	ds_load_b32 v95, v2 offset:368
	v_fmac_f32_e32 v3, v128, v96
	s_delay_alu instid0(VALU_DEP_1) | instskip(SKIP_1) | instid1(VALU_DEP_1)
	v_fmac_f32_e32 v3, v129, v97
	s_waitcnt vmcnt(0)
	v_fmac_f32_e32 v3, v130, v98
	s_waitcnt lgkmcnt(1)
	s_delay_alu instid0(VALU_DEP_1) | instskip(NEXT) | instid1(VALU_DEP_1)
	v_fmac_f32_e32 v3, v131, v99
	v_fmac_f32_e32 v3, v132, v100
	s_waitcnt lgkmcnt(0)
	s_delay_alu instid0(VALU_DEP_1) | instskip(NEXT) | instid1(VALU_DEP_1)
	v_fmac_f32_e32 v3, v133, v95
	v_sub_f32_e32 v3, v94, v3
	scratch_store_b32 off, v3, off offset:20
	v_cmpx_lt_u32_e32 4, v0
	s_cbranch_execz .LBB108_269
; %bb.268:
	scratch_load_b32 v3, off, off offset:16
	scratch_store_b32 off, v2, off offset:16
	s_waitcnt vmcnt(0)
	ds_store_b32 v1, v3
.LBB108_269:
	s_or_b32 exec_lo, exec_lo, s0
	s_waitcnt lgkmcnt(0)
	s_waitcnt_vscnt null, 0x0
	s_barrier
	buffer_gl0_inv
	s_clause 0xa
	scratch_load_b128 v[94:97], off, off offset:16
	scratch_load_b128 v[98:101], off, off offset:32
	;; [unrolled: 1-line block ×10, first 2 shown]
	scratch_load_b32 v142, off, off offset:176
	ds_load_2addr_b32 v[134:135], v2 offset0:53 offset1:54
	ds_load_2addr_b32 v[136:137], v2 offset0:55 offset1:56
	;; [unrolled: 1-line block ×4, first 2 shown]
	s_mov_b32 s0, exec_lo
	s_waitcnt vmcnt(10) lgkmcnt(3)
	v_fma_f32 v134, v95, v134, 0
	s_delay_alu instid0(VALU_DEP_1) | instskip(SKIP_4) | instid1(VALU_DEP_1)
	v_fmac_f32_e32 v134, v96, v135
	ds_load_2addr_b32 v[95:96], v2 offset0:61 offset1:62
	s_waitcnt lgkmcnt(3)
	v_fmac_f32_e32 v134, v97, v136
	s_waitcnt vmcnt(9)
	v_fmac_f32_e32 v134, v98, v137
	ds_load_2addr_b32 v[97:98], v2 offset0:63 offset1:64
	s_waitcnt lgkmcnt(3)
	v_fmac_f32_e32 v134, v99, v138
	s_delay_alu instid0(VALU_DEP_1) | instskip(SKIP_1) | instid1(VALU_DEP_1)
	v_fmac_f32_e32 v134, v100, v139
	s_waitcnt lgkmcnt(2)
	v_fmac_f32_e32 v134, v101, v140
	s_waitcnt vmcnt(8)
	s_delay_alu instid0(VALU_DEP_1) | instskip(SKIP_4) | instid1(VALU_DEP_1)
	v_fmac_f32_e32 v134, v102, v141
	ds_load_2addr_b32 v[99:100], v2 offset0:65 offset1:66
	ds_load_2addr_b32 v[101:102], v2 offset0:67 offset1:68
	s_waitcnt lgkmcnt(3)
	v_fmac_f32_e32 v134, v103, v95
	v_fmac_f32_e32 v134, v104, v96
	ds_load_2addr_b32 v[95:96], v2 offset0:69 offset1:70
	s_waitcnt lgkmcnt(3)
	v_fmac_f32_e32 v134, v105, v97
	s_waitcnt vmcnt(7)
	s_delay_alu instid0(VALU_DEP_1) | instskip(SKIP_3) | instid1(VALU_DEP_1)
	v_fmac_f32_e32 v134, v106, v98
	ds_load_2addr_b32 v[97:98], v2 offset0:71 offset1:72
	s_waitcnt lgkmcnt(3)
	v_fmac_f32_e32 v134, v107, v99
	v_fmac_f32_e32 v134, v108, v100
	s_waitcnt lgkmcnt(2)
	s_delay_alu instid0(VALU_DEP_1) | instskip(SKIP_1) | instid1(VALU_DEP_1)
	v_fmac_f32_e32 v134, v109, v101
	s_waitcnt vmcnt(6)
	v_fmac_f32_e32 v134, v110, v102
	ds_load_2addr_b32 v[99:100], v2 offset0:73 offset1:74
	ds_load_2addr_b32 v[101:102], v2 offset0:75 offset1:76
	s_waitcnt lgkmcnt(3)
	v_fmac_f32_e32 v134, v111, v95
	s_delay_alu instid0(VALU_DEP_1) | instskip(SKIP_4) | instid1(VALU_DEP_1)
	v_fmac_f32_e32 v134, v112, v96
	ds_load_2addr_b32 v[95:96], v2 offset0:77 offset1:78
	s_waitcnt lgkmcnt(3)
	v_fmac_f32_e32 v134, v113, v97
	s_waitcnt vmcnt(5)
	v_fmac_f32_e32 v134, v114, v98
	ds_load_2addr_b32 v[97:98], v2 offset0:79 offset1:80
	s_waitcnt lgkmcnt(3)
	v_fmac_f32_e32 v134, v115, v99
	s_delay_alu instid0(VALU_DEP_1) | instskip(SKIP_1) | instid1(VALU_DEP_1)
	v_fmac_f32_e32 v134, v116, v100
	s_waitcnt lgkmcnt(2)
	v_fmac_f32_e32 v134, v117, v101
	s_waitcnt vmcnt(4)
	s_delay_alu instid0(VALU_DEP_1) | instskip(SKIP_4) | instid1(VALU_DEP_1)
	v_fmac_f32_e32 v134, v118, v102
	ds_load_2addr_b32 v[99:100], v2 offset0:81 offset1:82
	ds_load_2addr_b32 v[101:102], v2 offset0:83 offset1:84
	s_waitcnt lgkmcnt(3)
	v_fmac_f32_e32 v134, v119, v95
	v_fmac_f32_e32 v134, v120, v96
	ds_load_2addr_b32 v[95:96], v2 offset0:85 offset1:86
	s_waitcnt lgkmcnt(3)
	v_fmac_f32_e32 v134, v121, v97
	s_waitcnt vmcnt(3)
	s_delay_alu instid0(VALU_DEP_1) | instskip(SKIP_3) | instid1(VALU_DEP_1)
	v_fmac_f32_e32 v134, v122, v98
	ds_load_2addr_b32 v[97:98], v2 offset0:87 offset1:88
	s_waitcnt lgkmcnt(3)
	v_fmac_f32_e32 v134, v123, v99
	v_fmac_f32_e32 v134, v124, v100
	ds_load_2addr_b32 v[99:100], v2 offset0:89 offset1:90
	ds_load_2addr_b32 v[2:3], v2 offset0:91 offset1:92
	s_waitcnt lgkmcnt(4)
	v_fmac_f32_e32 v134, v125, v101
	s_waitcnt vmcnt(2)
	s_delay_alu instid0(VALU_DEP_1) | instskip(SKIP_1) | instid1(VALU_DEP_1)
	v_fmac_f32_e32 v134, v126, v102
	s_waitcnt lgkmcnt(3)
	v_fmac_f32_e32 v134, v127, v95
	s_delay_alu instid0(VALU_DEP_1) | instskip(SKIP_1) | instid1(VALU_DEP_1)
	v_fmac_f32_e32 v134, v128, v96
	s_waitcnt lgkmcnt(2)
	v_fmac_f32_e32 v134, v129, v97
	s_waitcnt vmcnt(1)
	s_delay_alu instid0(VALU_DEP_1) | instskip(SKIP_1) | instid1(VALU_DEP_1)
	v_fmac_f32_e32 v134, v130, v98
	s_waitcnt lgkmcnt(1)
	v_fmac_f32_e32 v134, v131, v99
	s_delay_alu instid0(VALU_DEP_1) | instskip(SKIP_1) | instid1(VALU_DEP_1)
	v_fmac_f32_e32 v134, v132, v100
	s_waitcnt lgkmcnt(0)
	v_fmac_f32_e32 v134, v133, v2
	s_waitcnt vmcnt(0)
	s_delay_alu instid0(VALU_DEP_1) | instskip(NEXT) | instid1(VALU_DEP_1)
	v_fmac_f32_e32 v134, v142, v3
	v_sub_f32_e32 v2, v94, v134
	scratch_store_b32 off, v2, off offset:16
	v_cmpx_lt_u32_e32 3, v0
	s_cbranch_execz .LBB108_271
; %bb.270:
	scratch_load_b32 v2, off, off offset:12
	v_mov_b32_e32 v3, 0
	scratch_store_b32 off, v3, off offset:12
	s_waitcnt vmcnt(0)
	ds_store_b32 v1, v2
.LBB108_271:
	s_or_b32 exec_lo, exec_lo, s0
	s_waitcnt lgkmcnt(0)
	s_waitcnt_vscnt null, 0x0
	s_barrier
	buffer_gl0_inv
	s_clause 0xa
	scratch_load_b128 v[94:97], off, off offset:12
	scratch_load_b128 v[98:101], off, off offset:28
	;; [unrolled: 1-line block ×10, first 2 shown]
	scratch_load_b64 v[142:143], off, off offset:172
	v_mov_b32_e32 v2, 0
	ds_load_b128 v[134:137], v2 offset:208
	ds_load_b128 v[138:141], v2 offset:224
	s_mov_b32 s0, exec_lo
	s_waitcnt vmcnt(10) lgkmcnt(1)
	v_fma_f32 v3, v95, v134, 0
	s_delay_alu instid0(VALU_DEP_1) | instskip(NEXT) | instid1(VALU_DEP_1)
	v_fmac_f32_e32 v3, v96, v135
	v_fmac_f32_e32 v3, v97, v136
	s_waitcnt vmcnt(9)
	s_delay_alu instid0(VALU_DEP_1) | instskip(SKIP_3) | instid1(VALU_DEP_1)
	v_fmac_f32_e32 v3, v98, v137
	ds_load_b128 v[95:98], v2 offset:240
	s_waitcnt lgkmcnt(1)
	v_fmac_f32_e32 v3, v99, v138
	v_fmac_f32_e32 v3, v100, v139
	s_delay_alu instid0(VALU_DEP_1) | instskip(SKIP_1) | instid1(VALU_DEP_1)
	v_fmac_f32_e32 v3, v101, v140
	s_waitcnt vmcnt(8)
	v_fmac_f32_e32 v3, v102, v141
	ds_load_b128 v[99:102], v2 offset:256
	s_waitcnt lgkmcnt(1)
	v_fmac_f32_e32 v3, v103, v95
	s_delay_alu instid0(VALU_DEP_1) | instskip(NEXT) | instid1(VALU_DEP_1)
	v_fmac_f32_e32 v3, v104, v96
	v_fmac_f32_e32 v3, v105, v97
	s_waitcnt vmcnt(7)
	s_delay_alu instid0(VALU_DEP_1) | instskip(SKIP_3) | instid1(VALU_DEP_1)
	v_fmac_f32_e32 v3, v106, v98
	ds_load_b128 v[95:98], v2 offset:272
	s_waitcnt lgkmcnt(1)
	v_fmac_f32_e32 v3, v107, v99
	v_fmac_f32_e32 v3, v108, v100
	s_delay_alu instid0(VALU_DEP_1) | instskip(SKIP_1) | instid1(VALU_DEP_1)
	v_fmac_f32_e32 v3, v109, v101
	s_waitcnt vmcnt(6)
	v_fmac_f32_e32 v3, v110, v102
	ds_load_b128 v[99:102], v2 offset:288
	s_waitcnt lgkmcnt(1)
	v_fmac_f32_e32 v3, v111, v95
	;; [unrolled: 17-line block ×4, first 2 shown]
	ds_load_b32 v95, v2 offset:368
	v_fmac_f32_e32 v3, v128, v96
	s_delay_alu instid0(VALU_DEP_1) | instskip(SKIP_1) | instid1(VALU_DEP_1)
	v_fmac_f32_e32 v3, v129, v97
	s_waitcnt vmcnt(1)
	v_fmac_f32_e32 v3, v130, v98
	s_waitcnt lgkmcnt(1)
	s_delay_alu instid0(VALU_DEP_1) | instskip(NEXT) | instid1(VALU_DEP_1)
	v_fmac_f32_e32 v3, v131, v99
	v_fmac_f32_e32 v3, v132, v100
	s_delay_alu instid0(VALU_DEP_1) | instskip(SKIP_1) | instid1(VALU_DEP_1)
	v_fmac_f32_e32 v3, v133, v101
	s_waitcnt vmcnt(0)
	v_fmac_f32_e32 v3, v142, v102
	s_waitcnt lgkmcnt(0)
	s_delay_alu instid0(VALU_DEP_1) | instskip(NEXT) | instid1(VALU_DEP_1)
	v_fmac_f32_e32 v3, v143, v95
	v_sub_f32_e32 v3, v94, v3
	scratch_store_b32 off, v3, off offset:12
	v_cmpx_lt_u32_e32 2, v0
	s_cbranch_execz .LBB108_273
; %bb.272:
	scratch_load_b32 v3, off, off offset:8
	scratch_store_b32 off, v2, off offset:8
	s_waitcnt vmcnt(0)
	ds_store_b32 v1, v3
.LBB108_273:
	s_or_b32 exec_lo, exec_lo, s0
	s_waitcnt lgkmcnt(0)
	s_waitcnt_vscnt null, 0x0
	s_barrier
	buffer_gl0_inv
	s_clause 0xa
	scratch_load_b128 v[94:97], off, off offset:8
	scratch_load_b128 v[98:101], off, off offset:24
	;; [unrolled: 1-line block ×10, first 2 shown]
	scratch_load_b96 v[134:136], off, off offset:168
	ds_load_2addr_b32 v[137:138], v2 offset0:51 offset1:52
	ds_load_2addr_b32 v[139:140], v2 offset0:53 offset1:54
	;; [unrolled: 1-line block ×3, first 2 shown]
	s_mov_b32 s0, exec_lo
	s_waitcnt vmcnt(10) lgkmcnt(2)
	v_fma_f32 v137, v95, v137, 0
	s_delay_alu instid0(VALU_DEP_1) | instskip(SKIP_4) | instid1(VALU_DEP_1)
	v_fmac_f32_e32 v137, v96, v138
	ds_load_2addr_b32 v[95:96], v2 offset0:57 offset1:58
	s_waitcnt lgkmcnt(2)
	v_fmac_f32_e32 v137, v97, v139
	s_waitcnt vmcnt(9)
	v_fmac_f32_e32 v137, v98, v140
	ds_load_2addr_b32 v[97:98], v2 offset0:59 offset1:60
	s_waitcnt lgkmcnt(2)
	v_fmac_f32_e32 v137, v99, v141
	s_delay_alu instid0(VALU_DEP_1) | instskip(SKIP_4) | instid1(VALU_DEP_1)
	v_fmac_f32_e32 v137, v100, v142
	ds_load_2addr_b32 v[99:100], v2 offset0:61 offset1:62
	s_waitcnt lgkmcnt(2)
	v_fmac_f32_e32 v137, v101, v95
	s_waitcnt vmcnt(8)
	v_fmac_f32_e32 v137, v102, v96
	ds_load_2addr_b32 v[95:96], v2 offset0:63 offset1:64
	s_waitcnt lgkmcnt(2)
	v_fmac_f32_e32 v137, v103, v97
	;; [unrolled: 10-line block ×8, first 2 shown]
	s_delay_alu instid0(VALU_DEP_1)
	v_fmac_f32_e32 v137, v128, v98
	ds_load_2addr_b32 v[97:98], v2 offset0:89 offset1:90
	ds_load_2addr_b32 v[2:3], v2 offset0:91 offset1:92
	s_waitcnt lgkmcnt(3)
	v_fmac_f32_e32 v137, v129, v99
	s_waitcnt vmcnt(1)
	s_delay_alu instid0(VALU_DEP_1) | instskip(SKIP_1) | instid1(VALU_DEP_1)
	v_fmac_f32_e32 v137, v130, v100
	s_waitcnt lgkmcnt(2)
	v_fmac_f32_e32 v137, v131, v95
	s_delay_alu instid0(VALU_DEP_1) | instskip(SKIP_1) | instid1(VALU_DEP_1)
	v_fmac_f32_e32 v137, v132, v96
	s_waitcnt lgkmcnt(1)
	v_fmac_f32_e32 v137, v133, v97
	s_waitcnt vmcnt(0)
	s_delay_alu instid0(VALU_DEP_1) | instskip(SKIP_1) | instid1(VALU_DEP_1)
	v_fmac_f32_e32 v137, v134, v98
	s_waitcnt lgkmcnt(0)
	v_fmac_f32_e32 v137, v135, v2
	s_delay_alu instid0(VALU_DEP_1) | instskip(NEXT) | instid1(VALU_DEP_1)
	v_fmac_f32_e32 v137, v136, v3
	v_sub_f32_e32 v2, v94, v137
	scratch_store_b32 off, v2, off offset:8
	v_cmpx_lt_u32_e32 1, v0
	s_cbranch_execz .LBB108_275
; %bb.274:
	scratch_load_b32 v2, off, off offset:4
	v_mov_b32_e32 v3, 0
	scratch_store_b32 off, v3, off offset:4
	s_waitcnt vmcnt(0)
	ds_store_b32 v1, v2
.LBB108_275:
	s_or_b32 exec_lo, exec_lo, s0
	s_waitcnt lgkmcnt(0)
	s_waitcnt_vscnt null, 0x0
	s_barrier
	buffer_gl0_inv
	s_clause 0xa
	scratch_load_b128 v[95:98], off, off offset:4
	scratch_load_b128 v[99:102], off, off offset:20
	;; [unrolled: 1-line block ×11, first 2 shown]
	v_mov_b32_e32 v94, 0
	ds_load_2addr_b64 v[139:142], v94 offset0:25 offset1:26
	ds_load_2addr_b64 v[143:146], v94 offset0:27 offset1:28
	s_mov_b32 s0, exec_lo
	s_waitcnt vmcnt(10) lgkmcnt(1)
	v_fma_f32 v139, v96, v139, 0
	s_delay_alu instid0(VALU_DEP_1) | instskip(SKIP_3) | instid1(VALU_DEP_1)
	v_fmac_f32_e32 v139, v97, v140
	ds_load_b64 v[2:3], v94 offset:360
	v_fmac_f32_e32 v139, v98, v141
	s_waitcnt vmcnt(9)
	v_fmac_f32_e32 v139, v99, v142
	ds_load_2addr_b64 v[96:99], v94 offset0:29 offset1:30
	s_waitcnt lgkmcnt(2)
	v_fmac_f32_e32 v139, v100, v143
	s_delay_alu instid0(VALU_DEP_1) | instskip(NEXT) | instid1(VALU_DEP_1)
	v_fmac_f32_e32 v139, v101, v144
	v_fmac_f32_e32 v139, v102, v145
	s_waitcnt vmcnt(8)
	s_delay_alu instid0(VALU_DEP_1) | instskip(SKIP_3) | instid1(VALU_DEP_1)
	v_fmac_f32_e32 v139, v103, v146
	ds_load_2addr_b64 v[100:103], v94 offset0:31 offset1:32
	s_waitcnt lgkmcnt(1)
	v_fmac_f32_e32 v139, v104, v96
	v_fmac_f32_e32 v139, v105, v97
	s_delay_alu instid0(VALU_DEP_1) | instskip(SKIP_1) | instid1(VALU_DEP_1)
	v_fmac_f32_e32 v139, v106, v98
	s_waitcnt vmcnt(7)
	v_fmac_f32_e32 v139, v107, v99
	ds_load_2addr_b64 v[96:99], v94 offset0:33 offset1:34
	s_waitcnt lgkmcnt(1)
	v_fmac_f32_e32 v139, v108, v100
	s_delay_alu instid0(VALU_DEP_1) | instskip(NEXT) | instid1(VALU_DEP_1)
	v_fmac_f32_e32 v139, v109, v101
	v_fmac_f32_e32 v139, v110, v102
	s_waitcnt vmcnt(6)
	s_delay_alu instid0(VALU_DEP_1) | instskip(SKIP_3) | instid1(VALU_DEP_1)
	v_fmac_f32_e32 v139, v111, v103
	ds_load_2addr_b64 v[100:103], v94 offset0:35 offset1:36
	s_waitcnt lgkmcnt(1)
	v_fmac_f32_e32 v139, v112, v96
	v_fmac_f32_e32 v139, v113, v97
	s_delay_alu instid0(VALU_DEP_1) | instskip(SKIP_1) | instid1(VALU_DEP_1)
	;; [unrolled: 17-line block ×3, first 2 shown]
	v_fmac_f32_e32 v139, v122, v98
	s_waitcnt vmcnt(3)
	v_fmac_f32_e32 v139, v123, v99
	ds_load_2addr_b64 v[96:99], v94 offset0:41 offset1:42
	s_waitcnt lgkmcnt(1)
	v_fmac_f32_e32 v139, v124, v100
	s_delay_alu instid0(VALU_DEP_1) | instskip(NEXT) | instid1(VALU_DEP_1)
	v_fmac_f32_e32 v139, v125, v101
	v_fmac_f32_e32 v139, v126, v102
	s_waitcnt vmcnt(2)
	s_delay_alu instid0(VALU_DEP_1)
	v_fmac_f32_e32 v139, v127, v103
	ds_load_2addr_b64 v[100:103], v94 offset0:43 offset1:44
	s_waitcnt lgkmcnt(1)
	v_fmac_f32_e32 v139, v128, v96
	ds_load_b32 v96, v94 offset:368
	v_fmac_f32_e32 v139, v129, v97
	s_delay_alu instid0(VALU_DEP_1) | instskip(SKIP_1) | instid1(VALU_DEP_1)
	v_fmac_f32_e32 v139, v130, v98
	s_waitcnt vmcnt(1)
	v_fmac_f32_e32 v139, v131, v99
	s_waitcnt lgkmcnt(1)
	s_delay_alu instid0(VALU_DEP_1) | instskip(NEXT) | instid1(VALU_DEP_1)
	v_fmac_f32_e32 v139, v132, v100
	v_fmac_f32_e32 v139, v133, v101
	s_delay_alu instid0(VALU_DEP_1) | instskip(SKIP_1) | instid1(VALU_DEP_1)
	v_fmac_f32_e32 v139, v134, v102
	s_waitcnt vmcnt(0)
	v_fmac_f32_e32 v139, v135, v103
	s_delay_alu instid0(VALU_DEP_1) | instskip(NEXT) | instid1(VALU_DEP_1)
	v_fmac_f32_e32 v139, v136, v2
	v_fmac_f32_e32 v139, v137, v3
	s_waitcnt lgkmcnt(0)
	s_delay_alu instid0(VALU_DEP_1) | instskip(NEXT) | instid1(VALU_DEP_1)
	v_fmac_f32_e32 v139, v138, v96
	v_sub_f32_e32 v2, v95, v139
	scratch_store_b32 off, v2, off offset:4
	v_cmpx_ne_u32_e32 0, v0
	s_cbranch_execz .LBB108_277
; %bb.276:
	scratch_load_b32 v0, off, off
	scratch_store_b32 off, v94, off
	s_waitcnt vmcnt(0)
	ds_store_b32 v1, v0
.LBB108_277:
	s_or_b32 exec_lo, exec_lo, s0
	s_waitcnt lgkmcnt(0)
	s_waitcnt_vscnt null, 0x0
	s_barrier
	buffer_gl0_inv
	s_clause 0xb
	scratch_load_b128 v[95:98], off, off
	scratch_load_b128 v[99:102], off, off offset:16
	scratch_load_b128 v[103:106], off, off offset:32
	;; [unrolled: 1-line block ×10, first 2 shown]
	scratch_load_b32 v143, off, off offset:176
	ds_load_2addr_b32 v[135:136], v94 offset0:49 offset1:50
	ds_load_2addr_b32 v[137:138], v94 offset0:51 offset1:52
	;; [unrolled: 1-line block ×4, first 2 shown]
	s_and_b32 vcc_lo, exec_lo, s12
	s_waitcnt vmcnt(11) lgkmcnt(3)
	v_fma_f32 v135, v96, v135, 0
	s_delay_alu instid0(VALU_DEP_1) | instskip(SKIP_4) | instid1(VALU_DEP_1)
	v_fmac_f32_e32 v135, v97, v136
	ds_load_2addr_b32 v[96:97], v94 offset0:57 offset1:58
	s_waitcnt lgkmcnt(3)
	v_fmac_f32_e32 v135, v98, v137
	s_waitcnt vmcnt(10)
	v_fmac_f32_e32 v135, v99, v138
	ds_load_2addr_b32 v[98:99], v94 offset0:59 offset1:60
	s_waitcnt lgkmcnt(3)
	v_fmac_f32_e32 v135, v100, v139
	s_delay_alu instid0(VALU_DEP_1) | instskip(SKIP_1) | instid1(VALU_DEP_1)
	v_fmac_f32_e32 v135, v101, v140
	s_waitcnt lgkmcnt(2)
	v_fmac_f32_e32 v135, v102, v141
	s_waitcnt vmcnt(9)
	s_delay_alu instid0(VALU_DEP_1) | instskip(SKIP_4) | instid1(VALU_DEP_1)
	v_fmac_f32_e32 v135, v103, v142
	ds_load_2addr_b32 v[100:101], v94 offset0:61 offset1:62
	ds_load_2addr_b32 v[102:103], v94 offset0:63 offset1:64
	s_waitcnt lgkmcnt(3)
	v_fmac_f32_e32 v135, v104, v96
	v_fmac_f32_e32 v135, v105, v97
	ds_load_2addr_b32 v[96:97], v94 offset0:65 offset1:66
	s_waitcnt lgkmcnt(3)
	v_fmac_f32_e32 v135, v106, v98
	s_waitcnt vmcnt(8)
	s_delay_alu instid0(VALU_DEP_1) | instskip(SKIP_3) | instid1(VALU_DEP_1)
	v_fmac_f32_e32 v135, v107, v99
	ds_load_2addr_b32 v[98:99], v94 offset0:67 offset1:68
	s_waitcnt lgkmcnt(3)
	v_fmac_f32_e32 v135, v108, v100
	v_fmac_f32_e32 v135, v109, v101
	s_waitcnt lgkmcnt(2)
	s_delay_alu instid0(VALU_DEP_1) | instskip(SKIP_1) | instid1(VALU_DEP_1)
	v_fmac_f32_e32 v135, v110, v102
	s_waitcnt vmcnt(7)
	v_fmac_f32_e32 v135, v111, v103
	ds_load_2addr_b32 v[100:101], v94 offset0:69 offset1:70
	ds_load_2addr_b32 v[102:103], v94 offset0:71 offset1:72
	s_waitcnt lgkmcnt(3)
	v_fmac_f32_e32 v135, v112, v96
	s_delay_alu instid0(VALU_DEP_1) | instskip(SKIP_4) | instid1(VALU_DEP_1)
	v_fmac_f32_e32 v135, v113, v97
	ds_load_2addr_b32 v[96:97], v94 offset0:73 offset1:74
	s_waitcnt lgkmcnt(3)
	v_fmac_f32_e32 v135, v114, v98
	s_waitcnt vmcnt(6)
	v_fmac_f32_e32 v135, v115, v99
	ds_load_2addr_b32 v[98:99], v94 offset0:75 offset1:76
	s_waitcnt lgkmcnt(3)
	v_fmac_f32_e32 v135, v116, v100
	s_delay_alu instid0(VALU_DEP_1) | instskip(SKIP_1) | instid1(VALU_DEP_1)
	v_fmac_f32_e32 v135, v117, v101
	s_waitcnt lgkmcnt(2)
	v_fmac_f32_e32 v135, v118, v102
	s_waitcnt vmcnt(5)
	s_delay_alu instid0(VALU_DEP_1) | instskip(SKIP_4) | instid1(VALU_DEP_1)
	v_fmac_f32_e32 v135, v119, v103
	ds_load_2addr_b32 v[100:101], v94 offset0:77 offset1:78
	ds_load_2addr_b32 v[102:103], v94 offset0:79 offset1:80
	s_waitcnt lgkmcnt(3)
	v_fmac_f32_e32 v135, v120, v96
	v_fmac_f32_e32 v135, v121, v97
	ds_load_2addr_b32 v[96:97], v94 offset0:81 offset1:82
	s_waitcnt lgkmcnt(3)
	v_fmac_f32_e32 v135, v122, v98
	s_waitcnt vmcnt(4)
	s_delay_alu instid0(VALU_DEP_1) | instskip(SKIP_3) | instid1(VALU_DEP_1)
	v_fmac_f32_e32 v135, v123, v99
	ds_load_2addr_b32 v[98:99], v94 offset0:83 offset1:84
	s_waitcnt lgkmcnt(3)
	v_fmac_f32_e32 v135, v124, v100
	v_fmac_f32_e32 v135, v125, v101
	s_waitcnt lgkmcnt(2)
	s_delay_alu instid0(VALU_DEP_1) | instskip(SKIP_1) | instid1(VALU_DEP_1)
	v_fmac_f32_e32 v135, v126, v102
	s_waitcnt vmcnt(3)
	v_fmac_f32_e32 v135, v127, v103
	ds_load_2addr_b32 v[100:101], v94 offset0:85 offset1:86
	ds_load_2addr_b32 v[102:103], v94 offset0:87 offset1:88
	s_waitcnt lgkmcnt(3)
	v_fmac_f32_e32 v135, v128, v96
	s_delay_alu instid0(VALU_DEP_1) | instskip(SKIP_4) | instid1(VALU_DEP_1)
	v_fmac_f32_e32 v135, v129, v97
	ds_load_2addr_b32 v[96:97], v94 offset0:89 offset1:90
	s_waitcnt lgkmcnt(3)
	v_fmac_f32_e32 v135, v130, v98
	s_waitcnt vmcnt(2)
	v_fmac_f32_e32 v135, v131, v99
	ds_load_2addr_b32 v[98:99], v94 offset0:91 offset1:92
	s_waitcnt lgkmcnt(3)
	v_fmac_f32_e32 v135, v132, v100
	s_delay_alu instid0(VALU_DEP_1) | instskip(SKIP_1) | instid1(VALU_DEP_1)
	v_fmac_f32_e32 v135, v133, v101
	s_waitcnt lgkmcnt(2)
	v_fmac_f32_e32 v135, v134, v102
	s_waitcnt vmcnt(1)
	s_delay_alu instid0(VALU_DEP_1) | instskip(SKIP_1) | instid1(VALU_DEP_1)
	v_fmac_f32_e32 v135, v0, v103
	s_waitcnt lgkmcnt(1)
	v_fmac_f32_e32 v135, v1, v96
	s_delay_alu instid0(VALU_DEP_1) | instskip(SKIP_1) | instid1(VALU_DEP_1)
	v_fmac_f32_e32 v135, v2, v97
	s_waitcnt lgkmcnt(0)
	v_fmac_f32_e32 v135, v3, v98
	s_waitcnt vmcnt(0)
	s_delay_alu instid0(VALU_DEP_1) | instskip(NEXT) | instid1(VALU_DEP_1)
	v_fmac_f32_e32 v135, v143, v99
	v_sub_f32_e32 v0, v95, v135
	scratch_store_b32 off, v0, off
	s_cbranch_vccz .LBB108_367
; %bb.278:
	v_dual_mov_b32 v0, s2 :: v_dual_mov_b32 v1, s3
	s_mov_b32 s0, exec_lo
	flat_load_b32 v0, v[0:1] offset:172
	s_waitcnt vmcnt(0) lgkmcnt(0)
	v_cmpx_ne_u32_e32 44, v0
	s_cbranch_execz .LBB108_280
; %bb.279:
	v_lshl_add_u32 v0, v0, 2, 0
	scratch_load_b32 v1, v0, off offset:-4
	s_waitcnt vmcnt(0)
	scratch_store_b32 off, v1, off offset:172
	scratch_store_b32 v0, v3, off offset:-4
.LBB108_280:
	s_or_b32 exec_lo, exec_lo, s0
	v_dual_mov_b32 v0, s2 :: v_dual_mov_b32 v1, s3
	s_mov_b32 s0, exec_lo
	flat_load_b32 v0, v[0:1] offset:168
	s_waitcnt vmcnt(0) lgkmcnt(0)
	v_cmpx_ne_u32_e32 43, v0
	s_cbranch_execz .LBB108_282
; %bb.281:
	v_lshl_add_u32 v0, v0, 2, 0
	scratch_load_b32 v1, v0, off offset:-4
	scratch_load_b32 v2, off, off offset:168
	s_waitcnt vmcnt(1)
	scratch_store_b32 off, v1, off offset:168
	s_waitcnt vmcnt(0)
	scratch_store_b32 v0, v2, off offset:-4
.LBB108_282:
	s_or_b32 exec_lo, exec_lo, s0
	v_dual_mov_b32 v0, s2 :: v_dual_mov_b32 v1, s3
	s_mov_b32 s0, exec_lo
	flat_load_b32 v0, v[0:1] offset:164
	s_waitcnt vmcnt(0) lgkmcnt(0)
	v_cmpx_ne_u32_e32 42, v0
	s_cbranch_execz .LBB108_284
; %bb.283:
	v_lshl_add_u32 v0, v0, 2, 0
	scratch_load_b32 v1, v0, off offset:-4
	scratch_load_b32 v2, off, off offset:164
	s_waitcnt vmcnt(1)
	scratch_store_b32 off, v1, off offset:164
	s_waitcnt vmcnt(0)
	scratch_store_b32 v0, v2, off offset:-4
.LBB108_284:
	;; [unrolled: 16-line block ×42, first 2 shown]
	s_or_b32 exec_lo, exec_lo, s0
	v_dual_mov_b32 v0, s2 :: v_dual_mov_b32 v1, s3
	s_mov_b32 s0, exec_lo
	flat_load_b32 v1, v[0:1]
	scratch_load_b32 v0, off, off
	s_waitcnt vmcnt(1) lgkmcnt(0)
	v_cmpx_ne_u32_e32 1, v1
	s_cbranch_execz .LBB108_366
; %bb.365:
	v_lshl_add_u32 v1, v1, 2, 0
	scratch_load_b32 v2, v1, off offset:-4
	s_waitcnt vmcnt(0)
	scratch_store_b32 off, v2, off
	scratch_store_b32 v1, v0, off offset:-4
	scratch_load_b32 v0, off, off
.LBB108_366:
	s_or_b32 exec_lo, exec_lo, s0
.LBB108_367:
	s_clause 0xa
	scratch_load_b128 v[94:97], off, off offset:4
	scratch_load_b128 v[98:101], off, off offset:20
	;; [unrolled: 1-line block ×11, first 2 shown]
	s_waitcnt vmcnt(11)
	global_store_b32 v[4:5], v0, off
	s_waitcnt vmcnt(10)
	s_clause 0x3
	global_store_b32 v[6:7], v94, off
	global_store_b32 v[8:9], v95, off
	global_store_b32 v[10:11], v96, off
	global_store_b32 v[12:13], v97, off
	s_waitcnt vmcnt(9)
	s_clause 0x3
	global_store_b32 v[14:15], v98, off
	global_store_b32 v[16:17], v99, off
	global_store_b32 v[18:19], v100, off
	;; [unrolled: 6-line block ×11, first 2 shown]
	global_store_b32 v[54:55], v137, off
	s_endpgm
	.section	.rodata,"a",@progbits
	.p2align	6, 0x0
	.amdhsa_kernel _ZN9rocsolver6v33100L18getri_kernel_smallILi45EfPKPfEEvT1_iilPiilS6_bb
		.amdhsa_group_segment_fixed_size 372
		.amdhsa_private_segment_fixed_size 192
		.amdhsa_kernarg_size 60
		.amdhsa_user_sgpr_count 15
		.amdhsa_user_sgpr_dispatch_ptr 0
		.amdhsa_user_sgpr_queue_ptr 0
		.amdhsa_user_sgpr_kernarg_segment_ptr 1
		.amdhsa_user_sgpr_dispatch_id 0
		.amdhsa_user_sgpr_private_segment_size 0
		.amdhsa_wavefront_size32 1
		.amdhsa_uses_dynamic_stack 0
		.amdhsa_enable_private_segment 1
		.amdhsa_system_sgpr_workgroup_id_x 1
		.amdhsa_system_sgpr_workgroup_id_y 0
		.amdhsa_system_sgpr_workgroup_id_z 0
		.amdhsa_system_sgpr_workgroup_info 0
		.amdhsa_system_vgpr_workitem_id 0
		.amdhsa_next_free_vgpr 147
		.amdhsa_next_free_sgpr 17
		.amdhsa_reserve_vcc 1
		.amdhsa_float_round_mode_32 0
		.amdhsa_float_round_mode_16_64 0
		.amdhsa_float_denorm_mode_32 3
		.amdhsa_float_denorm_mode_16_64 3
		.amdhsa_dx10_clamp 1
		.amdhsa_ieee_mode 1
		.amdhsa_fp16_overflow 0
		.amdhsa_workgroup_processor_mode 1
		.amdhsa_memory_ordered 1
		.amdhsa_forward_progress 0
		.amdhsa_shared_vgpr_count 0
		.amdhsa_exception_fp_ieee_invalid_op 0
		.amdhsa_exception_fp_denorm_src 0
		.amdhsa_exception_fp_ieee_div_zero 0
		.amdhsa_exception_fp_ieee_overflow 0
		.amdhsa_exception_fp_ieee_underflow 0
		.amdhsa_exception_fp_ieee_inexact 0
		.amdhsa_exception_int_div_zero 0
	.end_amdhsa_kernel
	.section	.text._ZN9rocsolver6v33100L18getri_kernel_smallILi45EfPKPfEEvT1_iilPiilS6_bb,"axG",@progbits,_ZN9rocsolver6v33100L18getri_kernel_smallILi45EfPKPfEEvT1_iilPiilS6_bb,comdat
.Lfunc_end108:
	.size	_ZN9rocsolver6v33100L18getri_kernel_smallILi45EfPKPfEEvT1_iilPiilS6_bb, .Lfunc_end108-_ZN9rocsolver6v33100L18getri_kernel_smallILi45EfPKPfEEvT1_iilPiilS6_bb
                                        ; -- End function
	.section	.AMDGPU.csdata,"",@progbits
; Kernel info:
; codeLenInByte = 31916
; NumSgprs: 19
; NumVgprs: 147
; ScratchSize: 192
; MemoryBound: 0
; FloatMode: 240
; IeeeMode: 1
; LDSByteSize: 372 bytes/workgroup (compile time only)
; SGPRBlocks: 2
; VGPRBlocks: 18
; NumSGPRsForWavesPerEU: 19
; NumVGPRsForWavesPerEU: 147
; Occupancy: 9
; WaveLimiterHint : 1
; COMPUTE_PGM_RSRC2:SCRATCH_EN: 1
; COMPUTE_PGM_RSRC2:USER_SGPR: 15
; COMPUTE_PGM_RSRC2:TRAP_HANDLER: 0
; COMPUTE_PGM_RSRC2:TGID_X_EN: 1
; COMPUTE_PGM_RSRC2:TGID_Y_EN: 0
; COMPUTE_PGM_RSRC2:TGID_Z_EN: 0
; COMPUTE_PGM_RSRC2:TIDIG_COMP_CNT: 0
	.section	.text._ZN9rocsolver6v33100L18getri_kernel_smallILi46EfPKPfEEvT1_iilPiilS6_bb,"axG",@progbits,_ZN9rocsolver6v33100L18getri_kernel_smallILi46EfPKPfEEvT1_iilPiilS6_bb,comdat
	.globl	_ZN9rocsolver6v33100L18getri_kernel_smallILi46EfPKPfEEvT1_iilPiilS6_bb ; -- Begin function _ZN9rocsolver6v33100L18getri_kernel_smallILi46EfPKPfEEvT1_iilPiilS6_bb
	.p2align	8
	.type	_ZN9rocsolver6v33100L18getri_kernel_smallILi46EfPKPfEEvT1_iilPiilS6_bb,@function
_ZN9rocsolver6v33100L18getri_kernel_smallILi46EfPKPfEEvT1_iilPiilS6_bb: ; @_ZN9rocsolver6v33100L18getri_kernel_smallILi46EfPKPfEEvT1_iilPiilS6_bb
; %bb.0:
	s_mov_b32 s2, exec_lo
	v_cmpx_gt_u32_e32 46, v0
	s_cbranch_execz .LBB109_192
; %bb.1:
	s_mov_b32 s8, s15
	s_clause 0x2
	s_load_b32 s15, s[0:1], 0x38
	s_load_b64 s[2:3], s[0:1], 0x0
	s_load_b128 s[4:7], s[0:1], 0x28
	s_waitcnt lgkmcnt(0)
	s_bitcmp1_b32 s15, 8
	s_cselect_b32 s14, -1, 0
	s_ashr_i32 s9, s8, 31
	s_delay_alu instid0(SALU_CYCLE_1) | instskip(NEXT) | instid1(SALU_CYCLE_1)
	s_lshl_b64 s[10:11], s[8:9], 3
	s_add_u32 s2, s2, s10
	s_addc_u32 s3, s3, s11
	s_load_b64 s[10:11], s[2:3], 0x0
	s_bfe_u32 s2, s15, 0x10008
	s_delay_alu instid0(SALU_CYCLE_1)
	s_cmp_eq_u32 s2, 0
                                        ; implicit-def: $sgpr2_sgpr3
	s_cbranch_scc1 .LBB109_3
; %bb.2:
	s_clause 0x1
	s_load_b32 s2, s[0:1], 0x20
	s_load_b64 s[12:13], s[0:1], 0x18
	s_mul_i32 s3, s8, s5
	s_mul_hi_u32 s5, s8, s4
	s_mul_i32 s16, s9, s4
	s_add_i32 s3, s5, s3
	s_mul_i32 s4, s8, s4
	s_add_i32 s5, s3, s16
	s_delay_alu instid0(SALU_CYCLE_1)
	s_lshl_b64 s[4:5], s[4:5], 2
	s_waitcnt lgkmcnt(0)
	s_ashr_i32 s3, s2, 31
	s_add_u32 s4, s12, s4
	s_addc_u32 s5, s13, s5
	s_lshl_b64 s[2:3], s[2:3], 2
	s_delay_alu instid0(SALU_CYCLE_1)
	s_add_u32 s2, s4, s2
	s_addc_u32 s3, s5, s3
.LBB109_3:
	s_load_b64 s[0:1], s[0:1], 0x8
	v_lshlrev_b32_e32 v93, 2, v0
	s_waitcnt lgkmcnt(0)
	v_add3_u32 v3, s1, s1, v0
	s_ashr_i32 s5, s0, 31
	s_mov_b32 s4, s0
	s_mov_b32 s12, s1
	s_lshl_b64 s[4:5], s[4:5], 2
	v_add_nc_u32_e32 v5, s1, v3
	v_ashrrev_i32_e32 v4, 31, v3
	s_add_u32 s4, s10, s4
	s_addc_u32 s5, s11, s5
	v_add_co_u32 v1, s0, s4, v93
	v_add_nc_u32_e32 v7, s1, v5
	v_ashrrev_i32_e32 v6, 31, v5
	s_ashr_i32 s13, s1, 31
	v_add_co_ci_u32_e64 v2, null, s5, 0, s0
	s_delay_alu instid0(VALU_DEP_3)
	v_add_nc_u32_e32 v9, s1, v7
	v_lshlrev_b64 v[34:35], 2, v[3:4]
	s_lshl_b64 s[10:11], s[12:13], 2
	v_lshlrev_b64 v[37:38], 2, v[5:6]
	v_add_co_u32 v3, vcc_lo, v1, s10
	v_add_nc_u32_e32 v11, s1, v9
	v_ashrrev_i32_e32 v8, 31, v7
	v_add_co_ci_u32_e32 v4, vcc_lo, s11, v2, vcc_lo
	v_add_co_u32 v5, vcc_lo, s4, v34
	s_delay_alu instid0(VALU_DEP_4) | instskip(SKIP_3) | instid1(VALU_DEP_4)
	v_add_nc_u32_e32 v13, s1, v11
	v_ashrrev_i32_e32 v10, 31, v9
	v_add_co_ci_u32_e32 v6, vcc_lo, s5, v35, vcc_lo
	v_lshlrev_b64 v[34:35], 2, v[7:8]
	v_add_nc_u32_e32 v15, s1, v13
	v_add_co_u32 v7, vcc_lo, s4, v37
	v_add_co_ci_u32_e32 v8, vcc_lo, s5, v38, vcc_lo
	s_delay_alu instid0(VALU_DEP_3) | instskip(SKIP_3) | instid1(VALU_DEP_4)
	v_add_nc_u32_e32 v17, s1, v15
	v_lshlrev_b64 v[37:38], 2, v[9:10]
	v_ashrrev_i32_e32 v12, 31, v11
	v_add_co_u32 v9, vcc_lo, s4, v34
	v_add_nc_u32_e32 v19, s1, v17
	v_ashrrev_i32_e32 v14, 31, v13
	v_add_co_ci_u32_e32 v10, vcc_lo, s5, v35, vcc_lo
	v_lshlrev_b64 v[34:35], 2, v[11:12]
	s_delay_alu instid0(VALU_DEP_4) | instskip(SKIP_2) | instid1(VALU_DEP_3)
	v_add_nc_u32_e32 v21, s1, v19
	v_add_co_u32 v11, vcc_lo, s4, v37
	v_add_co_ci_u32_e32 v12, vcc_lo, s5, v38, vcc_lo
	v_add_nc_u32_e32 v23, s1, v21
	v_lshlrev_b64 v[37:38], 2, v[13:14]
	v_ashrrev_i32_e32 v16, 31, v15
	v_add_co_u32 v13, vcc_lo, s4, v34
	s_delay_alu instid0(VALU_DEP_4) | instskip(SKIP_3) | instid1(VALU_DEP_4)
	v_add_nc_u32_e32 v25, s1, v23
	v_ashrrev_i32_e32 v18, 31, v17
	v_add_co_ci_u32_e32 v14, vcc_lo, s5, v35, vcc_lo
	v_lshlrev_b64 v[34:35], 2, v[15:16]
	v_add_nc_u32_e32 v27, s1, v25
	v_add_co_u32 v15, vcc_lo, s4, v37
	v_add_co_ci_u32_e32 v16, vcc_lo, s5, v38, vcc_lo
	s_delay_alu instid0(VALU_DEP_3) | instskip(SKIP_3) | instid1(VALU_DEP_4)
	v_add_nc_u32_e32 v29, s1, v27
	v_lshlrev_b64 v[37:38], 2, v[17:18]
	v_ashrrev_i32_e32 v20, 31, v19
	v_add_co_u32 v17, vcc_lo, s4, v34
	v_add_nc_u32_e32 v31, s1, v29
	v_ashrrev_i32_e32 v22, 31, v21
	v_add_co_ci_u32_e32 v18, vcc_lo, s5, v35, vcc_lo
	v_lshlrev_b64 v[34:35], 2, v[19:20]
	s_delay_alu instid0(VALU_DEP_4) | instskip(SKIP_2) | instid1(VALU_DEP_3)
	v_add_nc_u32_e32 v33, s1, v31
	v_add_co_u32 v19, vcc_lo, s4, v37
	v_add_co_ci_u32_e32 v20, vcc_lo, s5, v38, vcc_lo
	v_add_nc_u32_e32 v36, s1, v33
	v_lshlrev_b64 v[37:38], 2, v[21:22]
	v_ashrrev_i32_e32 v24, 31, v23
	;; [unrolled: 25-line block ×3, first 2 shown]
	v_add_co_u32 v29, vcc_lo, s4, v34
	s_delay_alu instid0(VALU_DEP_4) | instskip(SKIP_3) | instid1(VALU_DEP_4)
	v_add_nc_u32_e32 v51, s1, v49
	v_ashrrev_i32_e32 v34, 31, v33
	v_add_co_ci_u32_e32 v30, vcc_lo, s5, v35, vcc_lo
	v_lshlrev_b64 v[66:67], 2, v[31:32]
	v_add_nc_u32_e32 v53, s1, v51
	v_add_co_u32 v31, vcc_lo, s4, v37
	v_ashrrev_i32_e32 v37, 31, v36
	v_lshlrev_b64 v[70:71], 2, v[33:34]
	s_delay_alu instid0(VALU_DEP_4) | instskip(SKIP_3) | instid1(VALU_DEP_4)
	v_add_nc_u32_e32 v55, s1, v53
	v_ashrrev_i32_e32 v40, 31, v39
	v_add_co_ci_u32_e32 v32, vcc_lo, s5, v38, vcc_lo
	v_add_co_u32 v33, vcc_lo, s4, v66
	v_add_nc_u32_e32 v57, s1, v55
	v_lshlrev_b64 v[37:38], 2, v[36:37]
	v_ashrrev_i32_e32 v42, 31, v41
	v_add_co_ci_u32_e32 v34, vcc_lo, s5, v67, vcc_lo
	s_delay_alu instid0(VALU_DEP_4) | instskip(SKIP_3) | instid1(VALU_DEP_4)
	v_add_nc_u32_e32 v59, s1, v57
	v_add_co_u32 v35, vcc_lo, s4, v70
	v_lshlrev_b64 v[39:40], 2, v[39:40]
	v_ashrrev_i32_e32 v44, 31, v43
	v_add_nc_u32_e32 v61, s1, v59
	v_add_co_ci_u32_e32 v36, vcc_lo, s5, v71, vcc_lo
	v_add_co_u32 v37, vcc_lo, s4, v37
	s_delay_alu instid0(VALU_DEP_3) | instskip(SKIP_3) | instid1(VALU_DEP_4)
	v_add_nc_u32_e32 v63, s1, v61
	v_lshlrev_b64 v[41:42], 2, v[41:42]
	v_ashrrev_i32_e32 v46, 31, v45
	v_add_co_ci_u32_e32 v38, vcc_lo, s5, v38, vcc_lo
	v_add_nc_u32_e32 v65, s1, v63
	v_add_co_u32 v39, vcc_lo, s4, v39
	v_lshlrev_b64 v[43:44], 2, v[43:44]
	v_ashrrev_i32_e32 v48, 31, v47
	s_delay_alu instid0(VALU_DEP_4) | instskip(SKIP_2) | instid1(VALU_DEP_3)
	v_add_nc_u32_e32 v69, s1, v65
	v_add_co_ci_u32_e32 v40, vcc_lo, s5, v40, vcc_lo
	v_add_co_u32 v41, vcc_lo, s4, v41
	v_add_nc_u32_e32 v72, s1, v69
	v_lshlrev_b64 v[45:46], 2, v[45:46]
	v_ashrrev_i32_e32 v50, 31, v49
	v_add_co_ci_u32_e32 v42, vcc_lo, s5, v42, vcc_lo
	s_delay_alu instid0(VALU_DEP_4) | instskip(SKIP_3) | instid1(VALU_DEP_4)
	v_add_nc_u32_e32 v74, s1, v72
	v_add_co_u32 v43, vcc_lo, s4, v43
	v_lshlrev_b64 v[47:48], 2, v[47:48]
	v_ashrrev_i32_e32 v52, 31, v51
	v_add_nc_u32_e32 v76, s1, v74
	v_add_co_ci_u32_e32 v44, vcc_lo, s5, v44, vcc_lo
	v_add_co_u32 v45, vcc_lo, s4, v45
	s_delay_alu instid0(VALU_DEP_3) | instskip(SKIP_3) | instid1(VALU_DEP_4)
	v_add_nc_u32_e32 v78, s1, v76
	v_lshlrev_b64 v[49:50], 2, v[49:50]
	v_add_co_ci_u32_e32 v46, vcc_lo, s5, v46, vcc_lo
	v_add_co_u32 v47, vcc_lo, s4, v47
	v_add_nc_u32_e32 v80, s1, v78
	v_lshlrev_b64 v[51:52], 2, v[51:52]
	v_ashrrev_i32_e32 v54, 31, v53
	v_add_co_ci_u32_e32 v48, vcc_lo, s5, v48, vcc_lo
	s_delay_alu instid0(VALU_DEP_4) | instskip(SKIP_3) | instid1(VALU_DEP_4)
	v_add_nc_u32_e32 v82, s1, v80
	v_add_co_u32 v49, vcc_lo, s4, v49
	v_ashrrev_i32_e32 v56, 31, v55
	v_add_co_ci_u32_e32 v50, vcc_lo, s5, v50, vcc_lo
	v_add_nc_u32_e32 v84, s1, v82
	v_lshlrev_b64 v[66:67], 2, v[53:54]
	v_add_co_u32 v53, vcc_lo, s4, v51
	v_add_co_ci_u32_e32 v54, vcc_lo, s5, v52, vcc_lo
	s_delay_alu instid0(VALU_DEP_4) | instskip(SKIP_3) | instid1(VALU_DEP_4)
	v_add_nc_u32_e32 v86, s1, v84
	v_lshlrev_b64 v[51:52], 2, v[55:56]
	v_ashrrev_i32_e32 v58, 31, v57
	v_add_co_u32 v55, vcc_lo, s4, v66
	v_add_nc_u32_e32 v88, s1, v86
	v_add_co_ci_u32_e32 v56, vcc_lo, s5, v67, vcc_lo
	s_delay_alu instid0(VALU_DEP_4) | instskip(SKIP_1) | instid1(VALU_DEP_4)
	v_lshlrev_b64 v[66:67], 2, v[57:58]
	v_ashrrev_i32_e32 v60, 31, v59
	v_add_nc_u32_e32 v90, s1, v88
	v_add_co_u32 v57, vcc_lo, s4, v51
	v_add_co_ci_u32_e32 v58, vcc_lo, s5, v52, vcc_lo
	s_delay_alu instid0(VALU_DEP_3)
	v_add_nc_u32_e32 v135, s1, v90
	v_ashrrev_i32_e32 v62, 31, v61
	v_ashrrev_i32_e32 v64, 31, v63
	v_ashrrev_i32_e32 v73, 31, v72
	v_ashrrev_i32_e32 v75, 31, v74
	v_add_nc_u32_e32 v70, s1, v135
	v_ashrrev_i32_e32 v77, 31, v76
	v_ashrrev_i32_e32 v79, 31, v78
	;; [unrolled: 1-line block ×9, first 2 shown]
	v_lshlrev_b64 v[70:71], 2, v[70:71]
	v_ashrrev_i32_e32 v136, 31, v135
	s_clause 0x18
	global_load_b32 v94, v93, s[4:5]
	global_load_b32 v95, v[3:4], off
	global_load_b32 v96, v[5:6], off
	;; [unrolled: 1-line block ×24, first 2 shown]
	v_add_co_u32 v51, vcc_lo, s4, v70
	v_add_co_ci_u32_e32 v52, vcc_lo, s5, v71, vcc_lo
	v_lshlrev_b64 v[70:71], 2, v[59:60]
	v_add_co_u32 v59, vcc_lo, s4, v66
	v_add_co_ci_u32_e32 v60, vcc_lo, s5, v67, vcc_lo
	v_lshlrev_b64 v[67:68], 2, v[61:62]
	s_delay_alu instid0(VALU_DEP_4)
	v_add_co_u32 v61, vcc_lo, s4, v70
	v_add_co_ci_u32_e32 v62, vcc_lo, s5, v71, vcc_lo
	v_lshlrev_b64 v[70:71], 2, v[63:64]
	v_ashrrev_i32_e32 v66, 31, v65
	v_add_co_u32 v63, vcc_lo, s4, v67
	v_add_co_ci_u32_e32 v64, vcc_lo, s5, v68, vcc_lo
	s_delay_alu instid0(VALU_DEP_3) | instskip(SKIP_3) | instid1(VALU_DEP_4)
	v_lshlrev_b64 v[67:68], 2, v[65:66]
	v_add_co_u32 v65, vcc_lo, s4, v70
	v_ashrrev_i32_e32 v70, 31, v69
	v_add_co_ci_u32_e32 v66, vcc_lo, s5, v71, vcc_lo
	v_add_co_u32 v67, vcc_lo, s4, v67
	s_delay_alu instid0(VALU_DEP_3)
	v_lshlrev_b64 v[69:70], 2, v[69:70]
	v_lshlrev_b64 v[71:72], 2, v[72:73]
	v_add_co_ci_u32_e32 v68, vcc_lo, s5, v68, vcc_lo
	v_lshlrev_b64 v[73:74], 2, v[74:75]
	v_lshlrev_b64 v[75:76], 2, v[76:77]
	v_add_co_u32 v69, vcc_lo, s4, v69
	v_add_co_ci_u32_e32 v70, vcc_lo, s5, v70, vcc_lo
	v_add_co_u32 v71, vcc_lo, s4, v71
	v_add_co_ci_u32_e32 v72, vcc_lo, s5, v72, vcc_lo
	v_add_co_u32 v73, vcc_lo, s4, v73
	v_lshlrev_b64 v[77:78], 2, v[78:79]
	v_add_co_ci_u32_e32 v74, vcc_lo, s5, v74, vcc_lo
	v_add_co_u32 v75, vcc_lo, s4, v75
	v_lshlrev_b64 v[79:80], 2, v[80:81]
	v_add_co_ci_u32_e32 v76, vcc_lo, s5, v76, vcc_lo
	v_add_co_u32 v77, vcc_lo, s4, v77
	v_lshlrev_b64 v[81:82], 2, v[82:83]
	v_add_co_ci_u32_e32 v78, vcc_lo, s5, v78, vcc_lo
	v_add_co_u32 v79, vcc_lo, s4, v79
	v_lshlrev_b64 v[83:84], 2, v[84:85]
	v_add_co_ci_u32_e32 v80, vcc_lo, s5, v80, vcc_lo
	v_add_co_u32 v81, vcc_lo, s4, v81
	v_lshlrev_b64 v[85:86], 2, v[86:87]
	v_add_co_ci_u32_e32 v82, vcc_lo, s5, v82, vcc_lo
	v_add_co_u32 v83, vcc_lo, s4, v83
	v_lshlrev_b64 v[87:88], 2, v[88:89]
	v_add_co_ci_u32_e32 v84, vcc_lo, s5, v84, vcc_lo
	v_add_co_u32 v85, vcc_lo, s4, v85
	v_lshlrev_b64 v[89:90], 2, v[90:91]
	v_add_co_ci_u32_e32 v86, vcc_lo, s5, v86, vcc_lo
	v_add_co_u32 v87, vcc_lo, s4, v87
	v_lshlrev_b64 v[91:92], 2, v[135:136]
	v_add_co_ci_u32_e32 v88, vcc_lo, s5, v88, vcc_lo
	v_add_co_u32 v89, vcc_lo, s4, v89
	v_add_co_ci_u32_e32 v90, vcc_lo, s5, v90, vcc_lo
	s_delay_alu instid0(VALU_DEP_4)
	v_add_co_u32 v91, vcc_lo, s4, v91
	v_add_co_ci_u32_e32 v92, vcc_lo, s5, v92, vcc_lo
	s_clause 0x14
	global_load_b32 v119, v[53:54], off
	global_load_b32 v120, v[55:56], off
	;; [unrolled: 1-line block ×21, first 2 shown]
	s_bitcmp0_b32 s15, 0
	s_mov_b32 s1, -1
	s_waitcnt vmcnt(42)
	scratch_store_b128 off, v[94:97], off
	s_waitcnt vmcnt(38)
	scratch_store_b128 off, v[98:101], off offset:16
	s_waitcnt vmcnt(34)
	scratch_store_b128 off, v[102:105], off offset:32
	;; [unrolled: 2-line block ×10, first 2 shown]
	s_waitcnt vmcnt(0)
	scratch_store_b64 off, v[138:139], off offset:176
	s_cbranch_scc1 .LBB109_190
; %bb.4:
	v_cmp_eq_u32_e64 s0, 0, v0
	s_delay_alu instid0(VALU_DEP_1)
	s_and_saveexec_b32 s1, s0
	s_cbranch_execz .LBB109_6
; %bb.5:
	v_mov_b32_e32 v94, 0
	ds_store_b32 v94, v94 offset:184
.LBB109_6:
	s_or_b32 exec_lo, exec_lo, s1
	s_waitcnt lgkmcnt(0)
	s_waitcnt_vscnt null, 0x0
	s_barrier
	buffer_gl0_inv
	scratch_load_b32 v94, v93, off
	s_mov_b32 s4, exec_lo
	s_waitcnt vmcnt(0)
	v_cmpx_eq_f32_e32 0, v94
	s_cbranch_execz .LBB109_10
; %bb.7:
	v_mov_b32_e32 v94, 0
	s_mov_b32 s5, 0
	ds_load_b32 v95, v94 offset:184
	s_waitcnt lgkmcnt(0)
	v_readfirstlane_b32 s1, v95
	v_add_nc_u32_e32 v95, 1, v0
	s_delay_alu instid0(VALU_DEP_2) | instskip(NEXT) | instid1(VALU_DEP_1)
	s_cmp_eq_u32 s1, 0
	v_cmp_gt_i32_e32 vcc_lo, s1, v95
	s_cselect_b32 s10, -1, 0
	s_delay_alu instid0(SALU_CYCLE_1) | instskip(NEXT) | instid1(SALU_CYCLE_1)
	s_or_b32 s10, s10, vcc_lo
	s_and_b32 exec_lo, exec_lo, s10
	s_cbranch_execz .LBB109_10
; %bb.8:
	v_mov_b32_e32 v96, s1
.LBB109_9:                              ; =>This Inner Loop Header: Depth=1
	ds_cmpstore_rtn_b32 v96, v94, v95, v96 offset:184
	s_waitcnt lgkmcnt(0)
	v_cmp_ne_u32_e32 vcc_lo, 0, v96
	v_cmp_le_i32_e64 s1, v96, v95
	s_delay_alu instid0(VALU_DEP_1) | instskip(NEXT) | instid1(SALU_CYCLE_1)
	s_and_b32 s1, vcc_lo, s1
	s_and_b32 s1, exec_lo, s1
	s_delay_alu instid0(SALU_CYCLE_1) | instskip(NEXT) | instid1(SALU_CYCLE_1)
	s_or_b32 s5, s1, s5
	s_and_not1_b32 exec_lo, exec_lo, s5
	s_cbranch_execnz .LBB109_9
.LBB109_10:
	s_or_b32 exec_lo, exec_lo, s4
	v_mov_b32_e32 v94, 0
	s_barrier
	buffer_gl0_inv
	ds_load_b32 v95, v94 offset:184
	s_and_saveexec_b32 s1, s0
	s_cbranch_execz .LBB109_12
; %bb.11:
	s_lshl_b64 s[4:5], s[8:9], 2
	s_delay_alu instid0(SALU_CYCLE_1)
	s_add_u32 s4, s6, s4
	s_addc_u32 s5, s7, s5
	s_waitcnt lgkmcnt(0)
	global_store_b32 v94, v95, s[4:5]
.LBB109_12:
	s_or_b32 exec_lo, exec_lo, s1
	s_waitcnt lgkmcnt(0)
	v_cmp_ne_u32_e32 vcc_lo, 0, v95
	s_mov_b32 s1, 0
	s_cbranch_vccnz .LBB109_190
; %bb.13:
	v_add_nc_u32_e32 v94, 0, v93
	scratch_load_b32 v95, v94, off
	s_waitcnt vmcnt(0)
	v_div_scale_f32 v96, null, v95, v95, 1.0
	v_div_scale_f32 v99, vcc_lo, 1.0, v95, 1.0
	s_delay_alu instid0(VALU_DEP_2) | instskip(SKIP_2) | instid1(VALU_DEP_1)
	v_rcp_f32_e32 v97, v96
	s_waitcnt_depctr 0xfff
	v_fma_f32 v98, -v96, v97, 1.0
	v_fmac_f32_e32 v97, v98, v97
	s_delay_alu instid0(VALU_DEP_1) | instskip(NEXT) | instid1(VALU_DEP_1)
	v_mul_f32_e32 v98, v99, v97
	v_fma_f32 v100, -v96, v98, v99
	s_delay_alu instid0(VALU_DEP_1) | instskip(NEXT) | instid1(VALU_DEP_1)
	v_fmac_f32_e32 v98, v100, v97
	v_fma_f32 v96, -v96, v98, v99
	s_delay_alu instid0(VALU_DEP_1) | instskip(NEXT) | instid1(VALU_DEP_1)
	v_div_fmas_f32 v96, v96, v97, v98
	v_div_fixup_f32 v95, v96, v95, 1.0
	scratch_store_b32 v94, v95, off
	scratch_load_b32 v96, off, off offset:4
	v_xor_b32_e32 v97, 0x80000000, v95
	v_add_nc_u32_e32 v95, 0xc0, v93
	s_waitcnt vmcnt(0)
	ds_store_2addr_b32 v93, v97, v96 offset1:48
	s_waitcnt lgkmcnt(0)
	s_waitcnt_vscnt null, 0x0
	s_barrier
	buffer_gl0_inv
	s_and_saveexec_b32 s1, s0
	s_cbranch_execz .LBB109_15
; %bb.14:
	scratch_load_b32 v96, v94, off
	ds_load_b32 v97, v95
	v_mov_b32_e32 v98, 0
	ds_load_b32 v98, v98 offset:4
	s_waitcnt vmcnt(0) lgkmcnt(1)
	v_fma_f32 v96, v96, v97, 0
	s_waitcnt lgkmcnt(0)
	s_delay_alu instid0(VALU_DEP_1)
	v_mul_f32_e32 v96, v96, v98
	scratch_store_b32 off, v96, off offset:4
.LBB109_15:
	s_or_b32 exec_lo, exec_lo, s1
	s_waitcnt_vscnt null, 0x0
	s_barrier
	buffer_gl0_inv
	scratch_load_b32 v96, off, off offset:8
	s_mov_b32 s1, exec_lo
	s_waitcnt vmcnt(0)
	ds_store_b32 v95, v96
	s_waitcnt lgkmcnt(0)
	s_barrier
	buffer_gl0_inv
	v_cmpx_gt_u32_e32 2, v0
	s_cbranch_execz .LBB109_17
; %bb.16:
	scratch_load_b32 v98, v94, off
	scratch_load_b32 v99, off, off offset:4
	ds_load_b32 v100, v95
	v_mov_b32_e32 v96, 0
	ds_load_2addr_b32 v[96:97], v96 offset0:2 offset1:49
	s_waitcnt vmcnt(1) lgkmcnt(1)
	v_fma_f32 v98, v98, v100, 0
	s_waitcnt vmcnt(0) lgkmcnt(0)
	s_delay_alu instid0(VALU_DEP_1) | instskip(NEXT) | instid1(VALU_DEP_1)
	v_fma_f32 v97, v99, v97, v98
	v_cndmask_b32_e64 v97, v98, v97, s0
	s_delay_alu instid0(VALU_DEP_1)
	v_mul_f32_e32 v96, v97, v96
	scratch_store_b32 off, v96, off offset:8
.LBB109_17:
	s_or_b32 exec_lo, exec_lo, s1
	s_waitcnt_vscnt null, 0x0
	s_barrier
	buffer_gl0_inv
	scratch_load_b32 v97, off, off offset:12
	v_add_nc_u32_e32 v96, -1, v0
	s_mov_b32 s0, exec_lo
	s_waitcnt vmcnt(0)
	ds_store_b32 v95, v97
	s_waitcnt lgkmcnt(0)
	s_barrier
	buffer_gl0_inv
	v_cmpx_gt_u32_e32 3, v0
	s_cbranch_execz .LBB109_21
; %bb.18:
	v_dual_mov_b32 v97, 0 :: v_dual_add_nc_u32 v98, -1, v0
	v_add_nc_u32_e32 v99, 0xc0, v93
	v_add_nc_u32_e32 v100, 0, v93
	s_mov_b32 s1, 0
.LBB109_19:                             ; =>This Inner Loop Header: Depth=1
	scratch_load_b32 v101, v100, off
	ds_load_b32 v102, v99
	v_add_nc_u32_e32 v98, 1, v98
	v_add_nc_u32_e32 v99, 4, v99
	v_add_nc_u32_e32 v100, 4, v100
	s_delay_alu instid0(VALU_DEP_3)
	v_cmp_lt_u32_e32 vcc_lo, 1, v98
	s_or_b32 s1, vcc_lo, s1
	s_waitcnt vmcnt(0) lgkmcnt(0)
	v_fmac_f32_e32 v97, v101, v102
	s_and_not1_b32 exec_lo, exec_lo, s1
	s_cbranch_execnz .LBB109_19
; %bb.20:
	s_or_b32 exec_lo, exec_lo, s1
	v_mov_b32_e32 v98, 0
	ds_load_b32 v98, v98 offset:12
	s_waitcnt lgkmcnt(0)
	v_mul_f32_e32 v97, v97, v98
	scratch_store_b32 off, v97, off offset:12
.LBB109_21:
	s_or_b32 exec_lo, exec_lo, s0
	s_waitcnt_vscnt null, 0x0
	s_barrier
	buffer_gl0_inv
	scratch_load_b32 v97, off, off offset:16
	s_mov_b32 s0, exec_lo
	s_waitcnt vmcnt(0)
	ds_store_b32 v95, v97
	s_waitcnt lgkmcnt(0)
	s_barrier
	buffer_gl0_inv
	v_cmpx_gt_u32_e32 4, v0
	s_cbranch_execz .LBB109_25
; %bb.22:
	v_dual_mov_b32 v97, 0 :: v_dual_add_nc_u32 v98, -1, v0
	v_add_nc_u32_e32 v99, 0xc0, v93
	v_add_nc_u32_e32 v100, 0, v93
	s_mov_b32 s1, 0
.LBB109_23:                             ; =>This Inner Loop Header: Depth=1
	scratch_load_b32 v101, v100, off
	ds_load_b32 v102, v99
	v_add_nc_u32_e32 v98, 1, v98
	v_add_nc_u32_e32 v99, 4, v99
	v_add_nc_u32_e32 v100, 4, v100
	s_delay_alu instid0(VALU_DEP_3)
	v_cmp_lt_u32_e32 vcc_lo, 2, v98
	s_or_b32 s1, vcc_lo, s1
	s_waitcnt vmcnt(0) lgkmcnt(0)
	v_fmac_f32_e32 v97, v101, v102
	s_and_not1_b32 exec_lo, exec_lo, s1
	s_cbranch_execnz .LBB109_23
; %bb.24:
	s_or_b32 exec_lo, exec_lo, s1
	v_mov_b32_e32 v98, 0
	ds_load_b32 v98, v98 offset:16
	s_waitcnt lgkmcnt(0)
	v_mul_f32_e32 v97, v97, v98
	scratch_store_b32 off, v97, off offset:16
.LBB109_25:
	s_or_b32 exec_lo, exec_lo, s0
	s_waitcnt_vscnt null, 0x0
	s_barrier
	buffer_gl0_inv
	scratch_load_b32 v97, off, off offset:20
	;; [unrolled: 39-line block ×21, first 2 shown]
	s_mov_b32 s0, exec_lo
	s_waitcnt vmcnt(0)
	ds_store_b32 v95, v97
	s_waitcnt lgkmcnt(0)
	s_barrier
	buffer_gl0_inv
	v_cmpx_gt_u32_e32 24, v0
	s_cbranch_execz .LBB109_105
; %bb.102:
	v_dual_mov_b32 v97, 0 :: v_dual_add_nc_u32 v98, -1, v0
	v_add_nc_u32_e32 v99, 0xc0, v93
	v_add_nc_u32_e32 v100, 0, v93
	s_mov_b32 s1, 0
.LBB109_103:                            ; =>This Inner Loop Header: Depth=1
	scratch_load_b32 v101, v100, off
	ds_load_b32 v102, v99
	v_add_nc_u32_e32 v98, 1, v98
	v_add_nc_u32_e32 v99, 4, v99
	v_add_nc_u32_e32 v100, 4, v100
	s_delay_alu instid0(VALU_DEP_3)
	v_cmp_lt_u32_e32 vcc_lo, 22, v98
	s_or_b32 s1, vcc_lo, s1
	s_waitcnt vmcnt(0) lgkmcnt(0)
	v_fmac_f32_e32 v97, v101, v102
	s_and_not1_b32 exec_lo, exec_lo, s1
	s_cbranch_execnz .LBB109_103
; %bb.104:
	s_or_b32 exec_lo, exec_lo, s1
	v_mov_b32_e32 v98, 0
	ds_load_b32 v98, v98 offset:96
	s_waitcnt lgkmcnt(0)
	v_mul_f32_e32 v97, v97, v98
	scratch_store_b32 off, v97, off offset:96
.LBB109_105:
	s_or_b32 exec_lo, exec_lo, s0
	s_waitcnt_vscnt null, 0x0
	s_barrier
	buffer_gl0_inv
	scratch_load_b32 v97, off, off offset:100
	s_mov_b32 s0, exec_lo
	s_waitcnt vmcnt(0)
	ds_store_b32 v95, v97
	s_waitcnt lgkmcnt(0)
	s_barrier
	buffer_gl0_inv
	v_cmpx_gt_u32_e32 25, v0
	s_cbranch_execz .LBB109_109
; %bb.106:
	v_dual_mov_b32 v97, 0 :: v_dual_add_nc_u32 v98, -1, v0
	v_add_nc_u32_e32 v99, 0xc0, v93
	v_add_nc_u32_e32 v100, 0, v93
	s_mov_b32 s1, 0
.LBB109_107:                            ; =>This Inner Loop Header: Depth=1
	scratch_load_b32 v101, v100, off
	ds_load_b32 v102, v99
	v_add_nc_u32_e32 v98, 1, v98
	v_add_nc_u32_e32 v99, 4, v99
	v_add_nc_u32_e32 v100, 4, v100
	s_delay_alu instid0(VALU_DEP_3)
	v_cmp_lt_u32_e32 vcc_lo, 23, v98
	s_or_b32 s1, vcc_lo, s1
	s_waitcnt vmcnt(0) lgkmcnt(0)
	v_fmac_f32_e32 v97, v101, v102
	s_and_not1_b32 exec_lo, exec_lo, s1
	s_cbranch_execnz .LBB109_107
; %bb.108:
	s_or_b32 exec_lo, exec_lo, s1
	v_mov_b32_e32 v98, 0
	ds_load_b32 v98, v98 offset:100
	s_waitcnt lgkmcnt(0)
	v_mul_f32_e32 v97, v97, v98
	scratch_store_b32 off, v97, off offset:100
.LBB109_109:
	s_or_b32 exec_lo, exec_lo, s0
	s_waitcnt_vscnt null, 0x0
	s_barrier
	buffer_gl0_inv
	scratch_load_b32 v97, off, off offset:104
	;; [unrolled: 39-line block ×20, first 2 shown]
	s_mov_b32 s0, exec_lo
	s_waitcnt vmcnt(0)
	ds_store_b32 v95, v97
	s_waitcnt lgkmcnt(0)
	s_barrier
	buffer_gl0_inv
	v_cmpx_gt_u32_e32 44, v0
	s_cbranch_execz .LBB109_185
; %bb.182:
	v_add_nc_u32_e32 v97, -1, v0
	v_add_nc_u32_e32 v98, 0xc0, v93
	v_add_nc_u32_e32 v99, 0, v93
	v_mov_b32_e32 v93, 0
	s_mov_b32 s1, 0
.LBB109_183:                            ; =>This Inner Loop Header: Depth=1
	scratch_load_b32 v100, v99, off
	ds_load_b32 v101, v98
	v_add_nc_u32_e32 v97, 1, v97
	v_add_nc_u32_e32 v98, 4, v98
	;; [unrolled: 1-line block ×3, first 2 shown]
	s_delay_alu instid0(VALU_DEP_3)
	v_cmp_lt_u32_e32 vcc_lo, 42, v97
	s_or_b32 s1, vcc_lo, s1
	s_waitcnt vmcnt(0) lgkmcnt(0)
	v_fmac_f32_e32 v93, v100, v101
	s_and_not1_b32 exec_lo, exec_lo, s1
	s_cbranch_execnz .LBB109_183
; %bb.184:
	s_or_b32 exec_lo, exec_lo, s1
	v_mov_b32_e32 v97, 0
	ds_load_b32 v97, v97 offset:176
	s_waitcnt lgkmcnt(0)
	v_mul_f32_e32 v93, v93, v97
	scratch_store_b32 off, v93, off offset:176
.LBB109_185:
	s_or_b32 exec_lo, exec_lo, s0
	s_waitcnt_vscnt null, 0x0
	s_barrier
	buffer_gl0_inv
	scratch_load_b32 v93, off, off offset:180
	s_mov_b32 s0, exec_lo
	s_waitcnt vmcnt(0)
	ds_store_b32 v95, v93
	s_waitcnt lgkmcnt(0)
	s_barrier
	buffer_gl0_inv
	v_cmpx_ne_u32_e32 45, v0
	s_cbranch_execz .LBB109_189
; %bb.186:
	v_mov_b32_e32 v93, 0
	s_mov_b32 s1, 0
.LBB109_187:                            ; =>This Inner Loop Header: Depth=1
	scratch_load_b32 v97, v94, off
	ds_load_b32 v98, v95
	v_add_nc_u32_e32 v96, 1, v96
	v_add_nc_u32_e32 v95, 4, v95
	;; [unrolled: 1-line block ×3, first 2 shown]
	s_waitcnt vmcnt(0) lgkmcnt(0)
	v_fmac_f32_e32 v93, v97, v98
	v_cmp_lt_u32_e32 vcc_lo, 43, v96
	s_or_b32 s1, vcc_lo, s1
	s_delay_alu instid0(SALU_CYCLE_1)
	s_and_not1_b32 exec_lo, exec_lo, s1
	s_cbranch_execnz .LBB109_187
; %bb.188:
	s_or_b32 exec_lo, exec_lo, s1
	v_mov_b32_e32 v94, 0
	ds_load_b32 v94, v94 offset:180
	s_waitcnt lgkmcnt(0)
	v_mul_f32_e32 v93, v93, v94
	scratch_store_b32 off, v93, off offset:180
.LBB109_189:
	s_or_b32 exec_lo, exec_lo, s0
	s_mov_b32 s1, -1
	s_waitcnt_vscnt null, 0x0
	s_barrier
	buffer_gl0_inv
.LBB109_190:
	s_and_b32 vcc_lo, exec_lo, s1
	s_cbranch_vccz .LBB109_192
; %bb.191:
	s_lshl_b64 s[0:1], s[8:9], 2
	v_mov_b32_e32 v93, 0
	s_add_u32 s0, s6, s0
	s_addc_u32 s1, s7, s1
	global_load_b32 v93, v93, s[0:1]
	s_waitcnt vmcnt(0)
	v_cmp_ne_u32_e32 vcc_lo, 0, v93
	s_cbranch_vccz .LBB109_193
.LBB109_192:
	s_endpgm
.LBB109_193:
	v_lshl_add_u32 v93, v0, 2, 0xc0
	s_mov_b32 s0, exec_lo
	v_cmpx_eq_u32_e32 45, v0
	s_cbranch_execz .LBB109_195
; %bb.194:
	scratch_load_b32 v94, off, off offset:176
	v_mov_b32_e32 v95, 0
	scratch_store_b32 off, v95, off offset:176
	s_waitcnt vmcnt(0)
	ds_store_b32 v93, v94
.LBB109_195:
	s_or_b32 exec_lo, exec_lo, s0
	s_waitcnt lgkmcnt(0)
	s_waitcnt_vscnt null, 0x0
	s_barrier
	buffer_gl0_inv
	scratch_load_b64 v[95:96], off, off offset:176
	v_mov_b32_e32 v94, 0
	s_mov_b32 s0, exec_lo
	ds_load_b32 v97, v94 offset:372
	s_waitcnt vmcnt(0) lgkmcnt(0)
	v_fma_f32 v96, v96, v97, 0
	s_delay_alu instid0(VALU_DEP_1)
	v_sub_f32_e32 v95, v95, v96
	scratch_store_b32 off, v95, off offset:176
	v_cmpx_lt_u32_e32 43, v0
	s_cbranch_execz .LBB109_197
; %bb.196:
	scratch_load_b32 v95, off, off offset:172
	scratch_store_b32 off, v94, off offset:172
	s_waitcnt vmcnt(0)
	ds_store_b32 v93, v95
.LBB109_197:
	s_or_b32 exec_lo, exec_lo, s0
	s_waitcnt lgkmcnt(0)
	s_waitcnt_vscnt null, 0x0
	s_barrier
	buffer_gl0_inv
	scratch_load_b96 v[95:97], off, off offset:172
	ds_load_b64 v[98:99], v94 offset:368
	s_mov_b32 s0, exec_lo
	s_waitcnt vmcnt(0) lgkmcnt(0)
	v_fma_f32 v94, v96, v98, 0
	s_delay_alu instid0(VALU_DEP_1) | instskip(NEXT) | instid1(VALU_DEP_1)
	v_fmac_f32_e32 v94, v97, v99
	v_sub_f32_e32 v94, v95, v94
	scratch_store_b32 off, v94, off offset:172
	v_cmpx_lt_u32_e32 42, v0
	s_cbranch_execz .LBB109_199
; %bb.198:
	scratch_load_b32 v94, off, off offset:168
	v_mov_b32_e32 v95, 0
	scratch_store_b32 off, v95, off offset:168
	s_waitcnt vmcnt(0)
	ds_store_b32 v93, v94
.LBB109_199:
	s_or_b32 exec_lo, exec_lo, s0
	s_waitcnt lgkmcnt(0)
	s_waitcnt_vscnt null, 0x0
	s_barrier
	buffer_gl0_inv
	scratch_load_b128 v[95:98], off, off offset:168
	v_mov_b32_e32 v94, 0
	ds_load_2addr_b32 v[99:100], v94 offset0:91 offset1:92
	ds_load_b32 v101, v94 offset:372
	s_mov_b32 s0, exec_lo
	s_waitcnt vmcnt(0) lgkmcnt(1)
	v_fma_f32 v96, v96, v99, 0
	s_delay_alu instid0(VALU_DEP_1) | instskip(SKIP_1) | instid1(VALU_DEP_1)
	v_fmac_f32_e32 v96, v97, v100
	s_waitcnt lgkmcnt(0)
	v_fmac_f32_e32 v96, v98, v101
	s_delay_alu instid0(VALU_DEP_1)
	v_sub_f32_e32 v95, v95, v96
	scratch_store_b32 off, v95, off offset:168
	v_cmpx_lt_u32_e32 41, v0
	s_cbranch_execz .LBB109_201
; %bb.200:
	scratch_load_b32 v95, off, off offset:164
	scratch_store_b32 off, v94, off offset:164
	s_waitcnt vmcnt(0)
	ds_store_b32 v93, v95
.LBB109_201:
	s_or_b32 exec_lo, exec_lo, s0
	s_waitcnt lgkmcnt(0)
	s_waitcnt_vscnt null, 0x0
	s_barrier
	buffer_gl0_inv
	s_clause 0x1
	scratch_load_b128 v[95:98], off, off offset:164
	scratch_load_b32 v103, off, off offset:180
	ds_load_2addr_b64 v[99:102], v94 offset0:45 offset1:46
	s_mov_b32 s0, exec_lo
	s_waitcnt vmcnt(1) lgkmcnt(0)
	v_fma_f32 v94, v96, v99, 0
	s_delay_alu instid0(VALU_DEP_1) | instskip(NEXT) | instid1(VALU_DEP_1)
	v_fmac_f32_e32 v94, v97, v100
	v_fmac_f32_e32 v94, v98, v101
	s_waitcnt vmcnt(0)
	s_delay_alu instid0(VALU_DEP_1) | instskip(NEXT) | instid1(VALU_DEP_1)
	v_fmac_f32_e32 v94, v103, v102
	v_sub_f32_e32 v94, v95, v94
	scratch_store_b32 off, v94, off offset:164
	v_cmpx_lt_u32_e32 40, v0
	s_cbranch_execz .LBB109_203
; %bb.202:
	scratch_load_b32 v94, off, off offset:160
	v_mov_b32_e32 v95, 0
	scratch_store_b32 off, v95, off offset:160
	s_waitcnt vmcnt(0)
	ds_store_b32 v93, v94
.LBB109_203:
	s_or_b32 exec_lo, exec_lo, s0
	s_waitcnt lgkmcnt(0)
	s_waitcnt_vscnt null, 0x0
	s_barrier
	buffer_gl0_inv
	s_clause 0x1
	scratch_load_b128 v[95:98], off, off offset:160
	scratch_load_b64 v[99:100], off, off offset:176
	v_mov_b32_e32 v94, 0
	ds_load_2addr_b32 v[101:102], v94 offset0:89 offset1:90
	ds_load_2addr_b32 v[103:104], v94 offset0:91 offset1:92
	ds_load_b32 v105, v94 offset:372
	s_mov_b32 s0, exec_lo
	s_waitcnt vmcnt(1) lgkmcnt(2)
	v_fma_f32 v96, v96, v101, 0
	s_delay_alu instid0(VALU_DEP_1) | instskip(SKIP_1) | instid1(VALU_DEP_1)
	v_fmac_f32_e32 v96, v97, v102
	s_waitcnt lgkmcnt(1)
	v_fmac_f32_e32 v96, v98, v103
	s_waitcnt vmcnt(0)
	s_delay_alu instid0(VALU_DEP_1) | instskip(SKIP_1) | instid1(VALU_DEP_1)
	v_fmac_f32_e32 v96, v99, v104
	s_waitcnt lgkmcnt(0)
	v_fmac_f32_e32 v96, v100, v105
	s_delay_alu instid0(VALU_DEP_1)
	v_sub_f32_e32 v95, v95, v96
	scratch_store_b32 off, v95, off offset:160
	v_cmpx_lt_u32_e32 39, v0
	s_cbranch_execz .LBB109_205
; %bb.204:
	scratch_load_b32 v95, off, off offset:156
	scratch_store_b32 off, v94, off offset:156
	s_waitcnt vmcnt(0)
	ds_store_b32 v93, v95
.LBB109_205:
	s_or_b32 exec_lo, exec_lo, s0
	s_waitcnt lgkmcnt(0)
	s_waitcnt_vscnt null, 0x0
	s_barrier
	buffer_gl0_inv
	s_clause 0x1
	scratch_load_b128 v[95:98], off, off offset:156
	scratch_load_b96 v[103:105], off, off offset:172
	ds_load_b128 v[99:102], v94 offset:352
	ds_load_b64 v[106:107], v94 offset:368
	s_mov_b32 s0, exec_lo
	s_waitcnt vmcnt(1) lgkmcnt(1)
	v_fma_f32 v94, v96, v99, 0
	s_delay_alu instid0(VALU_DEP_1) | instskip(NEXT) | instid1(VALU_DEP_1)
	v_fmac_f32_e32 v94, v97, v100
	v_fmac_f32_e32 v94, v98, v101
	s_waitcnt vmcnt(0)
	s_delay_alu instid0(VALU_DEP_1) | instskip(SKIP_1) | instid1(VALU_DEP_1)
	v_fmac_f32_e32 v94, v103, v102
	s_waitcnt lgkmcnt(0)
	v_fmac_f32_e32 v94, v104, v106
	s_delay_alu instid0(VALU_DEP_1) | instskip(NEXT) | instid1(VALU_DEP_1)
	v_fmac_f32_e32 v94, v105, v107
	v_sub_f32_e32 v94, v95, v94
	scratch_store_b32 off, v94, off offset:156
	v_cmpx_lt_u32_e32 38, v0
	s_cbranch_execz .LBB109_207
; %bb.206:
	scratch_load_b32 v94, off, off offset:152
	v_mov_b32_e32 v95, 0
	scratch_store_b32 off, v95, off offset:152
	s_waitcnt vmcnt(0)
	ds_store_b32 v93, v94
.LBB109_207:
	s_or_b32 exec_lo, exec_lo, s0
	s_waitcnt lgkmcnt(0)
	s_waitcnt_vscnt null, 0x0
	s_barrier
	buffer_gl0_inv
	s_clause 0x1
	scratch_load_b128 v[95:98], off, off offset:152
	scratch_load_b128 v[99:102], off, off offset:168
	v_mov_b32_e32 v94, 0
	ds_load_2addr_b32 v[103:104], v94 offset0:87 offset1:88
	ds_load_2addr_b32 v[105:106], v94 offset0:89 offset1:90
	;; [unrolled: 1-line block ×3, first 2 shown]
	ds_load_b32 v109, v94 offset:372
	s_mov_b32 s0, exec_lo
	s_waitcnt vmcnt(1) lgkmcnt(3)
	v_fma_f32 v96, v96, v103, 0
	s_delay_alu instid0(VALU_DEP_1) | instskip(SKIP_1) | instid1(VALU_DEP_1)
	v_fmac_f32_e32 v96, v97, v104
	s_waitcnt lgkmcnt(2)
	v_fmac_f32_e32 v96, v98, v105
	s_waitcnt vmcnt(0)
	s_delay_alu instid0(VALU_DEP_1) | instskip(SKIP_1) | instid1(VALU_DEP_1)
	v_fmac_f32_e32 v96, v99, v106
	s_waitcnt lgkmcnt(1)
	v_fmac_f32_e32 v96, v100, v107
	s_delay_alu instid0(VALU_DEP_1) | instskip(SKIP_1) | instid1(VALU_DEP_1)
	v_fmac_f32_e32 v96, v101, v108
	s_waitcnt lgkmcnt(0)
	v_fmac_f32_e32 v96, v102, v109
	s_delay_alu instid0(VALU_DEP_1)
	v_sub_f32_e32 v95, v95, v96
	scratch_store_b32 off, v95, off offset:152
	v_cmpx_lt_u32_e32 37, v0
	s_cbranch_execz .LBB109_209
; %bb.208:
	scratch_load_b32 v95, off, off offset:148
	scratch_store_b32 off, v94, off offset:148
	s_waitcnt vmcnt(0)
	ds_store_b32 v93, v95
.LBB109_209:
	s_or_b32 exec_lo, exec_lo, s0
	s_waitcnt lgkmcnt(0)
	s_waitcnt_vscnt null, 0x0
	s_barrier
	buffer_gl0_inv
	s_clause 0x2
	scratch_load_b128 v[95:98], off, off offset:148
	scratch_load_b128 v[99:102], off, off offset:164
	scratch_load_b32 v111, off, off offset:180
	ds_load_2addr_b64 v[103:106], v94 offset0:43 offset1:44
	ds_load_2addr_b64 v[107:110], v94 offset0:45 offset1:46
	s_mov_b32 s0, exec_lo
	s_waitcnt vmcnt(2) lgkmcnt(1)
	v_fma_f32 v94, v96, v103, 0
	s_delay_alu instid0(VALU_DEP_1) | instskip(NEXT) | instid1(VALU_DEP_1)
	v_fmac_f32_e32 v94, v97, v104
	v_fmac_f32_e32 v94, v98, v105
	s_waitcnt vmcnt(1)
	s_delay_alu instid0(VALU_DEP_1) | instskip(SKIP_1) | instid1(VALU_DEP_1)
	v_fmac_f32_e32 v94, v99, v106
	s_waitcnt lgkmcnt(0)
	v_fmac_f32_e32 v94, v100, v107
	s_delay_alu instid0(VALU_DEP_1) | instskip(NEXT) | instid1(VALU_DEP_1)
	v_fmac_f32_e32 v94, v101, v108
	v_fmac_f32_e32 v94, v102, v109
	s_waitcnt vmcnt(0)
	s_delay_alu instid0(VALU_DEP_1) | instskip(NEXT) | instid1(VALU_DEP_1)
	v_fmac_f32_e32 v94, v111, v110
	v_sub_f32_e32 v94, v95, v94
	scratch_store_b32 off, v94, off offset:148
	v_cmpx_lt_u32_e32 36, v0
	s_cbranch_execz .LBB109_211
; %bb.210:
	scratch_load_b32 v94, off, off offset:144
	v_mov_b32_e32 v95, 0
	scratch_store_b32 off, v95, off offset:144
	s_waitcnt vmcnt(0)
	ds_store_b32 v93, v94
.LBB109_211:
	s_or_b32 exec_lo, exec_lo, s0
	s_waitcnt lgkmcnt(0)
	s_waitcnt_vscnt null, 0x0
	s_barrier
	buffer_gl0_inv
	s_clause 0x2
	scratch_load_b128 v[95:98], off, off offset:144
	scratch_load_b128 v[99:102], off, off offset:160
	scratch_load_b64 v[103:104], off, off offset:176
	v_mov_b32_e32 v94, 0
	ds_load_2addr_b32 v[105:106], v94 offset0:85 offset1:86
	ds_load_2addr_b32 v[107:108], v94 offset0:87 offset1:88
	;; [unrolled: 1-line block ×4, first 2 shown]
	s_mov_b32 s0, exec_lo
	s_waitcnt vmcnt(2) lgkmcnt(3)
	v_fma_f32 v96, v96, v105, 0
	s_delay_alu instid0(VALU_DEP_1) | instskip(SKIP_4) | instid1(VALU_DEP_1)
	v_fmac_f32_e32 v96, v97, v106
	ds_load_b32 v97, v94 offset:372
	s_waitcnt lgkmcnt(3)
	v_fmac_f32_e32 v96, v98, v107
	s_waitcnt vmcnt(1)
	v_fmac_f32_e32 v96, v99, v108
	s_waitcnt lgkmcnt(2)
	s_delay_alu instid0(VALU_DEP_1) | instskip(NEXT) | instid1(VALU_DEP_1)
	v_fmac_f32_e32 v96, v100, v109
	v_fmac_f32_e32 v96, v101, v110
	s_waitcnt lgkmcnt(1)
	s_delay_alu instid0(VALU_DEP_1) | instskip(SKIP_1) | instid1(VALU_DEP_1)
	v_fmac_f32_e32 v96, v102, v111
	s_waitcnt vmcnt(0)
	v_fmac_f32_e32 v96, v103, v112
	s_waitcnt lgkmcnt(0)
	s_delay_alu instid0(VALU_DEP_1) | instskip(NEXT) | instid1(VALU_DEP_1)
	v_fmac_f32_e32 v96, v104, v97
	v_sub_f32_e32 v95, v95, v96
	scratch_store_b32 off, v95, off offset:144
	v_cmpx_lt_u32_e32 35, v0
	s_cbranch_execz .LBB109_213
; %bb.212:
	scratch_load_b32 v95, off, off offset:140
	scratch_store_b32 off, v94, off offset:140
	s_waitcnt vmcnt(0)
	ds_store_b32 v93, v95
.LBB109_213:
	s_or_b32 exec_lo, exec_lo, s0
	s_waitcnt lgkmcnt(0)
	s_waitcnt_vscnt null, 0x0
	s_barrier
	buffer_gl0_inv
	s_clause 0x2
	scratch_load_b128 v[95:98], off, off offset:140
	scratch_load_b128 v[99:102], off, off offset:156
	scratch_load_b96 v[111:113], off, off offset:172
	ds_load_b128 v[103:106], v94 offset:336
	ds_load_b128 v[107:110], v94 offset:352
	s_mov_b32 s0, exec_lo
	s_waitcnt vmcnt(2) lgkmcnt(1)
	v_fma_f32 v103, v96, v103, 0
	s_delay_alu instid0(VALU_DEP_1) | instskip(SKIP_3) | instid1(VALU_DEP_1)
	v_fmac_f32_e32 v103, v97, v104
	ds_load_b64 v[96:97], v94 offset:368
	v_fmac_f32_e32 v103, v98, v105
	s_waitcnt vmcnt(1)
	v_fmac_f32_e32 v103, v99, v106
	s_waitcnt lgkmcnt(1)
	s_delay_alu instid0(VALU_DEP_1) | instskip(NEXT) | instid1(VALU_DEP_1)
	v_fmac_f32_e32 v103, v100, v107
	v_fmac_f32_e32 v103, v101, v108
	s_delay_alu instid0(VALU_DEP_1) | instskip(SKIP_1) | instid1(VALU_DEP_1)
	v_fmac_f32_e32 v103, v102, v109
	s_waitcnt vmcnt(0)
	v_fmac_f32_e32 v103, v111, v110
	s_waitcnt lgkmcnt(0)
	s_delay_alu instid0(VALU_DEP_1) | instskip(NEXT) | instid1(VALU_DEP_1)
	v_fmac_f32_e32 v103, v112, v96
	v_fmac_f32_e32 v103, v113, v97
	s_delay_alu instid0(VALU_DEP_1)
	v_sub_f32_e32 v94, v95, v103
	scratch_store_b32 off, v94, off offset:140
	v_cmpx_lt_u32_e32 34, v0
	s_cbranch_execz .LBB109_215
; %bb.214:
	scratch_load_b32 v94, off, off offset:136
	v_mov_b32_e32 v95, 0
	scratch_store_b32 off, v95, off offset:136
	s_waitcnt vmcnt(0)
	ds_store_b32 v93, v94
.LBB109_215:
	s_or_b32 exec_lo, exec_lo, s0
	s_waitcnt lgkmcnt(0)
	s_waitcnt_vscnt null, 0x0
	s_barrier
	buffer_gl0_inv
	s_clause 0x2
	scratch_load_b128 v[95:98], off, off offset:136
	scratch_load_b128 v[99:102], off, off offset:152
	;; [unrolled: 1-line block ×3, first 2 shown]
	v_mov_b32_e32 v94, 0
	ds_load_2addr_b32 v[107:108], v94 offset0:83 offset1:84
	ds_load_2addr_b32 v[109:110], v94 offset0:85 offset1:86
	;; [unrolled: 1-line block ×4, first 2 shown]
	s_mov_b32 s0, exec_lo
	s_waitcnt vmcnt(2) lgkmcnt(3)
	v_fma_f32 v107, v96, v107, 0
	s_delay_alu instid0(VALU_DEP_1)
	v_fmac_f32_e32 v107, v97, v108
	ds_load_2addr_b32 v[96:97], v94 offset0:91 offset1:92
	s_waitcnt lgkmcnt(3)
	v_fmac_f32_e32 v107, v98, v109
	ds_load_b32 v98, v94 offset:372
	s_waitcnt vmcnt(1)
	v_fmac_f32_e32 v107, v99, v110
	s_waitcnt lgkmcnt(3)
	s_delay_alu instid0(VALU_DEP_1) | instskip(NEXT) | instid1(VALU_DEP_1)
	v_fmac_f32_e32 v107, v100, v111
	v_fmac_f32_e32 v107, v101, v112
	s_waitcnt lgkmcnt(2)
	s_delay_alu instid0(VALU_DEP_1) | instskip(SKIP_1) | instid1(VALU_DEP_1)
	v_fmac_f32_e32 v107, v102, v113
	s_waitcnt vmcnt(0)
	v_fmac_f32_e32 v107, v103, v114
	s_waitcnt lgkmcnt(1)
	s_delay_alu instid0(VALU_DEP_1) | instskip(NEXT) | instid1(VALU_DEP_1)
	v_fmac_f32_e32 v107, v104, v96
	v_fmac_f32_e32 v107, v105, v97
	s_waitcnt lgkmcnt(0)
	s_delay_alu instid0(VALU_DEP_1) | instskip(NEXT) | instid1(VALU_DEP_1)
	v_fmac_f32_e32 v107, v106, v98
	v_sub_f32_e32 v95, v95, v107
	scratch_store_b32 off, v95, off offset:136
	v_cmpx_lt_u32_e32 33, v0
	s_cbranch_execz .LBB109_217
; %bb.216:
	scratch_load_b32 v95, off, off offset:132
	scratch_store_b32 off, v94, off offset:132
	s_waitcnt vmcnt(0)
	ds_store_b32 v93, v95
.LBB109_217:
	s_or_b32 exec_lo, exec_lo, s0
	s_waitcnt lgkmcnt(0)
	s_waitcnt_vscnt null, 0x0
	s_barrier
	buffer_gl0_inv
	s_clause 0x3
	scratch_load_b128 v[95:98], off, off offset:132
	scratch_load_b128 v[99:102], off, off offset:148
	;; [unrolled: 1-line block ×3, first 2 shown]
	scratch_load_b32 v115, off, off offset:180
	ds_load_2addr_b64 v[107:110], v94 offset0:41 offset1:42
	ds_load_2addr_b64 v[111:114], v94 offset0:43 offset1:44
	s_mov_b32 s0, exec_lo
	s_waitcnt vmcnt(3) lgkmcnt(1)
	v_fma_f32 v107, v96, v107, 0
	s_delay_alu instid0(VALU_DEP_1) | instskip(NEXT) | instid1(VALU_DEP_1)
	v_fmac_f32_e32 v107, v97, v108
	v_fmac_f32_e32 v107, v98, v109
	s_waitcnt vmcnt(2)
	s_delay_alu instid0(VALU_DEP_1) | instskip(SKIP_3) | instid1(VALU_DEP_1)
	v_fmac_f32_e32 v107, v99, v110
	ds_load_2addr_b64 v[96:99], v94 offset0:45 offset1:46
	s_waitcnt lgkmcnt(1)
	v_fmac_f32_e32 v107, v100, v111
	v_fmac_f32_e32 v107, v101, v112
	s_delay_alu instid0(VALU_DEP_1) | instskip(SKIP_1) | instid1(VALU_DEP_1)
	v_fmac_f32_e32 v107, v102, v113
	s_waitcnt vmcnt(1)
	v_fmac_f32_e32 v107, v103, v114
	s_waitcnt lgkmcnt(0)
	s_delay_alu instid0(VALU_DEP_1) | instskip(NEXT) | instid1(VALU_DEP_1)
	v_fmac_f32_e32 v107, v104, v96
	v_fmac_f32_e32 v107, v105, v97
	s_delay_alu instid0(VALU_DEP_1) | instskip(SKIP_1) | instid1(VALU_DEP_1)
	v_fmac_f32_e32 v107, v106, v98
	s_waitcnt vmcnt(0)
	v_fmac_f32_e32 v107, v115, v99
	s_delay_alu instid0(VALU_DEP_1)
	v_sub_f32_e32 v94, v95, v107
	scratch_store_b32 off, v94, off offset:132
	v_cmpx_lt_u32_e32 32, v0
	s_cbranch_execz .LBB109_219
; %bb.218:
	scratch_load_b32 v94, off, off offset:128
	v_mov_b32_e32 v95, 0
	scratch_store_b32 off, v95, off offset:128
	s_waitcnt vmcnt(0)
	ds_store_b32 v93, v94
.LBB109_219:
	s_or_b32 exec_lo, exec_lo, s0
	s_waitcnt lgkmcnt(0)
	s_waitcnt_vscnt null, 0x0
	s_barrier
	buffer_gl0_inv
	s_clause 0x3
	scratch_load_b128 v[95:98], off, off offset:128
	scratch_load_b128 v[99:102], off, off offset:144
	;; [unrolled: 1-line block ×3, first 2 shown]
	scratch_load_b64 v[107:108], off, off offset:176
	v_mov_b32_e32 v94, 0
	ds_load_2addr_b32 v[109:110], v94 offset0:81 offset1:82
	ds_load_2addr_b32 v[111:112], v94 offset0:83 offset1:84
	;; [unrolled: 1-line block ×4, first 2 shown]
	s_mov_b32 s0, exec_lo
	s_waitcnt vmcnt(3) lgkmcnt(3)
	v_fma_f32 v109, v96, v109, 0
	s_delay_alu instid0(VALU_DEP_1) | instskip(SKIP_4) | instid1(VALU_DEP_1)
	v_fmac_f32_e32 v109, v97, v110
	ds_load_2addr_b32 v[96:97], v94 offset0:89 offset1:90
	s_waitcnt lgkmcnt(3)
	v_fmac_f32_e32 v109, v98, v111
	s_waitcnt vmcnt(2)
	v_fmac_f32_e32 v109, v99, v112
	ds_load_2addr_b32 v[98:99], v94 offset0:91 offset1:92
	s_waitcnt lgkmcnt(3)
	v_fmac_f32_e32 v109, v100, v113
	ds_load_b32 v100, v94 offset:372
	v_fmac_f32_e32 v109, v101, v114
	s_waitcnt lgkmcnt(3)
	s_delay_alu instid0(VALU_DEP_1) | instskip(SKIP_1) | instid1(VALU_DEP_1)
	v_fmac_f32_e32 v109, v102, v115
	s_waitcnt vmcnt(1)
	v_fmac_f32_e32 v109, v103, v116
	s_waitcnt lgkmcnt(2)
	s_delay_alu instid0(VALU_DEP_1) | instskip(NEXT) | instid1(VALU_DEP_1)
	v_fmac_f32_e32 v109, v104, v96
	v_fmac_f32_e32 v109, v105, v97
	s_waitcnt lgkmcnt(1)
	s_delay_alu instid0(VALU_DEP_1) | instskip(SKIP_1) | instid1(VALU_DEP_1)
	v_fmac_f32_e32 v109, v106, v98
	s_waitcnt vmcnt(0)
	v_fmac_f32_e32 v109, v107, v99
	s_waitcnt lgkmcnt(0)
	s_delay_alu instid0(VALU_DEP_1) | instskip(NEXT) | instid1(VALU_DEP_1)
	v_fmac_f32_e32 v109, v108, v100
	v_sub_f32_e32 v95, v95, v109
	scratch_store_b32 off, v95, off offset:128
	v_cmpx_lt_u32_e32 31, v0
	s_cbranch_execz .LBB109_221
; %bb.220:
	scratch_load_b32 v95, off, off offset:124
	scratch_store_b32 off, v94, off offset:124
	s_waitcnt vmcnt(0)
	ds_store_b32 v93, v95
.LBB109_221:
	s_or_b32 exec_lo, exec_lo, s0
	s_waitcnt lgkmcnt(0)
	s_waitcnt_vscnt null, 0x0
	s_barrier
	buffer_gl0_inv
	s_clause 0x3
	scratch_load_b128 v[95:98], off, off offset:124
	scratch_load_b128 v[99:102], off, off offset:140
	;; [unrolled: 1-line block ×3, first 2 shown]
	scratch_load_b96 v[115:117], off, off offset:172
	ds_load_b128 v[107:110], v94 offset:320
	ds_load_b128 v[111:114], v94 offset:336
	s_mov_b32 s0, exec_lo
	s_waitcnt vmcnt(3) lgkmcnt(1)
	v_fma_f32 v107, v96, v107, 0
	s_delay_alu instid0(VALU_DEP_1) | instskip(NEXT) | instid1(VALU_DEP_1)
	v_fmac_f32_e32 v107, v97, v108
	v_fmac_f32_e32 v107, v98, v109
	s_waitcnt vmcnt(2)
	s_delay_alu instid0(VALU_DEP_1) | instskip(SKIP_3) | instid1(VALU_DEP_1)
	v_fmac_f32_e32 v107, v99, v110
	ds_load_b128 v[96:99], v94 offset:352
	s_waitcnt lgkmcnt(1)
	v_fmac_f32_e32 v107, v100, v111
	v_fmac_f32_e32 v107, v101, v112
	ds_load_b64 v[100:101], v94 offset:368
	v_fmac_f32_e32 v107, v102, v113
	s_waitcnt vmcnt(1)
	s_delay_alu instid0(VALU_DEP_1) | instskip(SKIP_1) | instid1(VALU_DEP_1)
	v_fmac_f32_e32 v107, v103, v114
	s_waitcnt lgkmcnt(1)
	v_fmac_f32_e32 v107, v104, v96
	s_delay_alu instid0(VALU_DEP_1) | instskip(NEXT) | instid1(VALU_DEP_1)
	v_fmac_f32_e32 v107, v105, v97
	v_fmac_f32_e32 v107, v106, v98
	s_waitcnt vmcnt(0)
	s_delay_alu instid0(VALU_DEP_1) | instskip(SKIP_1) | instid1(VALU_DEP_1)
	v_fmac_f32_e32 v107, v115, v99
	s_waitcnt lgkmcnt(0)
	v_fmac_f32_e32 v107, v116, v100
	s_delay_alu instid0(VALU_DEP_1) | instskip(NEXT) | instid1(VALU_DEP_1)
	v_fmac_f32_e32 v107, v117, v101
	v_sub_f32_e32 v94, v95, v107
	scratch_store_b32 off, v94, off offset:124
	v_cmpx_lt_u32_e32 30, v0
	s_cbranch_execz .LBB109_223
; %bb.222:
	scratch_load_b32 v94, off, off offset:120
	v_mov_b32_e32 v95, 0
	scratch_store_b32 off, v95, off offset:120
	s_waitcnt vmcnt(0)
	ds_store_b32 v93, v94
.LBB109_223:
	s_or_b32 exec_lo, exec_lo, s0
	s_waitcnt lgkmcnt(0)
	s_waitcnt_vscnt null, 0x0
	s_barrier
	buffer_gl0_inv
	s_clause 0x3
	scratch_load_b128 v[95:98], off, off offset:120
	scratch_load_b128 v[99:102], off, off offset:136
	;; [unrolled: 1-line block ×4, first 2 shown]
	v_mov_b32_e32 v94, 0
	ds_load_2addr_b32 v[111:112], v94 offset0:79 offset1:80
	ds_load_2addr_b32 v[113:114], v94 offset0:81 offset1:82
	;; [unrolled: 1-line block ×4, first 2 shown]
	s_mov_b32 s0, exec_lo
	s_waitcnt vmcnt(3) lgkmcnt(3)
	v_fma_f32 v111, v96, v111, 0
	s_delay_alu instid0(VALU_DEP_1) | instskip(SKIP_4) | instid1(VALU_DEP_1)
	v_fmac_f32_e32 v111, v97, v112
	ds_load_2addr_b32 v[96:97], v94 offset0:87 offset1:88
	s_waitcnt lgkmcnt(3)
	v_fmac_f32_e32 v111, v98, v113
	s_waitcnt vmcnt(2)
	v_fmac_f32_e32 v111, v99, v114
	ds_load_2addr_b32 v[98:99], v94 offset0:89 offset1:90
	s_waitcnt lgkmcnt(3)
	v_fmac_f32_e32 v111, v100, v115
	s_delay_alu instid0(VALU_DEP_1) | instskip(SKIP_1) | instid1(VALU_DEP_1)
	v_fmac_f32_e32 v111, v101, v116
	s_waitcnt lgkmcnt(2)
	v_fmac_f32_e32 v111, v102, v117
	ds_load_2addr_b32 v[100:101], v94 offset0:91 offset1:92
	ds_load_b32 v102, v94 offset:372
	s_waitcnt vmcnt(1)
	v_fmac_f32_e32 v111, v103, v118
	s_waitcnt lgkmcnt(3)
	s_delay_alu instid0(VALU_DEP_1) | instskip(NEXT) | instid1(VALU_DEP_1)
	v_fmac_f32_e32 v111, v104, v96
	v_fmac_f32_e32 v111, v105, v97
	s_waitcnt lgkmcnt(2)
	s_delay_alu instid0(VALU_DEP_1) | instskip(SKIP_1) | instid1(VALU_DEP_1)
	v_fmac_f32_e32 v111, v106, v98
	s_waitcnt vmcnt(0)
	v_fmac_f32_e32 v111, v107, v99
	s_waitcnt lgkmcnt(1)
	s_delay_alu instid0(VALU_DEP_1) | instskip(NEXT) | instid1(VALU_DEP_1)
	v_fmac_f32_e32 v111, v108, v100
	v_fmac_f32_e32 v111, v109, v101
	s_waitcnt lgkmcnt(0)
	s_delay_alu instid0(VALU_DEP_1) | instskip(NEXT) | instid1(VALU_DEP_1)
	v_fmac_f32_e32 v111, v110, v102
	v_sub_f32_e32 v95, v95, v111
	scratch_store_b32 off, v95, off offset:120
	v_cmpx_lt_u32_e32 29, v0
	s_cbranch_execz .LBB109_225
; %bb.224:
	scratch_load_b32 v95, off, off offset:116
	scratch_store_b32 off, v94, off offset:116
	s_waitcnt vmcnt(0)
	ds_store_b32 v93, v95
.LBB109_225:
	s_or_b32 exec_lo, exec_lo, s0
	s_waitcnt lgkmcnt(0)
	s_waitcnt_vscnt null, 0x0
	s_barrier
	buffer_gl0_inv
	s_clause 0x4
	scratch_load_b128 v[95:98], off, off offset:116
	scratch_load_b128 v[99:102], off, off offset:132
	;; [unrolled: 1-line block ×4, first 2 shown]
	scratch_load_b32 v119, off, off offset:180
	ds_load_2addr_b64 v[111:114], v94 offset0:39 offset1:40
	ds_load_2addr_b64 v[115:118], v94 offset0:41 offset1:42
	s_mov_b32 s0, exec_lo
	s_waitcnt vmcnt(4) lgkmcnt(1)
	v_fma_f32 v111, v96, v111, 0
	s_delay_alu instid0(VALU_DEP_1) | instskip(NEXT) | instid1(VALU_DEP_1)
	v_fmac_f32_e32 v111, v97, v112
	v_fmac_f32_e32 v111, v98, v113
	s_waitcnt vmcnt(3)
	s_delay_alu instid0(VALU_DEP_1) | instskip(SKIP_3) | instid1(VALU_DEP_1)
	v_fmac_f32_e32 v111, v99, v114
	ds_load_2addr_b64 v[96:99], v94 offset0:43 offset1:44
	s_waitcnt lgkmcnt(1)
	v_fmac_f32_e32 v111, v100, v115
	v_fmac_f32_e32 v111, v101, v116
	s_delay_alu instid0(VALU_DEP_1) | instskip(SKIP_1) | instid1(VALU_DEP_1)
	v_fmac_f32_e32 v111, v102, v117
	s_waitcnt vmcnt(2)
	v_fmac_f32_e32 v111, v103, v118
	ds_load_2addr_b64 v[100:103], v94 offset0:45 offset1:46
	s_waitcnt lgkmcnt(1)
	v_fmac_f32_e32 v111, v104, v96
	s_delay_alu instid0(VALU_DEP_1) | instskip(NEXT) | instid1(VALU_DEP_1)
	v_fmac_f32_e32 v111, v105, v97
	v_fmac_f32_e32 v111, v106, v98
	s_waitcnt vmcnt(1)
	s_delay_alu instid0(VALU_DEP_1) | instskip(SKIP_1) | instid1(VALU_DEP_1)
	v_fmac_f32_e32 v111, v107, v99
	s_waitcnt lgkmcnt(0)
	v_fmac_f32_e32 v111, v108, v100
	s_delay_alu instid0(VALU_DEP_1) | instskip(NEXT) | instid1(VALU_DEP_1)
	v_fmac_f32_e32 v111, v109, v101
	v_fmac_f32_e32 v111, v110, v102
	s_waitcnt vmcnt(0)
	s_delay_alu instid0(VALU_DEP_1) | instskip(NEXT) | instid1(VALU_DEP_1)
	v_fmac_f32_e32 v111, v119, v103
	v_sub_f32_e32 v94, v95, v111
	scratch_store_b32 off, v94, off offset:116
	v_cmpx_lt_u32_e32 28, v0
	s_cbranch_execz .LBB109_227
; %bb.226:
	scratch_load_b32 v94, off, off offset:112
	v_mov_b32_e32 v95, 0
	scratch_store_b32 off, v95, off offset:112
	s_waitcnt vmcnt(0)
	ds_store_b32 v93, v94
.LBB109_227:
	s_or_b32 exec_lo, exec_lo, s0
	s_waitcnt lgkmcnt(0)
	s_waitcnt_vscnt null, 0x0
	s_barrier
	buffer_gl0_inv
	s_clause 0x4
	scratch_load_b128 v[95:98], off, off offset:112
	scratch_load_b128 v[99:102], off, off offset:128
	;; [unrolled: 1-line block ×4, first 2 shown]
	scratch_load_b64 v[111:112], off, off offset:176
	v_mov_b32_e32 v94, 0
	ds_load_2addr_b32 v[113:114], v94 offset0:77 offset1:78
	ds_load_2addr_b32 v[115:116], v94 offset0:79 offset1:80
	;; [unrolled: 1-line block ×4, first 2 shown]
	s_mov_b32 s0, exec_lo
	s_waitcnt vmcnt(4) lgkmcnt(3)
	v_fma_f32 v113, v96, v113, 0
	s_delay_alu instid0(VALU_DEP_1) | instskip(SKIP_4) | instid1(VALU_DEP_1)
	v_fmac_f32_e32 v113, v97, v114
	ds_load_2addr_b32 v[96:97], v94 offset0:85 offset1:86
	s_waitcnt lgkmcnt(3)
	v_fmac_f32_e32 v113, v98, v115
	s_waitcnt vmcnt(3)
	v_fmac_f32_e32 v113, v99, v116
	ds_load_2addr_b32 v[98:99], v94 offset0:87 offset1:88
	s_waitcnt lgkmcnt(3)
	v_fmac_f32_e32 v113, v100, v117
	s_delay_alu instid0(VALU_DEP_1) | instskip(SKIP_1) | instid1(VALU_DEP_1)
	v_fmac_f32_e32 v113, v101, v118
	s_waitcnt lgkmcnt(2)
	v_fmac_f32_e32 v113, v102, v119
	s_waitcnt vmcnt(2)
	s_delay_alu instid0(VALU_DEP_1)
	v_fmac_f32_e32 v113, v103, v120
	ds_load_2addr_b32 v[100:101], v94 offset0:89 offset1:90
	ds_load_2addr_b32 v[102:103], v94 offset0:91 offset1:92
	s_waitcnt lgkmcnt(3)
	v_fmac_f32_e32 v113, v104, v96
	ds_load_b32 v96, v94 offset:372
	v_fmac_f32_e32 v113, v105, v97
	s_waitcnt lgkmcnt(3)
	s_delay_alu instid0(VALU_DEP_1) | instskip(SKIP_1) | instid1(VALU_DEP_1)
	v_fmac_f32_e32 v113, v106, v98
	s_waitcnt vmcnt(1)
	v_fmac_f32_e32 v113, v107, v99
	s_waitcnt lgkmcnt(2)
	s_delay_alu instid0(VALU_DEP_1) | instskip(NEXT) | instid1(VALU_DEP_1)
	v_fmac_f32_e32 v113, v108, v100
	v_fmac_f32_e32 v113, v109, v101
	s_waitcnt lgkmcnt(1)
	s_delay_alu instid0(VALU_DEP_1) | instskip(SKIP_1) | instid1(VALU_DEP_1)
	v_fmac_f32_e32 v113, v110, v102
	s_waitcnt vmcnt(0)
	v_fmac_f32_e32 v113, v111, v103
	s_waitcnt lgkmcnt(0)
	s_delay_alu instid0(VALU_DEP_1) | instskip(NEXT) | instid1(VALU_DEP_1)
	v_fmac_f32_e32 v113, v112, v96
	v_sub_f32_e32 v95, v95, v113
	scratch_store_b32 off, v95, off offset:112
	v_cmpx_lt_u32_e32 27, v0
	s_cbranch_execz .LBB109_229
; %bb.228:
	scratch_load_b32 v95, off, off offset:108
	scratch_store_b32 off, v94, off offset:108
	s_waitcnt vmcnt(0)
	ds_store_b32 v93, v95
.LBB109_229:
	s_or_b32 exec_lo, exec_lo, s0
	s_waitcnt lgkmcnt(0)
	s_waitcnt_vscnt null, 0x0
	s_barrier
	buffer_gl0_inv
	s_clause 0x4
	scratch_load_b128 v[95:98], off, off offset:108
	scratch_load_b128 v[99:102], off, off offset:124
	;; [unrolled: 1-line block ×4, first 2 shown]
	scratch_load_b96 v[119:121], off, off offset:172
	ds_load_b128 v[111:114], v94 offset:304
	ds_load_b128 v[115:118], v94 offset:320
	s_mov_b32 s0, exec_lo
	s_waitcnt vmcnt(4) lgkmcnt(1)
	v_fma_f32 v111, v96, v111, 0
	s_delay_alu instid0(VALU_DEP_1) | instskip(NEXT) | instid1(VALU_DEP_1)
	v_fmac_f32_e32 v111, v97, v112
	v_fmac_f32_e32 v111, v98, v113
	s_waitcnt vmcnt(3)
	s_delay_alu instid0(VALU_DEP_1) | instskip(SKIP_3) | instid1(VALU_DEP_1)
	v_fmac_f32_e32 v111, v99, v114
	ds_load_b128 v[96:99], v94 offset:336
	s_waitcnt lgkmcnt(1)
	v_fmac_f32_e32 v111, v100, v115
	v_fmac_f32_e32 v111, v101, v116
	s_delay_alu instid0(VALU_DEP_1) | instskip(SKIP_1) | instid1(VALU_DEP_1)
	v_fmac_f32_e32 v111, v102, v117
	s_waitcnt vmcnt(2)
	v_fmac_f32_e32 v111, v103, v118
	ds_load_b128 v[100:103], v94 offset:352
	s_waitcnt lgkmcnt(1)
	v_fmac_f32_e32 v111, v104, v96
	s_delay_alu instid0(VALU_DEP_1) | instskip(SKIP_3) | instid1(VALU_DEP_1)
	v_fmac_f32_e32 v111, v105, v97
	ds_load_b64 v[96:97], v94 offset:368
	v_fmac_f32_e32 v111, v106, v98
	s_waitcnt vmcnt(1)
	v_fmac_f32_e32 v111, v107, v99
	s_waitcnt lgkmcnt(1)
	s_delay_alu instid0(VALU_DEP_1) | instskip(NEXT) | instid1(VALU_DEP_1)
	v_fmac_f32_e32 v111, v108, v100
	v_fmac_f32_e32 v111, v109, v101
	s_delay_alu instid0(VALU_DEP_1) | instskip(SKIP_1) | instid1(VALU_DEP_1)
	v_fmac_f32_e32 v111, v110, v102
	s_waitcnt vmcnt(0)
	v_fmac_f32_e32 v111, v119, v103
	s_waitcnt lgkmcnt(0)
	s_delay_alu instid0(VALU_DEP_1) | instskip(NEXT) | instid1(VALU_DEP_1)
	v_fmac_f32_e32 v111, v120, v96
	v_fmac_f32_e32 v111, v121, v97
	s_delay_alu instid0(VALU_DEP_1)
	v_sub_f32_e32 v94, v95, v111
	scratch_store_b32 off, v94, off offset:108
	v_cmpx_lt_u32_e32 26, v0
	s_cbranch_execz .LBB109_231
; %bb.230:
	scratch_load_b32 v94, off, off offset:104
	v_mov_b32_e32 v95, 0
	scratch_store_b32 off, v95, off offset:104
	s_waitcnt vmcnt(0)
	ds_store_b32 v93, v94
.LBB109_231:
	s_or_b32 exec_lo, exec_lo, s0
	s_waitcnt lgkmcnt(0)
	s_waitcnt_vscnt null, 0x0
	s_barrier
	buffer_gl0_inv
	s_clause 0x4
	scratch_load_b128 v[95:98], off, off offset:104
	scratch_load_b128 v[99:102], off, off offset:120
	scratch_load_b128 v[103:106], off, off offset:136
	scratch_load_b128 v[107:110], off, off offset:152
	scratch_load_b128 v[111:114], off, off offset:168
	v_mov_b32_e32 v94, 0
	ds_load_2addr_b32 v[115:116], v94 offset0:75 offset1:76
	ds_load_2addr_b32 v[117:118], v94 offset0:77 offset1:78
	;; [unrolled: 1-line block ×4, first 2 shown]
	s_mov_b32 s0, exec_lo
	s_waitcnt vmcnt(4) lgkmcnt(3)
	v_fma_f32 v115, v96, v115, 0
	s_delay_alu instid0(VALU_DEP_1) | instskip(SKIP_4) | instid1(VALU_DEP_1)
	v_fmac_f32_e32 v115, v97, v116
	ds_load_2addr_b32 v[96:97], v94 offset0:83 offset1:84
	s_waitcnt lgkmcnt(3)
	v_fmac_f32_e32 v115, v98, v117
	s_waitcnt vmcnt(3)
	v_fmac_f32_e32 v115, v99, v118
	ds_load_2addr_b32 v[98:99], v94 offset0:85 offset1:86
	s_waitcnt lgkmcnt(3)
	v_fmac_f32_e32 v115, v100, v119
	s_delay_alu instid0(VALU_DEP_1) | instskip(SKIP_1) | instid1(VALU_DEP_1)
	v_fmac_f32_e32 v115, v101, v120
	s_waitcnt lgkmcnt(2)
	v_fmac_f32_e32 v115, v102, v121
	s_waitcnt vmcnt(2)
	s_delay_alu instid0(VALU_DEP_1) | instskip(SKIP_4) | instid1(VALU_DEP_1)
	v_fmac_f32_e32 v115, v103, v122
	ds_load_2addr_b32 v[100:101], v94 offset0:87 offset1:88
	ds_load_2addr_b32 v[102:103], v94 offset0:89 offset1:90
	s_waitcnt lgkmcnt(3)
	v_fmac_f32_e32 v115, v104, v96
	v_fmac_f32_e32 v115, v105, v97
	ds_load_2addr_b32 v[96:97], v94 offset0:91 offset1:92
	s_waitcnt lgkmcnt(3)
	v_fmac_f32_e32 v115, v106, v98
	ds_load_b32 v98, v94 offset:372
	s_waitcnt vmcnt(1)
	v_fmac_f32_e32 v115, v107, v99
	s_waitcnt lgkmcnt(3)
	s_delay_alu instid0(VALU_DEP_1) | instskip(NEXT) | instid1(VALU_DEP_1)
	v_fmac_f32_e32 v115, v108, v100
	v_fmac_f32_e32 v115, v109, v101
	s_waitcnt lgkmcnt(2)
	s_delay_alu instid0(VALU_DEP_1) | instskip(SKIP_1) | instid1(VALU_DEP_1)
	v_fmac_f32_e32 v115, v110, v102
	s_waitcnt vmcnt(0)
	v_fmac_f32_e32 v115, v111, v103
	s_waitcnt lgkmcnt(1)
	s_delay_alu instid0(VALU_DEP_1) | instskip(NEXT) | instid1(VALU_DEP_1)
	v_fmac_f32_e32 v115, v112, v96
	v_fmac_f32_e32 v115, v113, v97
	s_waitcnt lgkmcnt(0)
	s_delay_alu instid0(VALU_DEP_1) | instskip(NEXT) | instid1(VALU_DEP_1)
	v_fmac_f32_e32 v115, v114, v98
	v_sub_f32_e32 v95, v95, v115
	scratch_store_b32 off, v95, off offset:104
	v_cmpx_lt_u32_e32 25, v0
	s_cbranch_execz .LBB109_233
; %bb.232:
	scratch_load_b32 v95, off, off offset:100
	scratch_store_b32 off, v94, off offset:100
	s_waitcnt vmcnt(0)
	ds_store_b32 v93, v95
.LBB109_233:
	s_or_b32 exec_lo, exec_lo, s0
	s_waitcnt lgkmcnt(0)
	s_waitcnt_vscnt null, 0x0
	s_barrier
	buffer_gl0_inv
	s_clause 0x5
	scratch_load_b128 v[95:98], off, off offset:100
	scratch_load_b128 v[99:102], off, off offset:116
	;; [unrolled: 1-line block ×5, first 2 shown]
	scratch_load_b32 v123, off, off offset:180
	ds_load_2addr_b64 v[115:118], v94 offset0:37 offset1:38
	ds_load_2addr_b64 v[119:122], v94 offset0:39 offset1:40
	s_mov_b32 s0, exec_lo
	s_waitcnt vmcnt(5) lgkmcnt(1)
	v_fma_f32 v115, v96, v115, 0
	s_delay_alu instid0(VALU_DEP_1) | instskip(NEXT) | instid1(VALU_DEP_1)
	v_fmac_f32_e32 v115, v97, v116
	v_fmac_f32_e32 v115, v98, v117
	s_waitcnt vmcnt(4)
	s_delay_alu instid0(VALU_DEP_1) | instskip(SKIP_3) | instid1(VALU_DEP_1)
	v_fmac_f32_e32 v115, v99, v118
	ds_load_2addr_b64 v[96:99], v94 offset0:41 offset1:42
	s_waitcnt lgkmcnt(1)
	v_fmac_f32_e32 v115, v100, v119
	v_fmac_f32_e32 v115, v101, v120
	s_delay_alu instid0(VALU_DEP_1) | instskip(SKIP_1) | instid1(VALU_DEP_1)
	v_fmac_f32_e32 v115, v102, v121
	s_waitcnt vmcnt(3)
	v_fmac_f32_e32 v115, v103, v122
	ds_load_2addr_b64 v[100:103], v94 offset0:43 offset1:44
	s_waitcnt lgkmcnt(1)
	v_fmac_f32_e32 v115, v104, v96
	s_delay_alu instid0(VALU_DEP_1) | instskip(NEXT) | instid1(VALU_DEP_1)
	v_fmac_f32_e32 v115, v105, v97
	v_fmac_f32_e32 v115, v106, v98
	s_waitcnt vmcnt(2)
	s_delay_alu instid0(VALU_DEP_1) | instskip(SKIP_3) | instid1(VALU_DEP_1)
	v_fmac_f32_e32 v115, v107, v99
	ds_load_2addr_b64 v[96:99], v94 offset0:45 offset1:46
	s_waitcnt lgkmcnt(1)
	v_fmac_f32_e32 v115, v108, v100
	v_fmac_f32_e32 v115, v109, v101
	s_delay_alu instid0(VALU_DEP_1) | instskip(SKIP_1) | instid1(VALU_DEP_1)
	v_fmac_f32_e32 v115, v110, v102
	s_waitcnt vmcnt(1)
	v_fmac_f32_e32 v115, v111, v103
	s_waitcnt lgkmcnt(0)
	s_delay_alu instid0(VALU_DEP_1) | instskip(NEXT) | instid1(VALU_DEP_1)
	v_fmac_f32_e32 v115, v112, v96
	v_fmac_f32_e32 v115, v113, v97
	s_delay_alu instid0(VALU_DEP_1) | instskip(SKIP_1) | instid1(VALU_DEP_1)
	v_fmac_f32_e32 v115, v114, v98
	s_waitcnt vmcnt(0)
	v_fmac_f32_e32 v115, v123, v99
	s_delay_alu instid0(VALU_DEP_1)
	v_sub_f32_e32 v94, v95, v115
	scratch_store_b32 off, v94, off offset:100
	v_cmpx_lt_u32_e32 24, v0
	s_cbranch_execz .LBB109_235
; %bb.234:
	scratch_load_b32 v94, off, off offset:96
	v_mov_b32_e32 v95, 0
	scratch_store_b32 off, v95, off offset:96
	s_waitcnt vmcnt(0)
	ds_store_b32 v93, v94
.LBB109_235:
	s_or_b32 exec_lo, exec_lo, s0
	s_waitcnt lgkmcnt(0)
	s_waitcnt_vscnt null, 0x0
	s_barrier
	buffer_gl0_inv
	s_clause 0x5
	scratch_load_b128 v[95:98], off, off offset:96
	scratch_load_b128 v[99:102], off, off offset:112
	;; [unrolled: 1-line block ×5, first 2 shown]
	scratch_load_b64 v[115:116], off, off offset:176
	v_mov_b32_e32 v94, 0
	ds_load_2addr_b32 v[117:118], v94 offset0:73 offset1:74
	ds_load_2addr_b32 v[119:120], v94 offset0:75 offset1:76
	;; [unrolled: 1-line block ×4, first 2 shown]
	s_mov_b32 s0, exec_lo
	s_waitcnt vmcnt(5) lgkmcnt(3)
	v_fma_f32 v117, v96, v117, 0
	s_delay_alu instid0(VALU_DEP_1) | instskip(SKIP_4) | instid1(VALU_DEP_1)
	v_fmac_f32_e32 v117, v97, v118
	ds_load_2addr_b32 v[96:97], v94 offset0:81 offset1:82
	s_waitcnt lgkmcnt(3)
	v_fmac_f32_e32 v117, v98, v119
	s_waitcnt vmcnt(4)
	v_fmac_f32_e32 v117, v99, v120
	ds_load_2addr_b32 v[98:99], v94 offset0:83 offset1:84
	s_waitcnt lgkmcnt(3)
	v_fmac_f32_e32 v117, v100, v121
	s_delay_alu instid0(VALU_DEP_1) | instskip(SKIP_1) | instid1(VALU_DEP_1)
	v_fmac_f32_e32 v117, v101, v122
	s_waitcnt lgkmcnt(2)
	v_fmac_f32_e32 v117, v102, v123
	s_waitcnt vmcnt(3)
	s_delay_alu instid0(VALU_DEP_1) | instskip(SKIP_4) | instid1(VALU_DEP_1)
	v_fmac_f32_e32 v117, v103, v124
	ds_load_2addr_b32 v[100:101], v94 offset0:85 offset1:86
	ds_load_2addr_b32 v[102:103], v94 offset0:87 offset1:88
	s_waitcnt lgkmcnt(3)
	v_fmac_f32_e32 v117, v104, v96
	v_fmac_f32_e32 v117, v105, v97
	ds_load_2addr_b32 v[96:97], v94 offset0:89 offset1:90
	s_waitcnt lgkmcnt(3)
	v_fmac_f32_e32 v117, v106, v98
	s_waitcnt vmcnt(2)
	s_delay_alu instid0(VALU_DEP_1)
	v_fmac_f32_e32 v117, v107, v99
	ds_load_2addr_b32 v[98:99], v94 offset0:91 offset1:92
	s_waitcnt lgkmcnt(3)
	v_fmac_f32_e32 v117, v108, v100
	ds_load_b32 v100, v94 offset:372
	v_fmac_f32_e32 v117, v109, v101
	s_waitcnt lgkmcnt(3)
	s_delay_alu instid0(VALU_DEP_1) | instskip(SKIP_1) | instid1(VALU_DEP_1)
	v_fmac_f32_e32 v117, v110, v102
	s_waitcnt vmcnt(1)
	v_fmac_f32_e32 v117, v111, v103
	s_waitcnt lgkmcnt(2)
	s_delay_alu instid0(VALU_DEP_1) | instskip(NEXT) | instid1(VALU_DEP_1)
	v_fmac_f32_e32 v117, v112, v96
	v_fmac_f32_e32 v117, v113, v97
	s_waitcnt lgkmcnt(1)
	s_delay_alu instid0(VALU_DEP_1) | instskip(SKIP_1) | instid1(VALU_DEP_1)
	v_fmac_f32_e32 v117, v114, v98
	s_waitcnt vmcnt(0)
	v_fmac_f32_e32 v117, v115, v99
	s_waitcnt lgkmcnt(0)
	s_delay_alu instid0(VALU_DEP_1) | instskip(NEXT) | instid1(VALU_DEP_1)
	v_fmac_f32_e32 v117, v116, v100
	v_sub_f32_e32 v95, v95, v117
	scratch_store_b32 off, v95, off offset:96
	v_cmpx_lt_u32_e32 23, v0
	s_cbranch_execz .LBB109_237
; %bb.236:
	scratch_load_b32 v95, off, off offset:92
	scratch_store_b32 off, v94, off offset:92
	s_waitcnt vmcnt(0)
	ds_store_b32 v93, v95
.LBB109_237:
	s_or_b32 exec_lo, exec_lo, s0
	s_waitcnt lgkmcnt(0)
	s_waitcnt_vscnt null, 0x0
	s_barrier
	buffer_gl0_inv
	s_clause 0x5
	scratch_load_b128 v[95:98], off, off offset:92
	scratch_load_b128 v[99:102], off, off offset:108
	;; [unrolled: 1-line block ×5, first 2 shown]
	scratch_load_b96 v[123:125], off, off offset:172
	ds_load_b128 v[115:118], v94 offset:288
	ds_load_b128 v[119:122], v94 offset:304
	s_mov_b32 s0, exec_lo
	s_waitcnt vmcnt(5) lgkmcnt(1)
	v_fma_f32 v115, v96, v115, 0
	s_delay_alu instid0(VALU_DEP_1) | instskip(NEXT) | instid1(VALU_DEP_1)
	v_fmac_f32_e32 v115, v97, v116
	v_fmac_f32_e32 v115, v98, v117
	s_waitcnt vmcnt(4)
	s_delay_alu instid0(VALU_DEP_1) | instskip(SKIP_3) | instid1(VALU_DEP_1)
	v_fmac_f32_e32 v115, v99, v118
	ds_load_b128 v[96:99], v94 offset:320
	s_waitcnt lgkmcnt(1)
	v_fmac_f32_e32 v115, v100, v119
	v_fmac_f32_e32 v115, v101, v120
	s_delay_alu instid0(VALU_DEP_1) | instskip(SKIP_1) | instid1(VALU_DEP_1)
	v_fmac_f32_e32 v115, v102, v121
	s_waitcnt vmcnt(3)
	v_fmac_f32_e32 v115, v103, v122
	ds_load_b128 v[100:103], v94 offset:336
	s_waitcnt lgkmcnt(1)
	v_fmac_f32_e32 v115, v104, v96
	s_delay_alu instid0(VALU_DEP_1) | instskip(NEXT) | instid1(VALU_DEP_1)
	v_fmac_f32_e32 v115, v105, v97
	v_fmac_f32_e32 v115, v106, v98
	s_waitcnt vmcnt(2)
	s_delay_alu instid0(VALU_DEP_1) | instskip(SKIP_3) | instid1(VALU_DEP_1)
	v_fmac_f32_e32 v115, v107, v99
	ds_load_b128 v[96:99], v94 offset:352
	s_waitcnt lgkmcnt(1)
	v_fmac_f32_e32 v115, v108, v100
	v_fmac_f32_e32 v115, v109, v101
	ds_load_b64 v[100:101], v94 offset:368
	v_fmac_f32_e32 v115, v110, v102
	s_waitcnt vmcnt(1)
	s_delay_alu instid0(VALU_DEP_1) | instskip(SKIP_1) | instid1(VALU_DEP_1)
	v_fmac_f32_e32 v115, v111, v103
	s_waitcnt lgkmcnt(1)
	v_fmac_f32_e32 v115, v112, v96
	s_delay_alu instid0(VALU_DEP_1) | instskip(NEXT) | instid1(VALU_DEP_1)
	v_fmac_f32_e32 v115, v113, v97
	v_fmac_f32_e32 v115, v114, v98
	s_waitcnt vmcnt(0)
	s_delay_alu instid0(VALU_DEP_1) | instskip(SKIP_1) | instid1(VALU_DEP_1)
	v_fmac_f32_e32 v115, v123, v99
	s_waitcnt lgkmcnt(0)
	v_fmac_f32_e32 v115, v124, v100
	s_delay_alu instid0(VALU_DEP_1) | instskip(NEXT) | instid1(VALU_DEP_1)
	v_fmac_f32_e32 v115, v125, v101
	v_sub_f32_e32 v94, v95, v115
	scratch_store_b32 off, v94, off offset:92
	v_cmpx_lt_u32_e32 22, v0
	s_cbranch_execz .LBB109_239
; %bb.238:
	scratch_load_b32 v94, off, off offset:88
	v_mov_b32_e32 v95, 0
	scratch_store_b32 off, v95, off offset:88
	s_waitcnt vmcnt(0)
	ds_store_b32 v93, v94
.LBB109_239:
	s_or_b32 exec_lo, exec_lo, s0
	s_waitcnt lgkmcnt(0)
	s_waitcnt_vscnt null, 0x0
	s_barrier
	buffer_gl0_inv
	s_clause 0x5
	scratch_load_b128 v[95:98], off, off offset:88
	scratch_load_b128 v[99:102], off, off offset:104
	;; [unrolled: 1-line block ×6, first 2 shown]
	v_mov_b32_e32 v94, 0
	ds_load_2addr_b32 v[119:120], v94 offset0:71 offset1:72
	ds_load_2addr_b32 v[121:122], v94 offset0:73 offset1:74
	;; [unrolled: 1-line block ×4, first 2 shown]
	s_mov_b32 s0, exec_lo
	s_waitcnt vmcnt(5) lgkmcnt(3)
	v_fma_f32 v119, v96, v119, 0
	s_delay_alu instid0(VALU_DEP_1) | instskip(SKIP_4) | instid1(VALU_DEP_1)
	v_fmac_f32_e32 v119, v97, v120
	ds_load_2addr_b32 v[96:97], v94 offset0:79 offset1:80
	s_waitcnt lgkmcnt(3)
	v_fmac_f32_e32 v119, v98, v121
	s_waitcnt vmcnt(4)
	v_fmac_f32_e32 v119, v99, v122
	ds_load_2addr_b32 v[98:99], v94 offset0:81 offset1:82
	s_waitcnt lgkmcnt(3)
	v_fmac_f32_e32 v119, v100, v123
	s_delay_alu instid0(VALU_DEP_1) | instskip(SKIP_1) | instid1(VALU_DEP_1)
	v_fmac_f32_e32 v119, v101, v124
	s_waitcnt lgkmcnt(2)
	v_fmac_f32_e32 v119, v102, v125
	s_waitcnt vmcnt(3)
	s_delay_alu instid0(VALU_DEP_1) | instskip(SKIP_4) | instid1(VALU_DEP_1)
	v_fmac_f32_e32 v119, v103, v126
	ds_load_2addr_b32 v[100:101], v94 offset0:83 offset1:84
	ds_load_2addr_b32 v[102:103], v94 offset0:85 offset1:86
	s_waitcnt lgkmcnt(3)
	v_fmac_f32_e32 v119, v104, v96
	v_fmac_f32_e32 v119, v105, v97
	ds_load_2addr_b32 v[96:97], v94 offset0:87 offset1:88
	s_waitcnt lgkmcnt(3)
	v_fmac_f32_e32 v119, v106, v98
	s_waitcnt vmcnt(2)
	s_delay_alu instid0(VALU_DEP_1) | instskip(SKIP_3) | instid1(VALU_DEP_1)
	v_fmac_f32_e32 v119, v107, v99
	ds_load_2addr_b32 v[98:99], v94 offset0:89 offset1:90
	s_waitcnt lgkmcnt(3)
	v_fmac_f32_e32 v119, v108, v100
	v_fmac_f32_e32 v119, v109, v101
	s_waitcnt lgkmcnt(2)
	s_delay_alu instid0(VALU_DEP_1)
	v_fmac_f32_e32 v119, v110, v102
	ds_load_2addr_b32 v[100:101], v94 offset0:91 offset1:92
	ds_load_b32 v102, v94 offset:372
	s_waitcnt vmcnt(1)
	v_fmac_f32_e32 v119, v111, v103
	s_waitcnt lgkmcnt(3)
	s_delay_alu instid0(VALU_DEP_1) | instskip(NEXT) | instid1(VALU_DEP_1)
	v_fmac_f32_e32 v119, v112, v96
	v_fmac_f32_e32 v119, v113, v97
	s_waitcnt lgkmcnt(2)
	s_delay_alu instid0(VALU_DEP_1) | instskip(SKIP_1) | instid1(VALU_DEP_1)
	v_fmac_f32_e32 v119, v114, v98
	s_waitcnt vmcnt(0)
	v_fmac_f32_e32 v119, v115, v99
	s_waitcnt lgkmcnt(1)
	s_delay_alu instid0(VALU_DEP_1) | instskip(NEXT) | instid1(VALU_DEP_1)
	v_fmac_f32_e32 v119, v116, v100
	v_fmac_f32_e32 v119, v117, v101
	s_waitcnt lgkmcnt(0)
	s_delay_alu instid0(VALU_DEP_1) | instskip(NEXT) | instid1(VALU_DEP_1)
	v_fmac_f32_e32 v119, v118, v102
	v_sub_f32_e32 v95, v95, v119
	scratch_store_b32 off, v95, off offset:88
	v_cmpx_lt_u32_e32 21, v0
	s_cbranch_execz .LBB109_241
; %bb.240:
	scratch_load_b32 v95, off, off offset:84
	scratch_store_b32 off, v94, off offset:84
	s_waitcnt vmcnt(0)
	ds_store_b32 v93, v95
.LBB109_241:
	s_or_b32 exec_lo, exec_lo, s0
	s_waitcnt lgkmcnt(0)
	s_waitcnt_vscnt null, 0x0
	s_barrier
	buffer_gl0_inv
	s_clause 0x6
	scratch_load_b128 v[95:98], off, off offset:84
	scratch_load_b128 v[99:102], off, off offset:100
	;; [unrolled: 1-line block ×6, first 2 shown]
	scratch_load_b32 v127, off, off offset:180
	ds_load_2addr_b64 v[119:122], v94 offset0:35 offset1:36
	ds_load_2addr_b64 v[123:126], v94 offset0:37 offset1:38
	s_mov_b32 s0, exec_lo
	s_waitcnt vmcnt(6) lgkmcnt(1)
	v_fma_f32 v119, v96, v119, 0
	s_delay_alu instid0(VALU_DEP_1) | instskip(NEXT) | instid1(VALU_DEP_1)
	v_fmac_f32_e32 v119, v97, v120
	v_fmac_f32_e32 v119, v98, v121
	s_waitcnt vmcnt(5)
	s_delay_alu instid0(VALU_DEP_1) | instskip(SKIP_3) | instid1(VALU_DEP_1)
	v_fmac_f32_e32 v119, v99, v122
	ds_load_2addr_b64 v[96:99], v94 offset0:39 offset1:40
	s_waitcnt lgkmcnt(1)
	v_fmac_f32_e32 v119, v100, v123
	v_fmac_f32_e32 v119, v101, v124
	s_delay_alu instid0(VALU_DEP_1) | instskip(SKIP_1) | instid1(VALU_DEP_1)
	v_fmac_f32_e32 v119, v102, v125
	s_waitcnt vmcnt(4)
	v_fmac_f32_e32 v119, v103, v126
	ds_load_2addr_b64 v[100:103], v94 offset0:41 offset1:42
	s_waitcnt lgkmcnt(1)
	v_fmac_f32_e32 v119, v104, v96
	s_delay_alu instid0(VALU_DEP_1) | instskip(NEXT) | instid1(VALU_DEP_1)
	v_fmac_f32_e32 v119, v105, v97
	v_fmac_f32_e32 v119, v106, v98
	s_waitcnt vmcnt(3)
	s_delay_alu instid0(VALU_DEP_1) | instskip(SKIP_3) | instid1(VALU_DEP_1)
	v_fmac_f32_e32 v119, v107, v99
	ds_load_2addr_b64 v[96:99], v94 offset0:43 offset1:44
	s_waitcnt lgkmcnt(1)
	v_fmac_f32_e32 v119, v108, v100
	v_fmac_f32_e32 v119, v109, v101
	s_delay_alu instid0(VALU_DEP_1) | instskip(SKIP_1) | instid1(VALU_DEP_1)
	v_fmac_f32_e32 v119, v110, v102
	s_waitcnt vmcnt(2)
	v_fmac_f32_e32 v119, v111, v103
	ds_load_2addr_b64 v[100:103], v94 offset0:45 offset1:46
	s_waitcnt lgkmcnt(1)
	v_fmac_f32_e32 v119, v112, v96
	s_delay_alu instid0(VALU_DEP_1) | instskip(NEXT) | instid1(VALU_DEP_1)
	v_fmac_f32_e32 v119, v113, v97
	v_fmac_f32_e32 v119, v114, v98
	s_waitcnt vmcnt(1)
	s_delay_alu instid0(VALU_DEP_1) | instskip(SKIP_1) | instid1(VALU_DEP_1)
	v_fmac_f32_e32 v119, v115, v99
	s_waitcnt lgkmcnt(0)
	v_fmac_f32_e32 v119, v116, v100
	s_delay_alu instid0(VALU_DEP_1) | instskip(NEXT) | instid1(VALU_DEP_1)
	v_fmac_f32_e32 v119, v117, v101
	v_fmac_f32_e32 v119, v118, v102
	s_waitcnt vmcnt(0)
	s_delay_alu instid0(VALU_DEP_1) | instskip(NEXT) | instid1(VALU_DEP_1)
	v_fmac_f32_e32 v119, v127, v103
	v_sub_f32_e32 v94, v95, v119
	scratch_store_b32 off, v94, off offset:84
	v_cmpx_lt_u32_e32 20, v0
	s_cbranch_execz .LBB109_243
; %bb.242:
	scratch_load_b32 v94, off, off offset:80
	v_mov_b32_e32 v95, 0
	scratch_store_b32 off, v95, off offset:80
	s_waitcnt vmcnt(0)
	ds_store_b32 v93, v94
.LBB109_243:
	s_or_b32 exec_lo, exec_lo, s0
	s_waitcnt lgkmcnt(0)
	s_waitcnt_vscnt null, 0x0
	s_barrier
	buffer_gl0_inv
	s_clause 0x6
	scratch_load_b128 v[95:98], off, off offset:80
	scratch_load_b128 v[99:102], off, off offset:96
	;; [unrolled: 1-line block ×6, first 2 shown]
	scratch_load_b64 v[119:120], off, off offset:176
	v_mov_b32_e32 v94, 0
	ds_load_2addr_b32 v[121:122], v94 offset0:69 offset1:70
	ds_load_2addr_b32 v[123:124], v94 offset0:71 offset1:72
	;; [unrolled: 1-line block ×4, first 2 shown]
	s_mov_b32 s0, exec_lo
	s_waitcnt vmcnt(6) lgkmcnt(3)
	v_fma_f32 v121, v96, v121, 0
	s_delay_alu instid0(VALU_DEP_1) | instskip(SKIP_4) | instid1(VALU_DEP_1)
	v_fmac_f32_e32 v121, v97, v122
	ds_load_2addr_b32 v[96:97], v94 offset0:77 offset1:78
	s_waitcnt lgkmcnt(3)
	v_fmac_f32_e32 v121, v98, v123
	s_waitcnt vmcnt(5)
	v_fmac_f32_e32 v121, v99, v124
	ds_load_2addr_b32 v[98:99], v94 offset0:79 offset1:80
	s_waitcnt lgkmcnt(3)
	v_fmac_f32_e32 v121, v100, v125
	s_delay_alu instid0(VALU_DEP_1) | instskip(SKIP_1) | instid1(VALU_DEP_1)
	v_fmac_f32_e32 v121, v101, v126
	s_waitcnt lgkmcnt(2)
	v_fmac_f32_e32 v121, v102, v127
	s_waitcnt vmcnt(4)
	s_delay_alu instid0(VALU_DEP_1) | instskip(SKIP_4) | instid1(VALU_DEP_1)
	v_fmac_f32_e32 v121, v103, v128
	ds_load_2addr_b32 v[100:101], v94 offset0:81 offset1:82
	ds_load_2addr_b32 v[102:103], v94 offset0:83 offset1:84
	s_waitcnt lgkmcnt(3)
	v_fmac_f32_e32 v121, v104, v96
	v_fmac_f32_e32 v121, v105, v97
	ds_load_2addr_b32 v[96:97], v94 offset0:85 offset1:86
	s_waitcnt lgkmcnt(3)
	v_fmac_f32_e32 v121, v106, v98
	s_waitcnt vmcnt(3)
	s_delay_alu instid0(VALU_DEP_1) | instskip(SKIP_3) | instid1(VALU_DEP_1)
	v_fmac_f32_e32 v121, v107, v99
	ds_load_2addr_b32 v[98:99], v94 offset0:87 offset1:88
	s_waitcnt lgkmcnt(3)
	v_fmac_f32_e32 v121, v108, v100
	v_fmac_f32_e32 v121, v109, v101
	s_waitcnt lgkmcnt(2)
	s_delay_alu instid0(VALU_DEP_1) | instskip(SKIP_1) | instid1(VALU_DEP_1)
	v_fmac_f32_e32 v121, v110, v102
	s_waitcnt vmcnt(2)
	v_fmac_f32_e32 v121, v111, v103
	ds_load_2addr_b32 v[100:101], v94 offset0:89 offset1:90
	ds_load_2addr_b32 v[102:103], v94 offset0:91 offset1:92
	s_waitcnt lgkmcnt(3)
	v_fmac_f32_e32 v121, v112, v96
	ds_load_b32 v96, v94 offset:372
	v_fmac_f32_e32 v121, v113, v97
	s_waitcnt lgkmcnt(3)
	s_delay_alu instid0(VALU_DEP_1) | instskip(SKIP_1) | instid1(VALU_DEP_1)
	v_fmac_f32_e32 v121, v114, v98
	s_waitcnt vmcnt(1)
	v_fmac_f32_e32 v121, v115, v99
	s_waitcnt lgkmcnt(2)
	s_delay_alu instid0(VALU_DEP_1) | instskip(NEXT) | instid1(VALU_DEP_1)
	v_fmac_f32_e32 v121, v116, v100
	v_fmac_f32_e32 v121, v117, v101
	s_waitcnt lgkmcnt(1)
	s_delay_alu instid0(VALU_DEP_1) | instskip(SKIP_1) | instid1(VALU_DEP_1)
	v_fmac_f32_e32 v121, v118, v102
	s_waitcnt vmcnt(0)
	v_fmac_f32_e32 v121, v119, v103
	s_waitcnt lgkmcnt(0)
	s_delay_alu instid0(VALU_DEP_1) | instskip(NEXT) | instid1(VALU_DEP_1)
	v_fmac_f32_e32 v121, v120, v96
	v_sub_f32_e32 v95, v95, v121
	scratch_store_b32 off, v95, off offset:80
	v_cmpx_lt_u32_e32 19, v0
	s_cbranch_execz .LBB109_245
; %bb.244:
	scratch_load_b32 v95, off, off offset:76
	scratch_store_b32 off, v94, off offset:76
	s_waitcnt vmcnt(0)
	ds_store_b32 v93, v95
.LBB109_245:
	s_or_b32 exec_lo, exec_lo, s0
	s_waitcnt lgkmcnt(0)
	s_waitcnt_vscnt null, 0x0
	s_barrier
	buffer_gl0_inv
	s_clause 0x6
	scratch_load_b128 v[95:98], off, off offset:76
	scratch_load_b128 v[99:102], off, off offset:92
	;; [unrolled: 1-line block ×6, first 2 shown]
	scratch_load_b96 v[127:129], off, off offset:172
	ds_load_b128 v[119:122], v94 offset:272
	ds_load_b128 v[123:126], v94 offset:288
	s_mov_b32 s0, exec_lo
	s_waitcnt vmcnt(6) lgkmcnt(1)
	v_fma_f32 v119, v96, v119, 0
	s_delay_alu instid0(VALU_DEP_1) | instskip(NEXT) | instid1(VALU_DEP_1)
	v_fmac_f32_e32 v119, v97, v120
	v_fmac_f32_e32 v119, v98, v121
	s_waitcnt vmcnt(5)
	s_delay_alu instid0(VALU_DEP_1) | instskip(SKIP_3) | instid1(VALU_DEP_1)
	v_fmac_f32_e32 v119, v99, v122
	ds_load_b128 v[96:99], v94 offset:304
	s_waitcnt lgkmcnt(1)
	v_fmac_f32_e32 v119, v100, v123
	v_fmac_f32_e32 v119, v101, v124
	s_delay_alu instid0(VALU_DEP_1) | instskip(SKIP_1) | instid1(VALU_DEP_1)
	v_fmac_f32_e32 v119, v102, v125
	s_waitcnt vmcnt(4)
	v_fmac_f32_e32 v119, v103, v126
	ds_load_b128 v[100:103], v94 offset:320
	s_waitcnt lgkmcnt(1)
	v_fmac_f32_e32 v119, v104, v96
	s_delay_alu instid0(VALU_DEP_1) | instskip(NEXT) | instid1(VALU_DEP_1)
	v_fmac_f32_e32 v119, v105, v97
	v_fmac_f32_e32 v119, v106, v98
	s_waitcnt vmcnt(3)
	s_delay_alu instid0(VALU_DEP_1) | instskip(SKIP_3) | instid1(VALU_DEP_1)
	v_fmac_f32_e32 v119, v107, v99
	ds_load_b128 v[96:99], v94 offset:336
	s_waitcnt lgkmcnt(1)
	v_fmac_f32_e32 v119, v108, v100
	v_fmac_f32_e32 v119, v109, v101
	s_delay_alu instid0(VALU_DEP_1) | instskip(SKIP_1) | instid1(VALU_DEP_1)
	v_fmac_f32_e32 v119, v110, v102
	s_waitcnt vmcnt(2)
	v_fmac_f32_e32 v119, v111, v103
	ds_load_b128 v[100:103], v94 offset:352
	s_waitcnt lgkmcnt(1)
	v_fmac_f32_e32 v119, v112, v96
	s_delay_alu instid0(VALU_DEP_1) | instskip(SKIP_3) | instid1(VALU_DEP_1)
	v_fmac_f32_e32 v119, v113, v97
	ds_load_b64 v[96:97], v94 offset:368
	v_fmac_f32_e32 v119, v114, v98
	s_waitcnt vmcnt(1)
	v_fmac_f32_e32 v119, v115, v99
	s_waitcnt lgkmcnt(1)
	s_delay_alu instid0(VALU_DEP_1) | instskip(NEXT) | instid1(VALU_DEP_1)
	v_fmac_f32_e32 v119, v116, v100
	v_fmac_f32_e32 v119, v117, v101
	s_delay_alu instid0(VALU_DEP_1) | instskip(SKIP_1) | instid1(VALU_DEP_1)
	v_fmac_f32_e32 v119, v118, v102
	s_waitcnt vmcnt(0)
	v_fmac_f32_e32 v119, v127, v103
	s_waitcnt lgkmcnt(0)
	s_delay_alu instid0(VALU_DEP_1) | instskip(NEXT) | instid1(VALU_DEP_1)
	v_fmac_f32_e32 v119, v128, v96
	v_fmac_f32_e32 v119, v129, v97
	s_delay_alu instid0(VALU_DEP_1)
	v_sub_f32_e32 v94, v95, v119
	scratch_store_b32 off, v94, off offset:76
	v_cmpx_lt_u32_e32 18, v0
	s_cbranch_execz .LBB109_247
; %bb.246:
	scratch_load_b32 v94, off, off offset:72
	v_mov_b32_e32 v95, 0
	scratch_store_b32 off, v95, off offset:72
	s_waitcnt vmcnt(0)
	ds_store_b32 v93, v94
.LBB109_247:
	s_or_b32 exec_lo, exec_lo, s0
	s_waitcnt lgkmcnt(0)
	s_waitcnt_vscnt null, 0x0
	s_barrier
	buffer_gl0_inv
	s_clause 0x6
	scratch_load_b128 v[95:98], off, off offset:72
	scratch_load_b128 v[99:102], off, off offset:88
	scratch_load_b128 v[103:106], off, off offset:104
	scratch_load_b128 v[107:110], off, off offset:120
	scratch_load_b128 v[111:114], off, off offset:136
	scratch_load_b128 v[115:118], off, off offset:152
	scratch_load_b128 v[119:122], off, off offset:168
	v_mov_b32_e32 v94, 0
	ds_load_2addr_b32 v[123:124], v94 offset0:67 offset1:68
	ds_load_2addr_b32 v[125:126], v94 offset0:69 offset1:70
	ds_load_2addr_b32 v[127:128], v94 offset0:71 offset1:72
	ds_load_2addr_b32 v[129:130], v94 offset0:73 offset1:74
	s_mov_b32 s0, exec_lo
	s_waitcnt vmcnt(6) lgkmcnt(3)
	v_fma_f32 v123, v96, v123, 0
	s_delay_alu instid0(VALU_DEP_1) | instskip(SKIP_4) | instid1(VALU_DEP_1)
	v_fmac_f32_e32 v123, v97, v124
	ds_load_2addr_b32 v[96:97], v94 offset0:75 offset1:76
	s_waitcnt lgkmcnt(3)
	v_fmac_f32_e32 v123, v98, v125
	s_waitcnt vmcnt(5)
	v_fmac_f32_e32 v123, v99, v126
	ds_load_2addr_b32 v[98:99], v94 offset0:77 offset1:78
	s_waitcnt lgkmcnt(3)
	v_fmac_f32_e32 v123, v100, v127
	s_delay_alu instid0(VALU_DEP_1) | instskip(SKIP_1) | instid1(VALU_DEP_1)
	v_fmac_f32_e32 v123, v101, v128
	s_waitcnt lgkmcnt(2)
	v_fmac_f32_e32 v123, v102, v129
	s_waitcnt vmcnt(4)
	s_delay_alu instid0(VALU_DEP_1) | instskip(SKIP_4) | instid1(VALU_DEP_1)
	v_fmac_f32_e32 v123, v103, v130
	ds_load_2addr_b32 v[100:101], v94 offset0:79 offset1:80
	ds_load_2addr_b32 v[102:103], v94 offset0:81 offset1:82
	s_waitcnt lgkmcnt(3)
	v_fmac_f32_e32 v123, v104, v96
	v_fmac_f32_e32 v123, v105, v97
	ds_load_2addr_b32 v[96:97], v94 offset0:83 offset1:84
	s_waitcnt lgkmcnt(3)
	v_fmac_f32_e32 v123, v106, v98
	s_waitcnt vmcnt(3)
	s_delay_alu instid0(VALU_DEP_1) | instskip(SKIP_3) | instid1(VALU_DEP_1)
	v_fmac_f32_e32 v123, v107, v99
	ds_load_2addr_b32 v[98:99], v94 offset0:85 offset1:86
	s_waitcnt lgkmcnt(3)
	v_fmac_f32_e32 v123, v108, v100
	v_fmac_f32_e32 v123, v109, v101
	s_waitcnt lgkmcnt(2)
	s_delay_alu instid0(VALU_DEP_1) | instskip(SKIP_1) | instid1(VALU_DEP_1)
	v_fmac_f32_e32 v123, v110, v102
	s_waitcnt vmcnt(2)
	v_fmac_f32_e32 v123, v111, v103
	ds_load_2addr_b32 v[100:101], v94 offset0:87 offset1:88
	ds_load_2addr_b32 v[102:103], v94 offset0:89 offset1:90
	s_waitcnt lgkmcnt(3)
	v_fmac_f32_e32 v123, v112, v96
	s_delay_alu instid0(VALU_DEP_1)
	v_fmac_f32_e32 v123, v113, v97
	ds_load_2addr_b32 v[96:97], v94 offset0:91 offset1:92
	s_waitcnt lgkmcnt(3)
	v_fmac_f32_e32 v123, v114, v98
	ds_load_b32 v98, v94 offset:372
	s_waitcnt vmcnt(1)
	v_fmac_f32_e32 v123, v115, v99
	s_waitcnt lgkmcnt(3)
	s_delay_alu instid0(VALU_DEP_1) | instskip(NEXT) | instid1(VALU_DEP_1)
	v_fmac_f32_e32 v123, v116, v100
	v_fmac_f32_e32 v123, v117, v101
	s_waitcnt lgkmcnt(2)
	s_delay_alu instid0(VALU_DEP_1) | instskip(SKIP_1) | instid1(VALU_DEP_1)
	v_fmac_f32_e32 v123, v118, v102
	s_waitcnt vmcnt(0)
	v_fmac_f32_e32 v123, v119, v103
	s_waitcnt lgkmcnt(1)
	s_delay_alu instid0(VALU_DEP_1) | instskip(NEXT) | instid1(VALU_DEP_1)
	v_fmac_f32_e32 v123, v120, v96
	v_fmac_f32_e32 v123, v121, v97
	s_waitcnt lgkmcnt(0)
	s_delay_alu instid0(VALU_DEP_1) | instskip(NEXT) | instid1(VALU_DEP_1)
	v_fmac_f32_e32 v123, v122, v98
	v_sub_f32_e32 v95, v95, v123
	scratch_store_b32 off, v95, off offset:72
	v_cmpx_lt_u32_e32 17, v0
	s_cbranch_execz .LBB109_249
; %bb.248:
	scratch_load_b32 v95, off, off offset:68
	scratch_store_b32 off, v94, off offset:68
	s_waitcnt vmcnt(0)
	ds_store_b32 v93, v95
.LBB109_249:
	s_or_b32 exec_lo, exec_lo, s0
	s_waitcnt lgkmcnt(0)
	s_waitcnt_vscnt null, 0x0
	s_barrier
	buffer_gl0_inv
	s_clause 0x7
	scratch_load_b128 v[95:98], off, off offset:68
	scratch_load_b128 v[99:102], off, off offset:84
	;; [unrolled: 1-line block ×7, first 2 shown]
	scratch_load_b32 v131, off, off offset:180
	ds_load_2addr_b64 v[123:126], v94 offset0:33 offset1:34
	ds_load_2addr_b64 v[127:130], v94 offset0:35 offset1:36
	s_mov_b32 s0, exec_lo
	s_waitcnt vmcnt(7) lgkmcnt(1)
	v_fma_f32 v123, v96, v123, 0
	s_delay_alu instid0(VALU_DEP_1) | instskip(NEXT) | instid1(VALU_DEP_1)
	v_fmac_f32_e32 v123, v97, v124
	v_fmac_f32_e32 v123, v98, v125
	s_waitcnt vmcnt(6)
	s_delay_alu instid0(VALU_DEP_1) | instskip(SKIP_3) | instid1(VALU_DEP_1)
	v_fmac_f32_e32 v123, v99, v126
	ds_load_2addr_b64 v[96:99], v94 offset0:37 offset1:38
	s_waitcnt lgkmcnt(1)
	v_fmac_f32_e32 v123, v100, v127
	v_fmac_f32_e32 v123, v101, v128
	s_delay_alu instid0(VALU_DEP_1) | instskip(SKIP_1) | instid1(VALU_DEP_1)
	v_fmac_f32_e32 v123, v102, v129
	s_waitcnt vmcnt(5)
	v_fmac_f32_e32 v123, v103, v130
	ds_load_2addr_b64 v[100:103], v94 offset0:39 offset1:40
	s_waitcnt lgkmcnt(1)
	v_fmac_f32_e32 v123, v104, v96
	s_delay_alu instid0(VALU_DEP_1) | instskip(NEXT) | instid1(VALU_DEP_1)
	v_fmac_f32_e32 v123, v105, v97
	v_fmac_f32_e32 v123, v106, v98
	s_waitcnt vmcnt(4)
	s_delay_alu instid0(VALU_DEP_1) | instskip(SKIP_3) | instid1(VALU_DEP_1)
	v_fmac_f32_e32 v123, v107, v99
	ds_load_2addr_b64 v[96:99], v94 offset0:41 offset1:42
	s_waitcnt lgkmcnt(1)
	v_fmac_f32_e32 v123, v108, v100
	v_fmac_f32_e32 v123, v109, v101
	s_delay_alu instid0(VALU_DEP_1) | instskip(SKIP_1) | instid1(VALU_DEP_1)
	v_fmac_f32_e32 v123, v110, v102
	s_waitcnt vmcnt(3)
	v_fmac_f32_e32 v123, v111, v103
	ds_load_2addr_b64 v[100:103], v94 offset0:43 offset1:44
	s_waitcnt lgkmcnt(1)
	v_fmac_f32_e32 v123, v112, v96
	s_delay_alu instid0(VALU_DEP_1) | instskip(NEXT) | instid1(VALU_DEP_1)
	v_fmac_f32_e32 v123, v113, v97
	v_fmac_f32_e32 v123, v114, v98
	s_waitcnt vmcnt(2)
	s_delay_alu instid0(VALU_DEP_1) | instskip(SKIP_3) | instid1(VALU_DEP_1)
	v_fmac_f32_e32 v123, v115, v99
	ds_load_2addr_b64 v[96:99], v94 offset0:45 offset1:46
	s_waitcnt lgkmcnt(1)
	v_fmac_f32_e32 v123, v116, v100
	v_fmac_f32_e32 v123, v117, v101
	s_delay_alu instid0(VALU_DEP_1) | instskip(SKIP_1) | instid1(VALU_DEP_1)
	v_fmac_f32_e32 v123, v118, v102
	s_waitcnt vmcnt(1)
	v_fmac_f32_e32 v123, v119, v103
	s_waitcnt lgkmcnt(0)
	s_delay_alu instid0(VALU_DEP_1) | instskip(NEXT) | instid1(VALU_DEP_1)
	v_fmac_f32_e32 v123, v120, v96
	v_fmac_f32_e32 v123, v121, v97
	s_delay_alu instid0(VALU_DEP_1) | instskip(SKIP_1) | instid1(VALU_DEP_1)
	v_fmac_f32_e32 v123, v122, v98
	s_waitcnt vmcnt(0)
	v_fmac_f32_e32 v123, v131, v99
	s_delay_alu instid0(VALU_DEP_1)
	v_sub_f32_e32 v94, v95, v123
	scratch_store_b32 off, v94, off offset:68
	v_cmpx_lt_u32_e32 16, v0
	s_cbranch_execz .LBB109_251
; %bb.250:
	scratch_load_b32 v94, off, off offset:64
	v_mov_b32_e32 v95, 0
	scratch_store_b32 off, v95, off offset:64
	s_waitcnt vmcnt(0)
	ds_store_b32 v93, v94
.LBB109_251:
	s_or_b32 exec_lo, exec_lo, s0
	s_waitcnt lgkmcnt(0)
	s_waitcnt_vscnt null, 0x0
	s_barrier
	buffer_gl0_inv
	s_clause 0x7
	scratch_load_b128 v[95:98], off, off offset:64
	scratch_load_b128 v[99:102], off, off offset:80
	;; [unrolled: 1-line block ×7, first 2 shown]
	scratch_load_b64 v[123:124], off, off offset:176
	v_mov_b32_e32 v94, 0
	ds_load_2addr_b32 v[125:126], v94 offset0:65 offset1:66
	ds_load_2addr_b32 v[127:128], v94 offset0:67 offset1:68
	;; [unrolled: 1-line block ×4, first 2 shown]
	s_mov_b32 s0, exec_lo
	s_waitcnt vmcnt(7) lgkmcnt(3)
	v_fma_f32 v125, v96, v125, 0
	s_delay_alu instid0(VALU_DEP_1) | instskip(SKIP_4) | instid1(VALU_DEP_1)
	v_fmac_f32_e32 v125, v97, v126
	ds_load_2addr_b32 v[96:97], v94 offset0:73 offset1:74
	s_waitcnt lgkmcnt(3)
	v_fmac_f32_e32 v125, v98, v127
	s_waitcnt vmcnt(6)
	v_fmac_f32_e32 v125, v99, v128
	ds_load_2addr_b32 v[98:99], v94 offset0:75 offset1:76
	s_waitcnt lgkmcnt(3)
	v_fmac_f32_e32 v125, v100, v129
	s_delay_alu instid0(VALU_DEP_1) | instskip(SKIP_1) | instid1(VALU_DEP_1)
	v_fmac_f32_e32 v125, v101, v130
	s_waitcnt lgkmcnt(2)
	v_fmac_f32_e32 v125, v102, v131
	s_waitcnt vmcnt(5)
	s_delay_alu instid0(VALU_DEP_1) | instskip(SKIP_4) | instid1(VALU_DEP_1)
	v_fmac_f32_e32 v125, v103, v132
	ds_load_2addr_b32 v[100:101], v94 offset0:77 offset1:78
	ds_load_2addr_b32 v[102:103], v94 offset0:79 offset1:80
	s_waitcnt lgkmcnt(3)
	v_fmac_f32_e32 v125, v104, v96
	v_fmac_f32_e32 v125, v105, v97
	ds_load_2addr_b32 v[96:97], v94 offset0:81 offset1:82
	s_waitcnt lgkmcnt(3)
	v_fmac_f32_e32 v125, v106, v98
	s_waitcnt vmcnt(4)
	s_delay_alu instid0(VALU_DEP_1) | instskip(SKIP_3) | instid1(VALU_DEP_1)
	v_fmac_f32_e32 v125, v107, v99
	ds_load_2addr_b32 v[98:99], v94 offset0:83 offset1:84
	s_waitcnt lgkmcnt(3)
	v_fmac_f32_e32 v125, v108, v100
	v_fmac_f32_e32 v125, v109, v101
	s_waitcnt lgkmcnt(2)
	s_delay_alu instid0(VALU_DEP_1) | instskip(SKIP_1) | instid1(VALU_DEP_1)
	v_fmac_f32_e32 v125, v110, v102
	s_waitcnt vmcnt(3)
	v_fmac_f32_e32 v125, v111, v103
	ds_load_2addr_b32 v[100:101], v94 offset0:85 offset1:86
	ds_load_2addr_b32 v[102:103], v94 offset0:87 offset1:88
	s_waitcnt lgkmcnt(3)
	v_fmac_f32_e32 v125, v112, v96
	s_delay_alu instid0(VALU_DEP_1) | instskip(SKIP_4) | instid1(VALU_DEP_1)
	v_fmac_f32_e32 v125, v113, v97
	ds_load_2addr_b32 v[96:97], v94 offset0:89 offset1:90
	s_waitcnt lgkmcnt(3)
	v_fmac_f32_e32 v125, v114, v98
	s_waitcnt vmcnt(2)
	v_fmac_f32_e32 v125, v115, v99
	ds_load_2addr_b32 v[98:99], v94 offset0:91 offset1:92
	s_waitcnt lgkmcnt(3)
	v_fmac_f32_e32 v125, v116, v100
	ds_load_b32 v100, v94 offset:372
	v_fmac_f32_e32 v125, v117, v101
	s_waitcnt lgkmcnt(3)
	s_delay_alu instid0(VALU_DEP_1) | instskip(SKIP_1) | instid1(VALU_DEP_1)
	v_fmac_f32_e32 v125, v118, v102
	s_waitcnt vmcnt(1)
	v_fmac_f32_e32 v125, v119, v103
	s_waitcnt lgkmcnt(2)
	s_delay_alu instid0(VALU_DEP_1) | instskip(NEXT) | instid1(VALU_DEP_1)
	v_fmac_f32_e32 v125, v120, v96
	v_fmac_f32_e32 v125, v121, v97
	s_waitcnt lgkmcnt(1)
	s_delay_alu instid0(VALU_DEP_1) | instskip(SKIP_1) | instid1(VALU_DEP_1)
	v_fmac_f32_e32 v125, v122, v98
	s_waitcnt vmcnt(0)
	v_fmac_f32_e32 v125, v123, v99
	s_waitcnt lgkmcnt(0)
	s_delay_alu instid0(VALU_DEP_1) | instskip(NEXT) | instid1(VALU_DEP_1)
	v_fmac_f32_e32 v125, v124, v100
	v_sub_f32_e32 v95, v95, v125
	scratch_store_b32 off, v95, off offset:64
	v_cmpx_lt_u32_e32 15, v0
	s_cbranch_execz .LBB109_253
; %bb.252:
	scratch_load_b32 v95, off, off offset:60
	scratch_store_b32 off, v94, off offset:60
	s_waitcnt vmcnt(0)
	ds_store_b32 v93, v95
.LBB109_253:
	s_or_b32 exec_lo, exec_lo, s0
	s_waitcnt lgkmcnt(0)
	s_waitcnt_vscnt null, 0x0
	s_barrier
	buffer_gl0_inv
	s_clause 0x7
	scratch_load_b128 v[95:98], off, off offset:60
	scratch_load_b128 v[99:102], off, off offset:76
	;; [unrolled: 1-line block ×7, first 2 shown]
	scratch_load_b96 v[131:133], off, off offset:172
	ds_load_b128 v[123:126], v94 offset:256
	ds_load_b128 v[127:130], v94 offset:272
	s_mov_b32 s0, exec_lo
	s_waitcnt vmcnt(7) lgkmcnt(1)
	v_fma_f32 v123, v96, v123, 0
	s_delay_alu instid0(VALU_DEP_1) | instskip(NEXT) | instid1(VALU_DEP_1)
	v_fmac_f32_e32 v123, v97, v124
	v_fmac_f32_e32 v123, v98, v125
	s_waitcnt vmcnt(6)
	s_delay_alu instid0(VALU_DEP_1) | instskip(SKIP_3) | instid1(VALU_DEP_1)
	v_fmac_f32_e32 v123, v99, v126
	ds_load_b128 v[96:99], v94 offset:288
	s_waitcnt lgkmcnt(1)
	v_fmac_f32_e32 v123, v100, v127
	v_fmac_f32_e32 v123, v101, v128
	s_delay_alu instid0(VALU_DEP_1) | instskip(SKIP_1) | instid1(VALU_DEP_1)
	v_fmac_f32_e32 v123, v102, v129
	s_waitcnt vmcnt(5)
	v_fmac_f32_e32 v123, v103, v130
	ds_load_b128 v[100:103], v94 offset:304
	s_waitcnt lgkmcnt(1)
	v_fmac_f32_e32 v123, v104, v96
	s_delay_alu instid0(VALU_DEP_1) | instskip(NEXT) | instid1(VALU_DEP_1)
	v_fmac_f32_e32 v123, v105, v97
	v_fmac_f32_e32 v123, v106, v98
	s_waitcnt vmcnt(4)
	s_delay_alu instid0(VALU_DEP_1) | instskip(SKIP_3) | instid1(VALU_DEP_1)
	v_fmac_f32_e32 v123, v107, v99
	ds_load_b128 v[96:99], v94 offset:320
	s_waitcnt lgkmcnt(1)
	v_fmac_f32_e32 v123, v108, v100
	v_fmac_f32_e32 v123, v109, v101
	s_delay_alu instid0(VALU_DEP_1) | instskip(SKIP_1) | instid1(VALU_DEP_1)
	v_fmac_f32_e32 v123, v110, v102
	s_waitcnt vmcnt(3)
	v_fmac_f32_e32 v123, v111, v103
	ds_load_b128 v[100:103], v94 offset:336
	s_waitcnt lgkmcnt(1)
	v_fmac_f32_e32 v123, v112, v96
	s_delay_alu instid0(VALU_DEP_1) | instskip(NEXT) | instid1(VALU_DEP_1)
	v_fmac_f32_e32 v123, v113, v97
	v_fmac_f32_e32 v123, v114, v98
	s_waitcnt vmcnt(2)
	s_delay_alu instid0(VALU_DEP_1) | instskip(SKIP_3) | instid1(VALU_DEP_1)
	v_fmac_f32_e32 v123, v115, v99
	ds_load_b128 v[96:99], v94 offset:352
	s_waitcnt lgkmcnt(1)
	v_fmac_f32_e32 v123, v116, v100
	v_fmac_f32_e32 v123, v117, v101
	ds_load_b64 v[100:101], v94 offset:368
	v_fmac_f32_e32 v123, v118, v102
	s_waitcnt vmcnt(1)
	s_delay_alu instid0(VALU_DEP_1) | instskip(SKIP_1) | instid1(VALU_DEP_1)
	v_fmac_f32_e32 v123, v119, v103
	s_waitcnt lgkmcnt(1)
	v_fmac_f32_e32 v123, v120, v96
	s_delay_alu instid0(VALU_DEP_1) | instskip(NEXT) | instid1(VALU_DEP_1)
	v_fmac_f32_e32 v123, v121, v97
	v_fmac_f32_e32 v123, v122, v98
	s_waitcnt vmcnt(0)
	s_delay_alu instid0(VALU_DEP_1) | instskip(SKIP_1) | instid1(VALU_DEP_1)
	v_fmac_f32_e32 v123, v131, v99
	s_waitcnt lgkmcnt(0)
	v_fmac_f32_e32 v123, v132, v100
	s_delay_alu instid0(VALU_DEP_1) | instskip(NEXT) | instid1(VALU_DEP_1)
	v_fmac_f32_e32 v123, v133, v101
	v_sub_f32_e32 v94, v95, v123
	scratch_store_b32 off, v94, off offset:60
	v_cmpx_lt_u32_e32 14, v0
	s_cbranch_execz .LBB109_255
; %bb.254:
	scratch_load_b32 v94, off, off offset:56
	v_mov_b32_e32 v95, 0
	scratch_store_b32 off, v95, off offset:56
	s_waitcnt vmcnt(0)
	ds_store_b32 v93, v94
.LBB109_255:
	s_or_b32 exec_lo, exec_lo, s0
	s_waitcnt lgkmcnt(0)
	s_waitcnt_vscnt null, 0x0
	s_barrier
	buffer_gl0_inv
	s_clause 0x7
	scratch_load_b128 v[95:98], off, off offset:56
	scratch_load_b128 v[99:102], off, off offset:72
	;; [unrolled: 1-line block ×8, first 2 shown]
	v_mov_b32_e32 v94, 0
	ds_load_2addr_b32 v[127:128], v94 offset0:63 offset1:64
	ds_load_2addr_b32 v[129:130], v94 offset0:65 offset1:66
	;; [unrolled: 1-line block ×4, first 2 shown]
	s_mov_b32 s0, exec_lo
	s_waitcnt vmcnt(7) lgkmcnt(3)
	v_fma_f32 v127, v96, v127, 0
	s_delay_alu instid0(VALU_DEP_1) | instskip(SKIP_4) | instid1(VALU_DEP_1)
	v_fmac_f32_e32 v127, v97, v128
	ds_load_2addr_b32 v[96:97], v94 offset0:71 offset1:72
	s_waitcnt lgkmcnt(3)
	v_fmac_f32_e32 v127, v98, v129
	s_waitcnt vmcnt(6)
	v_fmac_f32_e32 v127, v99, v130
	ds_load_2addr_b32 v[98:99], v94 offset0:73 offset1:74
	s_waitcnt lgkmcnt(3)
	v_fmac_f32_e32 v127, v100, v131
	s_delay_alu instid0(VALU_DEP_1) | instskip(SKIP_1) | instid1(VALU_DEP_1)
	v_fmac_f32_e32 v127, v101, v132
	s_waitcnt lgkmcnt(2)
	v_fmac_f32_e32 v127, v102, v133
	s_waitcnt vmcnt(5)
	s_delay_alu instid0(VALU_DEP_1) | instskip(SKIP_4) | instid1(VALU_DEP_1)
	v_fmac_f32_e32 v127, v103, v134
	ds_load_2addr_b32 v[100:101], v94 offset0:75 offset1:76
	ds_load_2addr_b32 v[102:103], v94 offset0:77 offset1:78
	s_waitcnt lgkmcnt(3)
	v_fmac_f32_e32 v127, v104, v96
	v_fmac_f32_e32 v127, v105, v97
	ds_load_2addr_b32 v[96:97], v94 offset0:79 offset1:80
	s_waitcnt lgkmcnt(3)
	v_fmac_f32_e32 v127, v106, v98
	s_waitcnt vmcnt(4)
	s_delay_alu instid0(VALU_DEP_1) | instskip(SKIP_3) | instid1(VALU_DEP_1)
	v_fmac_f32_e32 v127, v107, v99
	ds_load_2addr_b32 v[98:99], v94 offset0:81 offset1:82
	s_waitcnt lgkmcnt(3)
	v_fmac_f32_e32 v127, v108, v100
	v_fmac_f32_e32 v127, v109, v101
	s_waitcnt lgkmcnt(2)
	s_delay_alu instid0(VALU_DEP_1) | instskip(SKIP_1) | instid1(VALU_DEP_1)
	v_fmac_f32_e32 v127, v110, v102
	s_waitcnt vmcnt(3)
	v_fmac_f32_e32 v127, v111, v103
	ds_load_2addr_b32 v[100:101], v94 offset0:83 offset1:84
	ds_load_2addr_b32 v[102:103], v94 offset0:85 offset1:86
	s_waitcnt lgkmcnt(3)
	v_fmac_f32_e32 v127, v112, v96
	s_delay_alu instid0(VALU_DEP_1) | instskip(SKIP_4) | instid1(VALU_DEP_1)
	v_fmac_f32_e32 v127, v113, v97
	ds_load_2addr_b32 v[96:97], v94 offset0:87 offset1:88
	s_waitcnt lgkmcnt(3)
	v_fmac_f32_e32 v127, v114, v98
	s_waitcnt vmcnt(2)
	v_fmac_f32_e32 v127, v115, v99
	ds_load_2addr_b32 v[98:99], v94 offset0:89 offset1:90
	s_waitcnt lgkmcnt(3)
	v_fmac_f32_e32 v127, v116, v100
	s_delay_alu instid0(VALU_DEP_1) | instskip(SKIP_1) | instid1(VALU_DEP_1)
	v_fmac_f32_e32 v127, v117, v101
	s_waitcnt lgkmcnt(2)
	v_fmac_f32_e32 v127, v118, v102
	ds_load_2addr_b32 v[100:101], v94 offset0:91 offset1:92
	ds_load_b32 v102, v94 offset:372
	s_waitcnt vmcnt(1)
	v_fmac_f32_e32 v127, v119, v103
	s_waitcnt lgkmcnt(3)
	s_delay_alu instid0(VALU_DEP_1) | instskip(NEXT) | instid1(VALU_DEP_1)
	v_fmac_f32_e32 v127, v120, v96
	v_fmac_f32_e32 v127, v121, v97
	s_waitcnt lgkmcnt(2)
	s_delay_alu instid0(VALU_DEP_1) | instskip(SKIP_1) | instid1(VALU_DEP_1)
	v_fmac_f32_e32 v127, v122, v98
	s_waitcnt vmcnt(0)
	v_fmac_f32_e32 v127, v123, v99
	s_waitcnt lgkmcnt(1)
	s_delay_alu instid0(VALU_DEP_1) | instskip(NEXT) | instid1(VALU_DEP_1)
	v_fmac_f32_e32 v127, v124, v100
	v_fmac_f32_e32 v127, v125, v101
	s_waitcnt lgkmcnt(0)
	s_delay_alu instid0(VALU_DEP_1) | instskip(NEXT) | instid1(VALU_DEP_1)
	v_fmac_f32_e32 v127, v126, v102
	v_sub_f32_e32 v95, v95, v127
	scratch_store_b32 off, v95, off offset:56
	v_cmpx_lt_u32_e32 13, v0
	s_cbranch_execz .LBB109_257
; %bb.256:
	scratch_load_b32 v95, off, off offset:52
	scratch_store_b32 off, v94, off offset:52
	s_waitcnt vmcnt(0)
	ds_store_b32 v93, v95
.LBB109_257:
	s_or_b32 exec_lo, exec_lo, s0
	s_waitcnt lgkmcnt(0)
	s_waitcnt_vscnt null, 0x0
	s_barrier
	buffer_gl0_inv
	s_clause 0x8
	scratch_load_b128 v[95:98], off, off offset:52
	scratch_load_b128 v[99:102], off, off offset:68
	;; [unrolled: 1-line block ×8, first 2 shown]
	scratch_load_b32 v135, off, off offset:180
	ds_load_2addr_b64 v[127:130], v94 offset0:31 offset1:32
	ds_load_2addr_b64 v[131:134], v94 offset0:33 offset1:34
	s_mov_b32 s0, exec_lo
	s_waitcnt vmcnt(8) lgkmcnt(1)
	v_fma_f32 v127, v96, v127, 0
	s_delay_alu instid0(VALU_DEP_1) | instskip(NEXT) | instid1(VALU_DEP_1)
	v_fmac_f32_e32 v127, v97, v128
	v_fmac_f32_e32 v127, v98, v129
	s_waitcnt vmcnt(7)
	s_delay_alu instid0(VALU_DEP_1) | instskip(SKIP_3) | instid1(VALU_DEP_1)
	v_fmac_f32_e32 v127, v99, v130
	ds_load_2addr_b64 v[96:99], v94 offset0:35 offset1:36
	s_waitcnt lgkmcnt(1)
	v_fmac_f32_e32 v127, v100, v131
	v_fmac_f32_e32 v127, v101, v132
	s_delay_alu instid0(VALU_DEP_1) | instskip(SKIP_1) | instid1(VALU_DEP_1)
	v_fmac_f32_e32 v127, v102, v133
	s_waitcnt vmcnt(6)
	v_fmac_f32_e32 v127, v103, v134
	ds_load_2addr_b64 v[100:103], v94 offset0:37 offset1:38
	s_waitcnt lgkmcnt(1)
	v_fmac_f32_e32 v127, v104, v96
	s_delay_alu instid0(VALU_DEP_1) | instskip(NEXT) | instid1(VALU_DEP_1)
	v_fmac_f32_e32 v127, v105, v97
	v_fmac_f32_e32 v127, v106, v98
	s_waitcnt vmcnt(5)
	s_delay_alu instid0(VALU_DEP_1) | instskip(SKIP_3) | instid1(VALU_DEP_1)
	v_fmac_f32_e32 v127, v107, v99
	ds_load_2addr_b64 v[96:99], v94 offset0:39 offset1:40
	s_waitcnt lgkmcnt(1)
	v_fmac_f32_e32 v127, v108, v100
	v_fmac_f32_e32 v127, v109, v101
	s_delay_alu instid0(VALU_DEP_1) | instskip(SKIP_1) | instid1(VALU_DEP_1)
	v_fmac_f32_e32 v127, v110, v102
	s_waitcnt vmcnt(4)
	v_fmac_f32_e32 v127, v111, v103
	ds_load_2addr_b64 v[100:103], v94 offset0:41 offset1:42
	s_waitcnt lgkmcnt(1)
	v_fmac_f32_e32 v127, v112, v96
	;; [unrolled: 17-line block ×3, first 2 shown]
	s_delay_alu instid0(VALU_DEP_1) | instskip(NEXT) | instid1(VALU_DEP_1)
	v_fmac_f32_e32 v127, v121, v97
	v_fmac_f32_e32 v127, v122, v98
	s_waitcnt vmcnt(1)
	s_delay_alu instid0(VALU_DEP_1) | instskip(SKIP_1) | instid1(VALU_DEP_1)
	v_fmac_f32_e32 v127, v123, v99
	s_waitcnt lgkmcnt(0)
	v_fmac_f32_e32 v127, v124, v100
	s_delay_alu instid0(VALU_DEP_1) | instskip(NEXT) | instid1(VALU_DEP_1)
	v_fmac_f32_e32 v127, v125, v101
	v_fmac_f32_e32 v127, v126, v102
	s_waitcnt vmcnt(0)
	s_delay_alu instid0(VALU_DEP_1) | instskip(NEXT) | instid1(VALU_DEP_1)
	v_fmac_f32_e32 v127, v135, v103
	v_sub_f32_e32 v94, v95, v127
	scratch_store_b32 off, v94, off offset:52
	v_cmpx_lt_u32_e32 12, v0
	s_cbranch_execz .LBB109_259
; %bb.258:
	scratch_load_b32 v94, off, off offset:48
	v_mov_b32_e32 v95, 0
	scratch_store_b32 off, v95, off offset:48
	s_waitcnt vmcnt(0)
	ds_store_b32 v93, v94
.LBB109_259:
	s_or_b32 exec_lo, exec_lo, s0
	s_waitcnt lgkmcnt(0)
	s_waitcnt_vscnt null, 0x0
	s_barrier
	buffer_gl0_inv
	s_clause 0x8
	scratch_load_b128 v[95:98], off, off offset:48
	scratch_load_b128 v[99:102], off, off offset:64
	;; [unrolled: 1-line block ×8, first 2 shown]
	scratch_load_b64 v[127:128], off, off offset:176
	v_mov_b32_e32 v94, 0
	ds_load_2addr_b32 v[129:130], v94 offset0:61 offset1:62
	ds_load_2addr_b32 v[131:132], v94 offset0:63 offset1:64
	;; [unrolled: 1-line block ×4, first 2 shown]
	s_mov_b32 s0, exec_lo
	s_waitcnt vmcnt(8) lgkmcnt(3)
	v_fma_f32 v129, v96, v129, 0
	s_delay_alu instid0(VALU_DEP_1) | instskip(SKIP_4) | instid1(VALU_DEP_1)
	v_fmac_f32_e32 v129, v97, v130
	ds_load_2addr_b32 v[96:97], v94 offset0:69 offset1:70
	s_waitcnt lgkmcnt(3)
	v_fmac_f32_e32 v129, v98, v131
	s_waitcnt vmcnt(7)
	v_fmac_f32_e32 v129, v99, v132
	ds_load_2addr_b32 v[98:99], v94 offset0:71 offset1:72
	s_waitcnt lgkmcnt(3)
	v_fmac_f32_e32 v129, v100, v133
	s_delay_alu instid0(VALU_DEP_1) | instskip(SKIP_1) | instid1(VALU_DEP_1)
	v_fmac_f32_e32 v129, v101, v134
	s_waitcnt lgkmcnt(2)
	v_fmac_f32_e32 v129, v102, v135
	s_waitcnt vmcnt(6)
	s_delay_alu instid0(VALU_DEP_1) | instskip(SKIP_4) | instid1(VALU_DEP_1)
	v_fmac_f32_e32 v129, v103, v136
	ds_load_2addr_b32 v[100:101], v94 offset0:73 offset1:74
	ds_load_2addr_b32 v[102:103], v94 offset0:75 offset1:76
	s_waitcnt lgkmcnt(3)
	v_fmac_f32_e32 v129, v104, v96
	v_fmac_f32_e32 v129, v105, v97
	ds_load_2addr_b32 v[96:97], v94 offset0:77 offset1:78
	s_waitcnt lgkmcnt(3)
	v_fmac_f32_e32 v129, v106, v98
	s_waitcnt vmcnt(5)
	s_delay_alu instid0(VALU_DEP_1) | instskip(SKIP_3) | instid1(VALU_DEP_1)
	v_fmac_f32_e32 v129, v107, v99
	ds_load_2addr_b32 v[98:99], v94 offset0:79 offset1:80
	s_waitcnt lgkmcnt(3)
	v_fmac_f32_e32 v129, v108, v100
	v_fmac_f32_e32 v129, v109, v101
	s_waitcnt lgkmcnt(2)
	s_delay_alu instid0(VALU_DEP_1) | instskip(SKIP_1) | instid1(VALU_DEP_1)
	v_fmac_f32_e32 v129, v110, v102
	s_waitcnt vmcnt(4)
	v_fmac_f32_e32 v129, v111, v103
	ds_load_2addr_b32 v[100:101], v94 offset0:81 offset1:82
	ds_load_2addr_b32 v[102:103], v94 offset0:83 offset1:84
	s_waitcnt lgkmcnt(3)
	v_fmac_f32_e32 v129, v112, v96
	s_delay_alu instid0(VALU_DEP_1) | instskip(SKIP_4) | instid1(VALU_DEP_1)
	v_fmac_f32_e32 v129, v113, v97
	ds_load_2addr_b32 v[96:97], v94 offset0:85 offset1:86
	s_waitcnt lgkmcnt(3)
	v_fmac_f32_e32 v129, v114, v98
	s_waitcnt vmcnt(3)
	v_fmac_f32_e32 v129, v115, v99
	ds_load_2addr_b32 v[98:99], v94 offset0:87 offset1:88
	s_waitcnt lgkmcnt(3)
	v_fmac_f32_e32 v129, v116, v100
	s_delay_alu instid0(VALU_DEP_1) | instskip(SKIP_1) | instid1(VALU_DEP_1)
	v_fmac_f32_e32 v129, v117, v101
	s_waitcnt lgkmcnt(2)
	v_fmac_f32_e32 v129, v118, v102
	s_waitcnt vmcnt(2)
	s_delay_alu instid0(VALU_DEP_1)
	v_fmac_f32_e32 v129, v119, v103
	ds_load_2addr_b32 v[100:101], v94 offset0:89 offset1:90
	ds_load_2addr_b32 v[102:103], v94 offset0:91 offset1:92
	s_waitcnt lgkmcnt(3)
	v_fmac_f32_e32 v129, v120, v96
	ds_load_b32 v96, v94 offset:372
	v_fmac_f32_e32 v129, v121, v97
	s_waitcnt lgkmcnt(3)
	s_delay_alu instid0(VALU_DEP_1) | instskip(SKIP_1) | instid1(VALU_DEP_1)
	v_fmac_f32_e32 v129, v122, v98
	s_waitcnt vmcnt(1)
	v_fmac_f32_e32 v129, v123, v99
	s_waitcnt lgkmcnt(2)
	s_delay_alu instid0(VALU_DEP_1) | instskip(NEXT) | instid1(VALU_DEP_1)
	v_fmac_f32_e32 v129, v124, v100
	v_fmac_f32_e32 v129, v125, v101
	s_waitcnt lgkmcnt(1)
	s_delay_alu instid0(VALU_DEP_1) | instskip(SKIP_1) | instid1(VALU_DEP_1)
	v_fmac_f32_e32 v129, v126, v102
	s_waitcnt vmcnt(0)
	v_fmac_f32_e32 v129, v127, v103
	s_waitcnt lgkmcnt(0)
	s_delay_alu instid0(VALU_DEP_1) | instskip(NEXT) | instid1(VALU_DEP_1)
	v_fmac_f32_e32 v129, v128, v96
	v_sub_f32_e32 v95, v95, v129
	scratch_store_b32 off, v95, off offset:48
	v_cmpx_lt_u32_e32 11, v0
	s_cbranch_execz .LBB109_261
; %bb.260:
	scratch_load_b32 v95, off, off offset:44
	scratch_store_b32 off, v94, off offset:44
	s_waitcnt vmcnt(0)
	ds_store_b32 v93, v95
.LBB109_261:
	s_or_b32 exec_lo, exec_lo, s0
	s_waitcnt lgkmcnt(0)
	s_waitcnt_vscnt null, 0x0
	s_barrier
	buffer_gl0_inv
	s_clause 0x8
	scratch_load_b128 v[95:98], off, off offset:44
	scratch_load_b128 v[99:102], off, off offset:60
	;; [unrolled: 1-line block ×8, first 2 shown]
	scratch_load_b96 v[135:137], off, off offset:172
	ds_load_b128 v[127:130], v94 offset:240
	ds_load_b128 v[131:134], v94 offset:256
	s_mov_b32 s0, exec_lo
	s_waitcnt vmcnt(8) lgkmcnt(1)
	v_fma_f32 v127, v96, v127, 0
	s_delay_alu instid0(VALU_DEP_1) | instskip(NEXT) | instid1(VALU_DEP_1)
	v_fmac_f32_e32 v127, v97, v128
	v_fmac_f32_e32 v127, v98, v129
	s_waitcnt vmcnt(7)
	s_delay_alu instid0(VALU_DEP_1) | instskip(SKIP_3) | instid1(VALU_DEP_1)
	v_fmac_f32_e32 v127, v99, v130
	ds_load_b128 v[96:99], v94 offset:272
	s_waitcnt lgkmcnt(1)
	v_fmac_f32_e32 v127, v100, v131
	v_fmac_f32_e32 v127, v101, v132
	s_delay_alu instid0(VALU_DEP_1) | instskip(SKIP_1) | instid1(VALU_DEP_1)
	v_fmac_f32_e32 v127, v102, v133
	s_waitcnt vmcnt(6)
	v_fmac_f32_e32 v127, v103, v134
	ds_load_b128 v[100:103], v94 offset:288
	s_waitcnt lgkmcnt(1)
	v_fmac_f32_e32 v127, v104, v96
	s_delay_alu instid0(VALU_DEP_1) | instskip(NEXT) | instid1(VALU_DEP_1)
	v_fmac_f32_e32 v127, v105, v97
	v_fmac_f32_e32 v127, v106, v98
	s_waitcnt vmcnt(5)
	s_delay_alu instid0(VALU_DEP_1) | instskip(SKIP_3) | instid1(VALU_DEP_1)
	v_fmac_f32_e32 v127, v107, v99
	ds_load_b128 v[96:99], v94 offset:304
	s_waitcnt lgkmcnt(1)
	v_fmac_f32_e32 v127, v108, v100
	v_fmac_f32_e32 v127, v109, v101
	s_delay_alu instid0(VALU_DEP_1) | instskip(SKIP_1) | instid1(VALU_DEP_1)
	v_fmac_f32_e32 v127, v110, v102
	s_waitcnt vmcnt(4)
	v_fmac_f32_e32 v127, v111, v103
	ds_load_b128 v[100:103], v94 offset:320
	s_waitcnt lgkmcnt(1)
	v_fmac_f32_e32 v127, v112, v96
	;; [unrolled: 17-line block ×3, first 2 shown]
	s_delay_alu instid0(VALU_DEP_1) | instskip(SKIP_3) | instid1(VALU_DEP_1)
	v_fmac_f32_e32 v127, v121, v97
	ds_load_b64 v[96:97], v94 offset:368
	v_fmac_f32_e32 v127, v122, v98
	s_waitcnt vmcnt(1)
	v_fmac_f32_e32 v127, v123, v99
	s_waitcnt lgkmcnt(1)
	s_delay_alu instid0(VALU_DEP_1) | instskip(NEXT) | instid1(VALU_DEP_1)
	v_fmac_f32_e32 v127, v124, v100
	v_fmac_f32_e32 v127, v125, v101
	s_delay_alu instid0(VALU_DEP_1) | instskip(SKIP_1) | instid1(VALU_DEP_1)
	v_fmac_f32_e32 v127, v126, v102
	s_waitcnt vmcnt(0)
	v_fmac_f32_e32 v127, v135, v103
	s_waitcnt lgkmcnt(0)
	s_delay_alu instid0(VALU_DEP_1) | instskip(NEXT) | instid1(VALU_DEP_1)
	v_fmac_f32_e32 v127, v136, v96
	v_fmac_f32_e32 v127, v137, v97
	s_delay_alu instid0(VALU_DEP_1)
	v_sub_f32_e32 v94, v95, v127
	scratch_store_b32 off, v94, off offset:44
	v_cmpx_lt_u32_e32 10, v0
	s_cbranch_execz .LBB109_263
; %bb.262:
	scratch_load_b32 v94, off, off offset:40
	v_mov_b32_e32 v95, 0
	scratch_store_b32 off, v95, off offset:40
	s_waitcnt vmcnt(0)
	ds_store_b32 v93, v94
.LBB109_263:
	s_or_b32 exec_lo, exec_lo, s0
	s_waitcnt lgkmcnt(0)
	s_waitcnt_vscnt null, 0x0
	s_barrier
	buffer_gl0_inv
	s_clause 0x8
	scratch_load_b128 v[95:98], off, off offset:40
	scratch_load_b128 v[99:102], off, off offset:56
	;; [unrolled: 1-line block ×9, first 2 shown]
	v_mov_b32_e32 v94, 0
	ds_load_2addr_b32 v[131:132], v94 offset0:59 offset1:60
	ds_load_2addr_b32 v[133:134], v94 offset0:61 offset1:62
	;; [unrolled: 1-line block ×4, first 2 shown]
	s_mov_b32 s0, exec_lo
	s_waitcnt vmcnt(8) lgkmcnt(3)
	v_fma_f32 v131, v96, v131, 0
	s_delay_alu instid0(VALU_DEP_1) | instskip(SKIP_4) | instid1(VALU_DEP_1)
	v_fmac_f32_e32 v131, v97, v132
	ds_load_2addr_b32 v[96:97], v94 offset0:67 offset1:68
	s_waitcnt lgkmcnt(3)
	v_fmac_f32_e32 v131, v98, v133
	s_waitcnt vmcnt(7)
	v_fmac_f32_e32 v131, v99, v134
	ds_load_2addr_b32 v[98:99], v94 offset0:69 offset1:70
	s_waitcnt lgkmcnt(3)
	v_fmac_f32_e32 v131, v100, v135
	s_delay_alu instid0(VALU_DEP_1) | instskip(SKIP_1) | instid1(VALU_DEP_1)
	v_fmac_f32_e32 v131, v101, v136
	s_waitcnt lgkmcnt(2)
	v_fmac_f32_e32 v131, v102, v137
	s_waitcnt vmcnt(6)
	s_delay_alu instid0(VALU_DEP_1) | instskip(SKIP_4) | instid1(VALU_DEP_1)
	v_fmac_f32_e32 v131, v103, v138
	ds_load_2addr_b32 v[100:101], v94 offset0:71 offset1:72
	ds_load_2addr_b32 v[102:103], v94 offset0:73 offset1:74
	s_waitcnt lgkmcnt(3)
	v_fmac_f32_e32 v131, v104, v96
	v_fmac_f32_e32 v131, v105, v97
	ds_load_2addr_b32 v[96:97], v94 offset0:75 offset1:76
	s_waitcnt lgkmcnt(3)
	v_fmac_f32_e32 v131, v106, v98
	s_waitcnt vmcnt(5)
	s_delay_alu instid0(VALU_DEP_1) | instskip(SKIP_3) | instid1(VALU_DEP_1)
	v_fmac_f32_e32 v131, v107, v99
	ds_load_2addr_b32 v[98:99], v94 offset0:77 offset1:78
	s_waitcnt lgkmcnt(3)
	v_fmac_f32_e32 v131, v108, v100
	v_fmac_f32_e32 v131, v109, v101
	s_waitcnt lgkmcnt(2)
	s_delay_alu instid0(VALU_DEP_1) | instskip(SKIP_1) | instid1(VALU_DEP_1)
	v_fmac_f32_e32 v131, v110, v102
	s_waitcnt vmcnt(4)
	v_fmac_f32_e32 v131, v111, v103
	ds_load_2addr_b32 v[100:101], v94 offset0:79 offset1:80
	ds_load_2addr_b32 v[102:103], v94 offset0:81 offset1:82
	s_waitcnt lgkmcnt(3)
	v_fmac_f32_e32 v131, v112, v96
	s_delay_alu instid0(VALU_DEP_1) | instskip(SKIP_4) | instid1(VALU_DEP_1)
	v_fmac_f32_e32 v131, v113, v97
	ds_load_2addr_b32 v[96:97], v94 offset0:83 offset1:84
	s_waitcnt lgkmcnt(3)
	v_fmac_f32_e32 v131, v114, v98
	s_waitcnt vmcnt(3)
	v_fmac_f32_e32 v131, v115, v99
	ds_load_2addr_b32 v[98:99], v94 offset0:85 offset1:86
	s_waitcnt lgkmcnt(3)
	v_fmac_f32_e32 v131, v116, v100
	s_delay_alu instid0(VALU_DEP_1) | instskip(SKIP_1) | instid1(VALU_DEP_1)
	v_fmac_f32_e32 v131, v117, v101
	s_waitcnt lgkmcnt(2)
	v_fmac_f32_e32 v131, v118, v102
	s_waitcnt vmcnt(2)
	s_delay_alu instid0(VALU_DEP_1) | instskip(SKIP_4) | instid1(VALU_DEP_1)
	v_fmac_f32_e32 v131, v119, v103
	ds_load_2addr_b32 v[100:101], v94 offset0:87 offset1:88
	ds_load_2addr_b32 v[102:103], v94 offset0:89 offset1:90
	s_waitcnt lgkmcnt(3)
	v_fmac_f32_e32 v131, v120, v96
	v_fmac_f32_e32 v131, v121, v97
	ds_load_2addr_b32 v[96:97], v94 offset0:91 offset1:92
	s_waitcnt lgkmcnt(3)
	v_fmac_f32_e32 v131, v122, v98
	ds_load_b32 v98, v94 offset:372
	s_waitcnt vmcnt(1)
	v_fmac_f32_e32 v131, v123, v99
	s_waitcnt lgkmcnt(3)
	s_delay_alu instid0(VALU_DEP_1) | instskip(NEXT) | instid1(VALU_DEP_1)
	v_fmac_f32_e32 v131, v124, v100
	v_fmac_f32_e32 v131, v125, v101
	s_waitcnt lgkmcnt(2)
	s_delay_alu instid0(VALU_DEP_1) | instskip(SKIP_1) | instid1(VALU_DEP_1)
	v_fmac_f32_e32 v131, v126, v102
	s_waitcnt vmcnt(0)
	v_fmac_f32_e32 v131, v127, v103
	s_waitcnt lgkmcnt(1)
	s_delay_alu instid0(VALU_DEP_1) | instskip(NEXT) | instid1(VALU_DEP_1)
	v_fmac_f32_e32 v131, v128, v96
	v_fmac_f32_e32 v131, v129, v97
	s_waitcnt lgkmcnt(0)
	s_delay_alu instid0(VALU_DEP_1) | instskip(NEXT) | instid1(VALU_DEP_1)
	v_fmac_f32_e32 v131, v130, v98
	v_sub_f32_e32 v95, v95, v131
	scratch_store_b32 off, v95, off offset:40
	v_cmpx_lt_u32_e32 9, v0
	s_cbranch_execz .LBB109_265
; %bb.264:
	scratch_load_b32 v95, off, off offset:36
	scratch_store_b32 off, v94, off offset:36
	s_waitcnt vmcnt(0)
	ds_store_b32 v93, v95
.LBB109_265:
	s_or_b32 exec_lo, exec_lo, s0
	s_waitcnt lgkmcnt(0)
	s_waitcnt_vscnt null, 0x0
	s_barrier
	buffer_gl0_inv
	s_clause 0x9
	scratch_load_b128 v[95:98], off, off offset:36
	scratch_load_b128 v[99:102], off, off offset:52
	;; [unrolled: 1-line block ×9, first 2 shown]
	scratch_load_b32 v139, off, off offset:180
	ds_load_2addr_b64 v[131:134], v94 offset0:29 offset1:30
	ds_load_2addr_b64 v[135:138], v94 offset0:31 offset1:32
	s_mov_b32 s0, exec_lo
	s_waitcnt vmcnt(9) lgkmcnt(1)
	v_fma_f32 v131, v96, v131, 0
	s_delay_alu instid0(VALU_DEP_1) | instskip(NEXT) | instid1(VALU_DEP_1)
	v_fmac_f32_e32 v131, v97, v132
	v_fmac_f32_e32 v131, v98, v133
	s_waitcnt vmcnt(8)
	s_delay_alu instid0(VALU_DEP_1) | instskip(SKIP_3) | instid1(VALU_DEP_1)
	v_fmac_f32_e32 v131, v99, v134
	ds_load_2addr_b64 v[96:99], v94 offset0:33 offset1:34
	s_waitcnt lgkmcnt(1)
	v_fmac_f32_e32 v131, v100, v135
	v_fmac_f32_e32 v131, v101, v136
	s_delay_alu instid0(VALU_DEP_1) | instskip(SKIP_1) | instid1(VALU_DEP_1)
	v_fmac_f32_e32 v131, v102, v137
	s_waitcnt vmcnt(7)
	v_fmac_f32_e32 v131, v103, v138
	ds_load_2addr_b64 v[100:103], v94 offset0:35 offset1:36
	s_waitcnt lgkmcnt(1)
	v_fmac_f32_e32 v131, v104, v96
	s_delay_alu instid0(VALU_DEP_1) | instskip(NEXT) | instid1(VALU_DEP_1)
	v_fmac_f32_e32 v131, v105, v97
	v_fmac_f32_e32 v131, v106, v98
	s_waitcnt vmcnt(6)
	s_delay_alu instid0(VALU_DEP_1) | instskip(SKIP_3) | instid1(VALU_DEP_1)
	v_fmac_f32_e32 v131, v107, v99
	ds_load_2addr_b64 v[96:99], v94 offset0:37 offset1:38
	s_waitcnt lgkmcnt(1)
	v_fmac_f32_e32 v131, v108, v100
	v_fmac_f32_e32 v131, v109, v101
	s_delay_alu instid0(VALU_DEP_1) | instskip(SKIP_1) | instid1(VALU_DEP_1)
	v_fmac_f32_e32 v131, v110, v102
	s_waitcnt vmcnt(5)
	v_fmac_f32_e32 v131, v111, v103
	ds_load_2addr_b64 v[100:103], v94 offset0:39 offset1:40
	s_waitcnt lgkmcnt(1)
	v_fmac_f32_e32 v131, v112, v96
	;; [unrolled: 17-line block ×3, first 2 shown]
	s_delay_alu instid0(VALU_DEP_1) | instskip(NEXT) | instid1(VALU_DEP_1)
	v_fmac_f32_e32 v131, v121, v97
	v_fmac_f32_e32 v131, v122, v98
	s_waitcnt vmcnt(2)
	s_delay_alu instid0(VALU_DEP_1) | instskip(SKIP_3) | instid1(VALU_DEP_1)
	v_fmac_f32_e32 v131, v123, v99
	ds_load_2addr_b64 v[96:99], v94 offset0:45 offset1:46
	s_waitcnt lgkmcnt(1)
	v_fmac_f32_e32 v131, v124, v100
	v_fmac_f32_e32 v131, v125, v101
	s_delay_alu instid0(VALU_DEP_1) | instskip(SKIP_1) | instid1(VALU_DEP_1)
	v_fmac_f32_e32 v131, v126, v102
	s_waitcnt vmcnt(1)
	v_fmac_f32_e32 v131, v127, v103
	s_waitcnt lgkmcnt(0)
	s_delay_alu instid0(VALU_DEP_1) | instskip(NEXT) | instid1(VALU_DEP_1)
	v_fmac_f32_e32 v131, v128, v96
	v_fmac_f32_e32 v131, v129, v97
	s_delay_alu instid0(VALU_DEP_1) | instskip(SKIP_1) | instid1(VALU_DEP_1)
	v_fmac_f32_e32 v131, v130, v98
	s_waitcnt vmcnt(0)
	v_fmac_f32_e32 v131, v139, v99
	s_delay_alu instid0(VALU_DEP_1)
	v_sub_f32_e32 v94, v95, v131
	scratch_store_b32 off, v94, off offset:36
	v_cmpx_lt_u32_e32 8, v0
	s_cbranch_execz .LBB109_267
; %bb.266:
	scratch_load_b32 v94, off, off offset:32
	v_mov_b32_e32 v95, 0
	scratch_store_b32 off, v95, off offset:32
	s_waitcnt vmcnt(0)
	ds_store_b32 v93, v94
.LBB109_267:
	s_or_b32 exec_lo, exec_lo, s0
	s_waitcnt lgkmcnt(0)
	s_waitcnt_vscnt null, 0x0
	s_barrier
	buffer_gl0_inv
	s_clause 0x9
	scratch_load_b128 v[95:98], off, off offset:32
	scratch_load_b128 v[99:102], off, off offset:48
	;; [unrolled: 1-line block ×9, first 2 shown]
	scratch_load_b64 v[131:132], off, off offset:176
	v_mov_b32_e32 v94, 0
	ds_load_2addr_b32 v[133:134], v94 offset0:57 offset1:58
	ds_load_2addr_b32 v[135:136], v94 offset0:59 offset1:60
	;; [unrolled: 1-line block ×4, first 2 shown]
	s_mov_b32 s0, exec_lo
	s_waitcnt vmcnt(9) lgkmcnt(3)
	v_fma_f32 v133, v96, v133, 0
	s_delay_alu instid0(VALU_DEP_1) | instskip(SKIP_4) | instid1(VALU_DEP_1)
	v_fmac_f32_e32 v133, v97, v134
	ds_load_2addr_b32 v[96:97], v94 offset0:65 offset1:66
	s_waitcnt lgkmcnt(3)
	v_fmac_f32_e32 v133, v98, v135
	s_waitcnt vmcnt(8)
	v_fmac_f32_e32 v133, v99, v136
	ds_load_2addr_b32 v[98:99], v94 offset0:67 offset1:68
	s_waitcnt lgkmcnt(3)
	v_fmac_f32_e32 v133, v100, v137
	s_delay_alu instid0(VALU_DEP_1) | instskip(SKIP_1) | instid1(VALU_DEP_1)
	v_fmac_f32_e32 v133, v101, v138
	s_waitcnt lgkmcnt(2)
	v_fmac_f32_e32 v133, v102, v139
	s_waitcnt vmcnt(7)
	s_delay_alu instid0(VALU_DEP_1) | instskip(SKIP_4) | instid1(VALU_DEP_1)
	v_fmac_f32_e32 v133, v103, v140
	ds_load_2addr_b32 v[100:101], v94 offset0:69 offset1:70
	ds_load_2addr_b32 v[102:103], v94 offset0:71 offset1:72
	s_waitcnt lgkmcnt(3)
	v_fmac_f32_e32 v133, v104, v96
	v_fmac_f32_e32 v133, v105, v97
	ds_load_2addr_b32 v[96:97], v94 offset0:73 offset1:74
	s_waitcnt lgkmcnt(3)
	v_fmac_f32_e32 v133, v106, v98
	s_waitcnt vmcnt(6)
	s_delay_alu instid0(VALU_DEP_1) | instskip(SKIP_3) | instid1(VALU_DEP_1)
	v_fmac_f32_e32 v133, v107, v99
	ds_load_2addr_b32 v[98:99], v94 offset0:75 offset1:76
	s_waitcnt lgkmcnt(3)
	v_fmac_f32_e32 v133, v108, v100
	v_fmac_f32_e32 v133, v109, v101
	s_waitcnt lgkmcnt(2)
	s_delay_alu instid0(VALU_DEP_1) | instskip(SKIP_1) | instid1(VALU_DEP_1)
	v_fmac_f32_e32 v133, v110, v102
	s_waitcnt vmcnt(5)
	v_fmac_f32_e32 v133, v111, v103
	ds_load_2addr_b32 v[100:101], v94 offset0:77 offset1:78
	ds_load_2addr_b32 v[102:103], v94 offset0:79 offset1:80
	s_waitcnt lgkmcnt(3)
	v_fmac_f32_e32 v133, v112, v96
	s_delay_alu instid0(VALU_DEP_1) | instskip(SKIP_4) | instid1(VALU_DEP_1)
	v_fmac_f32_e32 v133, v113, v97
	ds_load_2addr_b32 v[96:97], v94 offset0:81 offset1:82
	s_waitcnt lgkmcnt(3)
	v_fmac_f32_e32 v133, v114, v98
	s_waitcnt vmcnt(4)
	v_fmac_f32_e32 v133, v115, v99
	ds_load_2addr_b32 v[98:99], v94 offset0:83 offset1:84
	s_waitcnt lgkmcnt(3)
	v_fmac_f32_e32 v133, v116, v100
	s_delay_alu instid0(VALU_DEP_1) | instskip(SKIP_1) | instid1(VALU_DEP_1)
	v_fmac_f32_e32 v133, v117, v101
	s_waitcnt lgkmcnt(2)
	v_fmac_f32_e32 v133, v118, v102
	s_waitcnt vmcnt(3)
	s_delay_alu instid0(VALU_DEP_1) | instskip(SKIP_4) | instid1(VALU_DEP_1)
	v_fmac_f32_e32 v133, v119, v103
	ds_load_2addr_b32 v[100:101], v94 offset0:85 offset1:86
	ds_load_2addr_b32 v[102:103], v94 offset0:87 offset1:88
	s_waitcnt lgkmcnt(3)
	v_fmac_f32_e32 v133, v120, v96
	v_fmac_f32_e32 v133, v121, v97
	ds_load_2addr_b32 v[96:97], v94 offset0:89 offset1:90
	s_waitcnt lgkmcnt(3)
	v_fmac_f32_e32 v133, v122, v98
	s_waitcnt vmcnt(2)
	s_delay_alu instid0(VALU_DEP_1)
	v_fmac_f32_e32 v133, v123, v99
	ds_load_2addr_b32 v[98:99], v94 offset0:91 offset1:92
	s_waitcnt lgkmcnt(3)
	v_fmac_f32_e32 v133, v124, v100
	ds_load_b32 v100, v94 offset:372
	v_fmac_f32_e32 v133, v125, v101
	s_waitcnt lgkmcnt(3)
	s_delay_alu instid0(VALU_DEP_1) | instskip(SKIP_1) | instid1(VALU_DEP_1)
	v_fmac_f32_e32 v133, v126, v102
	s_waitcnt vmcnt(1)
	v_fmac_f32_e32 v133, v127, v103
	s_waitcnt lgkmcnt(2)
	s_delay_alu instid0(VALU_DEP_1) | instskip(NEXT) | instid1(VALU_DEP_1)
	v_fmac_f32_e32 v133, v128, v96
	v_fmac_f32_e32 v133, v129, v97
	s_waitcnt lgkmcnt(1)
	s_delay_alu instid0(VALU_DEP_1) | instskip(SKIP_1) | instid1(VALU_DEP_1)
	v_fmac_f32_e32 v133, v130, v98
	s_waitcnt vmcnt(0)
	v_fmac_f32_e32 v133, v131, v99
	s_waitcnt lgkmcnt(0)
	s_delay_alu instid0(VALU_DEP_1) | instskip(NEXT) | instid1(VALU_DEP_1)
	v_fmac_f32_e32 v133, v132, v100
	v_sub_f32_e32 v95, v95, v133
	scratch_store_b32 off, v95, off offset:32
	v_cmpx_lt_u32_e32 7, v0
	s_cbranch_execz .LBB109_269
; %bb.268:
	scratch_load_b32 v95, off, off offset:28
	scratch_store_b32 off, v94, off offset:28
	s_waitcnt vmcnt(0)
	ds_store_b32 v93, v95
.LBB109_269:
	s_or_b32 exec_lo, exec_lo, s0
	s_waitcnt lgkmcnt(0)
	s_waitcnt_vscnt null, 0x0
	s_barrier
	buffer_gl0_inv
	s_clause 0x9
	scratch_load_b128 v[95:98], off, off offset:28
	scratch_load_b128 v[99:102], off, off offset:44
	;; [unrolled: 1-line block ×9, first 2 shown]
	scratch_load_b96 v[139:141], off, off offset:172
	ds_load_b128 v[131:134], v94 offset:224
	ds_load_b128 v[135:138], v94 offset:240
	s_mov_b32 s0, exec_lo
	s_waitcnt vmcnt(9) lgkmcnt(1)
	v_fma_f32 v131, v96, v131, 0
	s_delay_alu instid0(VALU_DEP_1) | instskip(NEXT) | instid1(VALU_DEP_1)
	v_fmac_f32_e32 v131, v97, v132
	v_fmac_f32_e32 v131, v98, v133
	s_waitcnt vmcnt(8)
	s_delay_alu instid0(VALU_DEP_1) | instskip(SKIP_3) | instid1(VALU_DEP_1)
	v_fmac_f32_e32 v131, v99, v134
	ds_load_b128 v[96:99], v94 offset:256
	s_waitcnt lgkmcnt(1)
	v_fmac_f32_e32 v131, v100, v135
	v_fmac_f32_e32 v131, v101, v136
	s_delay_alu instid0(VALU_DEP_1) | instskip(SKIP_1) | instid1(VALU_DEP_1)
	v_fmac_f32_e32 v131, v102, v137
	s_waitcnt vmcnt(7)
	v_fmac_f32_e32 v131, v103, v138
	ds_load_b128 v[100:103], v94 offset:272
	s_waitcnt lgkmcnt(1)
	v_fmac_f32_e32 v131, v104, v96
	s_delay_alu instid0(VALU_DEP_1) | instskip(NEXT) | instid1(VALU_DEP_1)
	v_fmac_f32_e32 v131, v105, v97
	v_fmac_f32_e32 v131, v106, v98
	s_waitcnt vmcnt(6)
	s_delay_alu instid0(VALU_DEP_1) | instskip(SKIP_3) | instid1(VALU_DEP_1)
	v_fmac_f32_e32 v131, v107, v99
	ds_load_b128 v[96:99], v94 offset:288
	s_waitcnt lgkmcnt(1)
	v_fmac_f32_e32 v131, v108, v100
	v_fmac_f32_e32 v131, v109, v101
	s_delay_alu instid0(VALU_DEP_1) | instskip(SKIP_1) | instid1(VALU_DEP_1)
	v_fmac_f32_e32 v131, v110, v102
	s_waitcnt vmcnt(5)
	v_fmac_f32_e32 v131, v111, v103
	ds_load_b128 v[100:103], v94 offset:304
	s_waitcnt lgkmcnt(1)
	v_fmac_f32_e32 v131, v112, v96
	;; [unrolled: 17-line block ×3, first 2 shown]
	s_delay_alu instid0(VALU_DEP_1) | instskip(NEXT) | instid1(VALU_DEP_1)
	v_fmac_f32_e32 v131, v121, v97
	v_fmac_f32_e32 v131, v122, v98
	s_waitcnt vmcnt(2)
	s_delay_alu instid0(VALU_DEP_1) | instskip(SKIP_3) | instid1(VALU_DEP_1)
	v_fmac_f32_e32 v131, v123, v99
	ds_load_b128 v[96:99], v94 offset:352
	s_waitcnt lgkmcnt(1)
	v_fmac_f32_e32 v131, v124, v100
	v_fmac_f32_e32 v131, v125, v101
	ds_load_b64 v[100:101], v94 offset:368
	v_fmac_f32_e32 v131, v126, v102
	s_waitcnt vmcnt(1)
	s_delay_alu instid0(VALU_DEP_1) | instskip(SKIP_1) | instid1(VALU_DEP_1)
	v_fmac_f32_e32 v131, v127, v103
	s_waitcnt lgkmcnt(1)
	v_fmac_f32_e32 v131, v128, v96
	s_delay_alu instid0(VALU_DEP_1) | instskip(NEXT) | instid1(VALU_DEP_1)
	v_fmac_f32_e32 v131, v129, v97
	v_fmac_f32_e32 v131, v130, v98
	s_waitcnt vmcnt(0)
	s_delay_alu instid0(VALU_DEP_1) | instskip(SKIP_1) | instid1(VALU_DEP_1)
	v_fmac_f32_e32 v131, v139, v99
	s_waitcnt lgkmcnt(0)
	v_fmac_f32_e32 v131, v140, v100
	s_delay_alu instid0(VALU_DEP_1) | instskip(NEXT) | instid1(VALU_DEP_1)
	v_fmac_f32_e32 v131, v141, v101
	v_sub_f32_e32 v94, v95, v131
	scratch_store_b32 off, v94, off offset:28
	v_cmpx_lt_u32_e32 6, v0
	s_cbranch_execz .LBB109_271
; %bb.270:
	scratch_load_b32 v94, off, off offset:24
	v_mov_b32_e32 v95, 0
	scratch_store_b32 off, v95, off offset:24
	s_waitcnt vmcnt(0)
	ds_store_b32 v93, v94
.LBB109_271:
	s_or_b32 exec_lo, exec_lo, s0
	s_waitcnt lgkmcnt(0)
	s_waitcnt_vscnt null, 0x0
	s_barrier
	buffer_gl0_inv
	s_clause 0x9
	scratch_load_b128 v[95:98], off, off offset:24
	scratch_load_b128 v[99:102], off, off offset:40
	;; [unrolled: 1-line block ×10, first 2 shown]
	v_mov_b32_e32 v94, 0
	ds_load_2addr_b32 v[135:136], v94 offset0:55 offset1:56
	ds_load_2addr_b32 v[137:138], v94 offset0:57 offset1:58
	;; [unrolled: 1-line block ×4, first 2 shown]
	s_mov_b32 s0, exec_lo
	s_waitcnt vmcnt(9) lgkmcnt(3)
	v_fma_f32 v135, v96, v135, 0
	s_delay_alu instid0(VALU_DEP_1) | instskip(SKIP_4) | instid1(VALU_DEP_1)
	v_fmac_f32_e32 v135, v97, v136
	ds_load_2addr_b32 v[96:97], v94 offset0:63 offset1:64
	s_waitcnt lgkmcnt(3)
	v_fmac_f32_e32 v135, v98, v137
	s_waitcnt vmcnt(8)
	v_fmac_f32_e32 v135, v99, v138
	ds_load_2addr_b32 v[98:99], v94 offset0:65 offset1:66
	s_waitcnt lgkmcnt(3)
	v_fmac_f32_e32 v135, v100, v139
	s_delay_alu instid0(VALU_DEP_1) | instskip(SKIP_1) | instid1(VALU_DEP_1)
	v_fmac_f32_e32 v135, v101, v140
	s_waitcnt lgkmcnt(2)
	v_fmac_f32_e32 v135, v102, v141
	s_waitcnt vmcnt(7)
	s_delay_alu instid0(VALU_DEP_1) | instskip(SKIP_4) | instid1(VALU_DEP_1)
	v_fmac_f32_e32 v135, v103, v142
	ds_load_2addr_b32 v[100:101], v94 offset0:67 offset1:68
	ds_load_2addr_b32 v[102:103], v94 offset0:69 offset1:70
	s_waitcnt lgkmcnt(3)
	v_fmac_f32_e32 v135, v104, v96
	v_fmac_f32_e32 v135, v105, v97
	ds_load_2addr_b32 v[96:97], v94 offset0:71 offset1:72
	s_waitcnt lgkmcnt(3)
	v_fmac_f32_e32 v135, v106, v98
	s_waitcnt vmcnt(6)
	s_delay_alu instid0(VALU_DEP_1) | instskip(SKIP_3) | instid1(VALU_DEP_1)
	v_fmac_f32_e32 v135, v107, v99
	ds_load_2addr_b32 v[98:99], v94 offset0:73 offset1:74
	s_waitcnt lgkmcnt(3)
	v_fmac_f32_e32 v135, v108, v100
	v_fmac_f32_e32 v135, v109, v101
	s_waitcnt lgkmcnt(2)
	s_delay_alu instid0(VALU_DEP_1) | instskip(SKIP_1) | instid1(VALU_DEP_1)
	v_fmac_f32_e32 v135, v110, v102
	s_waitcnt vmcnt(5)
	v_fmac_f32_e32 v135, v111, v103
	ds_load_2addr_b32 v[100:101], v94 offset0:75 offset1:76
	ds_load_2addr_b32 v[102:103], v94 offset0:77 offset1:78
	s_waitcnt lgkmcnt(3)
	v_fmac_f32_e32 v135, v112, v96
	s_delay_alu instid0(VALU_DEP_1) | instskip(SKIP_4) | instid1(VALU_DEP_1)
	v_fmac_f32_e32 v135, v113, v97
	ds_load_2addr_b32 v[96:97], v94 offset0:79 offset1:80
	s_waitcnt lgkmcnt(3)
	v_fmac_f32_e32 v135, v114, v98
	s_waitcnt vmcnt(4)
	v_fmac_f32_e32 v135, v115, v99
	ds_load_2addr_b32 v[98:99], v94 offset0:81 offset1:82
	s_waitcnt lgkmcnt(3)
	v_fmac_f32_e32 v135, v116, v100
	s_delay_alu instid0(VALU_DEP_1) | instskip(SKIP_1) | instid1(VALU_DEP_1)
	v_fmac_f32_e32 v135, v117, v101
	s_waitcnt lgkmcnt(2)
	v_fmac_f32_e32 v135, v118, v102
	s_waitcnt vmcnt(3)
	s_delay_alu instid0(VALU_DEP_1) | instskip(SKIP_4) | instid1(VALU_DEP_1)
	v_fmac_f32_e32 v135, v119, v103
	ds_load_2addr_b32 v[100:101], v94 offset0:83 offset1:84
	ds_load_2addr_b32 v[102:103], v94 offset0:85 offset1:86
	s_waitcnt lgkmcnt(3)
	v_fmac_f32_e32 v135, v120, v96
	v_fmac_f32_e32 v135, v121, v97
	ds_load_2addr_b32 v[96:97], v94 offset0:87 offset1:88
	s_waitcnt lgkmcnt(3)
	v_fmac_f32_e32 v135, v122, v98
	s_waitcnt vmcnt(2)
	s_delay_alu instid0(VALU_DEP_1) | instskip(SKIP_3) | instid1(VALU_DEP_1)
	v_fmac_f32_e32 v135, v123, v99
	ds_load_2addr_b32 v[98:99], v94 offset0:89 offset1:90
	s_waitcnt lgkmcnt(3)
	v_fmac_f32_e32 v135, v124, v100
	v_fmac_f32_e32 v135, v125, v101
	s_waitcnt lgkmcnt(2)
	s_delay_alu instid0(VALU_DEP_1)
	v_fmac_f32_e32 v135, v126, v102
	ds_load_2addr_b32 v[100:101], v94 offset0:91 offset1:92
	ds_load_b32 v102, v94 offset:372
	s_waitcnt vmcnt(1)
	v_fmac_f32_e32 v135, v127, v103
	s_waitcnt lgkmcnt(3)
	s_delay_alu instid0(VALU_DEP_1) | instskip(NEXT) | instid1(VALU_DEP_1)
	v_fmac_f32_e32 v135, v128, v96
	v_fmac_f32_e32 v135, v129, v97
	s_waitcnt lgkmcnt(2)
	s_delay_alu instid0(VALU_DEP_1) | instskip(SKIP_1) | instid1(VALU_DEP_1)
	v_fmac_f32_e32 v135, v130, v98
	s_waitcnt vmcnt(0)
	v_fmac_f32_e32 v135, v131, v99
	s_waitcnt lgkmcnt(1)
	s_delay_alu instid0(VALU_DEP_1) | instskip(NEXT) | instid1(VALU_DEP_1)
	v_fmac_f32_e32 v135, v132, v100
	v_fmac_f32_e32 v135, v133, v101
	s_waitcnt lgkmcnt(0)
	s_delay_alu instid0(VALU_DEP_1) | instskip(NEXT) | instid1(VALU_DEP_1)
	v_fmac_f32_e32 v135, v134, v102
	v_sub_f32_e32 v95, v95, v135
	scratch_store_b32 off, v95, off offset:24
	v_cmpx_lt_u32_e32 5, v0
	s_cbranch_execz .LBB109_273
; %bb.272:
	scratch_load_b32 v95, off, off offset:20
	scratch_store_b32 off, v94, off offset:20
	s_waitcnt vmcnt(0)
	ds_store_b32 v93, v95
.LBB109_273:
	s_or_b32 exec_lo, exec_lo, s0
	s_waitcnt lgkmcnt(0)
	s_waitcnt_vscnt null, 0x0
	s_barrier
	buffer_gl0_inv
	s_clause 0xa
	scratch_load_b128 v[95:98], off, off offset:20
	scratch_load_b128 v[99:102], off, off offset:36
	;; [unrolled: 1-line block ×10, first 2 shown]
	scratch_load_b32 v143, off, off offset:180
	ds_load_2addr_b64 v[135:138], v94 offset0:27 offset1:28
	ds_load_2addr_b64 v[139:142], v94 offset0:29 offset1:30
	s_mov_b32 s0, exec_lo
	s_waitcnt vmcnt(10) lgkmcnt(1)
	v_fma_f32 v135, v96, v135, 0
	s_delay_alu instid0(VALU_DEP_1) | instskip(NEXT) | instid1(VALU_DEP_1)
	v_fmac_f32_e32 v135, v97, v136
	v_fmac_f32_e32 v135, v98, v137
	s_waitcnt vmcnt(9)
	s_delay_alu instid0(VALU_DEP_1) | instskip(SKIP_3) | instid1(VALU_DEP_1)
	v_fmac_f32_e32 v135, v99, v138
	ds_load_2addr_b64 v[96:99], v94 offset0:31 offset1:32
	s_waitcnt lgkmcnt(1)
	v_fmac_f32_e32 v135, v100, v139
	v_fmac_f32_e32 v135, v101, v140
	s_delay_alu instid0(VALU_DEP_1) | instskip(SKIP_1) | instid1(VALU_DEP_1)
	v_fmac_f32_e32 v135, v102, v141
	s_waitcnt vmcnt(8)
	v_fmac_f32_e32 v135, v103, v142
	ds_load_2addr_b64 v[100:103], v94 offset0:33 offset1:34
	s_waitcnt lgkmcnt(1)
	v_fmac_f32_e32 v135, v104, v96
	s_delay_alu instid0(VALU_DEP_1) | instskip(NEXT) | instid1(VALU_DEP_1)
	v_fmac_f32_e32 v135, v105, v97
	v_fmac_f32_e32 v135, v106, v98
	s_waitcnt vmcnt(7)
	s_delay_alu instid0(VALU_DEP_1) | instskip(SKIP_3) | instid1(VALU_DEP_1)
	v_fmac_f32_e32 v135, v107, v99
	ds_load_2addr_b64 v[96:99], v94 offset0:35 offset1:36
	s_waitcnt lgkmcnt(1)
	v_fmac_f32_e32 v135, v108, v100
	v_fmac_f32_e32 v135, v109, v101
	s_delay_alu instid0(VALU_DEP_1) | instskip(SKIP_1) | instid1(VALU_DEP_1)
	v_fmac_f32_e32 v135, v110, v102
	s_waitcnt vmcnt(6)
	v_fmac_f32_e32 v135, v111, v103
	ds_load_2addr_b64 v[100:103], v94 offset0:37 offset1:38
	s_waitcnt lgkmcnt(1)
	v_fmac_f32_e32 v135, v112, v96
	;; [unrolled: 17-line block ×4, first 2 shown]
	s_delay_alu instid0(VALU_DEP_1) | instskip(NEXT) | instid1(VALU_DEP_1)
	v_fmac_f32_e32 v135, v129, v97
	v_fmac_f32_e32 v135, v130, v98
	s_waitcnt vmcnt(1)
	s_delay_alu instid0(VALU_DEP_1) | instskip(SKIP_1) | instid1(VALU_DEP_1)
	v_fmac_f32_e32 v135, v131, v99
	s_waitcnt lgkmcnt(0)
	v_fmac_f32_e32 v135, v132, v100
	s_delay_alu instid0(VALU_DEP_1) | instskip(NEXT) | instid1(VALU_DEP_1)
	v_fmac_f32_e32 v135, v133, v101
	v_fmac_f32_e32 v135, v134, v102
	s_waitcnt vmcnt(0)
	s_delay_alu instid0(VALU_DEP_1) | instskip(NEXT) | instid1(VALU_DEP_1)
	v_fmac_f32_e32 v135, v143, v103
	v_sub_f32_e32 v94, v95, v135
	scratch_store_b32 off, v94, off offset:20
	v_cmpx_lt_u32_e32 4, v0
	s_cbranch_execz .LBB109_275
; %bb.274:
	scratch_load_b32 v94, off, off offset:16
	v_mov_b32_e32 v95, 0
	scratch_store_b32 off, v95, off offset:16
	s_waitcnt vmcnt(0)
	ds_store_b32 v93, v94
.LBB109_275:
	s_or_b32 exec_lo, exec_lo, s0
	s_waitcnt lgkmcnt(0)
	s_waitcnt_vscnt null, 0x0
	s_barrier
	buffer_gl0_inv
	s_clause 0xa
	scratch_load_b128 v[95:98], off, off offset:16
	scratch_load_b128 v[99:102], off, off offset:32
	;; [unrolled: 1-line block ×10, first 2 shown]
	scratch_load_b64 v[135:136], off, off offset:176
	v_mov_b32_e32 v94, 0
	ds_load_2addr_b32 v[137:138], v94 offset0:53 offset1:54
	ds_load_2addr_b32 v[139:140], v94 offset0:55 offset1:56
	;; [unrolled: 1-line block ×4, first 2 shown]
	s_mov_b32 s0, exec_lo
	s_waitcnt vmcnt(10) lgkmcnt(3)
	v_fma_f32 v137, v96, v137, 0
	s_delay_alu instid0(VALU_DEP_1) | instskip(SKIP_4) | instid1(VALU_DEP_1)
	v_fmac_f32_e32 v137, v97, v138
	ds_load_2addr_b32 v[96:97], v94 offset0:61 offset1:62
	s_waitcnt lgkmcnt(3)
	v_fmac_f32_e32 v137, v98, v139
	s_waitcnt vmcnt(9)
	v_fmac_f32_e32 v137, v99, v140
	ds_load_2addr_b32 v[98:99], v94 offset0:63 offset1:64
	s_waitcnt lgkmcnt(3)
	v_fmac_f32_e32 v137, v100, v141
	s_delay_alu instid0(VALU_DEP_1) | instskip(SKIP_1) | instid1(VALU_DEP_1)
	v_fmac_f32_e32 v137, v101, v142
	s_waitcnt lgkmcnt(2)
	v_fmac_f32_e32 v137, v102, v143
	s_waitcnt vmcnt(8)
	s_delay_alu instid0(VALU_DEP_1) | instskip(SKIP_4) | instid1(VALU_DEP_1)
	v_fmac_f32_e32 v137, v103, v144
	ds_load_2addr_b32 v[100:101], v94 offset0:65 offset1:66
	ds_load_2addr_b32 v[102:103], v94 offset0:67 offset1:68
	s_waitcnt lgkmcnt(3)
	v_fmac_f32_e32 v137, v104, v96
	v_fmac_f32_e32 v137, v105, v97
	ds_load_2addr_b32 v[96:97], v94 offset0:69 offset1:70
	s_waitcnt lgkmcnt(3)
	v_fmac_f32_e32 v137, v106, v98
	s_waitcnt vmcnt(7)
	s_delay_alu instid0(VALU_DEP_1) | instskip(SKIP_3) | instid1(VALU_DEP_1)
	v_fmac_f32_e32 v137, v107, v99
	ds_load_2addr_b32 v[98:99], v94 offset0:71 offset1:72
	s_waitcnt lgkmcnt(3)
	v_fmac_f32_e32 v137, v108, v100
	v_fmac_f32_e32 v137, v109, v101
	s_waitcnt lgkmcnt(2)
	s_delay_alu instid0(VALU_DEP_1) | instskip(SKIP_1) | instid1(VALU_DEP_1)
	v_fmac_f32_e32 v137, v110, v102
	s_waitcnt vmcnt(6)
	v_fmac_f32_e32 v137, v111, v103
	ds_load_2addr_b32 v[100:101], v94 offset0:73 offset1:74
	ds_load_2addr_b32 v[102:103], v94 offset0:75 offset1:76
	s_waitcnt lgkmcnt(3)
	v_fmac_f32_e32 v137, v112, v96
	s_delay_alu instid0(VALU_DEP_1) | instskip(SKIP_4) | instid1(VALU_DEP_1)
	v_fmac_f32_e32 v137, v113, v97
	ds_load_2addr_b32 v[96:97], v94 offset0:77 offset1:78
	s_waitcnt lgkmcnt(3)
	v_fmac_f32_e32 v137, v114, v98
	s_waitcnt vmcnt(5)
	v_fmac_f32_e32 v137, v115, v99
	ds_load_2addr_b32 v[98:99], v94 offset0:79 offset1:80
	s_waitcnt lgkmcnt(3)
	v_fmac_f32_e32 v137, v116, v100
	s_delay_alu instid0(VALU_DEP_1) | instskip(SKIP_1) | instid1(VALU_DEP_1)
	v_fmac_f32_e32 v137, v117, v101
	s_waitcnt lgkmcnt(2)
	v_fmac_f32_e32 v137, v118, v102
	s_waitcnt vmcnt(4)
	s_delay_alu instid0(VALU_DEP_1) | instskip(SKIP_4) | instid1(VALU_DEP_1)
	v_fmac_f32_e32 v137, v119, v103
	ds_load_2addr_b32 v[100:101], v94 offset0:81 offset1:82
	ds_load_2addr_b32 v[102:103], v94 offset0:83 offset1:84
	s_waitcnt lgkmcnt(3)
	v_fmac_f32_e32 v137, v120, v96
	v_fmac_f32_e32 v137, v121, v97
	ds_load_2addr_b32 v[96:97], v94 offset0:85 offset1:86
	s_waitcnt lgkmcnt(3)
	v_fmac_f32_e32 v137, v122, v98
	s_waitcnt vmcnt(3)
	s_delay_alu instid0(VALU_DEP_1) | instskip(SKIP_3) | instid1(VALU_DEP_1)
	v_fmac_f32_e32 v137, v123, v99
	ds_load_2addr_b32 v[98:99], v94 offset0:87 offset1:88
	s_waitcnt lgkmcnt(3)
	v_fmac_f32_e32 v137, v124, v100
	v_fmac_f32_e32 v137, v125, v101
	s_waitcnt lgkmcnt(2)
	s_delay_alu instid0(VALU_DEP_1) | instskip(SKIP_1) | instid1(VALU_DEP_1)
	v_fmac_f32_e32 v137, v126, v102
	s_waitcnt vmcnt(2)
	v_fmac_f32_e32 v137, v127, v103
	ds_load_2addr_b32 v[100:101], v94 offset0:89 offset1:90
	ds_load_2addr_b32 v[102:103], v94 offset0:91 offset1:92
	s_waitcnt lgkmcnt(3)
	v_fmac_f32_e32 v137, v128, v96
	ds_load_b32 v96, v94 offset:372
	v_fmac_f32_e32 v137, v129, v97
	s_waitcnt lgkmcnt(3)
	s_delay_alu instid0(VALU_DEP_1) | instskip(SKIP_1) | instid1(VALU_DEP_1)
	v_fmac_f32_e32 v137, v130, v98
	s_waitcnt vmcnt(1)
	v_fmac_f32_e32 v137, v131, v99
	s_waitcnt lgkmcnt(2)
	s_delay_alu instid0(VALU_DEP_1) | instskip(NEXT) | instid1(VALU_DEP_1)
	v_fmac_f32_e32 v137, v132, v100
	v_fmac_f32_e32 v137, v133, v101
	s_waitcnt lgkmcnt(1)
	s_delay_alu instid0(VALU_DEP_1) | instskip(SKIP_1) | instid1(VALU_DEP_1)
	v_fmac_f32_e32 v137, v134, v102
	s_waitcnt vmcnt(0)
	v_fmac_f32_e32 v137, v135, v103
	s_waitcnt lgkmcnt(0)
	s_delay_alu instid0(VALU_DEP_1) | instskip(NEXT) | instid1(VALU_DEP_1)
	v_fmac_f32_e32 v137, v136, v96
	v_sub_f32_e32 v95, v95, v137
	scratch_store_b32 off, v95, off offset:16
	v_cmpx_lt_u32_e32 3, v0
	s_cbranch_execz .LBB109_277
; %bb.276:
	scratch_load_b32 v95, off, off offset:12
	scratch_store_b32 off, v94, off offset:12
	s_waitcnt vmcnt(0)
	ds_store_b32 v93, v95
.LBB109_277:
	s_or_b32 exec_lo, exec_lo, s0
	s_waitcnt lgkmcnt(0)
	s_waitcnt_vscnt null, 0x0
	s_barrier
	buffer_gl0_inv
	s_clause 0xa
	scratch_load_b128 v[95:98], off, off offset:12
	scratch_load_b128 v[99:102], off, off offset:28
	;; [unrolled: 1-line block ×10, first 2 shown]
	scratch_load_b96 v[143:145], off, off offset:172
	ds_load_b128 v[135:138], v94 offset:208
	ds_load_b128 v[139:142], v94 offset:224
	s_mov_b32 s0, exec_lo
	s_waitcnt vmcnt(10) lgkmcnt(1)
	v_fma_f32 v135, v96, v135, 0
	s_delay_alu instid0(VALU_DEP_1) | instskip(NEXT) | instid1(VALU_DEP_1)
	v_fmac_f32_e32 v135, v97, v136
	v_fmac_f32_e32 v135, v98, v137
	s_waitcnt vmcnt(9)
	s_delay_alu instid0(VALU_DEP_1) | instskip(SKIP_3) | instid1(VALU_DEP_1)
	v_fmac_f32_e32 v135, v99, v138
	ds_load_b128 v[96:99], v94 offset:240
	s_waitcnt lgkmcnt(1)
	v_fmac_f32_e32 v135, v100, v139
	v_fmac_f32_e32 v135, v101, v140
	s_delay_alu instid0(VALU_DEP_1) | instskip(SKIP_1) | instid1(VALU_DEP_1)
	v_fmac_f32_e32 v135, v102, v141
	s_waitcnt vmcnt(8)
	v_fmac_f32_e32 v135, v103, v142
	ds_load_b128 v[100:103], v94 offset:256
	s_waitcnt lgkmcnt(1)
	v_fmac_f32_e32 v135, v104, v96
	s_delay_alu instid0(VALU_DEP_1) | instskip(NEXT) | instid1(VALU_DEP_1)
	v_fmac_f32_e32 v135, v105, v97
	v_fmac_f32_e32 v135, v106, v98
	s_waitcnt vmcnt(7)
	s_delay_alu instid0(VALU_DEP_1) | instskip(SKIP_3) | instid1(VALU_DEP_1)
	v_fmac_f32_e32 v135, v107, v99
	ds_load_b128 v[96:99], v94 offset:272
	s_waitcnt lgkmcnt(1)
	v_fmac_f32_e32 v135, v108, v100
	v_fmac_f32_e32 v135, v109, v101
	s_delay_alu instid0(VALU_DEP_1) | instskip(SKIP_1) | instid1(VALU_DEP_1)
	v_fmac_f32_e32 v135, v110, v102
	s_waitcnt vmcnt(6)
	v_fmac_f32_e32 v135, v111, v103
	ds_load_b128 v[100:103], v94 offset:288
	s_waitcnt lgkmcnt(1)
	v_fmac_f32_e32 v135, v112, v96
	;; [unrolled: 17-line block ×4, first 2 shown]
	s_delay_alu instid0(VALU_DEP_1) | instskip(SKIP_3) | instid1(VALU_DEP_1)
	v_fmac_f32_e32 v135, v129, v97
	ds_load_b64 v[96:97], v94 offset:368
	v_fmac_f32_e32 v135, v130, v98
	s_waitcnt vmcnt(1)
	v_fmac_f32_e32 v135, v131, v99
	s_waitcnt lgkmcnt(1)
	s_delay_alu instid0(VALU_DEP_1) | instskip(NEXT) | instid1(VALU_DEP_1)
	v_fmac_f32_e32 v135, v132, v100
	v_fmac_f32_e32 v135, v133, v101
	s_delay_alu instid0(VALU_DEP_1) | instskip(SKIP_1) | instid1(VALU_DEP_1)
	v_fmac_f32_e32 v135, v134, v102
	s_waitcnt vmcnt(0)
	v_fmac_f32_e32 v135, v143, v103
	s_waitcnt lgkmcnt(0)
	s_delay_alu instid0(VALU_DEP_1) | instskip(NEXT) | instid1(VALU_DEP_1)
	v_fmac_f32_e32 v135, v144, v96
	v_fmac_f32_e32 v135, v145, v97
	s_delay_alu instid0(VALU_DEP_1)
	v_sub_f32_e32 v94, v95, v135
	scratch_store_b32 off, v94, off offset:12
	v_cmpx_lt_u32_e32 2, v0
	s_cbranch_execz .LBB109_279
; %bb.278:
	scratch_load_b32 v94, off, off offset:8
	v_mov_b32_e32 v95, 0
	scratch_store_b32 off, v95, off offset:8
	s_waitcnt vmcnt(0)
	ds_store_b32 v93, v94
.LBB109_279:
	s_or_b32 exec_lo, exec_lo, s0
	s_waitcnt lgkmcnt(0)
	s_waitcnt_vscnt null, 0x0
	s_barrier
	buffer_gl0_inv
	s_clause 0xa
	scratch_load_b128 v[95:98], off, off offset:8
	scratch_load_b128 v[99:102], off, off offset:24
	;; [unrolled: 1-line block ×11, first 2 shown]
	v_mov_b32_e32 v94, 0
	ds_load_2addr_b32 v[139:140], v94 offset0:51 offset1:52
	ds_load_2addr_b32 v[141:142], v94 offset0:53 offset1:54
	;; [unrolled: 1-line block ×4, first 2 shown]
	s_mov_b32 s0, exec_lo
	s_waitcnt vmcnt(10) lgkmcnt(3)
	v_fma_f32 v139, v96, v139, 0
	s_delay_alu instid0(VALU_DEP_1) | instskip(SKIP_4) | instid1(VALU_DEP_1)
	v_fmac_f32_e32 v139, v97, v140
	ds_load_2addr_b32 v[96:97], v94 offset0:59 offset1:60
	s_waitcnt lgkmcnt(3)
	v_fmac_f32_e32 v139, v98, v141
	s_waitcnt vmcnt(9)
	v_fmac_f32_e32 v139, v99, v142
	ds_load_2addr_b32 v[98:99], v94 offset0:61 offset1:62
	s_waitcnt lgkmcnt(3)
	v_fmac_f32_e32 v139, v100, v143
	s_delay_alu instid0(VALU_DEP_1) | instskip(SKIP_1) | instid1(VALU_DEP_1)
	v_fmac_f32_e32 v139, v101, v144
	s_waitcnt lgkmcnt(2)
	v_fmac_f32_e32 v139, v102, v145
	s_waitcnt vmcnt(8)
	s_delay_alu instid0(VALU_DEP_1) | instskip(SKIP_4) | instid1(VALU_DEP_1)
	v_fmac_f32_e32 v139, v103, v146
	ds_load_2addr_b32 v[100:101], v94 offset0:63 offset1:64
	ds_load_2addr_b32 v[102:103], v94 offset0:65 offset1:66
	s_waitcnt lgkmcnt(3)
	v_fmac_f32_e32 v139, v104, v96
	v_fmac_f32_e32 v139, v105, v97
	ds_load_2addr_b32 v[96:97], v94 offset0:67 offset1:68
	s_waitcnt lgkmcnt(3)
	v_fmac_f32_e32 v139, v106, v98
	s_waitcnt vmcnt(7)
	s_delay_alu instid0(VALU_DEP_1) | instskip(SKIP_3) | instid1(VALU_DEP_1)
	v_fmac_f32_e32 v139, v107, v99
	ds_load_2addr_b32 v[98:99], v94 offset0:69 offset1:70
	s_waitcnt lgkmcnt(3)
	v_fmac_f32_e32 v139, v108, v100
	v_fmac_f32_e32 v139, v109, v101
	s_waitcnt lgkmcnt(2)
	s_delay_alu instid0(VALU_DEP_1) | instskip(SKIP_1) | instid1(VALU_DEP_1)
	v_fmac_f32_e32 v139, v110, v102
	s_waitcnt vmcnt(6)
	v_fmac_f32_e32 v139, v111, v103
	ds_load_2addr_b32 v[100:101], v94 offset0:71 offset1:72
	ds_load_2addr_b32 v[102:103], v94 offset0:73 offset1:74
	s_waitcnt lgkmcnt(3)
	v_fmac_f32_e32 v139, v112, v96
	s_delay_alu instid0(VALU_DEP_1) | instskip(SKIP_4) | instid1(VALU_DEP_1)
	v_fmac_f32_e32 v139, v113, v97
	ds_load_2addr_b32 v[96:97], v94 offset0:75 offset1:76
	s_waitcnt lgkmcnt(3)
	v_fmac_f32_e32 v139, v114, v98
	s_waitcnt vmcnt(5)
	v_fmac_f32_e32 v139, v115, v99
	ds_load_2addr_b32 v[98:99], v94 offset0:77 offset1:78
	s_waitcnt lgkmcnt(3)
	v_fmac_f32_e32 v139, v116, v100
	s_delay_alu instid0(VALU_DEP_1) | instskip(SKIP_1) | instid1(VALU_DEP_1)
	v_fmac_f32_e32 v139, v117, v101
	s_waitcnt lgkmcnt(2)
	v_fmac_f32_e32 v139, v118, v102
	s_waitcnt vmcnt(4)
	s_delay_alu instid0(VALU_DEP_1) | instskip(SKIP_4) | instid1(VALU_DEP_1)
	v_fmac_f32_e32 v139, v119, v103
	ds_load_2addr_b32 v[100:101], v94 offset0:79 offset1:80
	ds_load_2addr_b32 v[102:103], v94 offset0:81 offset1:82
	s_waitcnt lgkmcnt(3)
	v_fmac_f32_e32 v139, v120, v96
	v_fmac_f32_e32 v139, v121, v97
	ds_load_2addr_b32 v[96:97], v94 offset0:83 offset1:84
	s_waitcnt lgkmcnt(3)
	v_fmac_f32_e32 v139, v122, v98
	s_waitcnt vmcnt(3)
	s_delay_alu instid0(VALU_DEP_1) | instskip(SKIP_3) | instid1(VALU_DEP_1)
	v_fmac_f32_e32 v139, v123, v99
	ds_load_2addr_b32 v[98:99], v94 offset0:85 offset1:86
	s_waitcnt lgkmcnt(3)
	v_fmac_f32_e32 v139, v124, v100
	v_fmac_f32_e32 v139, v125, v101
	s_waitcnt lgkmcnt(2)
	s_delay_alu instid0(VALU_DEP_1) | instskip(SKIP_1) | instid1(VALU_DEP_1)
	v_fmac_f32_e32 v139, v126, v102
	s_waitcnt vmcnt(2)
	v_fmac_f32_e32 v139, v127, v103
	ds_load_2addr_b32 v[100:101], v94 offset0:87 offset1:88
	ds_load_2addr_b32 v[102:103], v94 offset0:89 offset1:90
	s_waitcnt lgkmcnt(3)
	v_fmac_f32_e32 v139, v128, v96
	s_delay_alu instid0(VALU_DEP_1)
	v_fmac_f32_e32 v139, v129, v97
	ds_load_2addr_b32 v[96:97], v94 offset0:91 offset1:92
	s_waitcnt lgkmcnt(3)
	v_fmac_f32_e32 v139, v130, v98
	ds_load_b32 v98, v94 offset:372
	s_waitcnt vmcnt(1)
	v_fmac_f32_e32 v139, v131, v99
	s_waitcnt lgkmcnt(3)
	s_delay_alu instid0(VALU_DEP_1) | instskip(NEXT) | instid1(VALU_DEP_1)
	v_fmac_f32_e32 v139, v132, v100
	v_fmac_f32_e32 v139, v133, v101
	s_waitcnt lgkmcnt(2)
	s_delay_alu instid0(VALU_DEP_1) | instskip(SKIP_1) | instid1(VALU_DEP_1)
	v_fmac_f32_e32 v139, v134, v102
	s_waitcnt vmcnt(0)
	v_fmac_f32_e32 v139, v135, v103
	s_waitcnt lgkmcnt(1)
	s_delay_alu instid0(VALU_DEP_1) | instskip(NEXT) | instid1(VALU_DEP_1)
	v_fmac_f32_e32 v139, v136, v96
	v_fmac_f32_e32 v139, v137, v97
	s_waitcnt lgkmcnt(0)
	s_delay_alu instid0(VALU_DEP_1) | instskip(NEXT) | instid1(VALU_DEP_1)
	v_fmac_f32_e32 v139, v138, v98
	v_sub_f32_e32 v95, v95, v139
	scratch_store_b32 off, v95, off offset:8
	v_cmpx_lt_u32_e32 1, v0
	s_cbranch_execz .LBB109_281
; %bb.280:
	scratch_load_b32 v95, off, off offset:4
	scratch_store_b32 off, v94, off offset:4
	s_waitcnt vmcnt(0)
	ds_store_b32 v93, v95
.LBB109_281:
	s_or_b32 exec_lo, exec_lo, s0
	s_waitcnt lgkmcnt(0)
	s_waitcnt_vscnt null, 0x0
	s_barrier
	buffer_gl0_inv
	s_clause 0xb
	scratch_load_b128 v[95:98], off, off offset:4
	scratch_load_b128 v[99:102], off, off offset:20
	;; [unrolled: 1-line block ×11, first 2 shown]
	scratch_load_b32 v147, off, off offset:180
	ds_load_2addr_b64 v[139:142], v94 offset0:25 offset1:26
	ds_load_2addr_b64 v[143:146], v94 offset0:27 offset1:28
	s_mov_b32 s0, exec_lo
	s_waitcnt vmcnt(11) lgkmcnt(1)
	v_fma_f32 v139, v96, v139, 0
	s_delay_alu instid0(VALU_DEP_1) | instskip(NEXT) | instid1(VALU_DEP_1)
	v_fmac_f32_e32 v139, v97, v140
	v_fmac_f32_e32 v139, v98, v141
	s_waitcnt vmcnt(10)
	s_delay_alu instid0(VALU_DEP_1) | instskip(SKIP_3) | instid1(VALU_DEP_1)
	v_fmac_f32_e32 v139, v99, v142
	ds_load_2addr_b64 v[96:99], v94 offset0:29 offset1:30
	s_waitcnt lgkmcnt(1)
	v_fmac_f32_e32 v139, v100, v143
	v_fmac_f32_e32 v139, v101, v144
	s_delay_alu instid0(VALU_DEP_1) | instskip(SKIP_1) | instid1(VALU_DEP_1)
	v_fmac_f32_e32 v139, v102, v145
	s_waitcnt vmcnt(9)
	v_fmac_f32_e32 v139, v103, v146
	ds_load_2addr_b64 v[100:103], v94 offset0:31 offset1:32
	s_waitcnt lgkmcnt(1)
	v_fmac_f32_e32 v139, v104, v96
	s_delay_alu instid0(VALU_DEP_1) | instskip(NEXT) | instid1(VALU_DEP_1)
	v_fmac_f32_e32 v139, v105, v97
	v_fmac_f32_e32 v139, v106, v98
	s_waitcnt vmcnt(8)
	s_delay_alu instid0(VALU_DEP_1) | instskip(SKIP_3) | instid1(VALU_DEP_1)
	v_fmac_f32_e32 v139, v107, v99
	ds_load_2addr_b64 v[96:99], v94 offset0:33 offset1:34
	s_waitcnt lgkmcnt(1)
	v_fmac_f32_e32 v139, v108, v100
	v_fmac_f32_e32 v139, v109, v101
	s_delay_alu instid0(VALU_DEP_1) | instskip(SKIP_1) | instid1(VALU_DEP_1)
	v_fmac_f32_e32 v139, v110, v102
	s_waitcnt vmcnt(7)
	v_fmac_f32_e32 v139, v111, v103
	ds_load_2addr_b64 v[100:103], v94 offset0:35 offset1:36
	s_waitcnt lgkmcnt(1)
	v_fmac_f32_e32 v139, v112, v96
	;; [unrolled: 17-line block ×4, first 2 shown]
	s_delay_alu instid0(VALU_DEP_1) | instskip(NEXT) | instid1(VALU_DEP_1)
	v_fmac_f32_e32 v139, v129, v97
	v_fmac_f32_e32 v139, v130, v98
	s_waitcnt vmcnt(2)
	s_delay_alu instid0(VALU_DEP_1) | instskip(SKIP_3) | instid1(VALU_DEP_1)
	v_fmac_f32_e32 v139, v131, v99
	ds_load_2addr_b64 v[96:99], v94 offset0:45 offset1:46
	s_waitcnt lgkmcnt(1)
	v_fmac_f32_e32 v139, v132, v100
	v_fmac_f32_e32 v139, v133, v101
	s_delay_alu instid0(VALU_DEP_1) | instskip(SKIP_1) | instid1(VALU_DEP_1)
	v_fmac_f32_e32 v139, v134, v102
	s_waitcnt vmcnt(1)
	v_fmac_f32_e32 v139, v135, v103
	s_waitcnt lgkmcnt(0)
	s_delay_alu instid0(VALU_DEP_1) | instskip(NEXT) | instid1(VALU_DEP_1)
	v_fmac_f32_e32 v139, v136, v96
	v_fmac_f32_e32 v139, v137, v97
	s_delay_alu instid0(VALU_DEP_1) | instskip(SKIP_1) | instid1(VALU_DEP_1)
	v_fmac_f32_e32 v139, v138, v98
	s_waitcnt vmcnt(0)
	v_fmac_f32_e32 v139, v147, v99
	s_delay_alu instid0(VALU_DEP_1)
	v_sub_f32_e32 v94, v95, v139
	scratch_store_b32 off, v94, off offset:4
	v_cmpx_ne_u32_e32 0, v0
	s_cbranch_execz .LBB109_283
; %bb.282:
	scratch_load_b32 v0, off, off
	v_mov_b32_e32 v94, 0
	scratch_store_b32 off, v94, off
	s_waitcnt vmcnt(0)
	ds_store_b32 v93, v0
.LBB109_283:
	s_or_b32 exec_lo, exec_lo, s0
	s_waitcnt lgkmcnt(0)
	s_waitcnt_vscnt null, 0x0
	s_barrier
	buffer_gl0_inv
	s_clause 0xb
	scratch_load_b128 v[95:98], off, off
	scratch_load_b128 v[99:102], off, off offset:16
	scratch_load_b128 v[103:106], off, off offset:32
	;; [unrolled: 1-line block ×10, first 2 shown]
	scratch_load_b64 v[93:94], off, off offset:176
	v_mov_b32_e32 v0, 0
	ds_load_2addr_b32 v[139:140], v0 offset0:49 offset1:50
	ds_load_2addr_b32 v[141:142], v0 offset0:51 offset1:52
	ds_load_2addr_b32 v[143:144], v0 offset0:53 offset1:54
	ds_load_2addr_b32 v[145:146], v0 offset0:55 offset1:56
	s_and_b32 vcc_lo, exec_lo, s14
	s_waitcnt vmcnt(11) lgkmcnt(3)
	v_fma_f32 v139, v96, v139, 0
	s_delay_alu instid0(VALU_DEP_1) | instskip(SKIP_4) | instid1(VALU_DEP_1)
	v_fmac_f32_e32 v139, v97, v140
	ds_load_2addr_b32 v[96:97], v0 offset0:57 offset1:58
	s_waitcnt lgkmcnt(3)
	v_fmac_f32_e32 v139, v98, v141
	s_waitcnt vmcnt(10)
	v_fmac_f32_e32 v139, v99, v142
	ds_load_2addr_b32 v[98:99], v0 offset0:59 offset1:60
	s_waitcnt lgkmcnt(3)
	v_fmac_f32_e32 v139, v100, v143
	s_delay_alu instid0(VALU_DEP_1) | instskip(SKIP_1) | instid1(VALU_DEP_1)
	v_fmac_f32_e32 v139, v101, v144
	s_waitcnt lgkmcnt(2)
	v_fmac_f32_e32 v139, v102, v145
	s_waitcnt vmcnt(9)
	s_delay_alu instid0(VALU_DEP_1) | instskip(SKIP_4) | instid1(VALU_DEP_1)
	v_fmac_f32_e32 v139, v103, v146
	ds_load_2addr_b32 v[100:101], v0 offset0:61 offset1:62
	ds_load_2addr_b32 v[102:103], v0 offset0:63 offset1:64
	s_waitcnt lgkmcnt(3)
	v_fmac_f32_e32 v139, v104, v96
	v_fmac_f32_e32 v139, v105, v97
	ds_load_2addr_b32 v[96:97], v0 offset0:65 offset1:66
	s_waitcnt lgkmcnt(3)
	v_fmac_f32_e32 v139, v106, v98
	s_waitcnt vmcnt(8)
	s_delay_alu instid0(VALU_DEP_1) | instskip(SKIP_3) | instid1(VALU_DEP_1)
	v_fmac_f32_e32 v139, v107, v99
	ds_load_2addr_b32 v[98:99], v0 offset0:67 offset1:68
	s_waitcnt lgkmcnt(3)
	v_fmac_f32_e32 v139, v108, v100
	v_fmac_f32_e32 v139, v109, v101
	s_waitcnt lgkmcnt(2)
	s_delay_alu instid0(VALU_DEP_1) | instskip(SKIP_1) | instid1(VALU_DEP_1)
	v_fmac_f32_e32 v139, v110, v102
	s_waitcnt vmcnt(7)
	v_fmac_f32_e32 v139, v111, v103
	ds_load_2addr_b32 v[100:101], v0 offset0:69 offset1:70
	ds_load_2addr_b32 v[102:103], v0 offset0:71 offset1:72
	s_waitcnt lgkmcnt(3)
	v_fmac_f32_e32 v139, v112, v96
	s_delay_alu instid0(VALU_DEP_1) | instskip(SKIP_4) | instid1(VALU_DEP_1)
	v_fmac_f32_e32 v139, v113, v97
	ds_load_2addr_b32 v[96:97], v0 offset0:73 offset1:74
	s_waitcnt lgkmcnt(3)
	v_fmac_f32_e32 v139, v114, v98
	s_waitcnt vmcnt(6)
	v_fmac_f32_e32 v139, v115, v99
	ds_load_2addr_b32 v[98:99], v0 offset0:75 offset1:76
	s_waitcnt lgkmcnt(3)
	v_fmac_f32_e32 v139, v116, v100
	s_delay_alu instid0(VALU_DEP_1) | instskip(SKIP_1) | instid1(VALU_DEP_1)
	v_fmac_f32_e32 v139, v117, v101
	s_waitcnt lgkmcnt(2)
	v_fmac_f32_e32 v139, v118, v102
	s_waitcnt vmcnt(5)
	s_delay_alu instid0(VALU_DEP_1) | instskip(SKIP_4) | instid1(VALU_DEP_1)
	v_fmac_f32_e32 v139, v119, v103
	ds_load_2addr_b32 v[100:101], v0 offset0:77 offset1:78
	ds_load_2addr_b32 v[102:103], v0 offset0:79 offset1:80
	s_waitcnt lgkmcnt(3)
	v_fmac_f32_e32 v139, v120, v96
	v_fmac_f32_e32 v139, v121, v97
	ds_load_2addr_b32 v[96:97], v0 offset0:81 offset1:82
	s_waitcnt lgkmcnt(3)
	v_fmac_f32_e32 v139, v122, v98
	s_waitcnt vmcnt(4)
	s_delay_alu instid0(VALU_DEP_1) | instskip(SKIP_3) | instid1(VALU_DEP_1)
	v_fmac_f32_e32 v139, v123, v99
	ds_load_2addr_b32 v[98:99], v0 offset0:83 offset1:84
	s_waitcnt lgkmcnt(3)
	v_fmac_f32_e32 v139, v124, v100
	v_fmac_f32_e32 v139, v125, v101
	s_waitcnt lgkmcnt(2)
	s_delay_alu instid0(VALU_DEP_1) | instskip(SKIP_1) | instid1(VALU_DEP_1)
	v_fmac_f32_e32 v139, v126, v102
	s_waitcnt vmcnt(3)
	v_fmac_f32_e32 v139, v127, v103
	ds_load_2addr_b32 v[100:101], v0 offset0:85 offset1:86
	ds_load_2addr_b32 v[102:103], v0 offset0:87 offset1:88
	s_waitcnt lgkmcnt(3)
	v_fmac_f32_e32 v139, v128, v96
	s_delay_alu instid0(VALU_DEP_1) | instskip(SKIP_4) | instid1(VALU_DEP_1)
	v_fmac_f32_e32 v139, v129, v97
	ds_load_2addr_b32 v[96:97], v0 offset0:89 offset1:90
	s_waitcnt lgkmcnt(3)
	v_fmac_f32_e32 v139, v130, v98
	s_waitcnt vmcnt(2)
	v_fmac_f32_e32 v139, v131, v99
	ds_load_2addr_b32 v[98:99], v0 offset0:91 offset1:92
	ds_load_b32 v0, v0 offset:372
	s_waitcnt lgkmcnt(4)
	v_fmac_f32_e32 v139, v132, v100
	s_delay_alu instid0(VALU_DEP_1) | instskip(SKIP_1) | instid1(VALU_DEP_1)
	v_fmac_f32_e32 v139, v133, v101
	s_waitcnt lgkmcnt(3)
	v_fmac_f32_e32 v139, v134, v102
	s_waitcnt vmcnt(1)
	s_delay_alu instid0(VALU_DEP_1) | instskip(SKIP_1) | instid1(VALU_DEP_1)
	v_fmac_f32_e32 v139, v135, v103
	s_waitcnt lgkmcnt(2)
	v_fmac_f32_e32 v139, v136, v96
	s_delay_alu instid0(VALU_DEP_1) | instskip(SKIP_1) | instid1(VALU_DEP_1)
	v_fmac_f32_e32 v139, v137, v97
	s_waitcnt lgkmcnt(1)
	v_fmac_f32_e32 v139, v138, v98
	s_waitcnt vmcnt(0)
	s_delay_alu instid0(VALU_DEP_1) | instskip(SKIP_1) | instid1(VALU_DEP_1)
	v_fmac_f32_e32 v139, v93, v99
	s_waitcnt lgkmcnt(0)
	v_fmac_f32_e32 v139, v94, v0
	s_delay_alu instid0(VALU_DEP_1)
	v_sub_f32_e32 v0, v95, v139
	scratch_store_b32 off, v0, off
	s_cbranch_vccz .LBB109_375
; %bb.284:
	v_dual_mov_b32 v95, s3 :: v_dual_mov_b32 v94, s2
	s_mov_b32 s0, exec_lo
	flat_load_b32 v0, v[94:95] offset:176
	s_waitcnt vmcnt(0) lgkmcnt(0)
	v_cmpx_ne_u32_e32 45, v0
	s_cbranch_execz .LBB109_286
; %bb.285:
	v_lshl_add_u32 v0, v0, 2, 0
	scratch_load_b32 v94, v0, off offset:-4
	s_waitcnt vmcnt(0)
	scratch_store_b32 off, v94, off offset:176
	scratch_store_b32 v0, v93, off offset:-4
.LBB109_286:
	s_or_b32 exec_lo, exec_lo, s0
	v_dual_mov_b32 v94, s3 :: v_dual_mov_b32 v93, s2
	s_mov_b32 s0, exec_lo
	flat_load_b32 v0, v[93:94] offset:172
	s_waitcnt vmcnt(0) lgkmcnt(0)
	v_cmpx_ne_u32_e32 44, v0
	s_cbranch_execz .LBB109_288
; %bb.287:
	v_lshl_add_u32 v0, v0, 2, 0
	scratch_load_b32 v93, v0, off offset:-4
	scratch_load_b32 v94, off, off offset:172
	s_waitcnt vmcnt(1)
	scratch_store_b32 off, v93, off offset:172
	s_waitcnt vmcnt(0)
	scratch_store_b32 v0, v94, off offset:-4
.LBB109_288:
	s_or_b32 exec_lo, exec_lo, s0
	v_dual_mov_b32 v94, s3 :: v_dual_mov_b32 v93, s2
	s_mov_b32 s0, exec_lo
	flat_load_b32 v0, v[93:94] offset:168
	s_waitcnt vmcnt(0) lgkmcnt(0)
	v_cmpx_ne_u32_e32 43, v0
	s_cbranch_execz .LBB109_290
; %bb.289:
	v_lshl_add_u32 v0, v0, 2, 0
	scratch_load_b32 v93, v0, off offset:-4
	scratch_load_b32 v94, off, off offset:168
	s_waitcnt vmcnt(1)
	scratch_store_b32 off, v93, off offset:168
	s_waitcnt vmcnt(0)
	scratch_store_b32 v0, v94, off offset:-4
.LBB109_290:
	;; [unrolled: 16-line block ×43, first 2 shown]
	s_or_b32 exec_lo, exec_lo, s0
	v_dual_mov_b32 v94, s3 :: v_dual_mov_b32 v93, s2
	s_mov_b32 s0, exec_lo
	flat_load_b32 v93, v[93:94]
	scratch_load_b32 v0, off, off
	s_waitcnt vmcnt(1) lgkmcnt(0)
	v_cmpx_ne_u32_e32 1, v93
	s_cbranch_execz .LBB109_374
; %bb.373:
	v_lshl_add_u32 v93, v93, 2, 0
	scratch_load_b32 v94, v93, off offset:-4
	s_waitcnt vmcnt(0)
	scratch_store_b32 off, v94, off
	scratch_store_b32 v93, v0, off offset:-4
	scratch_load_b32 v0, off, off
.LBB109_374:
	s_or_b32 exec_lo, exec_lo, s0
.LBB109_375:
	s_clause 0xb
	scratch_load_b128 v[93:96], off, off offset:4
	scratch_load_b128 v[97:100], off, off offset:20
	;; [unrolled: 1-line block ×11, first 2 shown]
	scratch_load_b32 v137, off, off offset:180
	s_waitcnt vmcnt(12)
	global_store_b32 v[1:2], v0, off
	s_waitcnt vmcnt(11)
	s_clause 0x3
	global_store_b32 v[3:4], v93, off
	global_store_b32 v[5:6], v94, off
	global_store_b32 v[7:8], v95, off
	global_store_b32 v[9:10], v96, off
	s_waitcnt vmcnt(10)
	s_clause 0x3
	global_store_b32 v[11:12], v97, off
	global_store_b32 v[13:14], v98, off
	global_store_b32 v[15:16], v99, off
	;; [unrolled: 6-line block ×11, first 2 shown]
	global_store_b32 v[91:92], v136, off
	s_waitcnt vmcnt(0)
	global_store_b32 v[51:52], v137, off
	s_endpgm
	.section	.rodata,"a",@progbits
	.p2align	6, 0x0
	.amdhsa_kernel _ZN9rocsolver6v33100L18getri_kernel_smallILi46EfPKPfEEvT1_iilPiilS6_bb
		.amdhsa_group_segment_fixed_size 376
		.amdhsa_private_segment_fixed_size 192
		.amdhsa_kernarg_size 60
		.amdhsa_user_sgpr_count 15
		.amdhsa_user_sgpr_dispatch_ptr 0
		.amdhsa_user_sgpr_queue_ptr 0
		.amdhsa_user_sgpr_kernarg_segment_ptr 1
		.amdhsa_user_sgpr_dispatch_id 0
		.amdhsa_user_sgpr_private_segment_size 0
		.amdhsa_wavefront_size32 1
		.amdhsa_uses_dynamic_stack 0
		.amdhsa_enable_private_segment 1
		.amdhsa_system_sgpr_workgroup_id_x 1
		.amdhsa_system_sgpr_workgroup_id_y 0
		.amdhsa_system_sgpr_workgroup_id_z 0
		.amdhsa_system_sgpr_workgroup_info 0
		.amdhsa_system_vgpr_workitem_id 0
		.amdhsa_next_free_vgpr 148
		.amdhsa_next_free_sgpr 17
		.amdhsa_reserve_vcc 1
		.amdhsa_float_round_mode_32 0
		.amdhsa_float_round_mode_16_64 0
		.amdhsa_float_denorm_mode_32 3
		.amdhsa_float_denorm_mode_16_64 3
		.amdhsa_dx10_clamp 1
		.amdhsa_ieee_mode 1
		.amdhsa_fp16_overflow 0
		.amdhsa_workgroup_processor_mode 1
		.amdhsa_memory_ordered 1
		.amdhsa_forward_progress 0
		.amdhsa_shared_vgpr_count 0
		.amdhsa_exception_fp_ieee_invalid_op 0
		.amdhsa_exception_fp_denorm_src 0
		.amdhsa_exception_fp_ieee_div_zero 0
		.amdhsa_exception_fp_ieee_overflow 0
		.amdhsa_exception_fp_ieee_underflow 0
		.amdhsa_exception_fp_ieee_inexact 0
		.amdhsa_exception_int_div_zero 0
	.end_amdhsa_kernel
	.section	.text._ZN9rocsolver6v33100L18getri_kernel_smallILi46EfPKPfEEvT1_iilPiilS6_bb,"axG",@progbits,_ZN9rocsolver6v33100L18getri_kernel_smallILi46EfPKPfEEvT1_iilPiilS6_bb,comdat
.Lfunc_end109:
	.size	_ZN9rocsolver6v33100L18getri_kernel_smallILi46EfPKPfEEvT1_iilPiilS6_bb, .Lfunc_end109-_ZN9rocsolver6v33100L18getri_kernel_smallILi46EfPKPfEEvT1_iilPiilS6_bb
                                        ; -- End function
	.section	.AMDGPU.csdata,"",@progbits
; Kernel info:
; codeLenInByte = 32860
; NumSgprs: 19
; NumVgprs: 148
; ScratchSize: 192
; MemoryBound: 0
; FloatMode: 240
; IeeeMode: 1
; LDSByteSize: 376 bytes/workgroup (compile time only)
; SGPRBlocks: 2
; VGPRBlocks: 18
; NumSGPRsForWavesPerEU: 19
; NumVGPRsForWavesPerEU: 148
; Occupancy: 9
; WaveLimiterHint : 1
; COMPUTE_PGM_RSRC2:SCRATCH_EN: 1
; COMPUTE_PGM_RSRC2:USER_SGPR: 15
; COMPUTE_PGM_RSRC2:TRAP_HANDLER: 0
; COMPUTE_PGM_RSRC2:TGID_X_EN: 1
; COMPUTE_PGM_RSRC2:TGID_Y_EN: 0
; COMPUTE_PGM_RSRC2:TGID_Z_EN: 0
; COMPUTE_PGM_RSRC2:TIDIG_COMP_CNT: 0
	.section	.text._ZN9rocsolver6v33100L18getri_kernel_smallILi47EfPKPfEEvT1_iilPiilS6_bb,"axG",@progbits,_ZN9rocsolver6v33100L18getri_kernel_smallILi47EfPKPfEEvT1_iilPiilS6_bb,comdat
	.globl	_ZN9rocsolver6v33100L18getri_kernel_smallILi47EfPKPfEEvT1_iilPiilS6_bb ; -- Begin function _ZN9rocsolver6v33100L18getri_kernel_smallILi47EfPKPfEEvT1_iilPiilS6_bb
	.p2align	8
	.type	_ZN9rocsolver6v33100L18getri_kernel_smallILi47EfPKPfEEvT1_iilPiilS6_bb,@function
_ZN9rocsolver6v33100L18getri_kernel_smallILi47EfPKPfEEvT1_iilPiilS6_bb: ; @_ZN9rocsolver6v33100L18getri_kernel_smallILi47EfPKPfEEvT1_iilPiilS6_bb
; %bb.0:
	s_mov_b32 s2, exec_lo
	v_cmpx_gt_u32_e32 47, v0
	s_cbranch_execz .LBB110_196
; %bb.1:
	s_clause 0x1
	s_load_b32 s13, s[0:1], 0x38
	s_load_b64 s[2:3], s[0:1], 0x0
	s_mov_b32 s8, s15
	s_load_b128 s[4:7], s[0:1], 0x28
	s_waitcnt lgkmcnt(0)
	s_bitcmp1_b32 s13, 8
	s_cselect_b32 s12, -1, 0
	s_ashr_i32 s9, s15, 31
	s_delay_alu instid0(SALU_CYCLE_1) | instskip(NEXT) | instid1(SALU_CYCLE_1)
	s_lshl_b64 s[10:11], s[8:9], 3
	s_add_u32 s2, s2, s10
	s_addc_u32 s3, s3, s11
	s_load_b64 s[10:11], s[2:3], 0x0
	s_bfe_u32 s2, s13, 0x10008
	s_delay_alu instid0(SALU_CYCLE_1)
	s_cmp_eq_u32 s2, 0
                                        ; implicit-def: $sgpr2_sgpr3
	s_cbranch_scc1 .LBB110_3
; %bb.2:
	s_clause 0x1
	s_load_b32 s2, s[0:1], 0x20
	s_load_b64 s[14:15], s[0:1], 0x18
	s_mul_i32 s3, s8, s5
	s_mul_hi_u32 s5, s8, s4
	s_mul_i32 s16, s9, s4
	s_add_i32 s3, s5, s3
	s_mul_i32 s4, s8, s4
	s_add_i32 s5, s3, s16
	s_delay_alu instid0(SALU_CYCLE_1)
	s_lshl_b64 s[4:5], s[4:5], 2
	s_waitcnt lgkmcnt(0)
	s_ashr_i32 s3, s2, 31
	s_add_u32 s4, s14, s4
	s_addc_u32 s5, s15, s5
	s_lshl_b64 s[2:3], s[2:3], 2
	s_delay_alu instid0(SALU_CYCLE_1)
	s_add_u32 s2, s4, s2
	s_addc_u32 s3, s5, s3
.LBB110_3:
	s_load_b64 s[0:1], s[0:1], 0x8
	v_lshlrev_b32_e32 v97, 2, v0
	s_waitcnt lgkmcnt(0)
	v_add3_u32 v1, s1, s1, v0
	s_ashr_i32 s5, s0, 31
	s_mov_b32 s4, s0
	s_mov_b32 s14, s1
	s_lshl_b64 s[4:5], s[4:5], 2
	v_add_nc_u32_e32 v7, s1, v1
	v_ashrrev_i32_e32 v2, 31, v1
	s_add_u32 s4, s10, s4
	s_addc_u32 s5, s11, s5
	v_add_co_u32 v3, s0, s4, v97
	v_add_nc_u32_e32 v9, s1, v7
	s_ashr_i32 s15, s1, 31
	v_add_co_ci_u32_e64 v4, null, s5, 0, s0
	v_ashrrev_i32_e32 v8, 31, v7
	s_delay_alu instid0(VALU_DEP_3)
	v_add_nc_u32_e32 v11, s1, v9
	v_lshlrev_b64 v[1:2], 2, v[1:2]
	s_lshl_b64 s[10:11], s[14:15], 2
	v_ashrrev_i32_e32 v10, 31, v9
	v_add_co_u32 v5, vcc_lo, v3, s10
	v_add_nc_u32_e32 v13, s1, v11
	v_add_co_ci_u32_e32 v6, vcc_lo, s11, v4, vcc_lo
	v_lshlrev_b64 v[40:41], 2, v[7:8]
	v_add_co_u32 v7, vcc_lo, s4, v1
	s_delay_alu instid0(VALU_DEP_4) | instskip(SKIP_3) | instid1(VALU_DEP_4)
	v_add_nc_u32_e32 v15, s1, v13
	v_add_co_ci_u32_e32 v8, vcc_lo, s5, v2, vcc_lo
	v_lshlrev_b64 v[1:2], 2, v[9:10]
	v_ashrrev_i32_e32 v12, 31, v11
	v_add_nc_u32_e32 v17, s1, v15
	v_add_co_u32 v9, vcc_lo, s4, v40
	v_ashrrev_i32_e32 v14, 31, v13
	v_add_co_ci_u32_e32 v10, vcc_lo, s5, v41, vcc_lo
	s_delay_alu instid0(VALU_DEP_4) | instskip(SKIP_3) | instid1(VALU_DEP_4)
	v_add_nc_u32_e32 v19, s1, v17
	v_lshlrev_b64 v[40:41], 2, v[11:12]
	v_add_co_u32 v11, vcc_lo, s4, v1
	v_add_co_ci_u32_e32 v12, vcc_lo, s5, v2, vcc_lo
	v_add_nc_u32_e32 v21, s1, v19
	v_lshlrev_b64 v[1:2], 2, v[13:14]
	v_ashrrev_i32_e32 v16, 31, v15
	v_add_co_u32 v13, vcc_lo, s4, v40
	s_delay_alu instid0(VALU_DEP_4) | instskip(SKIP_3) | instid1(VALU_DEP_4)
	v_add_nc_u32_e32 v23, s1, v21
	v_ashrrev_i32_e32 v18, 31, v17
	v_add_co_ci_u32_e32 v14, vcc_lo, s5, v41, vcc_lo
	v_lshlrev_b64 v[40:41], 2, v[15:16]
	v_add_nc_u32_e32 v25, s1, v23
	v_add_co_u32 v15, vcc_lo, s4, v1
	v_add_co_ci_u32_e32 v16, vcc_lo, s5, v2, vcc_lo
	s_delay_alu instid0(VALU_DEP_3) | instskip(SKIP_3) | instid1(VALU_DEP_4)
	v_add_nc_u32_e32 v27, s1, v25
	v_lshlrev_b64 v[1:2], 2, v[17:18]
	v_ashrrev_i32_e32 v20, 31, v19
	v_add_co_u32 v17, vcc_lo, s4, v40
	v_add_nc_u32_e32 v29, s1, v27
	v_ashrrev_i32_e32 v22, 31, v21
	v_add_co_ci_u32_e32 v18, vcc_lo, s5, v41, vcc_lo
	v_lshlrev_b64 v[40:41], 2, v[19:20]
	s_delay_alu instid0(VALU_DEP_4) | instskip(SKIP_2) | instid1(VALU_DEP_3)
	v_add_nc_u32_e32 v31, s1, v29
	v_add_co_u32 v19, vcc_lo, s4, v1
	v_add_co_ci_u32_e32 v20, vcc_lo, s5, v2, vcc_lo
	v_add_nc_u32_e32 v33, s1, v31
	v_lshlrev_b64 v[1:2], 2, v[21:22]
	v_ashrrev_i32_e32 v24, 31, v23
	v_add_co_u32 v21, vcc_lo, s4, v40
	s_delay_alu instid0(VALU_DEP_4) | instskip(SKIP_3) | instid1(VALU_DEP_4)
	v_add_nc_u32_e32 v35, s1, v33
	v_ashrrev_i32_e32 v26, 31, v25
	v_add_co_ci_u32_e32 v22, vcc_lo, s5, v41, vcc_lo
	v_lshlrev_b64 v[40:41], 2, v[23:24]
	v_add_nc_u32_e32 v37, s1, v35
	v_add_co_u32 v23, vcc_lo, s4, v1
	v_add_co_ci_u32_e32 v24, vcc_lo, s5, v2, vcc_lo
	s_delay_alu instid0(VALU_DEP_3) | instskip(SKIP_3) | instid1(VALU_DEP_4)
	v_add_nc_u32_e32 v39, s1, v37
	v_lshlrev_b64 v[1:2], 2, v[25:26]
	v_ashrrev_i32_e32 v28, 31, v27
	v_add_co_u32 v25, vcc_lo, s4, v40
	v_add_nc_u32_e32 v42, s1, v39
	v_ashrrev_i32_e32 v30, 31, v29
	v_add_co_ci_u32_e32 v26, vcc_lo, s5, v41, vcc_lo
	v_lshlrev_b64 v[40:41], 2, v[27:28]
	s_delay_alu instid0(VALU_DEP_4) | instskip(SKIP_2) | instid1(VALU_DEP_3)
	v_add_nc_u32_e32 v44, s1, v42
	;; [unrolled: 25-line block ×4, first 2 shown]
	v_add_co_u32 v43, vcc_lo, s4, v1
	v_add_co_ci_u32_e32 v44, vcc_lo, s5, v2, vcc_lo
	v_add_nc_u32_e32 v73, s1, v71
	v_lshlrev_b64 v[1:2], 2, v[46:47]
	v_ashrrev_i32_e32 v49, 31, v48
	v_add_co_u32 v45, vcc_lo, s4, v55
	s_delay_alu instid0(VALU_DEP_4) | instskip(SKIP_3) | instid1(VALU_DEP_4)
	v_add_nc_u32_e32 v75, s1, v73
	v_ashrrev_i32_e32 v51, 31, v50
	v_add_co_ci_u32_e32 v46, vcc_lo, s5, v56, vcc_lo
	v_lshlrev_b64 v[55:56], 2, v[48:49]
	v_add_nc_u32_e32 v77, s1, v75
	v_add_co_u32 v47, vcc_lo, s4, v1
	v_ashrrev_i32_e32 v53, 31, v52
	v_add_co_ci_u32_e32 v48, vcc_lo, s5, v2, vcc_lo
	s_delay_alu instid0(VALU_DEP_4) | instskip(SKIP_3) | instid1(VALU_DEP_4)
	v_add_nc_u32_e32 v79, s1, v77
	v_lshlrev_b64 v[1:2], 2, v[50:51]
	v_add_co_u32 v49, vcc_lo, s4, v55
	v_lshlrev_b64 v[68:69], 2, v[52:53]
	v_add_nc_u32_e32 v81, s1, v79
	v_ashrrev_i32_e32 v55, 31, v54
	v_add_co_ci_u32_e32 v50, vcc_lo, s5, v56, vcc_lo
	v_add_co_u32 v51, vcc_lo, s4, v1
	s_delay_alu instid0(VALU_DEP_4) | instskip(SKIP_3) | instid1(VALU_DEP_4)
	v_add_nc_u32_e32 v83, s1, v81
	v_ashrrev_i32_e32 v58, 31, v57
	v_add_co_ci_u32_e32 v52, vcc_lo, s5, v2, vcc_lo
	v_lshlrev_b64 v[1:2], 2, v[54:55]
	v_add_nc_u32_e32 v85, s1, v83
	v_add_co_u32 v55, vcc_lo, s4, v68
	v_add_co_ci_u32_e32 v56, vcc_lo, s5, v69, vcc_lo
	s_delay_alu instid0(VALU_DEP_3) | instskip(SKIP_3) | instid1(VALU_DEP_4)
	v_add_nc_u32_e32 v87, s1, v85
	v_lshlrev_b64 v[68:69], 2, v[57:58]
	v_ashrrev_i32_e32 v60, 31, v59
	v_add_co_u32 v57, vcc_lo, s4, v1
	v_add_nc_u32_e32 v89, s1, v87
	v_add_co_ci_u32_e32 v58, vcc_lo, s5, v2, vcc_lo
	s_delay_alu instid0(VALU_DEP_4) | instskip(SKIP_1) | instid1(VALU_DEP_4)
	v_lshlrev_b64 v[1:2], 2, v[59:60]
	v_ashrrev_i32_e32 v62, 31, v61
	v_add_nc_u32_e32 v91, s1, v89
	v_add_co_u32 v59, vcc_lo, s4, v68
	v_add_co_ci_u32_e32 v60, vcc_lo, s5, v69, vcc_lo
	s_delay_alu instid0(VALU_DEP_3)
	v_add_nc_u32_e32 v93, s1, v91
	v_ashrrev_i32_e32 v64, 31, v63
	v_lshlrev_b64 v[68:69], 2, v[61:62]
	v_ashrrev_i32_e32 v66, 31, v65
	v_ashrrev_i32_e32 v72, 31, v71
	v_add_nc_u32_e32 v95, s1, v93
	v_ashrrev_i32_e32 v74, 31, v73
	v_ashrrev_i32_e32 v76, 31, v75
	;; [unrolled: 1-line block ×4, first 2 shown]
	v_add_nc_u32_e32 v53, s1, v95
	v_lshlrev_b64 v[73:74], 2, v[73:74]
	v_ashrrev_i32_e32 v82, 31, v81
	v_lshlrev_b64 v[77:78], 2, v[77:78]
	v_ashrrev_i32_e32 v84, 31, v83
	v_ashrrev_i32_e32 v54, 31, v53
	;; [unrolled: 1-line block ×3, first 2 shown]
	v_lshlrev_b64 v[81:82], 2, v[81:82]
	v_ashrrev_i32_e32 v88, 31, v87
	v_ashrrev_i32_e32 v90, 31, v89
	v_lshlrev_b64 v[53:54], 2, v[53:54]
	v_lshlrev_b64 v[85:86], 2, v[85:86]
	v_ashrrev_i32_e32 v92, 31, v91
	v_ashrrev_i32_e32 v94, 31, v93
	v_lshlrev_b64 v[89:90], 2, v[89:90]
	v_ashrrev_i32_e32 v96, 31, v95
	v_add_co_u32 v53, vcc_lo, s4, v53
	v_add_co_ci_u32_e32 v54, vcc_lo, s5, v54, vcc_lo
	v_add_co_u32 v61, vcc_lo, s4, v1
	v_add_co_ci_u32_e32 v62, vcc_lo, s5, v2, vcc_lo
	v_lshlrev_b64 v[1:2], 2, v[63:64]
	v_add_co_u32 v63, vcc_lo, s4, v68
	v_ashrrev_i32_e32 v68, 31, v67
	v_add_co_ci_u32_e32 v64, vcc_lo, s5, v69, vcc_lo
	v_lshlrev_b64 v[69:70], 2, v[65:66]
	v_add_co_u32 v65, vcc_lo, s4, v1
	v_add_co_ci_u32_e32 v66, vcc_lo, s5, v2, vcc_lo
	v_lshlrev_b64 v[1:2], 2, v[67:68]
	s_delay_alu instid0(VALU_DEP_4) | instskip(SKIP_2) | instid1(VALU_DEP_4)
	v_add_co_u32 v67, vcc_lo, s4, v69
	v_add_co_ci_u32_e32 v68, vcc_lo, s5, v70, vcc_lo
	v_lshlrev_b64 v[93:94], 2, v[93:94]
	v_add_co_u32 v69, vcc_lo, s4, v1
	v_add_co_ci_u32_e32 v70, vcc_lo, s5, v2, vcc_lo
	v_lshlrev_b64 v[1:2], 2, v[71:72]
	s_clause 0x1f
	global_load_b32 v98, v97, s[4:5]
	global_load_b32 v99, v[5:6], off
	global_load_b32 v100, v[7:8], off
	;; [unrolled: 1-line block ×32, first 2 shown]
	v_add_co_u32 v71, vcc_lo, s4, v1
	v_add_co_ci_u32_e32 v72, vcc_lo, s5, v2, vcc_lo
	v_lshlrev_b64 v[1:2], 2, v[75:76]
	v_add_co_u32 v73, vcc_lo, s4, v73
	v_add_co_ci_u32_e32 v74, vcc_lo, s5, v74, vcc_lo
	s_bitcmp0_b32 s13, 0
	s_delay_alu instid0(VALU_DEP_3) | instskip(NEXT) | instid1(VALU_DEP_4)
	v_add_co_u32 v75, vcc_lo, s4, v1
	v_add_co_ci_u32_e32 v76, vcc_lo, s5, v2, vcc_lo
	v_lshlrev_b64 v[1:2], 2, v[79:80]
	v_add_co_u32 v77, vcc_lo, s4, v77
	v_add_co_ci_u32_e32 v78, vcc_lo, s5, v78, vcc_lo
	s_mov_b32 s1, -1
	s_delay_alu instid0(VALU_DEP_3) | instskip(NEXT) | instid1(VALU_DEP_4)
	v_add_co_u32 v79, vcc_lo, s4, v1
	v_add_co_ci_u32_e32 v80, vcc_lo, s5, v2, vcc_lo
	v_lshlrev_b64 v[1:2], 2, v[83:84]
	v_add_co_u32 v81, vcc_lo, s4, v81
	v_add_co_ci_u32_e32 v82, vcc_lo, s5, v82, vcc_lo
	s_delay_alu instid0(VALU_DEP_3) | instskip(NEXT) | instid1(VALU_DEP_4)
	v_add_co_u32 v83, vcc_lo, s4, v1
	v_add_co_ci_u32_e32 v84, vcc_lo, s5, v2, vcc_lo
	v_lshlrev_b64 v[1:2], 2, v[87:88]
	v_add_co_u32 v85, vcc_lo, s4, v85
	v_add_co_ci_u32_e32 v86, vcc_lo, s5, v86, vcc_lo
	s_clause 0x7
	global_load_b32 v131, v[71:72], off
	global_load_b32 v132, v[73:74], off
	;; [unrolled: 1-line block ×8, first 2 shown]
	v_add_co_u32 v87, vcc_lo, s4, v1
	v_add_co_ci_u32_e32 v88, vcc_lo, s5, v2, vcc_lo
	v_lshlrev_b64 v[1:2], 2, v[91:92]
	v_add_co_u32 v89, vcc_lo, s4, v89
	v_add_co_ci_u32_e32 v90, vcc_lo, s5, v90, vcc_lo
	s_delay_alu instid0(VALU_DEP_3) | instskip(NEXT) | instid1(VALU_DEP_4)
	v_add_co_u32 v91, vcc_lo, s4, v1
	v_add_co_ci_u32_e32 v92, vcc_lo, s5, v2, vcc_lo
	v_lshlrev_b64 v[1:2], 2, v[95:96]
	v_add_co_u32 v93, vcc_lo, s4, v93
	v_add_co_ci_u32_e32 v94, vcc_lo, s5, v94, vcc_lo
	s_delay_alu instid0(VALU_DEP_3) | instskip(NEXT) | instid1(VALU_DEP_4)
	v_add_co_u32 v95, vcc_lo, s4, v1
	v_add_co_ci_u32_e32 v96, vcc_lo, s5, v2, vcc_lo
	s_clause 0x5
	global_load_b32 v139, v[87:88], off
	global_load_b32 v140, v[89:90], off
	;; [unrolled: 1-line block ×6, first 2 shown]
	s_waitcnt vmcnt(43)
	scratch_store_b128 off, v[98:101], off
	s_waitcnt vmcnt(39)
	scratch_store_b128 off, v[102:105], off offset:16
	s_waitcnt vmcnt(35)
	scratch_store_b128 off, v[106:109], off offset:32
	;; [unrolled: 2-line block ×10, first 2 shown]
	s_waitcnt vmcnt(0)
	scratch_store_b96 off, v[142:144], off offset:176
	s_cbranch_scc1 .LBB110_194
; %bb.4:
	v_cmp_eq_u32_e64 s0, 0, v0
	s_delay_alu instid0(VALU_DEP_1)
	s_and_saveexec_b32 s1, s0
	s_cbranch_execz .LBB110_6
; %bb.5:
	v_mov_b32_e32 v1, 0
	ds_store_b32 v1, v1 offset:188
.LBB110_6:
	s_or_b32 exec_lo, exec_lo, s1
	s_waitcnt lgkmcnt(0)
	s_waitcnt_vscnt null, 0x0
	s_barrier
	buffer_gl0_inv
	scratch_load_b32 v1, v97, off
	s_mov_b32 s4, exec_lo
	s_waitcnt vmcnt(0)
	v_cmpx_eq_f32_e32 0, v1
	s_cbranch_execz .LBB110_10
; %bb.7:
	v_mov_b32_e32 v1, 0
	s_mov_b32 s5, 0
	ds_load_b32 v2, v1 offset:188
	s_waitcnt lgkmcnt(0)
	v_readfirstlane_b32 s1, v2
	v_add_nc_u32_e32 v2, 1, v0
	s_delay_alu instid0(VALU_DEP_2) | instskip(NEXT) | instid1(VALU_DEP_1)
	s_cmp_eq_u32 s1, 0
	v_cmp_gt_i32_e32 vcc_lo, s1, v2
	s_cselect_b32 s10, -1, 0
	s_delay_alu instid0(SALU_CYCLE_1) | instskip(NEXT) | instid1(SALU_CYCLE_1)
	s_or_b32 s10, s10, vcc_lo
	s_and_b32 exec_lo, exec_lo, s10
	s_cbranch_execz .LBB110_10
; %bb.8:
	v_mov_b32_e32 v98, s1
.LBB110_9:                              ; =>This Inner Loop Header: Depth=1
	ds_cmpstore_rtn_b32 v98, v1, v2, v98 offset:188
	s_waitcnt lgkmcnt(0)
	v_cmp_ne_u32_e32 vcc_lo, 0, v98
	v_cmp_le_i32_e64 s1, v98, v2
	s_delay_alu instid0(VALU_DEP_1) | instskip(NEXT) | instid1(SALU_CYCLE_1)
	s_and_b32 s1, vcc_lo, s1
	s_and_b32 s1, exec_lo, s1
	s_delay_alu instid0(SALU_CYCLE_1) | instskip(NEXT) | instid1(SALU_CYCLE_1)
	s_or_b32 s5, s1, s5
	s_and_not1_b32 exec_lo, exec_lo, s5
	s_cbranch_execnz .LBB110_9
.LBB110_10:
	s_or_b32 exec_lo, exec_lo, s4
	v_mov_b32_e32 v1, 0
	s_barrier
	buffer_gl0_inv
	ds_load_b32 v2, v1 offset:188
	s_and_saveexec_b32 s1, s0
	s_cbranch_execz .LBB110_12
; %bb.11:
	s_lshl_b64 s[4:5], s[8:9], 2
	s_delay_alu instid0(SALU_CYCLE_1)
	s_add_u32 s4, s6, s4
	s_addc_u32 s5, s7, s5
	s_waitcnt lgkmcnt(0)
	global_store_b32 v1, v2, s[4:5]
.LBB110_12:
	s_or_b32 exec_lo, exec_lo, s1
	s_waitcnt lgkmcnt(0)
	v_cmp_ne_u32_e32 vcc_lo, 0, v2
	s_mov_b32 s1, 0
	s_cbranch_vccnz .LBB110_194
; %bb.13:
	v_add_nc_u32_e32 v1, 0, v97
	scratch_load_b32 v2, v1, off
	s_waitcnt vmcnt(0)
	v_div_scale_f32 v98, null, v2, v2, 1.0
	v_div_scale_f32 v101, vcc_lo, 1.0, v2, 1.0
	s_delay_alu instid0(VALU_DEP_2) | instskip(SKIP_2) | instid1(VALU_DEP_1)
	v_rcp_f32_e32 v99, v98
	s_waitcnt_depctr 0xfff
	v_fma_f32 v100, -v98, v99, 1.0
	v_fmac_f32_e32 v99, v100, v99
	s_delay_alu instid0(VALU_DEP_1) | instskip(NEXT) | instid1(VALU_DEP_1)
	v_mul_f32_e32 v100, v101, v99
	v_fma_f32 v102, -v98, v100, v101
	s_delay_alu instid0(VALU_DEP_1) | instskip(NEXT) | instid1(VALU_DEP_1)
	v_fmac_f32_e32 v100, v102, v99
	v_fma_f32 v98, -v98, v100, v101
	s_delay_alu instid0(VALU_DEP_1) | instskip(NEXT) | instid1(VALU_DEP_1)
	v_div_fmas_f32 v98, v98, v99, v100
	v_div_fixup_f32 v2, v98, v2, 1.0
	scratch_store_b32 v1, v2, off
	scratch_load_b32 v98, off, off offset:4
	v_xor_b32_e32 v99, 0x80000000, v2
	v_add_nc_u32_e32 v2, 0xc0, v97
	s_waitcnt vmcnt(0)
	ds_store_2addr_b32 v97, v99, v98 offset1:48
	s_waitcnt lgkmcnt(0)
	s_waitcnt_vscnt null, 0x0
	s_barrier
	buffer_gl0_inv
	s_and_saveexec_b32 s1, s0
	s_cbranch_execz .LBB110_15
; %bb.14:
	scratch_load_b32 v98, v1, off
	ds_load_b32 v99, v2
	v_mov_b32_e32 v100, 0
	ds_load_b32 v100, v100 offset:4
	s_waitcnt vmcnt(0) lgkmcnt(1)
	v_fma_f32 v98, v98, v99, 0
	s_waitcnt lgkmcnt(0)
	s_delay_alu instid0(VALU_DEP_1)
	v_mul_f32_e32 v98, v98, v100
	scratch_store_b32 off, v98, off offset:4
.LBB110_15:
	s_or_b32 exec_lo, exec_lo, s1
	s_waitcnt_vscnt null, 0x0
	s_barrier
	buffer_gl0_inv
	scratch_load_b32 v98, off, off offset:8
	s_mov_b32 s1, exec_lo
	s_waitcnt vmcnt(0)
	ds_store_b32 v2, v98
	s_waitcnt lgkmcnt(0)
	s_barrier
	buffer_gl0_inv
	v_cmpx_gt_u32_e32 2, v0
	s_cbranch_execz .LBB110_17
; %bb.16:
	scratch_load_b32 v100, v1, off
	scratch_load_b32 v101, off, off offset:4
	ds_load_b32 v102, v2
	v_mov_b32_e32 v98, 0
	ds_load_2addr_b32 v[98:99], v98 offset0:2 offset1:49
	s_waitcnt vmcnt(1) lgkmcnt(1)
	v_fma_f32 v100, v100, v102, 0
	s_waitcnt vmcnt(0) lgkmcnt(0)
	s_delay_alu instid0(VALU_DEP_1) | instskip(NEXT) | instid1(VALU_DEP_1)
	v_fma_f32 v99, v101, v99, v100
	v_cndmask_b32_e64 v99, v100, v99, s0
	s_delay_alu instid0(VALU_DEP_1)
	v_mul_f32_e32 v98, v99, v98
	scratch_store_b32 off, v98, off offset:8
.LBB110_17:
	s_or_b32 exec_lo, exec_lo, s1
	s_waitcnt_vscnt null, 0x0
	s_barrier
	buffer_gl0_inv
	scratch_load_b32 v99, off, off offset:12
	v_add_nc_u32_e32 v98, -1, v0
	s_mov_b32 s0, exec_lo
	s_waitcnt vmcnt(0)
	ds_store_b32 v2, v99
	s_waitcnt lgkmcnt(0)
	s_barrier
	buffer_gl0_inv
	v_cmpx_gt_u32_e32 3, v0
	s_cbranch_execz .LBB110_21
; %bb.18:
	v_dual_mov_b32 v99, 0 :: v_dual_add_nc_u32 v100, -1, v0
	v_add_nc_u32_e32 v101, 0xc0, v97
	v_add_nc_u32_e32 v102, 0, v97
	s_mov_b32 s1, 0
.LBB110_19:                             ; =>This Inner Loop Header: Depth=1
	scratch_load_b32 v103, v102, off
	ds_load_b32 v104, v101
	v_add_nc_u32_e32 v100, 1, v100
	v_add_nc_u32_e32 v101, 4, v101
	v_add_nc_u32_e32 v102, 4, v102
	s_delay_alu instid0(VALU_DEP_3)
	v_cmp_lt_u32_e32 vcc_lo, 1, v100
	s_or_b32 s1, vcc_lo, s1
	s_waitcnt vmcnt(0) lgkmcnt(0)
	v_fmac_f32_e32 v99, v103, v104
	s_and_not1_b32 exec_lo, exec_lo, s1
	s_cbranch_execnz .LBB110_19
; %bb.20:
	s_or_b32 exec_lo, exec_lo, s1
	v_mov_b32_e32 v100, 0
	ds_load_b32 v100, v100 offset:12
	s_waitcnt lgkmcnt(0)
	v_mul_f32_e32 v99, v99, v100
	scratch_store_b32 off, v99, off offset:12
.LBB110_21:
	s_or_b32 exec_lo, exec_lo, s0
	s_waitcnt_vscnt null, 0x0
	s_barrier
	buffer_gl0_inv
	scratch_load_b32 v99, off, off offset:16
	s_mov_b32 s0, exec_lo
	s_waitcnt vmcnt(0)
	ds_store_b32 v2, v99
	s_waitcnt lgkmcnt(0)
	s_barrier
	buffer_gl0_inv
	v_cmpx_gt_u32_e32 4, v0
	s_cbranch_execz .LBB110_25
; %bb.22:
	v_dual_mov_b32 v99, 0 :: v_dual_add_nc_u32 v100, -1, v0
	v_add_nc_u32_e32 v101, 0xc0, v97
	v_add_nc_u32_e32 v102, 0, v97
	s_mov_b32 s1, 0
.LBB110_23:                             ; =>This Inner Loop Header: Depth=1
	scratch_load_b32 v103, v102, off
	ds_load_b32 v104, v101
	v_add_nc_u32_e32 v100, 1, v100
	v_add_nc_u32_e32 v101, 4, v101
	v_add_nc_u32_e32 v102, 4, v102
	s_delay_alu instid0(VALU_DEP_3)
	v_cmp_lt_u32_e32 vcc_lo, 2, v100
	s_or_b32 s1, vcc_lo, s1
	s_waitcnt vmcnt(0) lgkmcnt(0)
	v_fmac_f32_e32 v99, v103, v104
	s_and_not1_b32 exec_lo, exec_lo, s1
	s_cbranch_execnz .LBB110_23
; %bb.24:
	s_or_b32 exec_lo, exec_lo, s1
	v_mov_b32_e32 v100, 0
	ds_load_b32 v100, v100 offset:16
	s_waitcnt lgkmcnt(0)
	v_mul_f32_e32 v99, v99, v100
	scratch_store_b32 off, v99, off offset:16
.LBB110_25:
	s_or_b32 exec_lo, exec_lo, s0
	s_waitcnt_vscnt null, 0x0
	s_barrier
	buffer_gl0_inv
	scratch_load_b32 v99, off, off offset:20
	;; [unrolled: 39-line block ×21, first 2 shown]
	s_mov_b32 s0, exec_lo
	s_waitcnt vmcnt(0)
	ds_store_b32 v2, v99
	s_waitcnt lgkmcnt(0)
	s_barrier
	buffer_gl0_inv
	v_cmpx_gt_u32_e32 24, v0
	s_cbranch_execz .LBB110_105
; %bb.102:
	v_dual_mov_b32 v99, 0 :: v_dual_add_nc_u32 v100, -1, v0
	v_add_nc_u32_e32 v101, 0xc0, v97
	v_add_nc_u32_e32 v102, 0, v97
	s_mov_b32 s1, 0
.LBB110_103:                            ; =>This Inner Loop Header: Depth=1
	scratch_load_b32 v103, v102, off
	ds_load_b32 v104, v101
	v_add_nc_u32_e32 v100, 1, v100
	v_add_nc_u32_e32 v101, 4, v101
	v_add_nc_u32_e32 v102, 4, v102
	s_delay_alu instid0(VALU_DEP_3)
	v_cmp_lt_u32_e32 vcc_lo, 22, v100
	s_or_b32 s1, vcc_lo, s1
	s_waitcnt vmcnt(0) lgkmcnt(0)
	v_fmac_f32_e32 v99, v103, v104
	s_and_not1_b32 exec_lo, exec_lo, s1
	s_cbranch_execnz .LBB110_103
; %bb.104:
	s_or_b32 exec_lo, exec_lo, s1
	v_mov_b32_e32 v100, 0
	ds_load_b32 v100, v100 offset:96
	s_waitcnt lgkmcnt(0)
	v_mul_f32_e32 v99, v99, v100
	scratch_store_b32 off, v99, off offset:96
.LBB110_105:
	s_or_b32 exec_lo, exec_lo, s0
	s_waitcnt_vscnt null, 0x0
	s_barrier
	buffer_gl0_inv
	scratch_load_b32 v99, off, off offset:100
	s_mov_b32 s0, exec_lo
	s_waitcnt vmcnt(0)
	ds_store_b32 v2, v99
	s_waitcnt lgkmcnt(0)
	s_barrier
	buffer_gl0_inv
	v_cmpx_gt_u32_e32 25, v0
	s_cbranch_execz .LBB110_109
; %bb.106:
	v_dual_mov_b32 v99, 0 :: v_dual_add_nc_u32 v100, -1, v0
	v_add_nc_u32_e32 v101, 0xc0, v97
	v_add_nc_u32_e32 v102, 0, v97
	s_mov_b32 s1, 0
.LBB110_107:                            ; =>This Inner Loop Header: Depth=1
	scratch_load_b32 v103, v102, off
	ds_load_b32 v104, v101
	v_add_nc_u32_e32 v100, 1, v100
	v_add_nc_u32_e32 v101, 4, v101
	v_add_nc_u32_e32 v102, 4, v102
	s_delay_alu instid0(VALU_DEP_3)
	v_cmp_lt_u32_e32 vcc_lo, 23, v100
	s_or_b32 s1, vcc_lo, s1
	s_waitcnt vmcnt(0) lgkmcnt(0)
	v_fmac_f32_e32 v99, v103, v104
	s_and_not1_b32 exec_lo, exec_lo, s1
	s_cbranch_execnz .LBB110_107
; %bb.108:
	s_or_b32 exec_lo, exec_lo, s1
	v_mov_b32_e32 v100, 0
	ds_load_b32 v100, v100 offset:100
	s_waitcnt lgkmcnt(0)
	v_mul_f32_e32 v99, v99, v100
	scratch_store_b32 off, v99, off offset:100
.LBB110_109:
	s_or_b32 exec_lo, exec_lo, s0
	s_waitcnt_vscnt null, 0x0
	s_barrier
	buffer_gl0_inv
	scratch_load_b32 v99, off, off offset:104
	;; [unrolled: 39-line block ×21, first 2 shown]
	s_mov_b32 s0, exec_lo
	s_waitcnt vmcnt(0)
	ds_store_b32 v2, v99
	s_waitcnt lgkmcnt(0)
	s_barrier
	buffer_gl0_inv
	v_cmpx_gt_u32_e32 45, v0
	s_cbranch_execz .LBB110_189
; %bb.186:
	v_add_nc_u32_e32 v99, -1, v0
	v_add_nc_u32_e32 v100, 0xc0, v97
	v_add_nc_u32_e32 v101, 0, v97
	v_mov_b32_e32 v97, 0
	s_mov_b32 s1, 0
.LBB110_187:                            ; =>This Inner Loop Header: Depth=1
	scratch_load_b32 v102, v101, off
	ds_load_b32 v103, v100
	v_add_nc_u32_e32 v99, 1, v99
	v_add_nc_u32_e32 v100, 4, v100
	;; [unrolled: 1-line block ×3, first 2 shown]
	s_delay_alu instid0(VALU_DEP_3)
	v_cmp_lt_u32_e32 vcc_lo, 43, v99
	s_or_b32 s1, vcc_lo, s1
	s_waitcnt vmcnt(0) lgkmcnt(0)
	v_fmac_f32_e32 v97, v102, v103
	s_and_not1_b32 exec_lo, exec_lo, s1
	s_cbranch_execnz .LBB110_187
; %bb.188:
	s_or_b32 exec_lo, exec_lo, s1
	v_mov_b32_e32 v99, 0
	ds_load_b32 v99, v99 offset:180
	s_waitcnt lgkmcnt(0)
	v_mul_f32_e32 v97, v97, v99
	scratch_store_b32 off, v97, off offset:180
.LBB110_189:
	s_or_b32 exec_lo, exec_lo, s0
	s_waitcnt_vscnt null, 0x0
	s_barrier
	buffer_gl0_inv
	scratch_load_b32 v97, off, off offset:184
	s_mov_b32 s0, exec_lo
	s_waitcnt vmcnt(0)
	ds_store_b32 v2, v97
	s_waitcnt lgkmcnt(0)
	s_barrier
	buffer_gl0_inv
	v_cmpx_ne_u32_e32 46, v0
	s_cbranch_execz .LBB110_193
; %bb.190:
	v_mov_b32_e32 v97, 0
	s_mov_b32 s1, 0
.LBB110_191:                            ; =>This Inner Loop Header: Depth=1
	scratch_load_b32 v99, v1, off
	ds_load_b32 v100, v2
	v_add_nc_u32_e32 v98, 1, v98
	v_add_nc_u32_e32 v2, 4, v2
	;; [unrolled: 1-line block ×3, first 2 shown]
	s_waitcnt vmcnt(0) lgkmcnt(0)
	v_fmac_f32_e32 v97, v99, v100
	v_cmp_lt_u32_e32 vcc_lo, 44, v98
	s_or_b32 s1, vcc_lo, s1
	s_delay_alu instid0(SALU_CYCLE_1)
	s_and_not1_b32 exec_lo, exec_lo, s1
	s_cbranch_execnz .LBB110_191
; %bb.192:
	s_or_b32 exec_lo, exec_lo, s1
	v_mov_b32_e32 v1, 0
	ds_load_b32 v1, v1 offset:184
	s_waitcnt lgkmcnt(0)
	v_mul_f32_e32 v1, v97, v1
	scratch_store_b32 off, v1, off offset:184
.LBB110_193:
	s_or_b32 exec_lo, exec_lo, s0
	s_mov_b32 s1, -1
	s_waitcnt_vscnt null, 0x0
	s_barrier
	buffer_gl0_inv
.LBB110_194:
	s_and_b32 vcc_lo, exec_lo, s1
	s_cbranch_vccz .LBB110_196
; %bb.195:
	s_lshl_b64 s[0:1], s[8:9], 2
	v_mov_b32_e32 v1, 0
	s_add_u32 s0, s6, s0
	s_addc_u32 s1, s7, s1
	global_load_b32 v1, v1, s[0:1]
	s_waitcnt vmcnt(0)
	v_cmp_ne_u32_e32 vcc_lo, 0, v1
	s_cbranch_vccz .LBB110_197
.LBB110_196:
	s_endpgm
.LBB110_197:
	v_lshl_add_u32 v1, v0, 2, 0xc0
	s_mov_b32 s0, exec_lo
	v_cmpx_eq_u32_e32 46, v0
	s_cbranch_execz .LBB110_199
; %bb.198:
	scratch_load_b32 v2, off, off offset:180
	v_mov_b32_e32 v97, 0
	scratch_store_b32 off, v97, off offset:180
	s_waitcnt vmcnt(0)
	ds_store_b32 v1, v2
.LBB110_199:
	s_or_b32 exec_lo, exec_lo, s0
	s_waitcnt lgkmcnt(0)
	s_waitcnt_vscnt null, 0x0
	s_barrier
	buffer_gl0_inv
	scratch_load_b64 v[97:98], off, off offset:180
	v_mov_b32_e32 v2, 0
	s_mov_b32 s0, exec_lo
	ds_load_b32 v99, v2 offset:376
	s_waitcnt vmcnt(0) lgkmcnt(0)
	v_fma_f32 v98, v98, v99, 0
	s_delay_alu instid0(VALU_DEP_1)
	v_sub_f32_e32 v97, v97, v98
	scratch_store_b32 off, v97, off offset:180
	v_cmpx_lt_u32_e32 44, v0
	s_cbranch_execz .LBB110_201
; %bb.200:
	scratch_load_b32 v97, off, off offset:176
	scratch_store_b32 off, v2, off offset:176
	s_waitcnt vmcnt(0)
	ds_store_b32 v1, v97
.LBB110_201:
	s_or_b32 exec_lo, exec_lo, s0
	s_waitcnt lgkmcnt(0)
	s_waitcnt_vscnt null, 0x0
	s_barrier
	buffer_gl0_inv
	scratch_load_b96 v[97:99], off, off offset:176
	ds_load_2addr_b32 v[100:101], v2 offset0:93 offset1:94
	s_mov_b32 s0, exec_lo
	s_waitcnt vmcnt(0) lgkmcnt(0)
	v_fma_f32 v2, v98, v100, 0
	s_delay_alu instid0(VALU_DEP_1) | instskip(NEXT) | instid1(VALU_DEP_1)
	v_fmac_f32_e32 v2, v99, v101
	v_sub_f32_e32 v2, v97, v2
	scratch_store_b32 off, v2, off offset:176
	v_cmpx_lt_u32_e32 43, v0
	s_cbranch_execz .LBB110_203
; %bb.202:
	scratch_load_b32 v2, off, off offset:172
	v_mov_b32_e32 v97, 0
	scratch_store_b32 off, v97, off offset:172
	s_waitcnt vmcnt(0)
	ds_store_b32 v1, v2
.LBB110_203:
	s_or_b32 exec_lo, exec_lo, s0
	s_waitcnt lgkmcnt(0)
	s_waitcnt_vscnt null, 0x0
	s_barrier
	buffer_gl0_inv
	scratch_load_b128 v[97:100], off, off offset:172
	v_mov_b32_e32 v2, 0
	s_mov_b32 s0, exec_lo
	ds_load_b96 v[101:103], v2 offset:368
	s_waitcnt vmcnt(0) lgkmcnt(0)
	v_fma_f32 v98, v98, v101, 0
	s_delay_alu instid0(VALU_DEP_1) | instskip(NEXT) | instid1(VALU_DEP_1)
	v_fmac_f32_e32 v98, v99, v102
	v_fmac_f32_e32 v98, v100, v103
	s_delay_alu instid0(VALU_DEP_1)
	v_sub_f32_e32 v97, v97, v98
	scratch_store_b32 off, v97, off offset:172
	v_cmpx_lt_u32_e32 42, v0
	s_cbranch_execz .LBB110_205
; %bb.204:
	scratch_load_b32 v97, off, off offset:168
	scratch_store_b32 off, v2, off offset:168
	s_waitcnt vmcnt(0)
	ds_store_b32 v1, v97
.LBB110_205:
	s_or_b32 exec_lo, exec_lo, s0
	s_waitcnt lgkmcnt(0)
	s_waitcnt_vscnt null, 0x0
	s_barrier
	buffer_gl0_inv
	s_clause 0x1
	scratch_load_b128 v[97:100], off, off offset:168
	scratch_load_b32 v105, off, off offset:184
	ds_load_2addr_b32 v[101:102], v2 offset0:91 offset1:92
	ds_load_2addr_b32 v[103:104], v2 offset0:93 offset1:94
	s_mov_b32 s0, exec_lo
	s_waitcnt vmcnt(1) lgkmcnt(1)
	v_fma_f32 v2, v98, v101, 0
	s_delay_alu instid0(VALU_DEP_1) | instskip(SKIP_1) | instid1(VALU_DEP_1)
	v_fmac_f32_e32 v2, v99, v102
	s_waitcnt lgkmcnt(0)
	v_fmac_f32_e32 v2, v100, v103
	s_waitcnt vmcnt(0)
	s_delay_alu instid0(VALU_DEP_1) | instskip(NEXT) | instid1(VALU_DEP_1)
	v_fmac_f32_e32 v2, v105, v104
	v_sub_f32_e32 v2, v97, v2
	scratch_store_b32 off, v2, off offset:168
	v_cmpx_lt_u32_e32 41, v0
	s_cbranch_execz .LBB110_207
; %bb.206:
	scratch_load_b32 v2, off, off offset:164
	v_mov_b32_e32 v97, 0
	scratch_store_b32 off, v97, off offset:164
	s_waitcnt vmcnt(0)
	ds_store_b32 v1, v2
.LBB110_207:
	s_or_b32 exec_lo, exec_lo, s0
	s_waitcnt lgkmcnt(0)
	s_waitcnt_vscnt null, 0x0
	s_barrier
	buffer_gl0_inv
	s_clause 0x1
	scratch_load_b128 v[97:100], off, off offset:164
	scratch_load_b64 v[105:106], off, off offset:180
	v_mov_b32_e32 v2, 0
	ds_load_2addr_b64 v[101:104], v2 offset0:45 offset1:46
	ds_load_b32 v107, v2 offset:376
	s_mov_b32 s0, exec_lo
	s_waitcnt vmcnt(1) lgkmcnt(1)
	v_fma_f32 v98, v98, v101, 0
	s_delay_alu instid0(VALU_DEP_1) | instskip(NEXT) | instid1(VALU_DEP_1)
	v_fmac_f32_e32 v98, v99, v102
	v_fmac_f32_e32 v98, v100, v103
	s_waitcnt vmcnt(0)
	s_delay_alu instid0(VALU_DEP_1) | instskip(SKIP_1) | instid1(VALU_DEP_1)
	v_fmac_f32_e32 v98, v105, v104
	s_waitcnt lgkmcnt(0)
	v_fmac_f32_e32 v98, v106, v107
	s_delay_alu instid0(VALU_DEP_1)
	v_sub_f32_e32 v97, v97, v98
	scratch_store_b32 off, v97, off offset:164
	v_cmpx_lt_u32_e32 40, v0
	s_cbranch_execz .LBB110_209
; %bb.208:
	scratch_load_b32 v97, off, off offset:160
	scratch_store_b32 off, v2, off offset:160
	s_waitcnt vmcnt(0)
	ds_store_b32 v1, v97
.LBB110_209:
	s_or_b32 exec_lo, exec_lo, s0
	s_waitcnt lgkmcnt(0)
	s_waitcnt_vscnt null, 0x0
	s_barrier
	buffer_gl0_inv
	s_clause 0x1
	scratch_load_b128 v[97:100], off, off offset:160
	scratch_load_b96 v[101:103], off, off offset:176
	ds_load_2addr_b32 v[104:105], v2 offset0:89 offset1:90
	ds_load_2addr_b32 v[106:107], v2 offset0:91 offset1:92
	;; [unrolled: 1-line block ×3, first 2 shown]
	s_mov_b32 s0, exec_lo
	s_waitcnt vmcnt(1) lgkmcnt(2)
	v_fma_f32 v2, v98, v104, 0
	s_delay_alu instid0(VALU_DEP_1) | instskip(SKIP_1) | instid1(VALU_DEP_1)
	v_fmac_f32_e32 v2, v99, v105
	s_waitcnt lgkmcnt(1)
	v_fmac_f32_e32 v2, v100, v106
	s_waitcnt vmcnt(0)
	s_delay_alu instid0(VALU_DEP_1) | instskip(SKIP_1) | instid1(VALU_DEP_1)
	v_fmac_f32_e32 v2, v101, v107
	s_waitcnt lgkmcnt(0)
	v_fmac_f32_e32 v2, v102, v108
	s_delay_alu instid0(VALU_DEP_1) | instskip(NEXT) | instid1(VALU_DEP_1)
	v_fmac_f32_e32 v2, v103, v109
	v_sub_f32_e32 v2, v97, v2
	scratch_store_b32 off, v2, off offset:160
	v_cmpx_lt_u32_e32 39, v0
	s_cbranch_execz .LBB110_211
; %bb.210:
	scratch_load_b32 v2, off, off offset:156
	v_mov_b32_e32 v97, 0
	scratch_store_b32 off, v97, off offset:156
	s_waitcnt vmcnt(0)
	ds_store_b32 v1, v2
.LBB110_211:
	s_or_b32 exec_lo, exec_lo, s0
	s_waitcnt lgkmcnt(0)
	s_waitcnt_vscnt null, 0x0
	s_barrier
	buffer_gl0_inv
	s_clause 0x1
	scratch_load_b128 v[97:100], off, off offset:156
	scratch_load_b128 v[101:104], off, off offset:172
	v_mov_b32_e32 v2, 0
	ds_load_b128 v[105:108], v2 offset:352
	ds_load_b96 v[109:111], v2 offset:368
	s_mov_b32 s0, exec_lo
	s_waitcnt vmcnt(1) lgkmcnt(1)
	v_fma_f32 v98, v98, v105, 0
	s_delay_alu instid0(VALU_DEP_1) | instskip(NEXT) | instid1(VALU_DEP_1)
	v_fmac_f32_e32 v98, v99, v106
	v_fmac_f32_e32 v98, v100, v107
	s_waitcnt vmcnt(0)
	s_delay_alu instid0(VALU_DEP_1) | instskip(SKIP_1) | instid1(VALU_DEP_1)
	v_fmac_f32_e32 v98, v101, v108
	s_waitcnt lgkmcnt(0)
	v_fmac_f32_e32 v98, v102, v109
	s_delay_alu instid0(VALU_DEP_1) | instskip(NEXT) | instid1(VALU_DEP_1)
	v_fmac_f32_e32 v98, v103, v110
	v_fmac_f32_e32 v98, v104, v111
	s_delay_alu instid0(VALU_DEP_1)
	v_sub_f32_e32 v97, v97, v98
	scratch_store_b32 off, v97, off offset:156
	v_cmpx_lt_u32_e32 38, v0
	s_cbranch_execz .LBB110_213
; %bb.212:
	scratch_load_b32 v97, off, off offset:152
	scratch_store_b32 off, v2, off offset:152
	s_waitcnt vmcnt(0)
	ds_store_b32 v1, v97
.LBB110_213:
	s_or_b32 exec_lo, exec_lo, s0
	s_waitcnt lgkmcnt(0)
	s_waitcnt_vscnt null, 0x0
	s_barrier
	buffer_gl0_inv
	s_clause 0x2
	scratch_load_b128 v[97:100], off, off offset:152
	scratch_load_b128 v[101:104], off, off offset:168
	scratch_load_b32 v113, off, off offset:184
	ds_load_2addr_b32 v[105:106], v2 offset0:87 offset1:88
	ds_load_2addr_b32 v[107:108], v2 offset0:89 offset1:90
	;; [unrolled: 1-line block ×4, first 2 shown]
	s_mov_b32 s0, exec_lo
	s_waitcnt vmcnt(2) lgkmcnt(3)
	v_fma_f32 v2, v98, v105, 0
	s_delay_alu instid0(VALU_DEP_1) | instskip(SKIP_1) | instid1(VALU_DEP_1)
	v_fmac_f32_e32 v2, v99, v106
	s_waitcnt lgkmcnt(2)
	v_fmac_f32_e32 v2, v100, v107
	s_waitcnt vmcnt(1)
	s_delay_alu instid0(VALU_DEP_1) | instskip(SKIP_1) | instid1(VALU_DEP_1)
	v_fmac_f32_e32 v2, v101, v108
	s_waitcnt lgkmcnt(1)
	v_fmac_f32_e32 v2, v102, v109
	s_delay_alu instid0(VALU_DEP_1) | instskip(SKIP_1) | instid1(VALU_DEP_1)
	v_fmac_f32_e32 v2, v103, v110
	s_waitcnt lgkmcnt(0)
	v_fmac_f32_e32 v2, v104, v111
	s_waitcnt vmcnt(0)
	s_delay_alu instid0(VALU_DEP_1) | instskip(NEXT) | instid1(VALU_DEP_1)
	v_fmac_f32_e32 v2, v113, v112
	v_sub_f32_e32 v2, v97, v2
	scratch_store_b32 off, v2, off offset:152
	v_cmpx_lt_u32_e32 37, v0
	s_cbranch_execz .LBB110_215
; %bb.214:
	scratch_load_b32 v2, off, off offset:148
	v_mov_b32_e32 v97, 0
	scratch_store_b32 off, v97, off offset:148
	s_waitcnt vmcnt(0)
	ds_store_b32 v1, v2
.LBB110_215:
	s_or_b32 exec_lo, exec_lo, s0
	s_waitcnt lgkmcnt(0)
	s_waitcnt_vscnt null, 0x0
	s_barrier
	buffer_gl0_inv
	s_clause 0x2
	scratch_load_b128 v[97:100], off, off offset:148
	scratch_load_b128 v[101:104], off, off offset:164
	scratch_load_b64 v[113:114], off, off offset:180
	v_mov_b32_e32 v2, 0
	ds_load_2addr_b64 v[105:108], v2 offset0:43 offset1:44
	ds_load_2addr_b64 v[109:112], v2 offset0:45 offset1:46
	s_mov_b32 s0, exec_lo
	s_waitcnt vmcnt(2) lgkmcnt(1)
	v_fma_f32 v98, v98, v105, 0
	s_delay_alu instid0(VALU_DEP_1) | instskip(SKIP_3) | instid1(VALU_DEP_1)
	v_fmac_f32_e32 v98, v99, v106
	ds_load_b32 v99, v2 offset:376
	v_fmac_f32_e32 v98, v100, v107
	s_waitcnt vmcnt(1)
	v_fmac_f32_e32 v98, v101, v108
	s_waitcnt lgkmcnt(1)
	s_delay_alu instid0(VALU_DEP_1) | instskip(NEXT) | instid1(VALU_DEP_1)
	v_fmac_f32_e32 v98, v102, v109
	v_fmac_f32_e32 v98, v103, v110
	s_delay_alu instid0(VALU_DEP_1) | instskip(SKIP_1) | instid1(VALU_DEP_1)
	v_fmac_f32_e32 v98, v104, v111
	s_waitcnt vmcnt(0)
	v_fmac_f32_e32 v98, v113, v112
	s_waitcnt lgkmcnt(0)
	s_delay_alu instid0(VALU_DEP_1) | instskip(NEXT) | instid1(VALU_DEP_1)
	v_fmac_f32_e32 v98, v114, v99
	v_sub_f32_e32 v97, v97, v98
	scratch_store_b32 off, v97, off offset:148
	v_cmpx_lt_u32_e32 36, v0
	s_cbranch_execz .LBB110_217
; %bb.216:
	scratch_load_b32 v97, off, off offset:144
	scratch_store_b32 off, v2, off offset:144
	s_waitcnt vmcnt(0)
	ds_store_b32 v1, v97
.LBB110_217:
	s_or_b32 exec_lo, exec_lo, s0
	s_waitcnt lgkmcnt(0)
	s_waitcnt_vscnt null, 0x0
	s_barrier
	buffer_gl0_inv
	s_clause 0x2
	scratch_load_b128 v[97:100], off, off offset:144
	scratch_load_b128 v[101:104], off, off offset:160
	scratch_load_b96 v[105:107], off, off offset:176
	ds_load_2addr_b32 v[108:109], v2 offset0:85 offset1:86
	ds_load_2addr_b32 v[110:111], v2 offset0:87 offset1:88
	;; [unrolled: 1-line block ×4, first 2 shown]
	s_mov_b32 s0, exec_lo
	s_waitcnt vmcnt(2) lgkmcnt(3)
	v_fma_f32 v108, v98, v108, 0
	s_delay_alu instid0(VALU_DEP_1) | instskip(SKIP_4) | instid1(VALU_DEP_1)
	v_fmac_f32_e32 v108, v99, v109
	ds_load_2addr_b32 v[98:99], v2 offset0:93 offset1:94
	s_waitcnt lgkmcnt(3)
	v_fmac_f32_e32 v108, v100, v110
	s_waitcnt vmcnt(1)
	v_fmac_f32_e32 v108, v101, v111
	s_waitcnt lgkmcnt(2)
	s_delay_alu instid0(VALU_DEP_1) | instskip(NEXT) | instid1(VALU_DEP_1)
	v_fmac_f32_e32 v108, v102, v112
	v_fmac_f32_e32 v108, v103, v113
	s_waitcnt lgkmcnt(1)
	s_delay_alu instid0(VALU_DEP_1) | instskip(SKIP_1) | instid1(VALU_DEP_1)
	v_fmac_f32_e32 v108, v104, v114
	s_waitcnt vmcnt(0)
	v_fmac_f32_e32 v108, v105, v115
	s_waitcnt lgkmcnt(0)
	s_delay_alu instid0(VALU_DEP_1) | instskip(NEXT) | instid1(VALU_DEP_1)
	v_fmac_f32_e32 v108, v106, v98
	v_fmac_f32_e32 v108, v107, v99
	s_delay_alu instid0(VALU_DEP_1)
	v_sub_f32_e32 v2, v97, v108
	scratch_store_b32 off, v2, off offset:144
	v_cmpx_lt_u32_e32 35, v0
	s_cbranch_execz .LBB110_219
; %bb.218:
	scratch_load_b32 v2, off, off offset:140
	v_mov_b32_e32 v97, 0
	scratch_store_b32 off, v97, off offset:140
	s_waitcnt vmcnt(0)
	ds_store_b32 v1, v2
.LBB110_219:
	s_or_b32 exec_lo, exec_lo, s0
	s_waitcnt lgkmcnt(0)
	s_waitcnt_vscnt null, 0x0
	s_barrier
	buffer_gl0_inv
	s_clause 0x2
	scratch_load_b128 v[97:100], off, off offset:140
	scratch_load_b128 v[101:104], off, off offset:156
	;; [unrolled: 1-line block ×3, first 2 shown]
	v_mov_b32_e32 v2, 0
	ds_load_b128 v[109:112], v2 offset:336
	ds_load_b128 v[113:116], v2 offset:352
	s_mov_b32 s0, exec_lo
	s_waitcnt vmcnt(2) lgkmcnt(1)
	v_fma_f32 v109, v98, v109, 0
	s_delay_alu instid0(VALU_DEP_1) | instskip(NEXT) | instid1(VALU_DEP_1)
	v_fmac_f32_e32 v109, v99, v110
	v_fmac_f32_e32 v109, v100, v111
	ds_load_b96 v[98:100], v2 offset:368
	s_waitcnt vmcnt(1)
	v_fmac_f32_e32 v109, v101, v112
	s_waitcnt lgkmcnt(1)
	s_delay_alu instid0(VALU_DEP_1) | instskip(NEXT) | instid1(VALU_DEP_1)
	v_fmac_f32_e32 v109, v102, v113
	v_fmac_f32_e32 v109, v103, v114
	s_delay_alu instid0(VALU_DEP_1) | instskip(SKIP_1) | instid1(VALU_DEP_1)
	v_fmac_f32_e32 v109, v104, v115
	s_waitcnt vmcnt(0)
	v_fmac_f32_e32 v109, v105, v116
	s_waitcnt lgkmcnt(0)
	s_delay_alu instid0(VALU_DEP_1) | instskip(NEXT) | instid1(VALU_DEP_1)
	v_fmac_f32_e32 v109, v106, v98
	v_fmac_f32_e32 v109, v107, v99
	s_delay_alu instid0(VALU_DEP_1) | instskip(NEXT) | instid1(VALU_DEP_1)
	v_fmac_f32_e32 v109, v108, v100
	v_sub_f32_e32 v97, v97, v109
	scratch_store_b32 off, v97, off offset:140
	v_cmpx_lt_u32_e32 34, v0
	s_cbranch_execz .LBB110_221
; %bb.220:
	scratch_load_b32 v97, off, off offset:136
	scratch_store_b32 off, v2, off offset:136
	s_waitcnt vmcnt(0)
	ds_store_b32 v1, v97
.LBB110_221:
	s_or_b32 exec_lo, exec_lo, s0
	s_waitcnt lgkmcnt(0)
	s_waitcnt_vscnt null, 0x0
	s_barrier
	buffer_gl0_inv
	s_clause 0x3
	scratch_load_b128 v[97:100], off, off offset:136
	scratch_load_b128 v[101:104], off, off offset:152
	;; [unrolled: 1-line block ×3, first 2 shown]
	scratch_load_b32 v117, off, off offset:184
	ds_load_2addr_b32 v[109:110], v2 offset0:83 offset1:84
	ds_load_2addr_b32 v[111:112], v2 offset0:85 offset1:86
	;; [unrolled: 1-line block ×4, first 2 shown]
	s_mov_b32 s0, exec_lo
	s_waitcnt vmcnt(3) lgkmcnt(3)
	v_fma_f32 v109, v98, v109, 0
	s_delay_alu instid0(VALU_DEP_1) | instskip(SKIP_4) | instid1(VALU_DEP_1)
	v_fmac_f32_e32 v109, v99, v110
	ds_load_2addr_b32 v[98:99], v2 offset0:91 offset1:92
	s_waitcnt lgkmcnt(3)
	v_fmac_f32_e32 v109, v100, v111
	s_waitcnt vmcnt(2)
	v_fmac_f32_e32 v109, v101, v112
	ds_load_2addr_b32 v[100:101], v2 offset0:93 offset1:94
	s_waitcnt lgkmcnt(3)
	v_fmac_f32_e32 v109, v102, v113
	s_delay_alu instid0(VALU_DEP_1) | instskip(SKIP_1) | instid1(VALU_DEP_1)
	v_fmac_f32_e32 v109, v103, v114
	s_waitcnt lgkmcnt(2)
	v_fmac_f32_e32 v109, v104, v115
	s_waitcnt vmcnt(1)
	s_delay_alu instid0(VALU_DEP_1) | instskip(SKIP_1) | instid1(VALU_DEP_1)
	v_fmac_f32_e32 v109, v105, v116
	s_waitcnt lgkmcnt(1)
	v_fmac_f32_e32 v109, v106, v98
	s_delay_alu instid0(VALU_DEP_1) | instskip(SKIP_1) | instid1(VALU_DEP_1)
	v_fmac_f32_e32 v109, v107, v99
	s_waitcnt lgkmcnt(0)
	v_fmac_f32_e32 v109, v108, v100
	s_waitcnt vmcnt(0)
	s_delay_alu instid0(VALU_DEP_1) | instskip(NEXT) | instid1(VALU_DEP_1)
	v_fmac_f32_e32 v109, v117, v101
	v_sub_f32_e32 v2, v97, v109
	scratch_store_b32 off, v2, off offset:136
	v_cmpx_lt_u32_e32 33, v0
	s_cbranch_execz .LBB110_223
; %bb.222:
	scratch_load_b32 v2, off, off offset:132
	v_mov_b32_e32 v97, 0
	scratch_store_b32 off, v97, off offset:132
	s_waitcnt vmcnt(0)
	ds_store_b32 v1, v2
.LBB110_223:
	s_or_b32 exec_lo, exec_lo, s0
	s_waitcnt lgkmcnt(0)
	s_waitcnt_vscnt null, 0x0
	s_barrier
	buffer_gl0_inv
	s_clause 0x3
	scratch_load_b128 v[97:100], off, off offset:132
	scratch_load_b128 v[101:104], off, off offset:148
	scratch_load_b128 v[105:108], off, off offset:164
	scratch_load_b64 v[117:118], off, off offset:180
	v_mov_b32_e32 v2, 0
	ds_load_2addr_b64 v[109:112], v2 offset0:41 offset1:42
	ds_load_2addr_b64 v[113:116], v2 offset0:43 offset1:44
	s_mov_b32 s0, exec_lo
	s_waitcnt vmcnt(3) lgkmcnt(1)
	v_fma_f32 v109, v98, v109, 0
	s_delay_alu instid0(VALU_DEP_1) | instskip(NEXT) | instid1(VALU_DEP_1)
	v_fmac_f32_e32 v109, v99, v110
	v_fmac_f32_e32 v109, v100, v111
	s_waitcnt vmcnt(2)
	s_delay_alu instid0(VALU_DEP_1)
	v_fmac_f32_e32 v109, v101, v112
	ds_load_2addr_b64 v[98:101], v2 offset0:45 offset1:46
	s_waitcnt lgkmcnt(1)
	v_fmac_f32_e32 v109, v102, v113
	ds_load_b32 v102, v2 offset:376
	v_fmac_f32_e32 v109, v103, v114
	s_delay_alu instid0(VALU_DEP_1) | instskip(SKIP_1) | instid1(VALU_DEP_1)
	v_fmac_f32_e32 v109, v104, v115
	s_waitcnt vmcnt(1)
	v_fmac_f32_e32 v109, v105, v116
	s_waitcnt lgkmcnt(1)
	s_delay_alu instid0(VALU_DEP_1) | instskip(NEXT) | instid1(VALU_DEP_1)
	v_fmac_f32_e32 v109, v106, v98
	v_fmac_f32_e32 v109, v107, v99
	s_delay_alu instid0(VALU_DEP_1) | instskip(SKIP_1) | instid1(VALU_DEP_1)
	v_fmac_f32_e32 v109, v108, v100
	s_waitcnt vmcnt(0)
	v_fmac_f32_e32 v109, v117, v101
	s_waitcnt lgkmcnt(0)
	s_delay_alu instid0(VALU_DEP_1) | instskip(NEXT) | instid1(VALU_DEP_1)
	v_fmac_f32_e32 v109, v118, v102
	v_sub_f32_e32 v97, v97, v109
	scratch_store_b32 off, v97, off offset:132
	v_cmpx_lt_u32_e32 32, v0
	s_cbranch_execz .LBB110_225
; %bb.224:
	scratch_load_b32 v97, off, off offset:128
	scratch_store_b32 off, v2, off offset:128
	s_waitcnt vmcnt(0)
	ds_store_b32 v1, v97
.LBB110_225:
	s_or_b32 exec_lo, exec_lo, s0
	s_waitcnt lgkmcnt(0)
	s_waitcnt_vscnt null, 0x0
	s_barrier
	buffer_gl0_inv
	s_clause 0x3
	scratch_load_b128 v[97:100], off, off offset:128
	scratch_load_b128 v[101:104], off, off offset:144
	;; [unrolled: 1-line block ×3, first 2 shown]
	scratch_load_b96 v[109:111], off, off offset:176
	ds_load_2addr_b32 v[112:113], v2 offset0:81 offset1:82
	ds_load_2addr_b32 v[114:115], v2 offset0:83 offset1:84
	;; [unrolled: 1-line block ×4, first 2 shown]
	s_mov_b32 s0, exec_lo
	s_waitcnt vmcnt(3) lgkmcnt(3)
	v_fma_f32 v112, v98, v112, 0
	s_delay_alu instid0(VALU_DEP_1) | instskip(SKIP_4) | instid1(VALU_DEP_1)
	v_fmac_f32_e32 v112, v99, v113
	ds_load_2addr_b32 v[98:99], v2 offset0:89 offset1:90
	s_waitcnt lgkmcnt(3)
	v_fmac_f32_e32 v112, v100, v114
	s_waitcnt vmcnt(2)
	v_fmac_f32_e32 v112, v101, v115
	ds_load_2addr_b32 v[100:101], v2 offset0:91 offset1:92
	s_waitcnt lgkmcnt(3)
	v_fmac_f32_e32 v112, v102, v116
	s_delay_alu instid0(VALU_DEP_1) | instskip(SKIP_4) | instid1(VALU_DEP_1)
	v_fmac_f32_e32 v112, v103, v117
	ds_load_2addr_b32 v[102:103], v2 offset0:93 offset1:94
	s_waitcnt lgkmcnt(3)
	v_fmac_f32_e32 v112, v104, v118
	s_waitcnt vmcnt(1)
	v_fmac_f32_e32 v112, v105, v119
	s_waitcnt lgkmcnt(2)
	s_delay_alu instid0(VALU_DEP_1) | instskip(NEXT) | instid1(VALU_DEP_1)
	v_fmac_f32_e32 v112, v106, v98
	v_fmac_f32_e32 v112, v107, v99
	s_waitcnt lgkmcnt(1)
	s_delay_alu instid0(VALU_DEP_1) | instskip(SKIP_1) | instid1(VALU_DEP_1)
	v_fmac_f32_e32 v112, v108, v100
	s_waitcnt vmcnt(0)
	v_fmac_f32_e32 v112, v109, v101
	s_waitcnt lgkmcnt(0)
	s_delay_alu instid0(VALU_DEP_1) | instskip(NEXT) | instid1(VALU_DEP_1)
	v_fmac_f32_e32 v112, v110, v102
	v_fmac_f32_e32 v112, v111, v103
	s_delay_alu instid0(VALU_DEP_1)
	v_sub_f32_e32 v2, v97, v112
	scratch_store_b32 off, v2, off offset:128
	v_cmpx_lt_u32_e32 31, v0
	s_cbranch_execz .LBB110_227
; %bb.226:
	scratch_load_b32 v2, off, off offset:124
	v_mov_b32_e32 v97, 0
	scratch_store_b32 off, v97, off offset:124
	s_waitcnt vmcnt(0)
	ds_store_b32 v1, v2
.LBB110_227:
	s_or_b32 exec_lo, exec_lo, s0
	s_waitcnt lgkmcnt(0)
	s_waitcnt_vscnt null, 0x0
	s_barrier
	buffer_gl0_inv
	s_clause 0x3
	scratch_load_b128 v[97:100], off, off offset:124
	scratch_load_b128 v[101:104], off, off offset:140
	;; [unrolled: 1-line block ×4, first 2 shown]
	v_mov_b32_e32 v2, 0
	ds_load_b128 v[113:116], v2 offset:320
	ds_load_b128 v[117:120], v2 offset:336
	s_mov_b32 s0, exec_lo
	s_waitcnt vmcnt(3) lgkmcnt(1)
	v_fma_f32 v113, v98, v113, 0
	s_delay_alu instid0(VALU_DEP_1) | instskip(NEXT) | instid1(VALU_DEP_1)
	v_fmac_f32_e32 v113, v99, v114
	v_fmac_f32_e32 v113, v100, v115
	s_waitcnt vmcnt(2)
	s_delay_alu instid0(VALU_DEP_1) | instskip(SKIP_3) | instid1(VALU_DEP_1)
	v_fmac_f32_e32 v113, v101, v116
	ds_load_b128 v[98:101], v2 offset:352
	s_waitcnt lgkmcnt(1)
	v_fmac_f32_e32 v113, v102, v117
	v_fmac_f32_e32 v113, v103, v118
	s_delay_alu instid0(VALU_DEP_1) | instskip(SKIP_4) | instid1(VALU_DEP_1)
	v_fmac_f32_e32 v113, v104, v119
	ds_load_b96 v[102:104], v2 offset:368
	s_waitcnt vmcnt(1)
	v_fmac_f32_e32 v113, v105, v120
	s_waitcnt lgkmcnt(1)
	v_fmac_f32_e32 v113, v106, v98
	s_delay_alu instid0(VALU_DEP_1) | instskip(NEXT) | instid1(VALU_DEP_1)
	v_fmac_f32_e32 v113, v107, v99
	v_fmac_f32_e32 v113, v108, v100
	s_waitcnt vmcnt(0)
	s_delay_alu instid0(VALU_DEP_1) | instskip(SKIP_1) | instid1(VALU_DEP_1)
	v_fmac_f32_e32 v113, v109, v101
	s_waitcnt lgkmcnt(0)
	v_fmac_f32_e32 v113, v110, v102
	s_delay_alu instid0(VALU_DEP_1) | instskip(NEXT) | instid1(VALU_DEP_1)
	v_fmac_f32_e32 v113, v111, v103
	v_fmac_f32_e32 v113, v112, v104
	s_delay_alu instid0(VALU_DEP_1)
	v_sub_f32_e32 v97, v97, v113
	scratch_store_b32 off, v97, off offset:124
	v_cmpx_lt_u32_e32 30, v0
	s_cbranch_execz .LBB110_229
; %bb.228:
	scratch_load_b32 v97, off, off offset:120
	scratch_store_b32 off, v2, off offset:120
	s_waitcnt vmcnt(0)
	ds_store_b32 v1, v97
.LBB110_229:
	s_or_b32 exec_lo, exec_lo, s0
	s_waitcnt lgkmcnt(0)
	s_waitcnt_vscnt null, 0x0
	s_barrier
	buffer_gl0_inv
	s_clause 0x4
	scratch_load_b128 v[97:100], off, off offset:120
	scratch_load_b128 v[101:104], off, off offset:136
	;; [unrolled: 1-line block ×4, first 2 shown]
	scratch_load_b32 v121, off, off offset:184
	ds_load_2addr_b32 v[113:114], v2 offset0:79 offset1:80
	ds_load_2addr_b32 v[115:116], v2 offset0:81 offset1:82
	ds_load_2addr_b32 v[117:118], v2 offset0:83 offset1:84
	ds_load_2addr_b32 v[119:120], v2 offset0:85 offset1:86
	s_mov_b32 s0, exec_lo
	s_waitcnt vmcnt(4) lgkmcnt(3)
	v_fma_f32 v113, v98, v113, 0
	s_delay_alu instid0(VALU_DEP_1) | instskip(SKIP_4) | instid1(VALU_DEP_1)
	v_fmac_f32_e32 v113, v99, v114
	ds_load_2addr_b32 v[98:99], v2 offset0:87 offset1:88
	s_waitcnt lgkmcnt(3)
	v_fmac_f32_e32 v113, v100, v115
	s_waitcnt vmcnt(3)
	v_fmac_f32_e32 v113, v101, v116
	ds_load_2addr_b32 v[100:101], v2 offset0:89 offset1:90
	s_waitcnt lgkmcnt(3)
	v_fmac_f32_e32 v113, v102, v117
	s_delay_alu instid0(VALU_DEP_1) | instskip(SKIP_1) | instid1(VALU_DEP_1)
	v_fmac_f32_e32 v113, v103, v118
	s_waitcnt lgkmcnt(2)
	v_fmac_f32_e32 v113, v104, v119
	s_waitcnt vmcnt(2)
	s_delay_alu instid0(VALU_DEP_1) | instskip(SKIP_4) | instid1(VALU_DEP_1)
	v_fmac_f32_e32 v113, v105, v120
	ds_load_2addr_b32 v[102:103], v2 offset0:91 offset1:92
	ds_load_2addr_b32 v[104:105], v2 offset0:93 offset1:94
	s_waitcnt lgkmcnt(3)
	v_fmac_f32_e32 v113, v106, v98
	v_fmac_f32_e32 v113, v107, v99
	s_waitcnt lgkmcnt(2)
	s_delay_alu instid0(VALU_DEP_1) | instskip(SKIP_1) | instid1(VALU_DEP_1)
	v_fmac_f32_e32 v113, v108, v100
	s_waitcnt vmcnt(1)
	v_fmac_f32_e32 v113, v109, v101
	s_waitcnt lgkmcnt(1)
	s_delay_alu instid0(VALU_DEP_1) | instskip(NEXT) | instid1(VALU_DEP_1)
	v_fmac_f32_e32 v113, v110, v102
	v_fmac_f32_e32 v113, v111, v103
	s_waitcnt lgkmcnt(0)
	s_delay_alu instid0(VALU_DEP_1) | instskip(SKIP_1) | instid1(VALU_DEP_1)
	v_fmac_f32_e32 v113, v112, v104
	s_waitcnt vmcnt(0)
	v_fmac_f32_e32 v113, v121, v105
	s_delay_alu instid0(VALU_DEP_1)
	v_sub_f32_e32 v2, v97, v113
	scratch_store_b32 off, v2, off offset:120
	v_cmpx_lt_u32_e32 29, v0
	s_cbranch_execz .LBB110_231
; %bb.230:
	scratch_load_b32 v2, off, off offset:116
	v_mov_b32_e32 v97, 0
	scratch_store_b32 off, v97, off offset:116
	s_waitcnt vmcnt(0)
	ds_store_b32 v1, v2
.LBB110_231:
	s_or_b32 exec_lo, exec_lo, s0
	s_waitcnt lgkmcnt(0)
	s_waitcnt_vscnt null, 0x0
	s_barrier
	buffer_gl0_inv
	s_clause 0x4
	scratch_load_b128 v[97:100], off, off offset:116
	scratch_load_b128 v[101:104], off, off offset:132
	;; [unrolled: 1-line block ×4, first 2 shown]
	scratch_load_b64 v[121:122], off, off offset:180
	v_mov_b32_e32 v2, 0
	ds_load_2addr_b64 v[113:116], v2 offset0:39 offset1:40
	ds_load_2addr_b64 v[117:120], v2 offset0:41 offset1:42
	s_mov_b32 s0, exec_lo
	s_waitcnt vmcnt(4) lgkmcnt(1)
	v_fma_f32 v113, v98, v113, 0
	s_delay_alu instid0(VALU_DEP_1) | instskip(NEXT) | instid1(VALU_DEP_1)
	v_fmac_f32_e32 v113, v99, v114
	v_fmac_f32_e32 v113, v100, v115
	s_waitcnt vmcnt(3)
	s_delay_alu instid0(VALU_DEP_1) | instskip(SKIP_3) | instid1(VALU_DEP_1)
	v_fmac_f32_e32 v113, v101, v116
	ds_load_2addr_b64 v[98:101], v2 offset0:43 offset1:44
	s_waitcnt lgkmcnt(1)
	v_fmac_f32_e32 v113, v102, v117
	v_fmac_f32_e32 v113, v103, v118
	s_delay_alu instid0(VALU_DEP_1) | instskip(SKIP_1) | instid1(VALU_DEP_1)
	v_fmac_f32_e32 v113, v104, v119
	s_waitcnt vmcnt(2)
	v_fmac_f32_e32 v113, v105, v120
	ds_load_2addr_b64 v[102:105], v2 offset0:45 offset1:46
	s_waitcnt lgkmcnt(1)
	v_fmac_f32_e32 v113, v106, v98
	ds_load_b32 v98, v2 offset:376
	v_fmac_f32_e32 v113, v107, v99
	s_delay_alu instid0(VALU_DEP_1) | instskip(SKIP_1) | instid1(VALU_DEP_1)
	v_fmac_f32_e32 v113, v108, v100
	s_waitcnt vmcnt(1)
	v_fmac_f32_e32 v113, v109, v101
	s_waitcnt lgkmcnt(1)
	s_delay_alu instid0(VALU_DEP_1) | instskip(NEXT) | instid1(VALU_DEP_1)
	v_fmac_f32_e32 v113, v110, v102
	v_fmac_f32_e32 v113, v111, v103
	s_delay_alu instid0(VALU_DEP_1) | instskip(SKIP_1) | instid1(VALU_DEP_1)
	v_fmac_f32_e32 v113, v112, v104
	s_waitcnt vmcnt(0)
	v_fmac_f32_e32 v113, v121, v105
	s_waitcnt lgkmcnt(0)
	s_delay_alu instid0(VALU_DEP_1) | instskip(NEXT) | instid1(VALU_DEP_1)
	v_fmac_f32_e32 v113, v122, v98
	v_sub_f32_e32 v97, v97, v113
	scratch_store_b32 off, v97, off offset:116
	v_cmpx_lt_u32_e32 28, v0
	s_cbranch_execz .LBB110_233
; %bb.232:
	scratch_load_b32 v97, off, off offset:112
	scratch_store_b32 off, v2, off offset:112
	s_waitcnt vmcnt(0)
	ds_store_b32 v1, v97
.LBB110_233:
	s_or_b32 exec_lo, exec_lo, s0
	s_waitcnt lgkmcnt(0)
	s_waitcnt_vscnt null, 0x0
	s_barrier
	buffer_gl0_inv
	s_clause 0x4
	scratch_load_b128 v[97:100], off, off offset:112
	scratch_load_b128 v[101:104], off, off offset:128
	;; [unrolled: 1-line block ×4, first 2 shown]
	scratch_load_b96 v[113:115], off, off offset:176
	ds_load_2addr_b32 v[116:117], v2 offset0:77 offset1:78
	ds_load_2addr_b32 v[118:119], v2 offset0:79 offset1:80
	;; [unrolled: 1-line block ×4, first 2 shown]
	s_mov_b32 s0, exec_lo
	s_waitcnt vmcnt(4) lgkmcnt(3)
	v_fma_f32 v116, v98, v116, 0
	s_delay_alu instid0(VALU_DEP_1) | instskip(SKIP_4) | instid1(VALU_DEP_1)
	v_fmac_f32_e32 v116, v99, v117
	ds_load_2addr_b32 v[98:99], v2 offset0:85 offset1:86
	s_waitcnt lgkmcnt(3)
	v_fmac_f32_e32 v116, v100, v118
	s_waitcnt vmcnt(3)
	v_fmac_f32_e32 v116, v101, v119
	ds_load_2addr_b32 v[100:101], v2 offset0:87 offset1:88
	s_waitcnt lgkmcnt(3)
	v_fmac_f32_e32 v116, v102, v120
	s_delay_alu instid0(VALU_DEP_1) | instskip(SKIP_1) | instid1(VALU_DEP_1)
	v_fmac_f32_e32 v116, v103, v121
	s_waitcnt lgkmcnt(2)
	v_fmac_f32_e32 v116, v104, v122
	s_waitcnt vmcnt(2)
	s_delay_alu instid0(VALU_DEP_1) | instskip(SKIP_4) | instid1(VALU_DEP_1)
	v_fmac_f32_e32 v116, v105, v123
	ds_load_2addr_b32 v[102:103], v2 offset0:89 offset1:90
	ds_load_2addr_b32 v[104:105], v2 offset0:91 offset1:92
	s_waitcnt lgkmcnt(3)
	v_fmac_f32_e32 v116, v106, v98
	v_fmac_f32_e32 v116, v107, v99
	ds_load_2addr_b32 v[98:99], v2 offset0:93 offset1:94
	s_waitcnt lgkmcnt(3)
	v_fmac_f32_e32 v116, v108, v100
	s_waitcnt vmcnt(1)
	s_delay_alu instid0(VALU_DEP_1) | instskip(SKIP_1) | instid1(VALU_DEP_1)
	v_fmac_f32_e32 v116, v109, v101
	s_waitcnt lgkmcnt(2)
	v_fmac_f32_e32 v116, v110, v102
	s_delay_alu instid0(VALU_DEP_1) | instskip(SKIP_1) | instid1(VALU_DEP_1)
	v_fmac_f32_e32 v116, v111, v103
	s_waitcnt lgkmcnt(1)
	v_fmac_f32_e32 v116, v112, v104
	s_waitcnt vmcnt(0)
	s_delay_alu instid0(VALU_DEP_1) | instskip(SKIP_1) | instid1(VALU_DEP_1)
	v_fmac_f32_e32 v116, v113, v105
	s_waitcnt lgkmcnt(0)
	v_fmac_f32_e32 v116, v114, v98
	s_delay_alu instid0(VALU_DEP_1) | instskip(NEXT) | instid1(VALU_DEP_1)
	v_fmac_f32_e32 v116, v115, v99
	v_sub_f32_e32 v2, v97, v116
	scratch_store_b32 off, v2, off offset:112
	v_cmpx_lt_u32_e32 27, v0
	s_cbranch_execz .LBB110_235
; %bb.234:
	scratch_load_b32 v2, off, off offset:108
	v_mov_b32_e32 v97, 0
	scratch_store_b32 off, v97, off offset:108
	s_waitcnt vmcnt(0)
	ds_store_b32 v1, v2
.LBB110_235:
	s_or_b32 exec_lo, exec_lo, s0
	s_waitcnt lgkmcnt(0)
	s_waitcnt_vscnt null, 0x0
	s_barrier
	buffer_gl0_inv
	s_clause 0x4
	scratch_load_b128 v[97:100], off, off offset:108
	scratch_load_b128 v[101:104], off, off offset:124
	;; [unrolled: 1-line block ×5, first 2 shown]
	v_mov_b32_e32 v2, 0
	ds_load_b128 v[117:120], v2 offset:304
	ds_load_b128 v[121:124], v2 offset:320
	s_mov_b32 s0, exec_lo
	s_waitcnt vmcnt(4) lgkmcnt(1)
	v_fma_f32 v117, v98, v117, 0
	s_delay_alu instid0(VALU_DEP_1) | instskip(NEXT) | instid1(VALU_DEP_1)
	v_fmac_f32_e32 v117, v99, v118
	v_fmac_f32_e32 v117, v100, v119
	s_waitcnt vmcnt(3)
	s_delay_alu instid0(VALU_DEP_1) | instskip(SKIP_3) | instid1(VALU_DEP_1)
	v_fmac_f32_e32 v117, v101, v120
	ds_load_b128 v[98:101], v2 offset:336
	s_waitcnt lgkmcnt(1)
	v_fmac_f32_e32 v117, v102, v121
	v_fmac_f32_e32 v117, v103, v122
	s_delay_alu instid0(VALU_DEP_1) | instskip(SKIP_1) | instid1(VALU_DEP_1)
	v_fmac_f32_e32 v117, v104, v123
	s_waitcnt vmcnt(2)
	v_fmac_f32_e32 v117, v105, v124
	ds_load_b128 v[102:105], v2 offset:352
	s_waitcnt lgkmcnt(1)
	v_fmac_f32_e32 v117, v106, v98
	s_delay_alu instid0(VALU_DEP_1) | instskip(NEXT) | instid1(VALU_DEP_1)
	v_fmac_f32_e32 v117, v107, v99
	v_fmac_f32_e32 v117, v108, v100
	ds_load_b96 v[98:100], v2 offset:368
	s_waitcnt vmcnt(1)
	v_fmac_f32_e32 v117, v109, v101
	s_waitcnt lgkmcnt(1)
	s_delay_alu instid0(VALU_DEP_1) | instskip(NEXT) | instid1(VALU_DEP_1)
	v_fmac_f32_e32 v117, v110, v102
	v_fmac_f32_e32 v117, v111, v103
	s_delay_alu instid0(VALU_DEP_1) | instskip(SKIP_1) | instid1(VALU_DEP_1)
	v_fmac_f32_e32 v117, v112, v104
	s_waitcnt vmcnt(0)
	v_fmac_f32_e32 v117, v113, v105
	s_waitcnt lgkmcnt(0)
	s_delay_alu instid0(VALU_DEP_1) | instskip(NEXT) | instid1(VALU_DEP_1)
	v_fmac_f32_e32 v117, v114, v98
	v_fmac_f32_e32 v117, v115, v99
	s_delay_alu instid0(VALU_DEP_1) | instskip(NEXT) | instid1(VALU_DEP_1)
	v_fmac_f32_e32 v117, v116, v100
	v_sub_f32_e32 v97, v97, v117
	scratch_store_b32 off, v97, off offset:108
	v_cmpx_lt_u32_e32 26, v0
	s_cbranch_execz .LBB110_237
; %bb.236:
	scratch_load_b32 v97, off, off offset:104
	scratch_store_b32 off, v2, off offset:104
	s_waitcnt vmcnt(0)
	ds_store_b32 v1, v97
.LBB110_237:
	s_or_b32 exec_lo, exec_lo, s0
	s_waitcnt lgkmcnt(0)
	s_waitcnt_vscnt null, 0x0
	s_barrier
	buffer_gl0_inv
	s_clause 0x5
	scratch_load_b128 v[97:100], off, off offset:104
	scratch_load_b128 v[101:104], off, off offset:120
	;; [unrolled: 1-line block ×5, first 2 shown]
	scratch_load_b32 v125, off, off offset:184
	ds_load_2addr_b32 v[117:118], v2 offset0:75 offset1:76
	ds_load_2addr_b32 v[119:120], v2 offset0:77 offset1:78
	;; [unrolled: 1-line block ×4, first 2 shown]
	s_mov_b32 s0, exec_lo
	s_waitcnt vmcnt(5) lgkmcnt(3)
	v_fma_f32 v117, v98, v117, 0
	s_delay_alu instid0(VALU_DEP_1) | instskip(SKIP_4) | instid1(VALU_DEP_1)
	v_fmac_f32_e32 v117, v99, v118
	ds_load_2addr_b32 v[98:99], v2 offset0:83 offset1:84
	s_waitcnt lgkmcnt(3)
	v_fmac_f32_e32 v117, v100, v119
	s_waitcnt vmcnt(4)
	v_fmac_f32_e32 v117, v101, v120
	ds_load_2addr_b32 v[100:101], v2 offset0:85 offset1:86
	s_waitcnt lgkmcnt(3)
	v_fmac_f32_e32 v117, v102, v121
	s_delay_alu instid0(VALU_DEP_1) | instskip(SKIP_1) | instid1(VALU_DEP_1)
	v_fmac_f32_e32 v117, v103, v122
	s_waitcnt lgkmcnt(2)
	v_fmac_f32_e32 v117, v104, v123
	s_waitcnt vmcnt(3)
	s_delay_alu instid0(VALU_DEP_1) | instskip(SKIP_4) | instid1(VALU_DEP_1)
	v_fmac_f32_e32 v117, v105, v124
	ds_load_2addr_b32 v[102:103], v2 offset0:87 offset1:88
	ds_load_2addr_b32 v[104:105], v2 offset0:89 offset1:90
	s_waitcnt lgkmcnt(3)
	v_fmac_f32_e32 v117, v106, v98
	v_fmac_f32_e32 v117, v107, v99
	ds_load_2addr_b32 v[98:99], v2 offset0:91 offset1:92
	s_waitcnt lgkmcnt(3)
	v_fmac_f32_e32 v117, v108, v100
	s_waitcnt vmcnt(2)
	s_delay_alu instid0(VALU_DEP_1) | instskip(SKIP_3) | instid1(VALU_DEP_1)
	v_fmac_f32_e32 v117, v109, v101
	ds_load_2addr_b32 v[100:101], v2 offset0:93 offset1:94
	s_waitcnt lgkmcnt(3)
	v_fmac_f32_e32 v117, v110, v102
	v_fmac_f32_e32 v117, v111, v103
	s_waitcnt lgkmcnt(2)
	s_delay_alu instid0(VALU_DEP_1) | instskip(SKIP_1) | instid1(VALU_DEP_1)
	v_fmac_f32_e32 v117, v112, v104
	s_waitcnt vmcnt(1)
	v_fmac_f32_e32 v117, v113, v105
	s_waitcnt lgkmcnt(1)
	s_delay_alu instid0(VALU_DEP_1) | instskip(NEXT) | instid1(VALU_DEP_1)
	v_fmac_f32_e32 v117, v114, v98
	v_fmac_f32_e32 v117, v115, v99
	s_waitcnt lgkmcnt(0)
	s_delay_alu instid0(VALU_DEP_1) | instskip(SKIP_1) | instid1(VALU_DEP_1)
	v_fmac_f32_e32 v117, v116, v100
	s_waitcnt vmcnt(0)
	v_fmac_f32_e32 v117, v125, v101
	s_delay_alu instid0(VALU_DEP_1)
	v_sub_f32_e32 v2, v97, v117
	scratch_store_b32 off, v2, off offset:104
	v_cmpx_lt_u32_e32 25, v0
	s_cbranch_execz .LBB110_239
; %bb.238:
	scratch_load_b32 v2, off, off offset:100
	v_mov_b32_e32 v97, 0
	scratch_store_b32 off, v97, off offset:100
	s_waitcnt vmcnt(0)
	ds_store_b32 v1, v2
.LBB110_239:
	s_or_b32 exec_lo, exec_lo, s0
	s_waitcnt lgkmcnt(0)
	s_waitcnt_vscnt null, 0x0
	s_barrier
	buffer_gl0_inv
	s_clause 0x5
	scratch_load_b128 v[97:100], off, off offset:100
	scratch_load_b128 v[101:104], off, off offset:116
	;; [unrolled: 1-line block ×5, first 2 shown]
	scratch_load_b64 v[125:126], off, off offset:180
	v_mov_b32_e32 v2, 0
	ds_load_2addr_b64 v[117:120], v2 offset0:37 offset1:38
	ds_load_2addr_b64 v[121:124], v2 offset0:39 offset1:40
	s_mov_b32 s0, exec_lo
	s_waitcnt vmcnt(5) lgkmcnt(1)
	v_fma_f32 v117, v98, v117, 0
	s_delay_alu instid0(VALU_DEP_1) | instskip(NEXT) | instid1(VALU_DEP_1)
	v_fmac_f32_e32 v117, v99, v118
	v_fmac_f32_e32 v117, v100, v119
	s_waitcnt vmcnt(4)
	s_delay_alu instid0(VALU_DEP_1) | instskip(SKIP_3) | instid1(VALU_DEP_1)
	v_fmac_f32_e32 v117, v101, v120
	ds_load_2addr_b64 v[98:101], v2 offset0:41 offset1:42
	s_waitcnt lgkmcnt(1)
	v_fmac_f32_e32 v117, v102, v121
	v_fmac_f32_e32 v117, v103, v122
	s_delay_alu instid0(VALU_DEP_1) | instskip(SKIP_1) | instid1(VALU_DEP_1)
	v_fmac_f32_e32 v117, v104, v123
	s_waitcnt vmcnt(3)
	v_fmac_f32_e32 v117, v105, v124
	ds_load_2addr_b64 v[102:105], v2 offset0:43 offset1:44
	s_waitcnt lgkmcnt(1)
	v_fmac_f32_e32 v117, v106, v98
	s_delay_alu instid0(VALU_DEP_1) | instskip(NEXT) | instid1(VALU_DEP_1)
	v_fmac_f32_e32 v117, v107, v99
	v_fmac_f32_e32 v117, v108, v100
	s_waitcnt vmcnt(2)
	s_delay_alu instid0(VALU_DEP_1)
	v_fmac_f32_e32 v117, v109, v101
	ds_load_2addr_b64 v[98:101], v2 offset0:45 offset1:46
	s_waitcnt lgkmcnt(1)
	v_fmac_f32_e32 v117, v110, v102
	ds_load_b32 v102, v2 offset:376
	v_fmac_f32_e32 v117, v111, v103
	s_delay_alu instid0(VALU_DEP_1) | instskip(SKIP_1) | instid1(VALU_DEP_1)
	v_fmac_f32_e32 v117, v112, v104
	s_waitcnt vmcnt(1)
	v_fmac_f32_e32 v117, v113, v105
	s_waitcnt lgkmcnt(1)
	s_delay_alu instid0(VALU_DEP_1) | instskip(NEXT) | instid1(VALU_DEP_1)
	v_fmac_f32_e32 v117, v114, v98
	v_fmac_f32_e32 v117, v115, v99
	s_delay_alu instid0(VALU_DEP_1) | instskip(SKIP_1) | instid1(VALU_DEP_1)
	v_fmac_f32_e32 v117, v116, v100
	s_waitcnt vmcnt(0)
	v_fmac_f32_e32 v117, v125, v101
	s_waitcnt lgkmcnt(0)
	s_delay_alu instid0(VALU_DEP_1) | instskip(NEXT) | instid1(VALU_DEP_1)
	v_fmac_f32_e32 v117, v126, v102
	v_sub_f32_e32 v97, v97, v117
	scratch_store_b32 off, v97, off offset:100
	v_cmpx_lt_u32_e32 24, v0
	s_cbranch_execz .LBB110_241
; %bb.240:
	scratch_load_b32 v97, off, off offset:96
	scratch_store_b32 off, v2, off offset:96
	s_waitcnt vmcnt(0)
	ds_store_b32 v1, v97
.LBB110_241:
	s_or_b32 exec_lo, exec_lo, s0
	s_waitcnt lgkmcnt(0)
	s_waitcnt_vscnt null, 0x0
	s_barrier
	buffer_gl0_inv
	s_clause 0x5
	scratch_load_b128 v[97:100], off, off offset:96
	scratch_load_b128 v[101:104], off, off offset:112
	;; [unrolled: 1-line block ×5, first 2 shown]
	scratch_load_b96 v[117:119], off, off offset:176
	ds_load_2addr_b32 v[120:121], v2 offset0:73 offset1:74
	ds_load_2addr_b32 v[122:123], v2 offset0:75 offset1:76
	;; [unrolled: 1-line block ×4, first 2 shown]
	s_mov_b32 s0, exec_lo
	s_waitcnt vmcnt(5) lgkmcnt(3)
	v_fma_f32 v120, v98, v120, 0
	s_delay_alu instid0(VALU_DEP_1) | instskip(SKIP_4) | instid1(VALU_DEP_1)
	v_fmac_f32_e32 v120, v99, v121
	ds_load_2addr_b32 v[98:99], v2 offset0:81 offset1:82
	s_waitcnt lgkmcnt(3)
	v_fmac_f32_e32 v120, v100, v122
	s_waitcnt vmcnt(4)
	v_fmac_f32_e32 v120, v101, v123
	ds_load_2addr_b32 v[100:101], v2 offset0:83 offset1:84
	s_waitcnt lgkmcnt(3)
	v_fmac_f32_e32 v120, v102, v124
	s_delay_alu instid0(VALU_DEP_1) | instskip(SKIP_1) | instid1(VALU_DEP_1)
	v_fmac_f32_e32 v120, v103, v125
	s_waitcnt lgkmcnt(2)
	v_fmac_f32_e32 v120, v104, v126
	s_waitcnt vmcnt(3)
	s_delay_alu instid0(VALU_DEP_1) | instskip(SKIP_4) | instid1(VALU_DEP_1)
	v_fmac_f32_e32 v120, v105, v127
	ds_load_2addr_b32 v[102:103], v2 offset0:85 offset1:86
	ds_load_2addr_b32 v[104:105], v2 offset0:87 offset1:88
	s_waitcnt lgkmcnt(3)
	v_fmac_f32_e32 v120, v106, v98
	v_fmac_f32_e32 v120, v107, v99
	ds_load_2addr_b32 v[98:99], v2 offset0:89 offset1:90
	s_waitcnt lgkmcnt(3)
	v_fmac_f32_e32 v120, v108, v100
	s_waitcnt vmcnt(2)
	s_delay_alu instid0(VALU_DEP_1) | instskip(SKIP_3) | instid1(VALU_DEP_1)
	v_fmac_f32_e32 v120, v109, v101
	ds_load_2addr_b32 v[100:101], v2 offset0:91 offset1:92
	s_waitcnt lgkmcnt(3)
	v_fmac_f32_e32 v120, v110, v102
	v_fmac_f32_e32 v120, v111, v103
	ds_load_2addr_b32 v[102:103], v2 offset0:93 offset1:94
	s_waitcnt lgkmcnt(3)
	v_fmac_f32_e32 v120, v112, v104
	s_waitcnt vmcnt(1)
	s_delay_alu instid0(VALU_DEP_1) | instskip(SKIP_1) | instid1(VALU_DEP_1)
	v_fmac_f32_e32 v120, v113, v105
	s_waitcnt lgkmcnt(2)
	v_fmac_f32_e32 v120, v114, v98
	s_delay_alu instid0(VALU_DEP_1) | instskip(SKIP_1) | instid1(VALU_DEP_1)
	v_fmac_f32_e32 v120, v115, v99
	s_waitcnt lgkmcnt(1)
	v_fmac_f32_e32 v120, v116, v100
	s_waitcnt vmcnt(0)
	s_delay_alu instid0(VALU_DEP_1) | instskip(SKIP_1) | instid1(VALU_DEP_1)
	v_fmac_f32_e32 v120, v117, v101
	s_waitcnt lgkmcnt(0)
	v_fmac_f32_e32 v120, v118, v102
	s_delay_alu instid0(VALU_DEP_1) | instskip(NEXT) | instid1(VALU_DEP_1)
	v_fmac_f32_e32 v120, v119, v103
	v_sub_f32_e32 v2, v97, v120
	scratch_store_b32 off, v2, off offset:96
	v_cmpx_lt_u32_e32 23, v0
	s_cbranch_execz .LBB110_243
; %bb.242:
	scratch_load_b32 v2, off, off offset:92
	v_mov_b32_e32 v97, 0
	scratch_store_b32 off, v97, off offset:92
	s_waitcnt vmcnt(0)
	ds_store_b32 v1, v2
.LBB110_243:
	s_or_b32 exec_lo, exec_lo, s0
	s_waitcnt lgkmcnt(0)
	s_waitcnt_vscnt null, 0x0
	s_barrier
	buffer_gl0_inv
	s_clause 0x5
	scratch_load_b128 v[97:100], off, off offset:92
	scratch_load_b128 v[101:104], off, off offset:108
	;; [unrolled: 1-line block ×6, first 2 shown]
	v_mov_b32_e32 v2, 0
	ds_load_b128 v[121:124], v2 offset:288
	ds_load_b128 v[125:128], v2 offset:304
	s_mov_b32 s0, exec_lo
	s_waitcnt vmcnt(5) lgkmcnt(1)
	v_fma_f32 v121, v98, v121, 0
	s_delay_alu instid0(VALU_DEP_1) | instskip(NEXT) | instid1(VALU_DEP_1)
	v_fmac_f32_e32 v121, v99, v122
	v_fmac_f32_e32 v121, v100, v123
	s_waitcnt vmcnt(4)
	s_delay_alu instid0(VALU_DEP_1) | instskip(SKIP_3) | instid1(VALU_DEP_1)
	v_fmac_f32_e32 v121, v101, v124
	ds_load_b128 v[98:101], v2 offset:320
	s_waitcnt lgkmcnt(1)
	v_fmac_f32_e32 v121, v102, v125
	v_fmac_f32_e32 v121, v103, v126
	s_delay_alu instid0(VALU_DEP_1) | instskip(SKIP_1) | instid1(VALU_DEP_1)
	v_fmac_f32_e32 v121, v104, v127
	s_waitcnt vmcnt(3)
	v_fmac_f32_e32 v121, v105, v128
	ds_load_b128 v[102:105], v2 offset:336
	s_waitcnt lgkmcnt(1)
	v_fmac_f32_e32 v121, v106, v98
	s_delay_alu instid0(VALU_DEP_1) | instskip(NEXT) | instid1(VALU_DEP_1)
	v_fmac_f32_e32 v121, v107, v99
	v_fmac_f32_e32 v121, v108, v100
	s_waitcnt vmcnt(2)
	s_delay_alu instid0(VALU_DEP_1) | instskip(SKIP_3) | instid1(VALU_DEP_1)
	v_fmac_f32_e32 v121, v109, v101
	ds_load_b128 v[98:101], v2 offset:352
	s_waitcnt lgkmcnt(1)
	v_fmac_f32_e32 v121, v110, v102
	v_fmac_f32_e32 v121, v111, v103
	s_delay_alu instid0(VALU_DEP_1) | instskip(SKIP_4) | instid1(VALU_DEP_1)
	v_fmac_f32_e32 v121, v112, v104
	ds_load_b96 v[102:104], v2 offset:368
	s_waitcnt vmcnt(1)
	v_fmac_f32_e32 v121, v113, v105
	s_waitcnt lgkmcnt(1)
	v_fmac_f32_e32 v121, v114, v98
	s_delay_alu instid0(VALU_DEP_1) | instskip(NEXT) | instid1(VALU_DEP_1)
	v_fmac_f32_e32 v121, v115, v99
	v_fmac_f32_e32 v121, v116, v100
	s_waitcnt vmcnt(0)
	s_delay_alu instid0(VALU_DEP_1) | instskip(SKIP_1) | instid1(VALU_DEP_1)
	v_fmac_f32_e32 v121, v117, v101
	s_waitcnt lgkmcnt(0)
	v_fmac_f32_e32 v121, v118, v102
	s_delay_alu instid0(VALU_DEP_1) | instskip(NEXT) | instid1(VALU_DEP_1)
	v_fmac_f32_e32 v121, v119, v103
	v_fmac_f32_e32 v121, v120, v104
	s_delay_alu instid0(VALU_DEP_1)
	v_sub_f32_e32 v97, v97, v121
	scratch_store_b32 off, v97, off offset:92
	v_cmpx_lt_u32_e32 22, v0
	s_cbranch_execz .LBB110_245
; %bb.244:
	scratch_load_b32 v97, off, off offset:88
	scratch_store_b32 off, v2, off offset:88
	s_waitcnt vmcnt(0)
	ds_store_b32 v1, v97
.LBB110_245:
	s_or_b32 exec_lo, exec_lo, s0
	s_waitcnt lgkmcnt(0)
	s_waitcnt_vscnt null, 0x0
	s_barrier
	buffer_gl0_inv
	s_clause 0x6
	scratch_load_b128 v[97:100], off, off offset:88
	scratch_load_b128 v[101:104], off, off offset:104
	;; [unrolled: 1-line block ×6, first 2 shown]
	scratch_load_b32 v129, off, off offset:184
	ds_load_2addr_b32 v[121:122], v2 offset0:71 offset1:72
	ds_load_2addr_b32 v[123:124], v2 offset0:73 offset1:74
	;; [unrolled: 1-line block ×4, first 2 shown]
	s_mov_b32 s0, exec_lo
	s_waitcnt vmcnt(6) lgkmcnt(3)
	v_fma_f32 v121, v98, v121, 0
	s_delay_alu instid0(VALU_DEP_1) | instskip(SKIP_4) | instid1(VALU_DEP_1)
	v_fmac_f32_e32 v121, v99, v122
	ds_load_2addr_b32 v[98:99], v2 offset0:79 offset1:80
	s_waitcnt lgkmcnt(3)
	v_fmac_f32_e32 v121, v100, v123
	s_waitcnt vmcnt(5)
	v_fmac_f32_e32 v121, v101, v124
	ds_load_2addr_b32 v[100:101], v2 offset0:81 offset1:82
	s_waitcnt lgkmcnt(3)
	v_fmac_f32_e32 v121, v102, v125
	s_delay_alu instid0(VALU_DEP_1) | instskip(SKIP_1) | instid1(VALU_DEP_1)
	v_fmac_f32_e32 v121, v103, v126
	s_waitcnt lgkmcnt(2)
	v_fmac_f32_e32 v121, v104, v127
	s_waitcnt vmcnt(4)
	s_delay_alu instid0(VALU_DEP_1) | instskip(SKIP_4) | instid1(VALU_DEP_1)
	v_fmac_f32_e32 v121, v105, v128
	ds_load_2addr_b32 v[102:103], v2 offset0:83 offset1:84
	ds_load_2addr_b32 v[104:105], v2 offset0:85 offset1:86
	s_waitcnt lgkmcnt(3)
	v_fmac_f32_e32 v121, v106, v98
	v_fmac_f32_e32 v121, v107, v99
	ds_load_2addr_b32 v[98:99], v2 offset0:87 offset1:88
	s_waitcnt lgkmcnt(3)
	v_fmac_f32_e32 v121, v108, v100
	s_waitcnt vmcnt(3)
	s_delay_alu instid0(VALU_DEP_1) | instskip(SKIP_3) | instid1(VALU_DEP_1)
	v_fmac_f32_e32 v121, v109, v101
	ds_load_2addr_b32 v[100:101], v2 offset0:89 offset1:90
	s_waitcnt lgkmcnt(3)
	v_fmac_f32_e32 v121, v110, v102
	v_fmac_f32_e32 v121, v111, v103
	s_waitcnt lgkmcnt(2)
	s_delay_alu instid0(VALU_DEP_1) | instskip(SKIP_1) | instid1(VALU_DEP_1)
	v_fmac_f32_e32 v121, v112, v104
	s_waitcnt vmcnt(2)
	v_fmac_f32_e32 v121, v113, v105
	ds_load_2addr_b32 v[102:103], v2 offset0:91 offset1:92
	ds_load_2addr_b32 v[104:105], v2 offset0:93 offset1:94
	s_waitcnt lgkmcnt(3)
	v_fmac_f32_e32 v121, v114, v98
	s_delay_alu instid0(VALU_DEP_1) | instskip(SKIP_1) | instid1(VALU_DEP_1)
	v_fmac_f32_e32 v121, v115, v99
	s_waitcnt lgkmcnt(2)
	v_fmac_f32_e32 v121, v116, v100
	s_waitcnt vmcnt(1)
	s_delay_alu instid0(VALU_DEP_1) | instskip(SKIP_1) | instid1(VALU_DEP_1)
	v_fmac_f32_e32 v121, v117, v101
	s_waitcnt lgkmcnt(1)
	v_fmac_f32_e32 v121, v118, v102
	s_delay_alu instid0(VALU_DEP_1) | instskip(SKIP_1) | instid1(VALU_DEP_1)
	v_fmac_f32_e32 v121, v119, v103
	s_waitcnt lgkmcnt(0)
	v_fmac_f32_e32 v121, v120, v104
	s_waitcnt vmcnt(0)
	s_delay_alu instid0(VALU_DEP_1) | instskip(NEXT) | instid1(VALU_DEP_1)
	v_fmac_f32_e32 v121, v129, v105
	v_sub_f32_e32 v2, v97, v121
	scratch_store_b32 off, v2, off offset:88
	v_cmpx_lt_u32_e32 21, v0
	s_cbranch_execz .LBB110_247
; %bb.246:
	scratch_load_b32 v2, off, off offset:84
	v_mov_b32_e32 v97, 0
	scratch_store_b32 off, v97, off offset:84
	s_waitcnt vmcnt(0)
	ds_store_b32 v1, v2
.LBB110_247:
	s_or_b32 exec_lo, exec_lo, s0
	s_waitcnt lgkmcnt(0)
	s_waitcnt_vscnt null, 0x0
	s_barrier
	buffer_gl0_inv
	s_clause 0x6
	scratch_load_b128 v[97:100], off, off offset:84
	scratch_load_b128 v[101:104], off, off offset:100
	;; [unrolled: 1-line block ×6, first 2 shown]
	scratch_load_b64 v[129:130], off, off offset:180
	v_mov_b32_e32 v2, 0
	ds_load_2addr_b64 v[121:124], v2 offset0:35 offset1:36
	ds_load_2addr_b64 v[125:128], v2 offset0:37 offset1:38
	s_mov_b32 s0, exec_lo
	s_waitcnt vmcnt(6) lgkmcnt(1)
	v_fma_f32 v121, v98, v121, 0
	s_delay_alu instid0(VALU_DEP_1) | instskip(NEXT) | instid1(VALU_DEP_1)
	v_fmac_f32_e32 v121, v99, v122
	v_fmac_f32_e32 v121, v100, v123
	s_waitcnt vmcnt(5)
	s_delay_alu instid0(VALU_DEP_1) | instskip(SKIP_3) | instid1(VALU_DEP_1)
	v_fmac_f32_e32 v121, v101, v124
	ds_load_2addr_b64 v[98:101], v2 offset0:39 offset1:40
	s_waitcnt lgkmcnt(1)
	v_fmac_f32_e32 v121, v102, v125
	v_fmac_f32_e32 v121, v103, v126
	s_delay_alu instid0(VALU_DEP_1) | instskip(SKIP_1) | instid1(VALU_DEP_1)
	v_fmac_f32_e32 v121, v104, v127
	s_waitcnt vmcnt(4)
	v_fmac_f32_e32 v121, v105, v128
	ds_load_2addr_b64 v[102:105], v2 offset0:41 offset1:42
	s_waitcnt lgkmcnt(1)
	v_fmac_f32_e32 v121, v106, v98
	s_delay_alu instid0(VALU_DEP_1) | instskip(NEXT) | instid1(VALU_DEP_1)
	v_fmac_f32_e32 v121, v107, v99
	v_fmac_f32_e32 v121, v108, v100
	s_waitcnt vmcnt(3)
	s_delay_alu instid0(VALU_DEP_1) | instskip(SKIP_3) | instid1(VALU_DEP_1)
	v_fmac_f32_e32 v121, v109, v101
	ds_load_2addr_b64 v[98:101], v2 offset0:43 offset1:44
	s_waitcnt lgkmcnt(1)
	v_fmac_f32_e32 v121, v110, v102
	v_fmac_f32_e32 v121, v111, v103
	s_delay_alu instid0(VALU_DEP_1) | instskip(SKIP_1) | instid1(VALU_DEP_1)
	v_fmac_f32_e32 v121, v112, v104
	s_waitcnt vmcnt(2)
	v_fmac_f32_e32 v121, v113, v105
	ds_load_2addr_b64 v[102:105], v2 offset0:45 offset1:46
	s_waitcnt lgkmcnt(1)
	v_fmac_f32_e32 v121, v114, v98
	ds_load_b32 v98, v2 offset:376
	v_fmac_f32_e32 v121, v115, v99
	s_delay_alu instid0(VALU_DEP_1) | instskip(SKIP_1) | instid1(VALU_DEP_1)
	v_fmac_f32_e32 v121, v116, v100
	s_waitcnt vmcnt(1)
	v_fmac_f32_e32 v121, v117, v101
	s_waitcnt lgkmcnt(1)
	s_delay_alu instid0(VALU_DEP_1) | instskip(NEXT) | instid1(VALU_DEP_1)
	v_fmac_f32_e32 v121, v118, v102
	v_fmac_f32_e32 v121, v119, v103
	s_delay_alu instid0(VALU_DEP_1) | instskip(SKIP_1) | instid1(VALU_DEP_1)
	v_fmac_f32_e32 v121, v120, v104
	s_waitcnt vmcnt(0)
	v_fmac_f32_e32 v121, v129, v105
	s_waitcnt lgkmcnt(0)
	s_delay_alu instid0(VALU_DEP_1) | instskip(NEXT) | instid1(VALU_DEP_1)
	v_fmac_f32_e32 v121, v130, v98
	v_sub_f32_e32 v97, v97, v121
	scratch_store_b32 off, v97, off offset:84
	v_cmpx_lt_u32_e32 20, v0
	s_cbranch_execz .LBB110_249
; %bb.248:
	scratch_load_b32 v97, off, off offset:80
	scratch_store_b32 off, v2, off offset:80
	s_waitcnt vmcnt(0)
	ds_store_b32 v1, v97
.LBB110_249:
	s_or_b32 exec_lo, exec_lo, s0
	s_waitcnt lgkmcnt(0)
	s_waitcnt_vscnt null, 0x0
	s_barrier
	buffer_gl0_inv
	s_clause 0x6
	scratch_load_b128 v[97:100], off, off offset:80
	scratch_load_b128 v[101:104], off, off offset:96
	;; [unrolled: 1-line block ×6, first 2 shown]
	scratch_load_b96 v[121:123], off, off offset:176
	ds_load_2addr_b32 v[124:125], v2 offset0:69 offset1:70
	ds_load_2addr_b32 v[126:127], v2 offset0:71 offset1:72
	;; [unrolled: 1-line block ×4, first 2 shown]
	s_mov_b32 s0, exec_lo
	s_waitcnt vmcnt(6) lgkmcnt(3)
	v_fma_f32 v124, v98, v124, 0
	s_delay_alu instid0(VALU_DEP_1) | instskip(SKIP_4) | instid1(VALU_DEP_1)
	v_fmac_f32_e32 v124, v99, v125
	ds_load_2addr_b32 v[98:99], v2 offset0:77 offset1:78
	s_waitcnt lgkmcnt(3)
	v_fmac_f32_e32 v124, v100, v126
	s_waitcnt vmcnt(5)
	v_fmac_f32_e32 v124, v101, v127
	ds_load_2addr_b32 v[100:101], v2 offset0:79 offset1:80
	s_waitcnt lgkmcnt(3)
	v_fmac_f32_e32 v124, v102, v128
	s_delay_alu instid0(VALU_DEP_1) | instskip(SKIP_1) | instid1(VALU_DEP_1)
	v_fmac_f32_e32 v124, v103, v129
	s_waitcnt lgkmcnt(2)
	v_fmac_f32_e32 v124, v104, v130
	s_waitcnt vmcnt(4)
	s_delay_alu instid0(VALU_DEP_1) | instskip(SKIP_4) | instid1(VALU_DEP_1)
	v_fmac_f32_e32 v124, v105, v131
	ds_load_2addr_b32 v[102:103], v2 offset0:81 offset1:82
	ds_load_2addr_b32 v[104:105], v2 offset0:83 offset1:84
	s_waitcnt lgkmcnt(3)
	v_fmac_f32_e32 v124, v106, v98
	v_fmac_f32_e32 v124, v107, v99
	ds_load_2addr_b32 v[98:99], v2 offset0:85 offset1:86
	s_waitcnt lgkmcnt(3)
	v_fmac_f32_e32 v124, v108, v100
	s_waitcnt vmcnt(3)
	s_delay_alu instid0(VALU_DEP_1) | instskip(SKIP_3) | instid1(VALU_DEP_1)
	v_fmac_f32_e32 v124, v109, v101
	ds_load_2addr_b32 v[100:101], v2 offset0:87 offset1:88
	s_waitcnt lgkmcnt(3)
	v_fmac_f32_e32 v124, v110, v102
	v_fmac_f32_e32 v124, v111, v103
	s_waitcnt lgkmcnt(2)
	s_delay_alu instid0(VALU_DEP_1) | instskip(SKIP_1) | instid1(VALU_DEP_1)
	v_fmac_f32_e32 v124, v112, v104
	s_waitcnt vmcnt(2)
	v_fmac_f32_e32 v124, v113, v105
	ds_load_2addr_b32 v[102:103], v2 offset0:89 offset1:90
	ds_load_2addr_b32 v[104:105], v2 offset0:91 offset1:92
	s_waitcnt lgkmcnt(3)
	v_fmac_f32_e32 v124, v114, v98
	s_delay_alu instid0(VALU_DEP_1) | instskip(SKIP_4) | instid1(VALU_DEP_1)
	v_fmac_f32_e32 v124, v115, v99
	ds_load_2addr_b32 v[98:99], v2 offset0:93 offset1:94
	s_waitcnt lgkmcnt(3)
	v_fmac_f32_e32 v124, v116, v100
	s_waitcnt vmcnt(1)
	v_fmac_f32_e32 v124, v117, v101
	s_waitcnt lgkmcnt(2)
	s_delay_alu instid0(VALU_DEP_1) | instskip(NEXT) | instid1(VALU_DEP_1)
	v_fmac_f32_e32 v124, v118, v102
	v_fmac_f32_e32 v124, v119, v103
	s_waitcnt lgkmcnt(1)
	s_delay_alu instid0(VALU_DEP_1) | instskip(SKIP_1) | instid1(VALU_DEP_1)
	v_fmac_f32_e32 v124, v120, v104
	s_waitcnt vmcnt(0)
	v_fmac_f32_e32 v124, v121, v105
	s_waitcnt lgkmcnt(0)
	s_delay_alu instid0(VALU_DEP_1) | instskip(NEXT) | instid1(VALU_DEP_1)
	v_fmac_f32_e32 v124, v122, v98
	v_fmac_f32_e32 v124, v123, v99
	s_delay_alu instid0(VALU_DEP_1)
	v_sub_f32_e32 v2, v97, v124
	scratch_store_b32 off, v2, off offset:80
	v_cmpx_lt_u32_e32 19, v0
	s_cbranch_execz .LBB110_251
; %bb.250:
	scratch_load_b32 v2, off, off offset:76
	v_mov_b32_e32 v97, 0
	scratch_store_b32 off, v97, off offset:76
	s_waitcnt vmcnt(0)
	ds_store_b32 v1, v2
.LBB110_251:
	s_or_b32 exec_lo, exec_lo, s0
	s_waitcnt lgkmcnt(0)
	s_waitcnt_vscnt null, 0x0
	s_barrier
	buffer_gl0_inv
	s_clause 0x6
	scratch_load_b128 v[97:100], off, off offset:76
	scratch_load_b128 v[101:104], off, off offset:92
	;; [unrolled: 1-line block ×7, first 2 shown]
	v_mov_b32_e32 v2, 0
	ds_load_b128 v[125:128], v2 offset:272
	ds_load_b128 v[129:132], v2 offset:288
	s_mov_b32 s0, exec_lo
	s_waitcnt vmcnt(6) lgkmcnt(1)
	v_fma_f32 v125, v98, v125, 0
	s_delay_alu instid0(VALU_DEP_1) | instskip(NEXT) | instid1(VALU_DEP_1)
	v_fmac_f32_e32 v125, v99, v126
	v_fmac_f32_e32 v125, v100, v127
	s_waitcnt vmcnt(5)
	s_delay_alu instid0(VALU_DEP_1) | instskip(SKIP_3) | instid1(VALU_DEP_1)
	v_fmac_f32_e32 v125, v101, v128
	ds_load_b128 v[98:101], v2 offset:304
	s_waitcnt lgkmcnt(1)
	v_fmac_f32_e32 v125, v102, v129
	v_fmac_f32_e32 v125, v103, v130
	s_delay_alu instid0(VALU_DEP_1) | instskip(SKIP_1) | instid1(VALU_DEP_1)
	v_fmac_f32_e32 v125, v104, v131
	s_waitcnt vmcnt(4)
	v_fmac_f32_e32 v125, v105, v132
	ds_load_b128 v[102:105], v2 offset:320
	s_waitcnt lgkmcnt(1)
	v_fmac_f32_e32 v125, v106, v98
	s_delay_alu instid0(VALU_DEP_1) | instskip(NEXT) | instid1(VALU_DEP_1)
	v_fmac_f32_e32 v125, v107, v99
	v_fmac_f32_e32 v125, v108, v100
	s_waitcnt vmcnt(3)
	s_delay_alu instid0(VALU_DEP_1) | instskip(SKIP_3) | instid1(VALU_DEP_1)
	v_fmac_f32_e32 v125, v109, v101
	ds_load_b128 v[98:101], v2 offset:336
	s_waitcnt lgkmcnt(1)
	v_fmac_f32_e32 v125, v110, v102
	v_fmac_f32_e32 v125, v111, v103
	s_delay_alu instid0(VALU_DEP_1) | instskip(SKIP_1) | instid1(VALU_DEP_1)
	v_fmac_f32_e32 v125, v112, v104
	s_waitcnt vmcnt(2)
	v_fmac_f32_e32 v125, v113, v105
	ds_load_b128 v[102:105], v2 offset:352
	s_waitcnt lgkmcnt(1)
	v_fmac_f32_e32 v125, v114, v98
	s_delay_alu instid0(VALU_DEP_1) | instskip(NEXT) | instid1(VALU_DEP_1)
	v_fmac_f32_e32 v125, v115, v99
	v_fmac_f32_e32 v125, v116, v100
	ds_load_b96 v[98:100], v2 offset:368
	s_waitcnt vmcnt(1)
	v_fmac_f32_e32 v125, v117, v101
	s_waitcnt lgkmcnt(1)
	s_delay_alu instid0(VALU_DEP_1) | instskip(NEXT) | instid1(VALU_DEP_1)
	v_fmac_f32_e32 v125, v118, v102
	v_fmac_f32_e32 v125, v119, v103
	s_delay_alu instid0(VALU_DEP_1) | instskip(SKIP_1) | instid1(VALU_DEP_1)
	v_fmac_f32_e32 v125, v120, v104
	s_waitcnt vmcnt(0)
	v_fmac_f32_e32 v125, v121, v105
	s_waitcnt lgkmcnt(0)
	s_delay_alu instid0(VALU_DEP_1) | instskip(NEXT) | instid1(VALU_DEP_1)
	v_fmac_f32_e32 v125, v122, v98
	v_fmac_f32_e32 v125, v123, v99
	s_delay_alu instid0(VALU_DEP_1) | instskip(NEXT) | instid1(VALU_DEP_1)
	v_fmac_f32_e32 v125, v124, v100
	v_sub_f32_e32 v97, v97, v125
	scratch_store_b32 off, v97, off offset:76
	v_cmpx_lt_u32_e32 18, v0
	s_cbranch_execz .LBB110_253
; %bb.252:
	scratch_load_b32 v97, off, off offset:72
	scratch_store_b32 off, v2, off offset:72
	s_waitcnt vmcnt(0)
	ds_store_b32 v1, v97
.LBB110_253:
	s_or_b32 exec_lo, exec_lo, s0
	s_waitcnt lgkmcnt(0)
	s_waitcnt_vscnt null, 0x0
	s_barrier
	buffer_gl0_inv
	s_clause 0x7
	scratch_load_b128 v[97:100], off, off offset:72
	scratch_load_b128 v[101:104], off, off offset:88
	;; [unrolled: 1-line block ×7, first 2 shown]
	scratch_load_b32 v133, off, off offset:184
	ds_load_2addr_b32 v[125:126], v2 offset0:67 offset1:68
	ds_load_2addr_b32 v[127:128], v2 offset0:69 offset1:70
	;; [unrolled: 1-line block ×4, first 2 shown]
	s_mov_b32 s0, exec_lo
	s_waitcnt vmcnt(7) lgkmcnt(3)
	v_fma_f32 v125, v98, v125, 0
	s_delay_alu instid0(VALU_DEP_1) | instskip(SKIP_4) | instid1(VALU_DEP_1)
	v_fmac_f32_e32 v125, v99, v126
	ds_load_2addr_b32 v[98:99], v2 offset0:75 offset1:76
	s_waitcnt lgkmcnt(3)
	v_fmac_f32_e32 v125, v100, v127
	s_waitcnt vmcnt(6)
	v_fmac_f32_e32 v125, v101, v128
	ds_load_2addr_b32 v[100:101], v2 offset0:77 offset1:78
	s_waitcnt lgkmcnt(3)
	v_fmac_f32_e32 v125, v102, v129
	s_delay_alu instid0(VALU_DEP_1) | instskip(SKIP_1) | instid1(VALU_DEP_1)
	v_fmac_f32_e32 v125, v103, v130
	s_waitcnt lgkmcnt(2)
	v_fmac_f32_e32 v125, v104, v131
	s_waitcnt vmcnt(5)
	s_delay_alu instid0(VALU_DEP_1) | instskip(SKIP_4) | instid1(VALU_DEP_1)
	v_fmac_f32_e32 v125, v105, v132
	ds_load_2addr_b32 v[102:103], v2 offset0:79 offset1:80
	ds_load_2addr_b32 v[104:105], v2 offset0:81 offset1:82
	s_waitcnt lgkmcnt(3)
	v_fmac_f32_e32 v125, v106, v98
	v_fmac_f32_e32 v125, v107, v99
	ds_load_2addr_b32 v[98:99], v2 offset0:83 offset1:84
	s_waitcnt lgkmcnt(3)
	v_fmac_f32_e32 v125, v108, v100
	s_waitcnt vmcnt(4)
	s_delay_alu instid0(VALU_DEP_1) | instskip(SKIP_3) | instid1(VALU_DEP_1)
	v_fmac_f32_e32 v125, v109, v101
	ds_load_2addr_b32 v[100:101], v2 offset0:85 offset1:86
	s_waitcnt lgkmcnt(3)
	v_fmac_f32_e32 v125, v110, v102
	v_fmac_f32_e32 v125, v111, v103
	s_waitcnt lgkmcnt(2)
	s_delay_alu instid0(VALU_DEP_1) | instskip(SKIP_1) | instid1(VALU_DEP_1)
	v_fmac_f32_e32 v125, v112, v104
	s_waitcnt vmcnt(3)
	v_fmac_f32_e32 v125, v113, v105
	ds_load_2addr_b32 v[102:103], v2 offset0:87 offset1:88
	ds_load_2addr_b32 v[104:105], v2 offset0:89 offset1:90
	s_waitcnt lgkmcnt(3)
	v_fmac_f32_e32 v125, v114, v98
	s_delay_alu instid0(VALU_DEP_1) | instskip(SKIP_4) | instid1(VALU_DEP_1)
	v_fmac_f32_e32 v125, v115, v99
	ds_load_2addr_b32 v[98:99], v2 offset0:91 offset1:92
	s_waitcnt lgkmcnt(3)
	v_fmac_f32_e32 v125, v116, v100
	s_waitcnt vmcnt(2)
	v_fmac_f32_e32 v125, v117, v101
	ds_load_2addr_b32 v[100:101], v2 offset0:93 offset1:94
	s_waitcnt lgkmcnt(3)
	v_fmac_f32_e32 v125, v118, v102
	s_delay_alu instid0(VALU_DEP_1) | instskip(SKIP_1) | instid1(VALU_DEP_1)
	v_fmac_f32_e32 v125, v119, v103
	s_waitcnt lgkmcnt(2)
	v_fmac_f32_e32 v125, v120, v104
	s_waitcnt vmcnt(1)
	s_delay_alu instid0(VALU_DEP_1) | instskip(SKIP_1) | instid1(VALU_DEP_1)
	v_fmac_f32_e32 v125, v121, v105
	s_waitcnt lgkmcnt(1)
	v_fmac_f32_e32 v125, v122, v98
	s_delay_alu instid0(VALU_DEP_1) | instskip(SKIP_1) | instid1(VALU_DEP_1)
	v_fmac_f32_e32 v125, v123, v99
	s_waitcnt lgkmcnt(0)
	v_fmac_f32_e32 v125, v124, v100
	s_waitcnt vmcnt(0)
	s_delay_alu instid0(VALU_DEP_1) | instskip(NEXT) | instid1(VALU_DEP_1)
	v_fmac_f32_e32 v125, v133, v101
	v_sub_f32_e32 v2, v97, v125
	scratch_store_b32 off, v2, off offset:72
	v_cmpx_lt_u32_e32 17, v0
	s_cbranch_execz .LBB110_255
; %bb.254:
	scratch_load_b32 v2, off, off offset:68
	v_mov_b32_e32 v97, 0
	scratch_store_b32 off, v97, off offset:68
	s_waitcnt vmcnt(0)
	ds_store_b32 v1, v2
.LBB110_255:
	s_or_b32 exec_lo, exec_lo, s0
	s_waitcnt lgkmcnt(0)
	s_waitcnt_vscnt null, 0x0
	s_barrier
	buffer_gl0_inv
	s_clause 0x7
	scratch_load_b128 v[97:100], off, off offset:68
	scratch_load_b128 v[101:104], off, off offset:84
	;; [unrolled: 1-line block ×7, first 2 shown]
	scratch_load_b64 v[133:134], off, off offset:180
	v_mov_b32_e32 v2, 0
	ds_load_2addr_b64 v[125:128], v2 offset0:33 offset1:34
	ds_load_2addr_b64 v[129:132], v2 offset0:35 offset1:36
	s_mov_b32 s0, exec_lo
	s_waitcnt vmcnt(7) lgkmcnt(1)
	v_fma_f32 v125, v98, v125, 0
	s_delay_alu instid0(VALU_DEP_1) | instskip(NEXT) | instid1(VALU_DEP_1)
	v_fmac_f32_e32 v125, v99, v126
	v_fmac_f32_e32 v125, v100, v127
	s_waitcnt vmcnt(6)
	s_delay_alu instid0(VALU_DEP_1) | instskip(SKIP_3) | instid1(VALU_DEP_1)
	v_fmac_f32_e32 v125, v101, v128
	ds_load_2addr_b64 v[98:101], v2 offset0:37 offset1:38
	s_waitcnt lgkmcnt(1)
	v_fmac_f32_e32 v125, v102, v129
	v_fmac_f32_e32 v125, v103, v130
	s_delay_alu instid0(VALU_DEP_1) | instskip(SKIP_1) | instid1(VALU_DEP_1)
	v_fmac_f32_e32 v125, v104, v131
	s_waitcnt vmcnt(5)
	v_fmac_f32_e32 v125, v105, v132
	ds_load_2addr_b64 v[102:105], v2 offset0:39 offset1:40
	s_waitcnt lgkmcnt(1)
	v_fmac_f32_e32 v125, v106, v98
	s_delay_alu instid0(VALU_DEP_1) | instskip(NEXT) | instid1(VALU_DEP_1)
	v_fmac_f32_e32 v125, v107, v99
	v_fmac_f32_e32 v125, v108, v100
	s_waitcnt vmcnt(4)
	s_delay_alu instid0(VALU_DEP_1) | instskip(SKIP_3) | instid1(VALU_DEP_1)
	v_fmac_f32_e32 v125, v109, v101
	ds_load_2addr_b64 v[98:101], v2 offset0:41 offset1:42
	s_waitcnt lgkmcnt(1)
	v_fmac_f32_e32 v125, v110, v102
	v_fmac_f32_e32 v125, v111, v103
	s_delay_alu instid0(VALU_DEP_1) | instskip(SKIP_1) | instid1(VALU_DEP_1)
	v_fmac_f32_e32 v125, v112, v104
	s_waitcnt vmcnt(3)
	v_fmac_f32_e32 v125, v113, v105
	ds_load_2addr_b64 v[102:105], v2 offset0:43 offset1:44
	s_waitcnt lgkmcnt(1)
	v_fmac_f32_e32 v125, v114, v98
	s_delay_alu instid0(VALU_DEP_1) | instskip(NEXT) | instid1(VALU_DEP_1)
	v_fmac_f32_e32 v125, v115, v99
	v_fmac_f32_e32 v125, v116, v100
	s_waitcnt vmcnt(2)
	s_delay_alu instid0(VALU_DEP_1)
	v_fmac_f32_e32 v125, v117, v101
	ds_load_2addr_b64 v[98:101], v2 offset0:45 offset1:46
	s_waitcnt lgkmcnt(1)
	v_fmac_f32_e32 v125, v118, v102
	ds_load_b32 v102, v2 offset:376
	v_fmac_f32_e32 v125, v119, v103
	s_delay_alu instid0(VALU_DEP_1) | instskip(SKIP_1) | instid1(VALU_DEP_1)
	v_fmac_f32_e32 v125, v120, v104
	s_waitcnt vmcnt(1)
	v_fmac_f32_e32 v125, v121, v105
	s_waitcnt lgkmcnt(1)
	s_delay_alu instid0(VALU_DEP_1) | instskip(NEXT) | instid1(VALU_DEP_1)
	v_fmac_f32_e32 v125, v122, v98
	v_fmac_f32_e32 v125, v123, v99
	s_delay_alu instid0(VALU_DEP_1) | instskip(SKIP_1) | instid1(VALU_DEP_1)
	v_fmac_f32_e32 v125, v124, v100
	s_waitcnt vmcnt(0)
	v_fmac_f32_e32 v125, v133, v101
	s_waitcnt lgkmcnt(0)
	s_delay_alu instid0(VALU_DEP_1) | instskip(NEXT) | instid1(VALU_DEP_1)
	v_fmac_f32_e32 v125, v134, v102
	v_sub_f32_e32 v97, v97, v125
	scratch_store_b32 off, v97, off offset:68
	v_cmpx_lt_u32_e32 16, v0
	s_cbranch_execz .LBB110_257
; %bb.256:
	scratch_load_b32 v97, off, off offset:64
	scratch_store_b32 off, v2, off offset:64
	s_waitcnt vmcnt(0)
	ds_store_b32 v1, v97
.LBB110_257:
	s_or_b32 exec_lo, exec_lo, s0
	s_waitcnt lgkmcnt(0)
	s_waitcnt_vscnt null, 0x0
	s_barrier
	buffer_gl0_inv
	s_clause 0x7
	scratch_load_b128 v[97:100], off, off offset:64
	scratch_load_b128 v[101:104], off, off offset:80
	;; [unrolled: 1-line block ×7, first 2 shown]
	scratch_load_b96 v[125:127], off, off offset:176
	ds_load_2addr_b32 v[128:129], v2 offset0:65 offset1:66
	ds_load_2addr_b32 v[130:131], v2 offset0:67 offset1:68
	;; [unrolled: 1-line block ×4, first 2 shown]
	s_mov_b32 s0, exec_lo
	s_waitcnt vmcnt(7) lgkmcnt(3)
	v_fma_f32 v128, v98, v128, 0
	s_delay_alu instid0(VALU_DEP_1) | instskip(SKIP_4) | instid1(VALU_DEP_1)
	v_fmac_f32_e32 v128, v99, v129
	ds_load_2addr_b32 v[98:99], v2 offset0:73 offset1:74
	s_waitcnt lgkmcnt(3)
	v_fmac_f32_e32 v128, v100, v130
	s_waitcnt vmcnt(6)
	v_fmac_f32_e32 v128, v101, v131
	ds_load_2addr_b32 v[100:101], v2 offset0:75 offset1:76
	s_waitcnt lgkmcnt(3)
	v_fmac_f32_e32 v128, v102, v132
	s_delay_alu instid0(VALU_DEP_1) | instskip(SKIP_1) | instid1(VALU_DEP_1)
	v_fmac_f32_e32 v128, v103, v133
	s_waitcnt lgkmcnt(2)
	v_fmac_f32_e32 v128, v104, v134
	s_waitcnt vmcnt(5)
	s_delay_alu instid0(VALU_DEP_1) | instskip(SKIP_4) | instid1(VALU_DEP_1)
	v_fmac_f32_e32 v128, v105, v135
	ds_load_2addr_b32 v[102:103], v2 offset0:77 offset1:78
	ds_load_2addr_b32 v[104:105], v2 offset0:79 offset1:80
	s_waitcnt lgkmcnt(3)
	v_fmac_f32_e32 v128, v106, v98
	v_fmac_f32_e32 v128, v107, v99
	ds_load_2addr_b32 v[98:99], v2 offset0:81 offset1:82
	s_waitcnt lgkmcnt(3)
	v_fmac_f32_e32 v128, v108, v100
	s_waitcnt vmcnt(4)
	s_delay_alu instid0(VALU_DEP_1) | instskip(SKIP_3) | instid1(VALU_DEP_1)
	v_fmac_f32_e32 v128, v109, v101
	ds_load_2addr_b32 v[100:101], v2 offset0:83 offset1:84
	s_waitcnt lgkmcnt(3)
	v_fmac_f32_e32 v128, v110, v102
	v_fmac_f32_e32 v128, v111, v103
	s_waitcnt lgkmcnt(2)
	s_delay_alu instid0(VALU_DEP_1) | instskip(SKIP_1) | instid1(VALU_DEP_1)
	v_fmac_f32_e32 v128, v112, v104
	s_waitcnt vmcnt(3)
	v_fmac_f32_e32 v128, v113, v105
	ds_load_2addr_b32 v[102:103], v2 offset0:85 offset1:86
	ds_load_2addr_b32 v[104:105], v2 offset0:87 offset1:88
	s_waitcnt lgkmcnt(3)
	v_fmac_f32_e32 v128, v114, v98
	s_delay_alu instid0(VALU_DEP_1) | instskip(SKIP_4) | instid1(VALU_DEP_1)
	v_fmac_f32_e32 v128, v115, v99
	ds_load_2addr_b32 v[98:99], v2 offset0:89 offset1:90
	s_waitcnt lgkmcnt(3)
	v_fmac_f32_e32 v128, v116, v100
	s_waitcnt vmcnt(2)
	v_fmac_f32_e32 v128, v117, v101
	ds_load_2addr_b32 v[100:101], v2 offset0:91 offset1:92
	s_waitcnt lgkmcnt(3)
	v_fmac_f32_e32 v128, v118, v102
	s_delay_alu instid0(VALU_DEP_1) | instskip(SKIP_4) | instid1(VALU_DEP_1)
	v_fmac_f32_e32 v128, v119, v103
	ds_load_2addr_b32 v[102:103], v2 offset0:93 offset1:94
	s_waitcnt lgkmcnt(3)
	v_fmac_f32_e32 v128, v120, v104
	s_waitcnt vmcnt(1)
	v_fmac_f32_e32 v128, v121, v105
	s_waitcnt lgkmcnt(2)
	s_delay_alu instid0(VALU_DEP_1) | instskip(NEXT) | instid1(VALU_DEP_1)
	v_fmac_f32_e32 v128, v122, v98
	v_fmac_f32_e32 v128, v123, v99
	s_waitcnt lgkmcnt(1)
	s_delay_alu instid0(VALU_DEP_1) | instskip(SKIP_1) | instid1(VALU_DEP_1)
	v_fmac_f32_e32 v128, v124, v100
	s_waitcnt vmcnt(0)
	v_fmac_f32_e32 v128, v125, v101
	s_waitcnt lgkmcnt(0)
	s_delay_alu instid0(VALU_DEP_1) | instskip(NEXT) | instid1(VALU_DEP_1)
	v_fmac_f32_e32 v128, v126, v102
	v_fmac_f32_e32 v128, v127, v103
	s_delay_alu instid0(VALU_DEP_1)
	v_sub_f32_e32 v2, v97, v128
	scratch_store_b32 off, v2, off offset:64
	v_cmpx_lt_u32_e32 15, v0
	s_cbranch_execz .LBB110_259
; %bb.258:
	scratch_load_b32 v2, off, off offset:60
	v_mov_b32_e32 v97, 0
	scratch_store_b32 off, v97, off offset:60
	s_waitcnt vmcnt(0)
	ds_store_b32 v1, v2
.LBB110_259:
	s_or_b32 exec_lo, exec_lo, s0
	s_waitcnt lgkmcnt(0)
	s_waitcnt_vscnt null, 0x0
	s_barrier
	buffer_gl0_inv
	s_clause 0x7
	scratch_load_b128 v[97:100], off, off offset:60
	scratch_load_b128 v[101:104], off, off offset:76
	;; [unrolled: 1-line block ×8, first 2 shown]
	v_mov_b32_e32 v2, 0
	ds_load_b128 v[129:132], v2 offset:256
	ds_load_b128 v[133:136], v2 offset:272
	s_mov_b32 s0, exec_lo
	s_waitcnt vmcnt(7) lgkmcnt(1)
	v_fma_f32 v129, v98, v129, 0
	s_delay_alu instid0(VALU_DEP_1) | instskip(NEXT) | instid1(VALU_DEP_1)
	v_fmac_f32_e32 v129, v99, v130
	v_fmac_f32_e32 v129, v100, v131
	s_waitcnt vmcnt(6)
	s_delay_alu instid0(VALU_DEP_1) | instskip(SKIP_3) | instid1(VALU_DEP_1)
	v_fmac_f32_e32 v129, v101, v132
	ds_load_b128 v[98:101], v2 offset:288
	s_waitcnt lgkmcnt(1)
	v_fmac_f32_e32 v129, v102, v133
	v_fmac_f32_e32 v129, v103, v134
	s_delay_alu instid0(VALU_DEP_1) | instskip(SKIP_1) | instid1(VALU_DEP_1)
	v_fmac_f32_e32 v129, v104, v135
	s_waitcnt vmcnt(5)
	v_fmac_f32_e32 v129, v105, v136
	ds_load_b128 v[102:105], v2 offset:304
	s_waitcnt lgkmcnt(1)
	v_fmac_f32_e32 v129, v106, v98
	s_delay_alu instid0(VALU_DEP_1) | instskip(NEXT) | instid1(VALU_DEP_1)
	v_fmac_f32_e32 v129, v107, v99
	v_fmac_f32_e32 v129, v108, v100
	s_waitcnt vmcnt(4)
	s_delay_alu instid0(VALU_DEP_1) | instskip(SKIP_3) | instid1(VALU_DEP_1)
	v_fmac_f32_e32 v129, v109, v101
	ds_load_b128 v[98:101], v2 offset:320
	s_waitcnt lgkmcnt(1)
	v_fmac_f32_e32 v129, v110, v102
	v_fmac_f32_e32 v129, v111, v103
	s_delay_alu instid0(VALU_DEP_1) | instskip(SKIP_1) | instid1(VALU_DEP_1)
	v_fmac_f32_e32 v129, v112, v104
	s_waitcnt vmcnt(3)
	v_fmac_f32_e32 v129, v113, v105
	ds_load_b128 v[102:105], v2 offset:336
	s_waitcnt lgkmcnt(1)
	v_fmac_f32_e32 v129, v114, v98
	s_delay_alu instid0(VALU_DEP_1) | instskip(NEXT) | instid1(VALU_DEP_1)
	v_fmac_f32_e32 v129, v115, v99
	v_fmac_f32_e32 v129, v116, v100
	s_waitcnt vmcnt(2)
	s_delay_alu instid0(VALU_DEP_1) | instskip(SKIP_3) | instid1(VALU_DEP_1)
	v_fmac_f32_e32 v129, v117, v101
	ds_load_b128 v[98:101], v2 offset:352
	s_waitcnt lgkmcnt(1)
	v_fmac_f32_e32 v129, v118, v102
	v_fmac_f32_e32 v129, v119, v103
	s_delay_alu instid0(VALU_DEP_1) | instskip(SKIP_4) | instid1(VALU_DEP_1)
	v_fmac_f32_e32 v129, v120, v104
	ds_load_b96 v[102:104], v2 offset:368
	s_waitcnt vmcnt(1)
	v_fmac_f32_e32 v129, v121, v105
	s_waitcnt lgkmcnt(1)
	v_fmac_f32_e32 v129, v122, v98
	s_delay_alu instid0(VALU_DEP_1) | instskip(NEXT) | instid1(VALU_DEP_1)
	v_fmac_f32_e32 v129, v123, v99
	v_fmac_f32_e32 v129, v124, v100
	s_waitcnt vmcnt(0)
	s_delay_alu instid0(VALU_DEP_1) | instskip(SKIP_1) | instid1(VALU_DEP_1)
	v_fmac_f32_e32 v129, v125, v101
	s_waitcnt lgkmcnt(0)
	v_fmac_f32_e32 v129, v126, v102
	s_delay_alu instid0(VALU_DEP_1) | instskip(NEXT) | instid1(VALU_DEP_1)
	v_fmac_f32_e32 v129, v127, v103
	v_fmac_f32_e32 v129, v128, v104
	s_delay_alu instid0(VALU_DEP_1)
	v_sub_f32_e32 v97, v97, v129
	scratch_store_b32 off, v97, off offset:60
	v_cmpx_lt_u32_e32 14, v0
	s_cbranch_execz .LBB110_261
; %bb.260:
	scratch_load_b32 v97, off, off offset:56
	scratch_store_b32 off, v2, off offset:56
	s_waitcnt vmcnt(0)
	ds_store_b32 v1, v97
.LBB110_261:
	s_or_b32 exec_lo, exec_lo, s0
	s_waitcnt lgkmcnt(0)
	s_waitcnt_vscnt null, 0x0
	s_barrier
	buffer_gl0_inv
	s_clause 0x8
	scratch_load_b128 v[97:100], off, off offset:56
	scratch_load_b128 v[101:104], off, off offset:72
	scratch_load_b128 v[105:108], off, off offset:88
	scratch_load_b128 v[109:112], off, off offset:104
	scratch_load_b128 v[113:116], off, off offset:120
	scratch_load_b128 v[117:120], off, off offset:136
	scratch_load_b128 v[121:124], off, off offset:152
	scratch_load_b128 v[125:128], off, off offset:168
	scratch_load_b32 v137, off, off offset:184
	ds_load_2addr_b32 v[129:130], v2 offset0:63 offset1:64
	ds_load_2addr_b32 v[131:132], v2 offset0:65 offset1:66
	;; [unrolled: 1-line block ×4, first 2 shown]
	s_mov_b32 s0, exec_lo
	s_waitcnt vmcnt(8) lgkmcnt(3)
	v_fma_f32 v129, v98, v129, 0
	s_delay_alu instid0(VALU_DEP_1) | instskip(SKIP_4) | instid1(VALU_DEP_1)
	v_fmac_f32_e32 v129, v99, v130
	ds_load_2addr_b32 v[98:99], v2 offset0:71 offset1:72
	s_waitcnt lgkmcnt(3)
	v_fmac_f32_e32 v129, v100, v131
	s_waitcnt vmcnt(7)
	v_fmac_f32_e32 v129, v101, v132
	ds_load_2addr_b32 v[100:101], v2 offset0:73 offset1:74
	s_waitcnt lgkmcnt(3)
	v_fmac_f32_e32 v129, v102, v133
	s_delay_alu instid0(VALU_DEP_1) | instskip(SKIP_1) | instid1(VALU_DEP_1)
	v_fmac_f32_e32 v129, v103, v134
	s_waitcnt lgkmcnt(2)
	v_fmac_f32_e32 v129, v104, v135
	s_waitcnt vmcnt(6)
	s_delay_alu instid0(VALU_DEP_1) | instskip(SKIP_4) | instid1(VALU_DEP_1)
	v_fmac_f32_e32 v129, v105, v136
	ds_load_2addr_b32 v[102:103], v2 offset0:75 offset1:76
	ds_load_2addr_b32 v[104:105], v2 offset0:77 offset1:78
	s_waitcnt lgkmcnt(3)
	v_fmac_f32_e32 v129, v106, v98
	v_fmac_f32_e32 v129, v107, v99
	ds_load_2addr_b32 v[98:99], v2 offset0:79 offset1:80
	s_waitcnt lgkmcnt(3)
	v_fmac_f32_e32 v129, v108, v100
	s_waitcnt vmcnt(5)
	s_delay_alu instid0(VALU_DEP_1) | instskip(SKIP_3) | instid1(VALU_DEP_1)
	v_fmac_f32_e32 v129, v109, v101
	ds_load_2addr_b32 v[100:101], v2 offset0:81 offset1:82
	s_waitcnt lgkmcnt(3)
	v_fmac_f32_e32 v129, v110, v102
	v_fmac_f32_e32 v129, v111, v103
	s_waitcnt lgkmcnt(2)
	s_delay_alu instid0(VALU_DEP_1) | instskip(SKIP_1) | instid1(VALU_DEP_1)
	v_fmac_f32_e32 v129, v112, v104
	s_waitcnt vmcnt(4)
	v_fmac_f32_e32 v129, v113, v105
	ds_load_2addr_b32 v[102:103], v2 offset0:83 offset1:84
	ds_load_2addr_b32 v[104:105], v2 offset0:85 offset1:86
	s_waitcnt lgkmcnt(3)
	v_fmac_f32_e32 v129, v114, v98
	s_delay_alu instid0(VALU_DEP_1) | instskip(SKIP_4) | instid1(VALU_DEP_1)
	v_fmac_f32_e32 v129, v115, v99
	ds_load_2addr_b32 v[98:99], v2 offset0:87 offset1:88
	s_waitcnt lgkmcnt(3)
	v_fmac_f32_e32 v129, v116, v100
	s_waitcnt vmcnt(3)
	v_fmac_f32_e32 v129, v117, v101
	ds_load_2addr_b32 v[100:101], v2 offset0:89 offset1:90
	s_waitcnt lgkmcnt(3)
	v_fmac_f32_e32 v129, v118, v102
	s_delay_alu instid0(VALU_DEP_1) | instskip(SKIP_1) | instid1(VALU_DEP_1)
	v_fmac_f32_e32 v129, v119, v103
	s_waitcnt lgkmcnt(2)
	v_fmac_f32_e32 v129, v120, v104
	s_waitcnt vmcnt(2)
	s_delay_alu instid0(VALU_DEP_1) | instskip(SKIP_4) | instid1(VALU_DEP_1)
	v_fmac_f32_e32 v129, v121, v105
	ds_load_2addr_b32 v[102:103], v2 offset0:91 offset1:92
	ds_load_2addr_b32 v[104:105], v2 offset0:93 offset1:94
	s_waitcnt lgkmcnt(3)
	v_fmac_f32_e32 v129, v122, v98
	v_fmac_f32_e32 v129, v123, v99
	s_waitcnt lgkmcnt(2)
	s_delay_alu instid0(VALU_DEP_1) | instskip(SKIP_1) | instid1(VALU_DEP_1)
	v_fmac_f32_e32 v129, v124, v100
	s_waitcnt vmcnt(1)
	v_fmac_f32_e32 v129, v125, v101
	s_waitcnt lgkmcnt(1)
	s_delay_alu instid0(VALU_DEP_1) | instskip(NEXT) | instid1(VALU_DEP_1)
	v_fmac_f32_e32 v129, v126, v102
	v_fmac_f32_e32 v129, v127, v103
	s_waitcnt lgkmcnt(0)
	s_delay_alu instid0(VALU_DEP_1) | instskip(SKIP_1) | instid1(VALU_DEP_1)
	v_fmac_f32_e32 v129, v128, v104
	s_waitcnt vmcnt(0)
	v_fmac_f32_e32 v129, v137, v105
	s_delay_alu instid0(VALU_DEP_1)
	v_sub_f32_e32 v2, v97, v129
	scratch_store_b32 off, v2, off offset:56
	v_cmpx_lt_u32_e32 13, v0
	s_cbranch_execz .LBB110_263
; %bb.262:
	scratch_load_b32 v2, off, off offset:52
	v_mov_b32_e32 v97, 0
	scratch_store_b32 off, v97, off offset:52
	s_waitcnt vmcnt(0)
	ds_store_b32 v1, v2
.LBB110_263:
	s_or_b32 exec_lo, exec_lo, s0
	s_waitcnt lgkmcnt(0)
	s_waitcnt_vscnt null, 0x0
	s_barrier
	buffer_gl0_inv
	s_clause 0x8
	scratch_load_b128 v[97:100], off, off offset:52
	scratch_load_b128 v[101:104], off, off offset:68
	;; [unrolled: 1-line block ×8, first 2 shown]
	scratch_load_b64 v[137:138], off, off offset:180
	v_mov_b32_e32 v2, 0
	ds_load_2addr_b64 v[129:132], v2 offset0:31 offset1:32
	ds_load_2addr_b64 v[133:136], v2 offset0:33 offset1:34
	s_mov_b32 s0, exec_lo
	s_waitcnt vmcnt(8) lgkmcnt(1)
	v_fma_f32 v129, v98, v129, 0
	s_delay_alu instid0(VALU_DEP_1) | instskip(NEXT) | instid1(VALU_DEP_1)
	v_fmac_f32_e32 v129, v99, v130
	v_fmac_f32_e32 v129, v100, v131
	s_waitcnt vmcnt(7)
	s_delay_alu instid0(VALU_DEP_1) | instskip(SKIP_3) | instid1(VALU_DEP_1)
	v_fmac_f32_e32 v129, v101, v132
	ds_load_2addr_b64 v[98:101], v2 offset0:35 offset1:36
	s_waitcnt lgkmcnt(1)
	v_fmac_f32_e32 v129, v102, v133
	v_fmac_f32_e32 v129, v103, v134
	s_delay_alu instid0(VALU_DEP_1) | instskip(SKIP_1) | instid1(VALU_DEP_1)
	v_fmac_f32_e32 v129, v104, v135
	s_waitcnt vmcnt(6)
	v_fmac_f32_e32 v129, v105, v136
	ds_load_2addr_b64 v[102:105], v2 offset0:37 offset1:38
	s_waitcnt lgkmcnt(1)
	v_fmac_f32_e32 v129, v106, v98
	s_delay_alu instid0(VALU_DEP_1) | instskip(NEXT) | instid1(VALU_DEP_1)
	v_fmac_f32_e32 v129, v107, v99
	v_fmac_f32_e32 v129, v108, v100
	s_waitcnt vmcnt(5)
	s_delay_alu instid0(VALU_DEP_1) | instskip(SKIP_3) | instid1(VALU_DEP_1)
	v_fmac_f32_e32 v129, v109, v101
	ds_load_2addr_b64 v[98:101], v2 offset0:39 offset1:40
	s_waitcnt lgkmcnt(1)
	v_fmac_f32_e32 v129, v110, v102
	v_fmac_f32_e32 v129, v111, v103
	s_delay_alu instid0(VALU_DEP_1) | instskip(SKIP_1) | instid1(VALU_DEP_1)
	v_fmac_f32_e32 v129, v112, v104
	s_waitcnt vmcnt(4)
	v_fmac_f32_e32 v129, v113, v105
	ds_load_2addr_b64 v[102:105], v2 offset0:41 offset1:42
	s_waitcnt lgkmcnt(1)
	v_fmac_f32_e32 v129, v114, v98
	;; [unrolled: 17-line block ×3, first 2 shown]
	ds_load_b32 v98, v2 offset:376
	v_fmac_f32_e32 v129, v123, v99
	s_delay_alu instid0(VALU_DEP_1) | instskip(SKIP_1) | instid1(VALU_DEP_1)
	v_fmac_f32_e32 v129, v124, v100
	s_waitcnt vmcnt(1)
	v_fmac_f32_e32 v129, v125, v101
	s_waitcnt lgkmcnt(1)
	s_delay_alu instid0(VALU_DEP_1) | instskip(NEXT) | instid1(VALU_DEP_1)
	v_fmac_f32_e32 v129, v126, v102
	v_fmac_f32_e32 v129, v127, v103
	s_delay_alu instid0(VALU_DEP_1) | instskip(SKIP_1) | instid1(VALU_DEP_1)
	v_fmac_f32_e32 v129, v128, v104
	s_waitcnt vmcnt(0)
	v_fmac_f32_e32 v129, v137, v105
	s_waitcnt lgkmcnt(0)
	s_delay_alu instid0(VALU_DEP_1) | instskip(NEXT) | instid1(VALU_DEP_1)
	v_fmac_f32_e32 v129, v138, v98
	v_sub_f32_e32 v97, v97, v129
	scratch_store_b32 off, v97, off offset:52
	v_cmpx_lt_u32_e32 12, v0
	s_cbranch_execz .LBB110_265
; %bb.264:
	scratch_load_b32 v97, off, off offset:48
	scratch_store_b32 off, v2, off offset:48
	s_waitcnt vmcnt(0)
	ds_store_b32 v1, v97
.LBB110_265:
	s_or_b32 exec_lo, exec_lo, s0
	s_waitcnt lgkmcnt(0)
	s_waitcnt_vscnt null, 0x0
	s_barrier
	buffer_gl0_inv
	s_clause 0x8
	scratch_load_b128 v[97:100], off, off offset:48
	scratch_load_b128 v[101:104], off, off offset:64
	;; [unrolled: 1-line block ×8, first 2 shown]
	scratch_load_b96 v[129:131], off, off offset:176
	ds_load_2addr_b32 v[132:133], v2 offset0:61 offset1:62
	ds_load_2addr_b32 v[134:135], v2 offset0:63 offset1:64
	ds_load_2addr_b32 v[136:137], v2 offset0:65 offset1:66
	ds_load_2addr_b32 v[138:139], v2 offset0:67 offset1:68
	s_mov_b32 s0, exec_lo
	s_waitcnt vmcnt(8) lgkmcnt(3)
	v_fma_f32 v132, v98, v132, 0
	s_delay_alu instid0(VALU_DEP_1) | instskip(SKIP_4) | instid1(VALU_DEP_1)
	v_fmac_f32_e32 v132, v99, v133
	ds_load_2addr_b32 v[98:99], v2 offset0:69 offset1:70
	s_waitcnt lgkmcnt(3)
	v_fmac_f32_e32 v132, v100, v134
	s_waitcnt vmcnt(7)
	v_fmac_f32_e32 v132, v101, v135
	ds_load_2addr_b32 v[100:101], v2 offset0:71 offset1:72
	s_waitcnt lgkmcnt(3)
	v_fmac_f32_e32 v132, v102, v136
	s_delay_alu instid0(VALU_DEP_1) | instskip(SKIP_1) | instid1(VALU_DEP_1)
	v_fmac_f32_e32 v132, v103, v137
	s_waitcnt lgkmcnt(2)
	v_fmac_f32_e32 v132, v104, v138
	s_waitcnt vmcnt(6)
	s_delay_alu instid0(VALU_DEP_1) | instskip(SKIP_4) | instid1(VALU_DEP_1)
	v_fmac_f32_e32 v132, v105, v139
	ds_load_2addr_b32 v[102:103], v2 offset0:73 offset1:74
	ds_load_2addr_b32 v[104:105], v2 offset0:75 offset1:76
	s_waitcnt lgkmcnt(3)
	v_fmac_f32_e32 v132, v106, v98
	v_fmac_f32_e32 v132, v107, v99
	ds_load_2addr_b32 v[98:99], v2 offset0:77 offset1:78
	s_waitcnt lgkmcnt(3)
	v_fmac_f32_e32 v132, v108, v100
	s_waitcnt vmcnt(5)
	s_delay_alu instid0(VALU_DEP_1) | instskip(SKIP_3) | instid1(VALU_DEP_1)
	v_fmac_f32_e32 v132, v109, v101
	ds_load_2addr_b32 v[100:101], v2 offset0:79 offset1:80
	s_waitcnt lgkmcnt(3)
	v_fmac_f32_e32 v132, v110, v102
	v_fmac_f32_e32 v132, v111, v103
	s_waitcnt lgkmcnt(2)
	s_delay_alu instid0(VALU_DEP_1) | instskip(SKIP_1) | instid1(VALU_DEP_1)
	v_fmac_f32_e32 v132, v112, v104
	s_waitcnt vmcnt(4)
	v_fmac_f32_e32 v132, v113, v105
	ds_load_2addr_b32 v[102:103], v2 offset0:81 offset1:82
	ds_load_2addr_b32 v[104:105], v2 offset0:83 offset1:84
	s_waitcnt lgkmcnt(3)
	v_fmac_f32_e32 v132, v114, v98
	s_delay_alu instid0(VALU_DEP_1) | instskip(SKIP_4) | instid1(VALU_DEP_1)
	v_fmac_f32_e32 v132, v115, v99
	ds_load_2addr_b32 v[98:99], v2 offset0:85 offset1:86
	s_waitcnt lgkmcnt(3)
	v_fmac_f32_e32 v132, v116, v100
	s_waitcnt vmcnt(3)
	v_fmac_f32_e32 v132, v117, v101
	ds_load_2addr_b32 v[100:101], v2 offset0:87 offset1:88
	s_waitcnt lgkmcnt(3)
	v_fmac_f32_e32 v132, v118, v102
	s_delay_alu instid0(VALU_DEP_1) | instskip(SKIP_1) | instid1(VALU_DEP_1)
	v_fmac_f32_e32 v132, v119, v103
	s_waitcnt lgkmcnt(2)
	v_fmac_f32_e32 v132, v120, v104
	s_waitcnt vmcnt(2)
	s_delay_alu instid0(VALU_DEP_1) | instskip(SKIP_4) | instid1(VALU_DEP_1)
	v_fmac_f32_e32 v132, v121, v105
	ds_load_2addr_b32 v[102:103], v2 offset0:89 offset1:90
	ds_load_2addr_b32 v[104:105], v2 offset0:91 offset1:92
	s_waitcnt lgkmcnt(3)
	v_fmac_f32_e32 v132, v122, v98
	v_fmac_f32_e32 v132, v123, v99
	ds_load_2addr_b32 v[98:99], v2 offset0:93 offset1:94
	s_waitcnt lgkmcnt(3)
	v_fmac_f32_e32 v132, v124, v100
	s_waitcnt vmcnt(1)
	s_delay_alu instid0(VALU_DEP_1) | instskip(SKIP_1) | instid1(VALU_DEP_1)
	v_fmac_f32_e32 v132, v125, v101
	s_waitcnt lgkmcnt(2)
	v_fmac_f32_e32 v132, v126, v102
	s_delay_alu instid0(VALU_DEP_1) | instskip(SKIP_1) | instid1(VALU_DEP_1)
	v_fmac_f32_e32 v132, v127, v103
	s_waitcnt lgkmcnt(1)
	v_fmac_f32_e32 v132, v128, v104
	s_waitcnt vmcnt(0)
	s_delay_alu instid0(VALU_DEP_1) | instskip(SKIP_1) | instid1(VALU_DEP_1)
	v_fmac_f32_e32 v132, v129, v105
	s_waitcnt lgkmcnt(0)
	v_fmac_f32_e32 v132, v130, v98
	s_delay_alu instid0(VALU_DEP_1) | instskip(NEXT) | instid1(VALU_DEP_1)
	v_fmac_f32_e32 v132, v131, v99
	v_sub_f32_e32 v2, v97, v132
	scratch_store_b32 off, v2, off offset:48
	v_cmpx_lt_u32_e32 11, v0
	s_cbranch_execz .LBB110_267
; %bb.266:
	scratch_load_b32 v2, off, off offset:44
	v_mov_b32_e32 v97, 0
	scratch_store_b32 off, v97, off offset:44
	s_waitcnt vmcnt(0)
	ds_store_b32 v1, v2
.LBB110_267:
	s_or_b32 exec_lo, exec_lo, s0
	s_waitcnt lgkmcnt(0)
	s_waitcnt_vscnt null, 0x0
	s_barrier
	buffer_gl0_inv
	s_clause 0x8
	scratch_load_b128 v[97:100], off, off offset:44
	scratch_load_b128 v[101:104], off, off offset:60
	;; [unrolled: 1-line block ×9, first 2 shown]
	v_mov_b32_e32 v2, 0
	ds_load_b128 v[133:136], v2 offset:240
	ds_load_b128 v[137:140], v2 offset:256
	s_mov_b32 s0, exec_lo
	s_waitcnt vmcnt(8) lgkmcnt(1)
	v_fma_f32 v133, v98, v133, 0
	s_delay_alu instid0(VALU_DEP_1) | instskip(NEXT) | instid1(VALU_DEP_1)
	v_fmac_f32_e32 v133, v99, v134
	v_fmac_f32_e32 v133, v100, v135
	s_waitcnt vmcnt(7)
	s_delay_alu instid0(VALU_DEP_1) | instskip(SKIP_3) | instid1(VALU_DEP_1)
	v_fmac_f32_e32 v133, v101, v136
	ds_load_b128 v[98:101], v2 offset:272
	s_waitcnt lgkmcnt(1)
	v_fmac_f32_e32 v133, v102, v137
	v_fmac_f32_e32 v133, v103, v138
	s_delay_alu instid0(VALU_DEP_1) | instskip(SKIP_1) | instid1(VALU_DEP_1)
	v_fmac_f32_e32 v133, v104, v139
	s_waitcnt vmcnt(6)
	v_fmac_f32_e32 v133, v105, v140
	ds_load_b128 v[102:105], v2 offset:288
	s_waitcnt lgkmcnt(1)
	v_fmac_f32_e32 v133, v106, v98
	s_delay_alu instid0(VALU_DEP_1) | instskip(NEXT) | instid1(VALU_DEP_1)
	v_fmac_f32_e32 v133, v107, v99
	v_fmac_f32_e32 v133, v108, v100
	s_waitcnt vmcnt(5)
	s_delay_alu instid0(VALU_DEP_1) | instskip(SKIP_3) | instid1(VALU_DEP_1)
	v_fmac_f32_e32 v133, v109, v101
	ds_load_b128 v[98:101], v2 offset:304
	s_waitcnt lgkmcnt(1)
	v_fmac_f32_e32 v133, v110, v102
	v_fmac_f32_e32 v133, v111, v103
	s_delay_alu instid0(VALU_DEP_1) | instskip(SKIP_1) | instid1(VALU_DEP_1)
	v_fmac_f32_e32 v133, v112, v104
	s_waitcnt vmcnt(4)
	v_fmac_f32_e32 v133, v113, v105
	ds_load_b128 v[102:105], v2 offset:320
	s_waitcnt lgkmcnt(1)
	v_fmac_f32_e32 v133, v114, v98
	;; [unrolled: 17-line block ×3, first 2 shown]
	s_delay_alu instid0(VALU_DEP_1) | instskip(NEXT) | instid1(VALU_DEP_1)
	v_fmac_f32_e32 v133, v123, v99
	v_fmac_f32_e32 v133, v124, v100
	ds_load_b96 v[98:100], v2 offset:368
	s_waitcnt vmcnt(1)
	v_fmac_f32_e32 v133, v125, v101
	s_waitcnt lgkmcnt(1)
	s_delay_alu instid0(VALU_DEP_1) | instskip(NEXT) | instid1(VALU_DEP_1)
	v_fmac_f32_e32 v133, v126, v102
	v_fmac_f32_e32 v133, v127, v103
	s_delay_alu instid0(VALU_DEP_1) | instskip(SKIP_1) | instid1(VALU_DEP_1)
	v_fmac_f32_e32 v133, v128, v104
	s_waitcnt vmcnt(0)
	v_fmac_f32_e32 v133, v129, v105
	s_waitcnt lgkmcnt(0)
	s_delay_alu instid0(VALU_DEP_1) | instskip(NEXT) | instid1(VALU_DEP_1)
	v_fmac_f32_e32 v133, v130, v98
	v_fmac_f32_e32 v133, v131, v99
	s_delay_alu instid0(VALU_DEP_1) | instskip(NEXT) | instid1(VALU_DEP_1)
	v_fmac_f32_e32 v133, v132, v100
	v_sub_f32_e32 v97, v97, v133
	scratch_store_b32 off, v97, off offset:44
	v_cmpx_lt_u32_e32 10, v0
	s_cbranch_execz .LBB110_269
; %bb.268:
	scratch_load_b32 v97, off, off offset:40
	scratch_store_b32 off, v2, off offset:40
	s_waitcnt vmcnt(0)
	ds_store_b32 v1, v97
.LBB110_269:
	s_or_b32 exec_lo, exec_lo, s0
	s_waitcnt lgkmcnt(0)
	s_waitcnt_vscnt null, 0x0
	s_barrier
	buffer_gl0_inv
	s_clause 0x9
	scratch_load_b128 v[97:100], off, off offset:40
	scratch_load_b128 v[101:104], off, off offset:56
	;; [unrolled: 1-line block ×9, first 2 shown]
	scratch_load_b32 v141, off, off offset:184
	ds_load_2addr_b32 v[133:134], v2 offset0:59 offset1:60
	ds_load_2addr_b32 v[135:136], v2 offset0:61 offset1:62
	;; [unrolled: 1-line block ×4, first 2 shown]
	s_mov_b32 s0, exec_lo
	s_waitcnt vmcnt(9) lgkmcnt(3)
	v_fma_f32 v133, v98, v133, 0
	s_delay_alu instid0(VALU_DEP_1) | instskip(SKIP_4) | instid1(VALU_DEP_1)
	v_fmac_f32_e32 v133, v99, v134
	ds_load_2addr_b32 v[98:99], v2 offset0:67 offset1:68
	s_waitcnt lgkmcnt(3)
	v_fmac_f32_e32 v133, v100, v135
	s_waitcnt vmcnt(8)
	v_fmac_f32_e32 v133, v101, v136
	ds_load_2addr_b32 v[100:101], v2 offset0:69 offset1:70
	s_waitcnt lgkmcnt(3)
	v_fmac_f32_e32 v133, v102, v137
	s_delay_alu instid0(VALU_DEP_1) | instskip(SKIP_1) | instid1(VALU_DEP_1)
	v_fmac_f32_e32 v133, v103, v138
	s_waitcnt lgkmcnt(2)
	v_fmac_f32_e32 v133, v104, v139
	s_waitcnt vmcnt(7)
	s_delay_alu instid0(VALU_DEP_1) | instskip(SKIP_4) | instid1(VALU_DEP_1)
	v_fmac_f32_e32 v133, v105, v140
	ds_load_2addr_b32 v[102:103], v2 offset0:71 offset1:72
	ds_load_2addr_b32 v[104:105], v2 offset0:73 offset1:74
	s_waitcnt lgkmcnt(3)
	v_fmac_f32_e32 v133, v106, v98
	v_fmac_f32_e32 v133, v107, v99
	ds_load_2addr_b32 v[98:99], v2 offset0:75 offset1:76
	s_waitcnt lgkmcnt(3)
	v_fmac_f32_e32 v133, v108, v100
	s_waitcnt vmcnt(6)
	s_delay_alu instid0(VALU_DEP_1) | instskip(SKIP_3) | instid1(VALU_DEP_1)
	v_fmac_f32_e32 v133, v109, v101
	ds_load_2addr_b32 v[100:101], v2 offset0:77 offset1:78
	s_waitcnt lgkmcnt(3)
	v_fmac_f32_e32 v133, v110, v102
	v_fmac_f32_e32 v133, v111, v103
	s_waitcnt lgkmcnt(2)
	s_delay_alu instid0(VALU_DEP_1) | instskip(SKIP_1) | instid1(VALU_DEP_1)
	v_fmac_f32_e32 v133, v112, v104
	s_waitcnt vmcnt(5)
	v_fmac_f32_e32 v133, v113, v105
	ds_load_2addr_b32 v[102:103], v2 offset0:79 offset1:80
	ds_load_2addr_b32 v[104:105], v2 offset0:81 offset1:82
	s_waitcnt lgkmcnt(3)
	v_fmac_f32_e32 v133, v114, v98
	s_delay_alu instid0(VALU_DEP_1) | instskip(SKIP_4) | instid1(VALU_DEP_1)
	v_fmac_f32_e32 v133, v115, v99
	ds_load_2addr_b32 v[98:99], v2 offset0:83 offset1:84
	s_waitcnt lgkmcnt(3)
	v_fmac_f32_e32 v133, v116, v100
	s_waitcnt vmcnt(4)
	v_fmac_f32_e32 v133, v117, v101
	ds_load_2addr_b32 v[100:101], v2 offset0:85 offset1:86
	s_waitcnt lgkmcnt(3)
	v_fmac_f32_e32 v133, v118, v102
	s_delay_alu instid0(VALU_DEP_1) | instskip(SKIP_1) | instid1(VALU_DEP_1)
	v_fmac_f32_e32 v133, v119, v103
	s_waitcnt lgkmcnt(2)
	v_fmac_f32_e32 v133, v120, v104
	s_waitcnt vmcnt(3)
	s_delay_alu instid0(VALU_DEP_1) | instskip(SKIP_4) | instid1(VALU_DEP_1)
	v_fmac_f32_e32 v133, v121, v105
	ds_load_2addr_b32 v[102:103], v2 offset0:87 offset1:88
	ds_load_2addr_b32 v[104:105], v2 offset0:89 offset1:90
	s_waitcnt lgkmcnt(3)
	v_fmac_f32_e32 v133, v122, v98
	v_fmac_f32_e32 v133, v123, v99
	ds_load_2addr_b32 v[98:99], v2 offset0:91 offset1:92
	s_waitcnt lgkmcnt(3)
	v_fmac_f32_e32 v133, v124, v100
	s_waitcnt vmcnt(2)
	s_delay_alu instid0(VALU_DEP_1) | instskip(SKIP_3) | instid1(VALU_DEP_1)
	v_fmac_f32_e32 v133, v125, v101
	ds_load_2addr_b32 v[100:101], v2 offset0:93 offset1:94
	s_waitcnt lgkmcnt(3)
	v_fmac_f32_e32 v133, v126, v102
	v_fmac_f32_e32 v133, v127, v103
	s_waitcnt lgkmcnt(2)
	s_delay_alu instid0(VALU_DEP_1) | instskip(SKIP_1) | instid1(VALU_DEP_1)
	v_fmac_f32_e32 v133, v128, v104
	s_waitcnt vmcnt(1)
	v_fmac_f32_e32 v133, v129, v105
	s_waitcnt lgkmcnt(1)
	s_delay_alu instid0(VALU_DEP_1) | instskip(NEXT) | instid1(VALU_DEP_1)
	v_fmac_f32_e32 v133, v130, v98
	v_fmac_f32_e32 v133, v131, v99
	s_waitcnt lgkmcnt(0)
	s_delay_alu instid0(VALU_DEP_1) | instskip(SKIP_1) | instid1(VALU_DEP_1)
	v_fmac_f32_e32 v133, v132, v100
	s_waitcnt vmcnt(0)
	v_fmac_f32_e32 v133, v141, v101
	s_delay_alu instid0(VALU_DEP_1)
	v_sub_f32_e32 v2, v97, v133
	scratch_store_b32 off, v2, off offset:40
	v_cmpx_lt_u32_e32 9, v0
	s_cbranch_execz .LBB110_271
; %bb.270:
	scratch_load_b32 v2, off, off offset:36
	v_mov_b32_e32 v97, 0
	scratch_store_b32 off, v97, off offset:36
	s_waitcnt vmcnt(0)
	ds_store_b32 v1, v2
.LBB110_271:
	s_or_b32 exec_lo, exec_lo, s0
	s_waitcnt lgkmcnt(0)
	s_waitcnt_vscnt null, 0x0
	s_barrier
	buffer_gl0_inv
	s_clause 0x9
	scratch_load_b128 v[97:100], off, off offset:36
	scratch_load_b128 v[101:104], off, off offset:52
	;; [unrolled: 1-line block ×9, first 2 shown]
	scratch_load_b64 v[141:142], off, off offset:180
	v_mov_b32_e32 v2, 0
	ds_load_2addr_b64 v[133:136], v2 offset0:29 offset1:30
	ds_load_2addr_b64 v[137:140], v2 offset0:31 offset1:32
	s_mov_b32 s0, exec_lo
	s_waitcnt vmcnt(9) lgkmcnt(1)
	v_fma_f32 v133, v98, v133, 0
	s_delay_alu instid0(VALU_DEP_1) | instskip(NEXT) | instid1(VALU_DEP_1)
	v_fmac_f32_e32 v133, v99, v134
	v_fmac_f32_e32 v133, v100, v135
	s_waitcnt vmcnt(8)
	s_delay_alu instid0(VALU_DEP_1) | instskip(SKIP_3) | instid1(VALU_DEP_1)
	v_fmac_f32_e32 v133, v101, v136
	ds_load_2addr_b64 v[98:101], v2 offset0:33 offset1:34
	s_waitcnt lgkmcnt(1)
	v_fmac_f32_e32 v133, v102, v137
	v_fmac_f32_e32 v133, v103, v138
	s_delay_alu instid0(VALU_DEP_1) | instskip(SKIP_1) | instid1(VALU_DEP_1)
	v_fmac_f32_e32 v133, v104, v139
	s_waitcnt vmcnt(7)
	v_fmac_f32_e32 v133, v105, v140
	ds_load_2addr_b64 v[102:105], v2 offset0:35 offset1:36
	s_waitcnt lgkmcnt(1)
	v_fmac_f32_e32 v133, v106, v98
	s_delay_alu instid0(VALU_DEP_1) | instskip(NEXT) | instid1(VALU_DEP_1)
	v_fmac_f32_e32 v133, v107, v99
	v_fmac_f32_e32 v133, v108, v100
	s_waitcnt vmcnt(6)
	s_delay_alu instid0(VALU_DEP_1) | instskip(SKIP_3) | instid1(VALU_DEP_1)
	v_fmac_f32_e32 v133, v109, v101
	ds_load_2addr_b64 v[98:101], v2 offset0:37 offset1:38
	s_waitcnt lgkmcnt(1)
	v_fmac_f32_e32 v133, v110, v102
	v_fmac_f32_e32 v133, v111, v103
	s_delay_alu instid0(VALU_DEP_1) | instskip(SKIP_1) | instid1(VALU_DEP_1)
	v_fmac_f32_e32 v133, v112, v104
	s_waitcnt vmcnt(5)
	v_fmac_f32_e32 v133, v113, v105
	ds_load_2addr_b64 v[102:105], v2 offset0:39 offset1:40
	s_waitcnt lgkmcnt(1)
	v_fmac_f32_e32 v133, v114, v98
	;; [unrolled: 17-line block ×3, first 2 shown]
	s_delay_alu instid0(VALU_DEP_1) | instskip(NEXT) | instid1(VALU_DEP_1)
	v_fmac_f32_e32 v133, v123, v99
	v_fmac_f32_e32 v133, v124, v100
	s_waitcnt vmcnt(2)
	s_delay_alu instid0(VALU_DEP_1)
	v_fmac_f32_e32 v133, v125, v101
	ds_load_2addr_b64 v[98:101], v2 offset0:45 offset1:46
	s_waitcnt lgkmcnt(1)
	v_fmac_f32_e32 v133, v126, v102
	ds_load_b32 v102, v2 offset:376
	v_fmac_f32_e32 v133, v127, v103
	s_delay_alu instid0(VALU_DEP_1) | instskip(SKIP_1) | instid1(VALU_DEP_1)
	v_fmac_f32_e32 v133, v128, v104
	s_waitcnt vmcnt(1)
	v_fmac_f32_e32 v133, v129, v105
	s_waitcnt lgkmcnt(1)
	s_delay_alu instid0(VALU_DEP_1) | instskip(NEXT) | instid1(VALU_DEP_1)
	v_fmac_f32_e32 v133, v130, v98
	v_fmac_f32_e32 v133, v131, v99
	s_delay_alu instid0(VALU_DEP_1) | instskip(SKIP_1) | instid1(VALU_DEP_1)
	v_fmac_f32_e32 v133, v132, v100
	s_waitcnt vmcnt(0)
	v_fmac_f32_e32 v133, v141, v101
	s_waitcnt lgkmcnt(0)
	s_delay_alu instid0(VALU_DEP_1) | instskip(NEXT) | instid1(VALU_DEP_1)
	v_fmac_f32_e32 v133, v142, v102
	v_sub_f32_e32 v97, v97, v133
	scratch_store_b32 off, v97, off offset:36
	v_cmpx_lt_u32_e32 8, v0
	s_cbranch_execz .LBB110_273
; %bb.272:
	scratch_load_b32 v97, off, off offset:32
	scratch_store_b32 off, v2, off offset:32
	s_waitcnt vmcnt(0)
	ds_store_b32 v1, v97
.LBB110_273:
	s_or_b32 exec_lo, exec_lo, s0
	s_waitcnt lgkmcnt(0)
	s_waitcnt_vscnt null, 0x0
	s_barrier
	buffer_gl0_inv
	s_clause 0x9
	scratch_load_b128 v[97:100], off, off offset:32
	scratch_load_b128 v[101:104], off, off offset:48
	;; [unrolled: 1-line block ×9, first 2 shown]
	scratch_load_b96 v[133:135], off, off offset:176
	ds_load_2addr_b32 v[136:137], v2 offset0:57 offset1:58
	ds_load_2addr_b32 v[138:139], v2 offset0:59 offset1:60
	ds_load_2addr_b32 v[140:141], v2 offset0:61 offset1:62
	s_mov_b32 s0, exec_lo
	s_waitcnt vmcnt(9) lgkmcnt(2)
	v_fma_f32 v136, v98, v136, 0
	s_delay_alu instid0(VALU_DEP_1) | instskip(SKIP_4) | instid1(VALU_DEP_1)
	v_fmac_f32_e32 v136, v99, v137
	ds_load_2addr_b32 v[98:99], v2 offset0:63 offset1:64
	s_waitcnt lgkmcnt(2)
	v_fmac_f32_e32 v136, v100, v138
	s_waitcnt vmcnt(8)
	v_fmac_f32_e32 v136, v101, v139
	ds_load_2addr_b32 v[100:101], v2 offset0:65 offset1:66
	s_waitcnt lgkmcnt(2)
	v_fmac_f32_e32 v136, v102, v140
	s_delay_alu instid0(VALU_DEP_1) | instskip(SKIP_4) | instid1(VALU_DEP_1)
	v_fmac_f32_e32 v136, v103, v141
	ds_load_2addr_b32 v[102:103], v2 offset0:67 offset1:68
	s_waitcnt lgkmcnt(2)
	v_fmac_f32_e32 v136, v104, v98
	s_waitcnt vmcnt(7)
	v_fmac_f32_e32 v136, v105, v99
	ds_load_2addr_b32 v[98:99], v2 offset0:69 offset1:70
	s_waitcnt lgkmcnt(2)
	v_fmac_f32_e32 v136, v106, v100
	;; [unrolled: 10-line block ×8, first 2 shown]
	s_delay_alu instid0(VALU_DEP_1) | instskip(SKIP_1) | instid1(VALU_DEP_1)
	v_fmac_f32_e32 v136, v131, v101
	s_waitcnt lgkmcnt(1)
	v_fmac_f32_e32 v136, v132, v102
	s_waitcnt vmcnt(0)
	s_delay_alu instid0(VALU_DEP_1) | instskip(SKIP_1) | instid1(VALU_DEP_1)
	v_fmac_f32_e32 v136, v133, v103
	s_waitcnt lgkmcnt(0)
	v_fmac_f32_e32 v136, v134, v98
	s_delay_alu instid0(VALU_DEP_1) | instskip(NEXT) | instid1(VALU_DEP_1)
	v_fmac_f32_e32 v136, v135, v99
	v_sub_f32_e32 v2, v97, v136
	scratch_store_b32 off, v2, off offset:32
	v_cmpx_lt_u32_e32 7, v0
	s_cbranch_execz .LBB110_275
; %bb.274:
	scratch_load_b32 v2, off, off offset:28
	v_mov_b32_e32 v97, 0
	scratch_store_b32 off, v97, off offset:28
	s_waitcnt vmcnt(0)
	ds_store_b32 v1, v2
.LBB110_275:
	s_or_b32 exec_lo, exec_lo, s0
	s_waitcnt lgkmcnt(0)
	s_waitcnt_vscnt null, 0x0
	s_barrier
	buffer_gl0_inv
	s_clause 0x9
	scratch_load_b128 v[97:100], off, off offset:28
	scratch_load_b128 v[101:104], off, off offset:44
	;; [unrolled: 1-line block ×10, first 2 shown]
	v_mov_b32_e32 v2, 0
	ds_load_b128 v[137:140], v2 offset:224
	ds_load_b128 v[141:144], v2 offset:240
	s_mov_b32 s0, exec_lo
	s_waitcnt vmcnt(9) lgkmcnt(1)
	v_fma_f32 v137, v98, v137, 0
	s_delay_alu instid0(VALU_DEP_1) | instskip(NEXT) | instid1(VALU_DEP_1)
	v_fmac_f32_e32 v137, v99, v138
	v_fmac_f32_e32 v137, v100, v139
	s_waitcnt vmcnt(8)
	s_delay_alu instid0(VALU_DEP_1) | instskip(SKIP_3) | instid1(VALU_DEP_1)
	v_fmac_f32_e32 v137, v101, v140
	ds_load_b128 v[98:101], v2 offset:256
	s_waitcnt lgkmcnt(1)
	v_fmac_f32_e32 v137, v102, v141
	v_fmac_f32_e32 v137, v103, v142
	s_delay_alu instid0(VALU_DEP_1) | instskip(SKIP_1) | instid1(VALU_DEP_1)
	v_fmac_f32_e32 v137, v104, v143
	s_waitcnt vmcnt(7)
	v_fmac_f32_e32 v137, v105, v144
	ds_load_b128 v[102:105], v2 offset:272
	s_waitcnt lgkmcnt(1)
	v_fmac_f32_e32 v137, v106, v98
	s_delay_alu instid0(VALU_DEP_1) | instskip(NEXT) | instid1(VALU_DEP_1)
	v_fmac_f32_e32 v137, v107, v99
	v_fmac_f32_e32 v137, v108, v100
	s_waitcnt vmcnt(6)
	s_delay_alu instid0(VALU_DEP_1) | instskip(SKIP_3) | instid1(VALU_DEP_1)
	v_fmac_f32_e32 v137, v109, v101
	ds_load_b128 v[98:101], v2 offset:288
	s_waitcnt lgkmcnt(1)
	v_fmac_f32_e32 v137, v110, v102
	v_fmac_f32_e32 v137, v111, v103
	s_delay_alu instid0(VALU_DEP_1) | instskip(SKIP_1) | instid1(VALU_DEP_1)
	v_fmac_f32_e32 v137, v112, v104
	s_waitcnt vmcnt(5)
	v_fmac_f32_e32 v137, v113, v105
	ds_load_b128 v[102:105], v2 offset:304
	s_waitcnt lgkmcnt(1)
	v_fmac_f32_e32 v137, v114, v98
	;; [unrolled: 17-line block ×3, first 2 shown]
	s_delay_alu instid0(VALU_DEP_1) | instskip(NEXT) | instid1(VALU_DEP_1)
	v_fmac_f32_e32 v137, v123, v99
	v_fmac_f32_e32 v137, v124, v100
	s_waitcnt vmcnt(2)
	s_delay_alu instid0(VALU_DEP_1) | instskip(SKIP_3) | instid1(VALU_DEP_1)
	v_fmac_f32_e32 v137, v125, v101
	ds_load_b128 v[98:101], v2 offset:352
	s_waitcnt lgkmcnt(1)
	v_fmac_f32_e32 v137, v126, v102
	v_fmac_f32_e32 v137, v127, v103
	s_delay_alu instid0(VALU_DEP_1) | instskip(SKIP_4) | instid1(VALU_DEP_1)
	v_fmac_f32_e32 v137, v128, v104
	ds_load_b96 v[102:104], v2 offset:368
	s_waitcnt vmcnt(1)
	v_fmac_f32_e32 v137, v129, v105
	s_waitcnt lgkmcnt(1)
	v_fmac_f32_e32 v137, v130, v98
	s_delay_alu instid0(VALU_DEP_1) | instskip(NEXT) | instid1(VALU_DEP_1)
	v_fmac_f32_e32 v137, v131, v99
	v_fmac_f32_e32 v137, v132, v100
	s_waitcnt vmcnt(0)
	s_delay_alu instid0(VALU_DEP_1) | instskip(SKIP_1) | instid1(VALU_DEP_1)
	v_fmac_f32_e32 v137, v133, v101
	s_waitcnt lgkmcnt(0)
	v_fmac_f32_e32 v137, v134, v102
	s_delay_alu instid0(VALU_DEP_1) | instskip(NEXT) | instid1(VALU_DEP_1)
	v_fmac_f32_e32 v137, v135, v103
	v_fmac_f32_e32 v137, v136, v104
	s_delay_alu instid0(VALU_DEP_1)
	v_sub_f32_e32 v97, v97, v137
	scratch_store_b32 off, v97, off offset:28
	v_cmpx_lt_u32_e32 6, v0
	s_cbranch_execz .LBB110_277
; %bb.276:
	scratch_load_b32 v97, off, off offset:24
	scratch_store_b32 off, v2, off offset:24
	s_waitcnt vmcnt(0)
	ds_store_b32 v1, v97
.LBB110_277:
	s_or_b32 exec_lo, exec_lo, s0
	s_waitcnt lgkmcnt(0)
	s_waitcnt_vscnt null, 0x0
	s_barrier
	buffer_gl0_inv
	s_clause 0xa
	scratch_load_b128 v[97:100], off, off offset:24
	scratch_load_b128 v[101:104], off, off offset:40
	scratch_load_b128 v[105:108], off, off offset:56
	scratch_load_b128 v[109:112], off, off offset:72
	scratch_load_b128 v[113:116], off, off offset:88
	scratch_load_b128 v[117:120], off, off offset:104
	scratch_load_b128 v[121:124], off, off offset:120
	scratch_load_b128 v[125:128], off, off offset:136
	scratch_load_b128 v[129:132], off, off offset:152
	scratch_load_b128 v[133:136], off, off offset:168
	scratch_load_b32 v145, off, off offset:184
	ds_load_2addr_b32 v[137:138], v2 offset0:55 offset1:56
	ds_load_2addr_b32 v[139:140], v2 offset0:57 offset1:58
	;; [unrolled: 1-line block ×4, first 2 shown]
	s_mov_b32 s0, exec_lo
	s_waitcnt vmcnt(10) lgkmcnt(3)
	v_fma_f32 v137, v98, v137, 0
	s_delay_alu instid0(VALU_DEP_1) | instskip(SKIP_4) | instid1(VALU_DEP_1)
	v_fmac_f32_e32 v137, v99, v138
	ds_load_2addr_b32 v[98:99], v2 offset0:63 offset1:64
	s_waitcnt lgkmcnt(3)
	v_fmac_f32_e32 v137, v100, v139
	s_waitcnt vmcnt(9)
	v_fmac_f32_e32 v137, v101, v140
	ds_load_2addr_b32 v[100:101], v2 offset0:65 offset1:66
	s_waitcnt lgkmcnt(3)
	v_fmac_f32_e32 v137, v102, v141
	s_delay_alu instid0(VALU_DEP_1) | instskip(SKIP_1) | instid1(VALU_DEP_1)
	v_fmac_f32_e32 v137, v103, v142
	s_waitcnt lgkmcnt(2)
	v_fmac_f32_e32 v137, v104, v143
	s_waitcnt vmcnt(8)
	s_delay_alu instid0(VALU_DEP_1) | instskip(SKIP_4) | instid1(VALU_DEP_1)
	v_fmac_f32_e32 v137, v105, v144
	ds_load_2addr_b32 v[102:103], v2 offset0:67 offset1:68
	ds_load_2addr_b32 v[104:105], v2 offset0:69 offset1:70
	s_waitcnt lgkmcnt(3)
	v_fmac_f32_e32 v137, v106, v98
	v_fmac_f32_e32 v137, v107, v99
	ds_load_2addr_b32 v[98:99], v2 offset0:71 offset1:72
	s_waitcnt lgkmcnt(3)
	v_fmac_f32_e32 v137, v108, v100
	s_waitcnt vmcnt(7)
	s_delay_alu instid0(VALU_DEP_1) | instskip(SKIP_3) | instid1(VALU_DEP_1)
	v_fmac_f32_e32 v137, v109, v101
	ds_load_2addr_b32 v[100:101], v2 offset0:73 offset1:74
	s_waitcnt lgkmcnt(3)
	v_fmac_f32_e32 v137, v110, v102
	v_fmac_f32_e32 v137, v111, v103
	s_waitcnt lgkmcnt(2)
	s_delay_alu instid0(VALU_DEP_1) | instskip(SKIP_1) | instid1(VALU_DEP_1)
	v_fmac_f32_e32 v137, v112, v104
	s_waitcnt vmcnt(6)
	v_fmac_f32_e32 v137, v113, v105
	ds_load_2addr_b32 v[102:103], v2 offset0:75 offset1:76
	ds_load_2addr_b32 v[104:105], v2 offset0:77 offset1:78
	s_waitcnt lgkmcnt(3)
	v_fmac_f32_e32 v137, v114, v98
	s_delay_alu instid0(VALU_DEP_1) | instskip(SKIP_4) | instid1(VALU_DEP_1)
	v_fmac_f32_e32 v137, v115, v99
	ds_load_2addr_b32 v[98:99], v2 offset0:79 offset1:80
	s_waitcnt lgkmcnt(3)
	v_fmac_f32_e32 v137, v116, v100
	s_waitcnt vmcnt(5)
	v_fmac_f32_e32 v137, v117, v101
	ds_load_2addr_b32 v[100:101], v2 offset0:81 offset1:82
	s_waitcnt lgkmcnt(3)
	v_fmac_f32_e32 v137, v118, v102
	s_delay_alu instid0(VALU_DEP_1) | instskip(SKIP_1) | instid1(VALU_DEP_1)
	v_fmac_f32_e32 v137, v119, v103
	s_waitcnt lgkmcnt(2)
	v_fmac_f32_e32 v137, v120, v104
	s_waitcnt vmcnt(4)
	s_delay_alu instid0(VALU_DEP_1) | instskip(SKIP_4) | instid1(VALU_DEP_1)
	v_fmac_f32_e32 v137, v121, v105
	ds_load_2addr_b32 v[102:103], v2 offset0:83 offset1:84
	ds_load_2addr_b32 v[104:105], v2 offset0:85 offset1:86
	s_waitcnt lgkmcnt(3)
	v_fmac_f32_e32 v137, v122, v98
	v_fmac_f32_e32 v137, v123, v99
	ds_load_2addr_b32 v[98:99], v2 offset0:87 offset1:88
	s_waitcnt lgkmcnt(3)
	v_fmac_f32_e32 v137, v124, v100
	s_waitcnt vmcnt(3)
	s_delay_alu instid0(VALU_DEP_1) | instskip(SKIP_3) | instid1(VALU_DEP_1)
	v_fmac_f32_e32 v137, v125, v101
	ds_load_2addr_b32 v[100:101], v2 offset0:89 offset1:90
	s_waitcnt lgkmcnt(3)
	v_fmac_f32_e32 v137, v126, v102
	v_fmac_f32_e32 v137, v127, v103
	s_waitcnt lgkmcnt(2)
	s_delay_alu instid0(VALU_DEP_1) | instskip(SKIP_1) | instid1(VALU_DEP_1)
	v_fmac_f32_e32 v137, v128, v104
	s_waitcnt vmcnt(2)
	v_fmac_f32_e32 v137, v129, v105
	ds_load_2addr_b32 v[102:103], v2 offset0:91 offset1:92
	ds_load_2addr_b32 v[104:105], v2 offset0:93 offset1:94
	s_waitcnt lgkmcnt(3)
	v_fmac_f32_e32 v137, v130, v98
	s_delay_alu instid0(VALU_DEP_1) | instskip(SKIP_1) | instid1(VALU_DEP_1)
	v_fmac_f32_e32 v137, v131, v99
	s_waitcnt lgkmcnt(2)
	v_fmac_f32_e32 v137, v132, v100
	s_waitcnt vmcnt(1)
	s_delay_alu instid0(VALU_DEP_1) | instskip(SKIP_1) | instid1(VALU_DEP_1)
	v_fmac_f32_e32 v137, v133, v101
	s_waitcnt lgkmcnt(1)
	v_fmac_f32_e32 v137, v134, v102
	s_delay_alu instid0(VALU_DEP_1) | instskip(SKIP_1) | instid1(VALU_DEP_1)
	v_fmac_f32_e32 v137, v135, v103
	s_waitcnt lgkmcnt(0)
	v_fmac_f32_e32 v137, v136, v104
	s_waitcnt vmcnt(0)
	s_delay_alu instid0(VALU_DEP_1) | instskip(NEXT) | instid1(VALU_DEP_1)
	v_fmac_f32_e32 v137, v145, v105
	v_sub_f32_e32 v2, v97, v137
	scratch_store_b32 off, v2, off offset:24
	v_cmpx_lt_u32_e32 5, v0
	s_cbranch_execz .LBB110_279
; %bb.278:
	scratch_load_b32 v2, off, off offset:20
	v_mov_b32_e32 v97, 0
	scratch_store_b32 off, v97, off offset:20
	s_waitcnt vmcnt(0)
	ds_store_b32 v1, v2
.LBB110_279:
	s_or_b32 exec_lo, exec_lo, s0
	s_waitcnt lgkmcnt(0)
	s_waitcnt_vscnt null, 0x0
	s_barrier
	buffer_gl0_inv
	s_clause 0xa
	scratch_load_b128 v[97:100], off, off offset:20
	scratch_load_b128 v[101:104], off, off offset:36
	;; [unrolled: 1-line block ×10, first 2 shown]
	scratch_load_b64 v[145:146], off, off offset:180
	v_mov_b32_e32 v2, 0
	ds_load_2addr_b64 v[137:140], v2 offset0:27 offset1:28
	ds_load_2addr_b64 v[141:144], v2 offset0:29 offset1:30
	s_mov_b32 s0, exec_lo
	s_waitcnt vmcnt(10) lgkmcnt(1)
	v_fma_f32 v137, v98, v137, 0
	s_delay_alu instid0(VALU_DEP_1) | instskip(NEXT) | instid1(VALU_DEP_1)
	v_fmac_f32_e32 v137, v99, v138
	v_fmac_f32_e32 v137, v100, v139
	s_waitcnt vmcnt(9)
	s_delay_alu instid0(VALU_DEP_1) | instskip(SKIP_3) | instid1(VALU_DEP_1)
	v_fmac_f32_e32 v137, v101, v140
	ds_load_2addr_b64 v[98:101], v2 offset0:31 offset1:32
	s_waitcnt lgkmcnt(1)
	v_fmac_f32_e32 v137, v102, v141
	v_fmac_f32_e32 v137, v103, v142
	s_delay_alu instid0(VALU_DEP_1) | instskip(SKIP_1) | instid1(VALU_DEP_1)
	v_fmac_f32_e32 v137, v104, v143
	s_waitcnt vmcnt(8)
	v_fmac_f32_e32 v137, v105, v144
	ds_load_2addr_b64 v[102:105], v2 offset0:33 offset1:34
	s_waitcnt lgkmcnt(1)
	v_fmac_f32_e32 v137, v106, v98
	s_delay_alu instid0(VALU_DEP_1) | instskip(NEXT) | instid1(VALU_DEP_1)
	v_fmac_f32_e32 v137, v107, v99
	v_fmac_f32_e32 v137, v108, v100
	s_waitcnt vmcnt(7)
	s_delay_alu instid0(VALU_DEP_1) | instskip(SKIP_3) | instid1(VALU_DEP_1)
	v_fmac_f32_e32 v137, v109, v101
	ds_load_2addr_b64 v[98:101], v2 offset0:35 offset1:36
	s_waitcnt lgkmcnt(1)
	v_fmac_f32_e32 v137, v110, v102
	v_fmac_f32_e32 v137, v111, v103
	s_delay_alu instid0(VALU_DEP_1) | instskip(SKIP_1) | instid1(VALU_DEP_1)
	v_fmac_f32_e32 v137, v112, v104
	s_waitcnt vmcnt(6)
	v_fmac_f32_e32 v137, v113, v105
	ds_load_2addr_b64 v[102:105], v2 offset0:37 offset1:38
	s_waitcnt lgkmcnt(1)
	v_fmac_f32_e32 v137, v114, v98
	;; [unrolled: 17-line block ×4, first 2 shown]
	ds_load_b32 v98, v2 offset:376
	v_fmac_f32_e32 v137, v131, v99
	s_delay_alu instid0(VALU_DEP_1) | instskip(SKIP_1) | instid1(VALU_DEP_1)
	v_fmac_f32_e32 v137, v132, v100
	s_waitcnt vmcnt(1)
	v_fmac_f32_e32 v137, v133, v101
	s_waitcnt lgkmcnt(1)
	s_delay_alu instid0(VALU_DEP_1) | instskip(NEXT) | instid1(VALU_DEP_1)
	v_fmac_f32_e32 v137, v134, v102
	v_fmac_f32_e32 v137, v135, v103
	s_delay_alu instid0(VALU_DEP_1) | instskip(SKIP_1) | instid1(VALU_DEP_1)
	v_fmac_f32_e32 v137, v136, v104
	s_waitcnt vmcnt(0)
	v_fmac_f32_e32 v137, v145, v105
	s_waitcnt lgkmcnt(0)
	s_delay_alu instid0(VALU_DEP_1) | instskip(NEXT) | instid1(VALU_DEP_1)
	v_fmac_f32_e32 v137, v146, v98
	v_sub_f32_e32 v97, v97, v137
	scratch_store_b32 off, v97, off offset:20
	v_cmpx_lt_u32_e32 4, v0
	s_cbranch_execz .LBB110_281
; %bb.280:
	scratch_load_b32 v97, off, off offset:16
	scratch_store_b32 off, v2, off offset:16
	s_waitcnt vmcnt(0)
	ds_store_b32 v1, v97
.LBB110_281:
	s_or_b32 exec_lo, exec_lo, s0
	s_waitcnt lgkmcnt(0)
	s_waitcnt_vscnt null, 0x0
	s_barrier
	buffer_gl0_inv
	s_clause 0xa
	scratch_load_b128 v[97:100], off, off offset:16
	scratch_load_b128 v[101:104], off, off offset:32
	;; [unrolled: 1-line block ×10, first 2 shown]
	scratch_load_b96 v[137:139], off, off offset:176
	ds_load_2addr_b32 v[140:141], v2 offset0:53 offset1:54
	ds_load_2addr_b32 v[142:143], v2 offset0:55 offset1:56
	;; [unrolled: 1-line block ×4, first 2 shown]
	s_mov_b32 s0, exec_lo
	s_waitcnt vmcnt(10) lgkmcnt(3)
	v_fma_f32 v140, v98, v140, 0
	s_delay_alu instid0(VALU_DEP_1) | instskip(SKIP_4) | instid1(VALU_DEP_1)
	v_fmac_f32_e32 v140, v99, v141
	ds_load_2addr_b32 v[98:99], v2 offset0:61 offset1:62
	s_waitcnt lgkmcnt(3)
	v_fmac_f32_e32 v140, v100, v142
	s_waitcnt vmcnt(9)
	v_fmac_f32_e32 v140, v101, v143
	ds_load_2addr_b32 v[100:101], v2 offset0:63 offset1:64
	s_waitcnt lgkmcnt(3)
	v_fmac_f32_e32 v140, v102, v144
	s_delay_alu instid0(VALU_DEP_1) | instskip(SKIP_1) | instid1(VALU_DEP_1)
	v_fmac_f32_e32 v140, v103, v145
	s_waitcnt lgkmcnt(2)
	v_fmac_f32_e32 v140, v104, v146
	s_waitcnt vmcnt(8)
	s_delay_alu instid0(VALU_DEP_1) | instskip(SKIP_4) | instid1(VALU_DEP_1)
	v_fmac_f32_e32 v140, v105, v147
	ds_load_2addr_b32 v[102:103], v2 offset0:65 offset1:66
	ds_load_2addr_b32 v[104:105], v2 offset0:67 offset1:68
	s_waitcnt lgkmcnt(3)
	v_fmac_f32_e32 v140, v106, v98
	v_fmac_f32_e32 v140, v107, v99
	ds_load_2addr_b32 v[98:99], v2 offset0:69 offset1:70
	s_waitcnt lgkmcnt(3)
	v_fmac_f32_e32 v140, v108, v100
	s_waitcnt vmcnt(7)
	s_delay_alu instid0(VALU_DEP_1) | instskip(SKIP_3) | instid1(VALU_DEP_1)
	v_fmac_f32_e32 v140, v109, v101
	ds_load_2addr_b32 v[100:101], v2 offset0:71 offset1:72
	s_waitcnt lgkmcnt(3)
	v_fmac_f32_e32 v140, v110, v102
	v_fmac_f32_e32 v140, v111, v103
	s_waitcnt lgkmcnt(2)
	s_delay_alu instid0(VALU_DEP_1) | instskip(SKIP_1) | instid1(VALU_DEP_1)
	v_fmac_f32_e32 v140, v112, v104
	s_waitcnt vmcnt(6)
	v_fmac_f32_e32 v140, v113, v105
	ds_load_2addr_b32 v[102:103], v2 offset0:73 offset1:74
	ds_load_2addr_b32 v[104:105], v2 offset0:75 offset1:76
	s_waitcnt lgkmcnt(3)
	v_fmac_f32_e32 v140, v114, v98
	s_delay_alu instid0(VALU_DEP_1) | instskip(SKIP_4) | instid1(VALU_DEP_1)
	v_fmac_f32_e32 v140, v115, v99
	ds_load_2addr_b32 v[98:99], v2 offset0:77 offset1:78
	s_waitcnt lgkmcnt(3)
	v_fmac_f32_e32 v140, v116, v100
	s_waitcnt vmcnt(5)
	v_fmac_f32_e32 v140, v117, v101
	ds_load_2addr_b32 v[100:101], v2 offset0:79 offset1:80
	s_waitcnt lgkmcnt(3)
	v_fmac_f32_e32 v140, v118, v102
	s_delay_alu instid0(VALU_DEP_1) | instskip(SKIP_1) | instid1(VALU_DEP_1)
	v_fmac_f32_e32 v140, v119, v103
	s_waitcnt lgkmcnt(2)
	v_fmac_f32_e32 v140, v120, v104
	s_waitcnt vmcnt(4)
	s_delay_alu instid0(VALU_DEP_1) | instskip(SKIP_4) | instid1(VALU_DEP_1)
	v_fmac_f32_e32 v140, v121, v105
	ds_load_2addr_b32 v[102:103], v2 offset0:81 offset1:82
	ds_load_2addr_b32 v[104:105], v2 offset0:83 offset1:84
	s_waitcnt lgkmcnt(3)
	v_fmac_f32_e32 v140, v122, v98
	v_fmac_f32_e32 v140, v123, v99
	ds_load_2addr_b32 v[98:99], v2 offset0:85 offset1:86
	s_waitcnt lgkmcnt(3)
	v_fmac_f32_e32 v140, v124, v100
	s_waitcnt vmcnt(3)
	s_delay_alu instid0(VALU_DEP_1) | instskip(SKIP_3) | instid1(VALU_DEP_1)
	v_fmac_f32_e32 v140, v125, v101
	ds_load_2addr_b32 v[100:101], v2 offset0:87 offset1:88
	s_waitcnt lgkmcnt(3)
	v_fmac_f32_e32 v140, v126, v102
	v_fmac_f32_e32 v140, v127, v103
	s_waitcnt lgkmcnt(2)
	s_delay_alu instid0(VALU_DEP_1) | instskip(SKIP_1) | instid1(VALU_DEP_1)
	v_fmac_f32_e32 v140, v128, v104
	s_waitcnt vmcnt(2)
	v_fmac_f32_e32 v140, v129, v105
	ds_load_2addr_b32 v[102:103], v2 offset0:89 offset1:90
	ds_load_2addr_b32 v[104:105], v2 offset0:91 offset1:92
	s_waitcnt lgkmcnt(3)
	v_fmac_f32_e32 v140, v130, v98
	s_delay_alu instid0(VALU_DEP_1) | instskip(SKIP_4) | instid1(VALU_DEP_1)
	v_fmac_f32_e32 v140, v131, v99
	ds_load_2addr_b32 v[98:99], v2 offset0:93 offset1:94
	s_waitcnt lgkmcnt(3)
	v_fmac_f32_e32 v140, v132, v100
	s_waitcnt vmcnt(1)
	v_fmac_f32_e32 v140, v133, v101
	s_waitcnt lgkmcnt(2)
	s_delay_alu instid0(VALU_DEP_1) | instskip(NEXT) | instid1(VALU_DEP_1)
	v_fmac_f32_e32 v140, v134, v102
	v_fmac_f32_e32 v140, v135, v103
	s_waitcnt lgkmcnt(1)
	s_delay_alu instid0(VALU_DEP_1) | instskip(SKIP_1) | instid1(VALU_DEP_1)
	v_fmac_f32_e32 v140, v136, v104
	s_waitcnt vmcnt(0)
	v_fmac_f32_e32 v140, v137, v105
	s_waitcnt lgkmcnt(0)
	s_delay_alu instid0(VALU_DEP_1) | instskip(NEXT) | instid1(VALU_DEP_1)
	v_fmac_f32_e32 v140, v138, v98
	v_fmac_f32_e32 v140, v139, v99
	s_delay_alu instid0(VALU_DEP_1)
	v_sub_f32_e32 v2, v97, v140
	scratch_store_b32 off, v2, off offset:16
	v_cmpx_lt_u32_e32 3, v0
	s_cbranch_execz .LBB110_283
; %bb.282:
	scratch_load_b32 v2, off, off offset:12
	v_mov_b32_e32 v97, 0
	scratch_store_b32 off, v97, off offset:12
	s_waitcnt vmcnt(0)
	ds_store_b32 v1, v2
.LBB110_283:
	s_or_b32 exec_lo, exec_lo, s0
	s_waitcnt lgkmcnt(0)
	s_waitcnt_vscnt null, 0x0
	s_barrier
	buffer_gl0_inv
	s_clause 0xa
	scratch_load_b128 v[97:100], off, off offset:12
	scratch_load_b128 v[101:104], off, off offset:28
	;; [unrolled: 1-line block ×11, first 2 shown]
	v_mov_b32_e32 v2, 0
	ds_load_b128 v[141:144], v2 offset:208
	ds_load_b128 v[145:148], v2 offset:224
	s_mov_b32 s0, exec_lo
	s_waitcnt vmcnt(10) lgkmcnt(1)
	v_fma_f32 v141, v98, v141, 0
	s_delay_alu instid0(VALU_DEP_1) | instskip(NEXT) | instid1(VALU_DEP_1)
	v_fmac_f32_e32 v141, v99, v142
	v_fmac_f32_e32 v141, v100, v143
	s_waitcnt vmcnt(9)
	s_delay_alu instid0(VALU_DEP_1) | instskip(SKIP_3) | instid1(VALU_DEP_1)
	v_fmac_f32_e32 v141, v101, v144
	ds_load_b128 v[98:101], v2 offset:240
	s_waitcnt lgkmcnt(1)
	v_fmac_f32_e32 v141, v102, v145
	v_fmac_f32_e32 v141, v103, v146
	s_delay_alu instid0(VALU_DEP_1) | instskip(SKIP_1) | instid1(VALU_DEP_1)
	v_fmac_f32_e32 v141, v104, v147
	s_waitcnt vmcnt(8)
	v_fmac_f32_e32 v141, v105, v148
	ds_load_b128 v[102:105], v2 offset:256
	s_waitcnt lgkmcnt(1)
	v_fmac_f32_e32 v141, v106, v98
	s_delay_alu instid0(VALU_DEP_1) | instskip(NEXT) | instid1(VALU_DEP_1)
	v_fmac_f32_e32 v141, v107, v99
	v_fmac_f32_e32 v141, v108, v100
	s_waitcnt vmcnt(7)
	s_delay_alu instid0(VALU_DEP_1) | instskip(SKIP_3) | instid1(VALU_DEP_1)
	v_fmac_f32_e32 v141, v109, v101
	ds_load_b128 v[98:101], v2 offset:272
	s_waitcnt lgkmcnt(1)
	v_fmac_f32_e32 v141, v110, v102
	v_fmac_f32_e32 v141, v111, v103
	s_delay_alu instid0(VALU_DEP_1) | instskip(SKIP_1) | instid1(VALU_DEP_1)
	v_fmac_f32_e32 v141, v112, v104
	s_waitcnt vmcnt(6)
	v_fmac_f32_e32 v141, v113, v105
	ds_load_b128 v[102:105], v2 offset:288
	s_waitcnt lgkmcnt(1)
	v_fmac_f32_e32 v141, v114, v98
	;; [unrolled: 17-line block ×4, first 2 shown]
	s_delay_alu instid0(VALU_DEP_1) | instskip(NEXT) | instid1(VALU_DEP_1)
	v_fmac_f32_e32 v141, v131, v99
	v_fmac_f32_e32 v141, v132, v100
	ds_load_b96 v[98:100], v2 offset:368
	s_waitcnt vmcnt(1)
	v_fmac_f32_e32 v141, v133, v101
	s_waitcnt lgkmcnt(1)
	s_delay_alu instid0(VALU_DEP_1) | instskip(NEXT) | instid1(VALU_DEP_1)
	v_fmac_f32_e32 v141, v134, v102
	v_fmac_f32_e32 v141, v135, v103
	s_delay_alu instid0(VALU_DEP_1) | instskip(SKIP_1) | instid1(VALU_DEP_1)
	v_fmac_f32_e32 v141, v136, v104
	s_waitcnt vmcnt(0)
	v_fmac_f32_e32 v141, v137, v105
	s_waitcnt lgkmcnt(0)
	s_delay_alu instid0(VALU_DEP_1) | instskip(NEXT) | instid1(VALU_DEP_1)
	v_fmac_f32_e32 v141, v138, v98
	v_fmac_f32_e32 v141, v139, v99
	s_delay_alu instid0(VALU_DEP_1) | instskip(NEXT) | instid1(VALU_DEP_1)
	v_fmac_f32_e32 v141, v140, v100
	v_sub_f32_e32 v97, v97, v141
	scratch_store_b32 off, v97, off offset:12
	v_cmpx_lt_u32_e32 2, v0
	s_cbranch_execz .LBB110_285
; %bb.284:
	scratch_load_b32 v97, off, off offset:8
	scratch_store_b32 off, v2, off offset:8
	s_waitcnt vmcnt(0)
	ds_store_b32 v1, v97
.LBB110_285:
	s_or_b32 exec_lo, exec_lo, s0
	s_waitcnt lgkmcnt(0)
	s_waitcnt_vscnt null, 0x0
	s_barrier
	buffer_gl0_inv
	s_clause 0xb
	scratch_load_b128 v[97:100], off, off offset:8
	scratch_load_b128 v[101:104], off, off offset:24
	;; [unrolled: 1-line block ×11, first 2 shown]
	scratch_load_b32 v149, off, off offset:184
	ds_load_2addr_b32 v[141:142], v2 offset0:51 offset1:52
	ds_load_2addr_b32 v[143:144], v2 offset0:53 offset1:54
	ds_load_2addr_b32 v[145:146], v2 offset0:55 offset1:56
	ds_load_2addr_b32 v[147:148], v2 offset0:57 offset1:58
	s_mov_b32 s0, exec_lo
	s_waitcnt vmcnt(11) lgkmcnt(3)
	v_fma_f32 v141, v98, v141, 0
	s_delay_alu instid0(VALU_DEP_1) | instskip(SKIP_4) | instid1(VALU_DEP_1)
	v_fmac_f32_e32 v141, v99, v142
	ds_load_2addr_b32 v[98:99], v2 offset0:59 offset1:60
	s_waitcnt lgkmcnt(3)
	v_fmac_f32_e32 v141, v100, v143
	s_waitcnt vmcnt(10)
	v_fmac_f32_e32 v141, v101, v144
	ds_load_2addr_b32 v[100:101], v2 offset0:61 offset1:62
	s_waitcnt lgkmcnt(3)
	v_fmac_f32_e32 v141, v102, v145
	s_delay_alu instid0(VALU_DEP_1) | instskip(SKIP_1) | instid1(VALU_DEP_1)
	v_fmac_f32_e32 v141, v103, v146
	s_waitcnt lgkmcnt(2)
	v_fmac_f32_e32 v141, v104, v147
	s_waitcnt vmcnt(9)
	s_delay_alu instid0(VALU_DEP_1) | instskip(SKIP_4) | instid1(VALU_DEP_1)
	v_fmac_f32_e32 v141, v105, v148
	ds_load_2addr_b32 v[102:103], v2 offset0:63 offset1:64
	ds_load_2addr_b32 v[104:105], v2 offset0:65 offset1:66
	s_waitcnt lgkmcnt(3)
	v_fmac_f32_e32 v141, v106, v98
	v_fmac_f32_e32 v141, v107, v99
	ds_load_2addr_b32 v[98:99], v2 offset0:67 offset1:68
	s_waitcnt lgkmcnt(3)
	v_fmac_f32_e32 v141, v108, v100
	s_waitcnt vmcnt(8)
	s_delay_alu instid0(VALU_DEP_1) | instskip(SKIP_3) | instid1(VALU_DEP_1)
	v_fmac_f32_e32 v141, v109, v101
	ds_load_2addr_b32 v[100:101], v2 offset0:69 offset1:70
	s_waitcnt lgkmcnt(3)
	v_fmac_f32_e32 v141, v110, v102
	v_fmac_f32_e32 v141, v111, v103
	s_waitcnt lgkmcnt(2)
	s_delay_alu instid0(VALU_DEP_1) | instskip(SKIP_1) | instid1(VALU_DEP_1)
	v_fmac_f32_e32 v141, v112, v104
	s_waitcnt vmcnt(7)
	v_fmac_f32_e32 v141, v113, v105
	ds_load_2addr_b32 v[102:103], v2 offset0:71 offset1:72
	ds_load_2addr_b32 v[104:105], v2 offset0:73 offset1:74
	s_waitcnt lgkmcnt(3)
	v_fmac_f32_e32 v141, v114, v98
	s_delay_alu instid0(VALU_DEP_1) | instskip(SKIP_4) | instid1(VALU_DEP_1)
	v_fmac_f32_e32 v141, v115, v99
	ds_load_2addr_b32 v[98:99], v2 offset0:75 offset1:76
	s_waitcnt lgkmcnt(3)
	v_fmac_f32_e32 v141, v116, v100
	s_waitcnt vmcnt(6)
	v_fmac_f32_e32 v141, v117, v101
	ds_load_2addr_b32 v[100:101], v2 offset0:77 offset1:78
	s_waitcnt lgkmcnt(3)
	v_fmac_f32_e32 v141, v118, v102
	s_delay_alu instid0(VALU_DEP_1) | instskip(SKIP_1) | instid1(VALU_DEP_1)
	v_fmac_f32_e32 v141, v119, v103
	s_waitcnt lgkmcnt(2)
	v_fmac_f32_e32 v141, v120, v104
	s_waitcnt vmcnt(5)
	s_delay_alu instid0(VALU_DEP_1) | instskip(SKIP_4) | instid1(VALU_DEP_1)
	v_fmac_f32_e32 v141, v121, v105
	ds_load_2addr_b32 v[102:103], v2 offset0:79 offset1:80
	ds_load_2addr_b32 v[104:105], v2 offset0:81 offset1:82
	s_waitcnt lgkmcnt(3)
	v_fmac_f32_e32 v141, v122, v98
	v_fmac_f32_e32 v141, v123, v99
	ds_load_2addr_b32 v[98:99], v2 offset0:83 offset1:84
	s_waitcnt lgkmcnt(3)
	v_fmac_f32_e32 v141, v124, v100
	s_waitcnt vmcnt(4)
	s_delay_alu instid0(VALU_DEP_1) | instskip(SKIP_3) | instid1(VALU_DEP_1)
	v_fmac_f32_e32 v141, v125, v101
	ds_load_2addr_b32 v[100:101], v2 offset0:85 offset1:86
	s_waitcnt lgkmcnt(3)
	v_fmac_f32_e32 v141, v126, v102
	v_fmac_f32_e32 v141, v127, v103
	s_waitcnt lgkmcnt(2)
	s_delay_alu instid0(VALU_DEP_1) | instskip(SKIP_1) | instid1(VALU_DEP_1)
	v_fmac_f32_e32 v141, v128, v104
	s_waitcnt vmcnt(3)
	v_fmac_f32_e32 v141, v129, v105
	ds_load_2addr_b32 v[102:103], v2 offset0:87 offset1:88
	ds_load_2addr_b32 v[104:105], v2 offset0:89 offset1:90
	s_waitcnt lgkmcnt(3)
	v_fmac_f32_e32 v141, v130, v98
	s_delay_alu instid0(VALU_DEP_1) | instskip(SKIP_4) | instid1(VALU_DEP_1)
	v_fmac_f32_e32 v141, v131, v99
	ds_load_2addr_b32 v[98:99], v2 offset0:91 offset1:92
	s_waitcnt lgkmcnt(3)
	v_fmac_f32_e32 v141, v132, v100
	s_waitcnt vmcnt(2)
	v_fmac_f32_e32 v141, v133, v101
	ds_load_2addr_b32 v[100:101], v2 offset0:93 offset1:94
	s_waitcnt lgkmcnt(3)
	v_fmac_f32_e32 v141, v134, v102
	s_delay_alu instid0(VALU_DEP_1) | instskip(SKIP_1) | instid1(VALU_DEP_1)
	v_fmac_f32_e32 v141, v135, v103
	s_waitcnt lgkmcnt(2)
	v_fmac_f32_e32 v141, v136, v104
	s_waitcnt vmcnt(1)
	s_delay_alu instid0(VALU_DEP_1) | instskip(SKIP_1) | instid1(VALU_DEP_1)
	v_fmac_f32_e32 v141, v137, v105
	s_waitcnt lgkmcnt(1)
	v_fmac_f32_e32 v141, v138, v98
	s_delay_alu instid0(VALU_DEP_1) | instskip(SKIP_1) | instid1(VALU_DEP_1)
	v_fmac_f32_e32 v141, v139, v99
	s_waitcnt lgkmcnt(0)
	v_fmac_f32_e32 v141, v140, v100
	s_waitcnt vmcnt(0)
	s_delay_alu instid0(VALU_DEP_1) | instskip(NEXT) | instid1(VALU_DEP_1)
	v_fmac_f32_e32 v141, v149, v101
	v_sub_f32_e32 v2, v97, v141
	scratch_store_b32 off, v2, off offset:8
	v_cmpx_lt_u32_e32 1, v0
	s_cbranch_execz .LBB110_287
; %bb.286:
	scratch_load_b32 v2, off, off offset:4
	v_mov_b32_e32 v97, 0
	scratch_store_b32 off, v97, off offset:4
	s_waitcnt vmcnt(0)
	ds_store_b32 v1, v2
.LBB110_287:
	s_or_b32 exec_lo, exec_lo, s0
	s_waitcnt lgkmcnt(0)
	s_waitcnt_vscnt null, 0x0
	s_barrier
	buffer_gl0_inv
	s_clause 0xb
	scratch_load_b128 v[98:101], off, off offset:4
	scratch_load_b128 v[102:105], off, off offset:20
	;; [unrolled: 1-line block ×11, first 2 shown]
	scratch_load_b64 v[150:151], off, off offset:180
	v_mov_b32_e32 v97, 0
	ds_load_2addr_b64 v[142:145], v97 offset0:25 offset1:26
	ds_load_2addr_b64 v[146:149], v97 offset0:27 offset1:28
	s_mov_b32 s0, exec_lo
	s_waitcnt vmcnt(11) lgkmcnt(1)
	v_fma_f32 v2, v99, v142, 0
	s_delay_alu instid0(VALU_DEP_1) | instskip(NEXT) | instid1(VALU_DEP_1)
	v_fmac_f32_e32 v2, v100, v143
	v_fmac_f32_e32 v2, v101, v144
	s_waitcnt vmcnt(10)
	s_delay_alu instid0(VALU_DEP_1) | instskip(SKIP_3) | instid1(VALU_DEP_1)
	v_fmac_f32_e32 v2, v102, v145
	ds_load_2addr_b64 v[99:102], v97 offset0:29 offset1:30
	s_waitcnt lgkmcnt(1)
	v_fmac_f32_e32 v2, v103, v146
	v_fmac_f32_e32 v2, v104, v147
	s_delay_alu instid0(VALU_DEP_1) | instskip(SKIP_1) | instid1(VALU_DEP_1)
	v_fmac_f32_e32 v2, v105, v148
	s_waitcnt vmcnt(9)
	v_fmac_f32_e32 v2, v106, v149
	ds_load_2addr_b64 v[103:106], v97 offset0:31 offset1:32
	s_waitcnt lgkmcnt(1)
	v_fmac_f32_e32 v2, v107, v99
	s_delay_alu instid0(VALU_DEP_1) | instskip(NEXT) | instid1(VALU_DEP_1)
	v_fmac_f32_e32 v2, v108, v100
	v_fmac_f32_e32 v2, v109, v101
	s_waitcnt vmcnt(8)
	s_delay_alu instid0(VALU_DEP_1) | instskip(SKIP_3) | instid1(VALU_DEP_1)
	v_fmac_f32_e32 v2, v110, v102
	ds_load_2addr_b64 v[99:102], v97 offset0:33 offset1:34
	s_waitcnt lgkmcnt(1)
	v_fmac_f32_e32 v2, v111, v103
	v_fmac_f32_e32 v2, v112, v104
	s_delay_alu instid0(VALU_DEP_1) | instskip(SKIP_1) | instid1(VALU_DEP_1)
	v_fmac_f32_e32 v2, v113, v105
	s_waitcnt vmcnt(7)
	v_fmac_f32_e32 v2, v114, v106
	ds_load_2addr_b64 v[103:106], v97 offset0:35 offset1:36
	s_waitcnt lgkmcnt(1)
	v_fmac_f32_e32 v2, v115, v99
	;; [unrolled: 17-line block ×4, first 2 shown]
	s_delay_alu instid0(VALU_DEP_1) | instskip(NEXT) | instid1(VALU_DEP_1)
	v_fmac_f32_e32 v2, v132, v100
	v_fmac_f32_e32 v2, v133, v101
	s_waitcnt vmcnt(2)
	s_delay_alu instid0(VALU_DEP_1)
	v_fmac_f32_e32 v2, v134, v102
	ds_load_2addr_b64 v[99:102], v97 offset0:45 offset1:46
	s_waitcnt lgkmcnt(1)
	v_fmac_f32_e32 v2, v135, v103
	ds_load_b32 v103, v97 offset:376
	v_fmac_f32_e32 v2, v136, v104
	s_delay_alu instid0(VALU_DEP_1) | instskip(SKIP_1) | instid1(VALU_DEP_1)
	v_fmac_f32_e32 v2, v137, v105
	s_waitcnt vmcnt(1)
	v_fmac_f32_e32 v2, v138, v106
	s_waitcnt lgkmcnt(1)
	s_delay_alu instid0(VALU_DEP_1) | instskip(NEXT) | instid1(VALU_DEP_1)
	v_fmac_f32_e32 v2, v139, v99
	v_fmac_f32_e32 v2, v140, v100
	s_delay_alu instid0(VALU_DEP_1) | instskip(SKIP_1) | instid1(VALU_DEP_1)
	v_fmac_f32_e32 v2, v141, v101
	s_waitcnt vmcnt(0)
	v_fmac_f32_e32 v2, v150, v102
	s_waitcnt lgkmcnt(0)
	s_delay_alu instid0(VALU_DEP_1) | instskip(NEXT) | instid1(VALU_DEP_1)
	v_fmac_f32_e32 v2, v151, v103
	v_sub_f32_e32 v2, v98, v2
	scratch_store_b32 off, v2, off offset:4
	v_cmpx_ne_u32_e32 0, v0
	s_cbranch_execz .LBB110_289
; %bb.288:
	scratch_load_b32 v0, off, off
	scratch_store_b32 off, v97, off
	s_waitcnt vmcnt(0)
	ds_store_b32 v1, v0
.LBB110_289:
	s_or_b32 exec_lo, exec_lo, s0
	s_waitcnt lgkmcnt(0)
	s_waitcnt_vscnt null, 0x0
	s_barrier
	buffer_gl0_inv
	s_clause 0xb
	scratch_load_b128 v[98:101], off, off
	scratch_load_b128 v[102:105], off, off offset:16
	scratch_load_b128 v[106:109], off, off offset:32
	;; [unrolled: 1-line block ×10, first 2 shown]
	scratch_load_b96 v[0:2], off, off offset:176
	ds_load_2addr_b32 v[142:143], v97 offset0:49 offset1:50
	ds_load_2addr_b32 v[144:145], v97 offset0:51 offset1:52
	;; [unrolled: 1-line block ×4, first 2 shown]
	s_and_b32 vcc_lo, exec_lo, s12
	s_waitcnt vmcnt(11) lgkmcnt(3)
	v_fma_f32 v142, v99, v142, 0
	s_delay_alu instid0(VALU_DEP_1) | instskip(SKIP_4) | instid1(VALU_DEP_1)
	v_fmac_f32_e32 v142, v100, v143
	ds_load_2addr_b32 v[99:100], v97 offset0:57 offset1:58
	s_waitcnt lgkmcnt(3)
	v_fmac_f32_e32 v142, v101, v144
	s_waitcnt vmcnt(10)
	v_fmac_f32_e32 v142, v102, v145
	ds_load_2addr_b32 v[101:102], v97 offset0:59 offset1:60
	s_waitcnt lgkmcnt(3)
	v_fmac_f32_e32 v142, v103, v146
	s_delay_alu instid0(VALU_DEP_1) | instskip(SKIP_1) | instid1(VALU_DEP_1)
	v_fmac_f32_e32 v142, v104, v147
	s_waitcnt lgkmcnt(2)
	v_fmac_f32_e32 v142, v105, v148
	s_waitcnt vmcnt(9)
	s_delay_alu instid0(VALU_DEP_1) | instskip(SKIP_4) | instid1(VALU_DEP_1)
	v_fmac_f32_e32 v142, v106, v149
	ds_load_2addr_b32 v[103:104], v97 offset0:61 offset1:62
	ds_load_2addr_b32 v[105:106], v97 offset0:63 offset1:64
	s_waitcnt lgkmcnt(3)
	v_fmac_f32_e32 v142, v107, v99
	v_fmac_f32_e32 v142, v108, v100
	ds_load_2addr_b32 v[99:100], v97 offset0:65 offset1:66
	s_waitcnt lgkmcnt(3)
	v_fmac_f32_e32 v142, v109, v101
	s_waitcnt vmcnt(8)
	s_delay_alu instid0(VALU_DEP_1) | instskip(SKIP_3) | instid1(VALU_DEP_1)
	v_fmac_f32_e32 v142, v110, v102
	ds_load_2addr_b32 v[101:102], v97 offset0:67 offset1:68
	s_waitcnt lgkmcnt(3)
	v_fmac_f32_e32 v142, v111, v103
	v_fmac_f32_e32 v142, v112, v104
	s_waitcnt lgkmcnt(2)
	s_delay_alu instid0(VALU_DEP_1) | instskip(SKIP_1) | instid1(VALU_DEP_1)
	v_fmac_f32_e32 v142, v113, v105
	s_waitcnt vmcnt(7)
	v_fmac_f32_e32 v142, v114, v106
	ds_load_2addr_b32 v[103:104], v97 offset0:69 offset1:70
	ds_load_2addr_b32 v[105:106], v97 offset0:71 offset1:72
	s_waitcnt lgkmcnt(3)
	v_fmac_f32_e32 v142, v115, v99
	s_delay_alu instid0(VALU_DEP_1) | instskip(SKIP_4) | instid1(VALU_DEP_1)
	v_fmac_f32_e32 v142, v116, v100
	ds_load_2addr_b32 v[99:100], v97 offset0:73 offset1:74
	s_waitcnt lgkmcnt(3)
	v_fmac_f32_e32 v142, v117, v101
	s_waitcnt vmcnt(6)
	v_fmac_f32_e32 v142, v118, v102
	ds_load_2addr_b32 v[101:102], v97 offset0:75 offset1:76
	s_waitcnt lgkmcnt(3)
	v_fmac_f32_e32 v142, v119, v103
	s_delay_alu instid0(VALU_DEP_1) | instskip(SKIP_1) | instid1(VALU_DEP_1)
	v_fmac_f32_e32 v142, v120, v104
	s_waitcnt lgkmcnt(2)
	v_fmac_f32_e32 v142, v121, v105
	s_waitcnt vmcnt(5)
	s_delay_alu instid0(VALU_DEP_1) | instskip(SKIP_4) | instid1(VALU_DEP_1)
	v_fmac_f32_e32 v142, v122, v106
	ds_load_2addr_b32 v[103:104], v97 offset0:77 offset1:78
	ds_load_2addr_b32 v[105:106], v97 offset0:79 offset1:80
	s_waitcnt lgkmcnt(3)
	v_fmac_f32_e32 v142, v123, v99
	v_fmac_f32_e32 v142, v124, v100
	ds_load_2addr_b32 v[99:100], v97 offset0:81 offset1:82
	s_waitcnt lgkmcnt(3)
	v_fmac_f32_e32 v142, v125, v101
	s_waitcnt vmcnt(4)
	s_delay_alu instid0(VALU_DEP_1) | instskip(SKIP_3) | instid1(VALU_DEP_1)
	v_fmac_f32_e32 v142, v126, v102
	ds_load_2addr_b32 v[101:102], v97 offset0:83 offset1:84
	s_waitcnt lgkmcnt(3)
	v_fmac_f32_e32 v142, v127, v103
	v_fmac_f32_e32 v142, v128, v104
	s_waitcnt lgkmcnt(2)
	s_delay_alu instid0(VALU_DEP_1) | instskip(SKIP_1) | instid1(VALU_DEP_1)
	v_fmac_f32_e32 v142, v129, v105
	s_waitcnt vmcnt(3)
	v_fmac_f32_e32 v142, v130, v106
	ds_load_2addr_b32 v[103:104], v97 offset0:85 offset1:86
	ds_load_2addr_b32 v[105:106], v97 offset0:87 offset1:88
	s_waitcnt lgkmcnt(3)
	v_fmac_f32_e32 v142, v131, v99
	s_delay_alu instid0(VALU_DEP_1) | instskip(SKIP_4) | instid1(VALU_DEP_1)
	v_fmac_f32_e32 v142, v132, v100
	ds_load_2addr_b32 v[99:100], v97 offset0:89 offset1:90
	s_waitcnt lgkmcnt(3)
	v_fmac_f32_e32 v142, v133, v101
	s_waitcnt vmcnt(2)
	v_fmac_f32_e32 v142, v134, v102
	ds_load_2addr_b32 v[101:102], v97 offset0:91 offset1:92
	s_waitcnt lgkmcnt(3)
	v_fmac_f32_e32 v142, v135, v103
	s_delay_alu instid0(VALU_DEP_1) | instskip(SKIP_4) | instid1(VALU_DEP_1)
	v_fmac_f32_e32 v142, v136, v104
	ds_load_2addr_b32 v[103:104], v97 offset0:93 offset1:94
	s_waitcnt lgkmcnt(3)
	v_fmac_f32_e32 v142, v137, v105
	s_waitcnt vmcnt(1)
	v_fmac_f32_e32 v142, v138, v106
	s_waitcnt lgkmcnt(2)
	s_delay_alu instid0(VALU_DEP_1) | instskip(NEXT) | instid1(VALU_DEP_1)
	v_fmac_f32_e32 v142, v139, v99
	v_fmac_f32_e32 v142, v140, v100
	s_waitcnt lgkmcnt(1)
	s_delay_alu instid0(VALU_DEP_1) | instskip(SKIP_1) | instid1(VALU_DEP_1)
	v_fmac_f32_e32 v142, v141, v101
	s_waitcnt vmcnt(0)
	v_fmac_f32_e32 v142, v0, v102
	s_waitcnt lgkmcnt(0)
	s_delay_alu instid0(VALU_DEP_1) | instskip(NEXT) | instid1(VALU_DEP_1)
	v_fmac_f32_e32 v142, v1, v103
	v_fmac_f32_e32 v142, v2, v104
	s_delay_alu instid0(VALU_DEP_1)
	v_sub_f32_e32 v0, v98, v142
	scratch_store_b32 off, v0, off
	s_cbranch_vccz .LBB110_383
; %bb.290:
	v_dual_mov_b32 v98, s3 :: v_dual_mov_b32 v97, s2
	s_mov_b32 s0, exec_lo
	flat_load_b32 v0, v[97:98] offset:180
	s_waitcnt vmcnt(0) lgkmcnt(0)
	v_cmpx_ne_u32_e32 46, v0
	s_cbranch_execz .LBB110_292
; %bb.291:
	v_lshl_add_u32 v0, v0, 2, 0
	scratch_load_b32 v2, v0, off offset:-4
	s_waitcnt vmcnt(0)
	scratch_store_b32 off, v2, off offset:180
	scratch_store_b32 v0, v1, off offset:-4
.LBB110_292:
	s_or_b32 exec_lo, exec_lo, s0
	v_dual_mov_b32 v0, s2 :: v_dual_mov_b32 v1, s3
	s_mov_b32 s0, exec_lo
	flat_load_b32 v0, v[0:1] offset:176
	s_waitcnt vmcnt(0) lgkmcnt(0)
	v_cmpx_ne_u32_e32 45, v0
	s_cbranch_execz .LBB110_294
; %bb.293:
	v_lshl_add_u32 v0, v0, 2, 0
	scratch_load_b32 v1, v0, off offset:-4
	scratch_load_b32 v2, off, off offset:176
	s_waitcnt vmcnt(1)
	scratch_store_b32 off, v1, off offset:176
	s_waitcnt vmcnt(0)
	scratch_store_b32 v0, v2, off offset:-4
.LBB110_294:
	s_or_b32 exec_lo, exec_lo, s0
	v_dual_mov_b32 v0, s2 :: v_dual_mov_b32 v1, s3
	s_mov_b32 s0, exec_lo
	flat_load_b32 v0, v[0:1] offset:172
	s_waitcnt vmcnt(0) lgkmcnt(0)
	v_cmpx_ne_u32_e32 44, v0
	s_cbranch_execz .LBB110_296
; %bb.295:
	v_lshl_add_u32 v0, v0, 2, 0
	scratch_load_b32 v1, v0, off offset:-4
	scratch_load_b32 v2, off, off offset:172
	s_waitcnt vmcnt(1)
	scratch_store_b32 off, v1, off offset:172
	s_waitcnt vmcnt(0)
	scratch_store_b32 v0, v2, off offset:-4
.LBB110_296:
	;; [unrolled: 16-line block ×44, first 2 shown]
	s_or_b32 exec_lo, exec_lo, s0
	v_dual_mov_b32 v0, s2 :: v_dual_mov_b32 v1, s3
	s_mov_b32 s0, exec_lo
	flat_load_b32 v1, v[0:1]
	scratch_load_b32 v0, off, off
	s_waitcnt vmcnt(1) lgkmcnt(0)
	v_cmpx_ne_u32_e32 1, v1
	s_cbranch_execz .LBB110_382
; %bb.381:
	v_lshl_add_u32 v1, v1, 2, 0
	scratch_load_b32 v2, v1, off offset:-4
	s_waitcnt vmcnt(0)
	scratch_store_b32 off, v2, off
	scratch_store_b32 v1, v0, off offset:-4
	scratch_load_b32 v0, off, off
.LBB110_382:
	s_or_b32 exec_lo, exec_lo, s0
.LBB110_383:
	s_clause 0xb
	scratch_load_b128 v[97:100], off, off offset:4
	scratch_load_b128 v[101:104], off, off offset:20
	;; [unrolled: 1-line block ×11, first 2 shown]
	scratch_load_b64 v[1:2], off, off offset:180
	s_waitcnt vmcnt(12)
	global_store_b32 v[3:4], v0, off
	s_waitcnt vmcnt(11)
	s_clause 0x3
	global_store_b32 v[5:6], v97, off
	global_store_b32 v[7:8], v98, off
	global_store_b32 v[9:10], v99, off
	global_store_b32 v[11:12], v100, off
	s_waitcnt vmcnt(10)
	s_clause 0x3
	global_store_b32 v[13:14], v101, off
	global_store_b32 v[15:16], v102, off
	global_store_b32 v[17:18], v103, off
	;; [unrolled: 6-line block ×11, first 2 shown]
	global_store_b32 v[93:94], v140, off
	s_waitcnt vmcnt(0)
	s_clause 0x1
	global_store_b32 v[95:96], v1, off
	global_store_b32 v[53:54], v2, off
	s_endpgm
	.section	.rodata,"a",@progbits
	.p2align	6, 0x0
	.amdhsa_kernel _ZN9rocsolver6v33100L18getri_kernel_smallILi47EfPKPfEEvT1_iilPiilS6_bb
		.amdhsa_group_segment_fixed_size 380
		.amdhsa_private_segment_fixed_size 192
		.amdhsa_kernarg_size 60
		.amdhsa_user_sgpr_count 15
		.amdhsa_user_sgpr_dispatch_ptr 0
		.amdhsa_user_sgpr_queue_ptr 0
		.amdhsa_user_sgpr_kernarg_segment_ptr 1
		.amdhsa_user_sgpr_dispatch_id 0
		.amdhsa_user_sgpr_private_segment_size 0
		.amdhsa_wavefront_size32 1
		.amdhsa_uses_dynamic_stack 0
		.amdhsa_enable_private_segment 1
		.amdhsa_system_sgpr_workgroup_id_x 1
		.amdhsa_system_sgpr_workgroup_id_y 0
		.amdhsa_system_sgpr_workgroup_id_z 0
		.amdhsa_system_sgpr_workgroup_info 0
		.amdhsa_system_vgpr_workitem_id 0
		.amdhsa_next_free_vgpr 152
		.amdhsa_next_free_sgpr 17
		.amdhsa_reserve_vcc 1
		.amdhsa_float_round_mode_32 0
		.amdhsa_float_round_mode_16_64 0
		.amdhsa_float_denorm_mode_32 3
		.amdhsa_float_denorm_mode_16_64 3
		.amdhsa_dx10_clamp 1
		.amdhsa_ieee_mode 1
		.amdhsa_fp16_overflow 0
		.amdhsa_workgroup_processor_mode 1
		.amdhsa_memory_ordered 1
		.amdhsa_forward_progress 0
		.amdhsa_shared_vgpr_count 0
		.amdhsa_exception_fp_ieee_invalid_op 0
		.amdhsa_exception_fp_denorm_src 0
		.amdhsa_exception_fp_ieee_div_zero 0
		.amdhsa_exception_fp_ieee_overflow 0
		.amdhsa_exception_fp_ieee_underflow 0
		.amdhsa_exception_fp_ieee_inexact 0
		.amdhsa_exception_int_div_zero 0
	.end_amdhsa_kernel
	.section	.text._ZN9rocsolver6v33100L18getri_kernel_smallILi47EfPKPfEEvT1_iilPiilS6_bb,"axG",@progbits,_ZN9rocsolver6v33100L18getri_kernel_smallILi47EfPKPfEEvT1_iilPiilS6_bb,comdat
.Lfunc_end110:
	.size	_ZN9rocsolver6v33100L18getri_kernel_smallILi47EfPKPfEEvT1_iilPiilS6_bb, .Lfunc_end110-_ZN9rocsolver6v33100L18getri_kernel_smallILi47EfPKPfEEvT1_iilPiilS6_bb
                                        ; -- End function
	.section	.AMDGPU.csdata,"",@progbits
; Kernel info:
; codeLenInByte = 33796
; NumSgprs: 19
; NumVgprs: 152
; ScratchSize: 192
; MemoryBound: 0
; FloatMode: 240
; IeeeMode: 1
; LDSByteSize: 380 bytes/workgroup (compile time only)
; SGPRBlocks: 2
; VGPRBlocks: 18
; NumSGPRsForWavesPerEU: 19
; NumVGPRsForWavesPerEU: 152
; Occupancy: 9
; WaveLimiterHint : 1
; COMPUTE_PGM_RSRC2:SCRATCH_EN: 1
; COMPUTE_PGM_RSRC2:USER_SGPR: 15
; COMPUTE_PGM_RSRC2:TRAP_HANDLER: 0
; COMPUTE_PGM_RSRC2:TGID_X_EN: 1
; COMPUTE_PGM_RSRC2:TGID_Y_EN: 0
; COMPUTE_PGM_RSRC2:TGID_Z_EN: 0
; COMPUTE_PGM_RSRC2:TIDIG_COMP_CNT: 0
	.section	.text._ZN9rocsolver6v33100L18getri_kernel_smallILi48EfPKPfEEvT1_iilPiilS6_bb,"axG",@progbits,_ZN9rocsolver6v33100L18getri_kernel_smallILi48EfPKPfEEvT1_iilPiilS6_bb,comdat
	.globl	_ZN9rocsolver6v33100L18getri_kernel_smallILi48EfPKPfEEvT1_iilPiilS6_bb ; -- Begin function _ZN9rocsolver6v33100L18getri_kernel_smallILi48EfPKPfEEvT1_iilPiilS6_bb
	.p2align	8
	.type	_ZN9rocsolver6v33100L18getri_kernel_smallILi48EfPKPfEEvT1_iilPiilS6_bb,@function
_ZN9rocsolver6v33100L18getri_kernel_smallILi48EfPKPfEEvT1_iilPiilS6_bb: ; @_ZN9rocsolver6v33100L18getri_kernel_smallILi48EfPKPfEEvT1_iilPiilS6_bb
; %bb.0:
	s_mov_b32 s2, exec_lo
	v_cmpx_gt_u32_e32 48, v0
	s_cbranch_execz .LBB111_200
; %bb.1:
	s_clause 0x1
	s_load_b32 s13, s[0:1], 0x38
	s_load_b64 s[2:3], s[0:1], 0x0
	s_mov_b32 s8, s15
	s_load_b128 s[4:7], s[0:1], 0x28
	s_waitcnt lgkmcnt(0)
	s_bitcmp1_b32 s13, 8
	s_cselect_b32 s12, -1, 0
	s_ashr_i32 s9, s15, 31
	s_delay_alu instid0(SALU_CYCLE_1) | instskip(NEXT) | instid1(SALU_CYCLE_1)
	s_lshl_b64 s[10:11], s[8:9], 3
	s_add_u32 s2, s2, s10
	s_addc_u32 s3, s3, s11
	s_load_b64 s[10:11], s[2:3], 0x0
	s_bfe_u32 s2, s13, 0x10008
	s_delay_alu instid0(SALU_CYCLE_1)
	s_cmp_eq_u32 s2, 0
                                        ; implicit-def: $sgpr2_sgpr3
	s_cbranch_scc1 .LBB111_3
; %bb.2:
	s_clause 0x1
	s_load_b32 s2, s[0:1], 0x20
	s_load_b64 s[14:15], s[0:1], 0x18
	s_mul_i32 s3, s8, s5
	s_mul_hi_u32 s5, s8, s4
	s_mul_i32 s16, s9, s4
	s_add_i32 s3, s5, s3
	s_mul_i32 s4, s8, s4
	s_add_i32 s5, s3, s16
	s_delay_alu instid0(SALU_CYCLE_1)
	s_lshl_b64 s[4:5], s[4:5], 2
	s_waitcnt lgkmcnt(0)
	s_ashr_i32 s3, s2, 31
	s_add_u32 s4, s14, s4
	s_addc_u32 s5, s15, s5
	s_lshl_b64 s[2:3], s[2:3], 2
	s_delay_alu instid0(SALU_CYCLE_1)
	s_add_u32 s2, s4, s2
	s_addc_u32 s3, s5, s3
.LBB111_3:
	s_load_b64 s[0:1], s[0:1], 0x8
	v_lshlrev_b32_e32 v3, 2, v0
	s_waitcnt lgkmcnt(0)
	v_add3_u32 v1, s1, s1, v0
	s_ashr_i32 s5, s0, 31
	s_mov_b32 s4, s0
	s_mov_b32 s14, s1
	s_lshl_b64 s[4:5], s[4:5], 2
	v_add_nc_u32_e32 v8, s1, v1
	v_ashrrev_i32_e32 v2, 31, v1
	s_add_u32 s4, s10, s4
	s_addc_u32 s5, s11, s5
	v_add_co_u32 v4, s0, s4, v3
	v_add_nc_u32_e32 v10, s1, v8
	s_ashr_i32 s15, s1, 31
	v_add_co_ci_u32_e64 v5, null, s5, 0, s0
	v_ashrrev_i32_e32 v9, 31, v8
	s_delay_alu instid0(VALU_DEP_3)
	v_add_nc_u32_e32 v12, s1, v10
	v_lshlrev_b64 v[1:2], 2, v[1:2]
	s_lshl_b64 s[10:11], s[14:15], 2
	v_ashrrev_i32_e32 v11, 31, v10
	v_add_co_u32 v6, vcc_lo, v4, s10
	v_add_nc_u32_e32 v14, s1, v12
	v_add_co_ci_u32_e32 v7, vcc_lo, s11, v5, vcc_lo
	v_lshlrev_b64 v[41:42], 2, v[8:9]
	v_add_co_u32 v8, vcc_lo, s4, v1
	s_delay_alu instid0(VALU_DEP_4) | instskip(SKIP_3) | instid1(VALU_DEP_4)
	v_add_nc_u32_e32 v16, s1, v14
	v_add_co_ci_u32_e32 v9, vcc_lo, s5, v2, vcc_lo
	v_lshlrev_b64 v[1:2], 2, v[10:11]
	v_ashrrev_i32_e32 v13, 31, v12
	v_add_nc_u32_e32 v18, s1, v16
	v_add_co_u32 v10, vcc_lo, s4, v41
	v_ashrrev_i32_e32 v15, 31, v14
	v_add_co_ci_u32_e32 v11, vcc_lo, s5, v42, vcc_lo
	s_delay_alu instid0(VALU_DEP_4) | instskip(SKIP_3) | instid1(VALU_DEP_4)
	v_add_nc_u32_e32 v20, s1, v18
	v_lshlrev_b64 v[41:42], 2, v[12:13]
	v_add_co_u32 v12, vcc_lo, s4, v1
	v_add_co_ci_u32_e32 v13, vcc_lo, s5, v2, vcc_lo
	v_add_nc_u32_e32 v22, s1, v20
	v_lshlrev_b64 v[1:2], 2, v[14:15]
	v_ashrrev_i32_e32 v17, 31, v16
	v_add_co_u32 v14, vcc_lo, s4, v41
	s_delay_alu instid0(VALU_DEP_4) | instskip(SKIP_3) | instid1(VALU_DEP_4)
	v_add_nc_u32_e32 v24, s1, v22
	v_ashrrev_i32_e32 v19, 31, v18
	v_add_co_ci_u32_e32 v15, vcc_lo, s5, v42, vcc_lo
	v_lshlrev_b64 v[41:42], 2, v[16:17]
	v_add_nc_u32_e32 v26, s1, v24
	v_add_co_u32 v16, vcc_lo, s4, v1
	v_add_co_ci_u32_e32 v17, vcc_lo, s5, v2, vcc_lo
	s_delay_alu instid0(VALU_DEP_3) | instskip(SKIP_3) | instid1(VALU_DEP_4)
	v_add_nc_u32_e32 v28, s1, v26
	v_lshlrev_b64 v[1:2], 2, v[18:19]
	v_ashrrev_i32_e32 v21, 31, v20
	v_add_co_u32 v18, vcc_lo, s4, v41
	v_add_nc_u32_e32 v30, s1, v28
	v_ashrrev_i32_e32 v23, 31, v22
	v_add_co_ci_u32_e32 v19, vcc_lo, s5, v42, vcc_lo
	v_lshlrev_b64 v[41:42], 2, v[20:21]
	s_delay_alu instid0(VALU_DEP_4) | instskip(SKIP_2) | instid1(VALU_DEP_3)
	v_add_nc_u32_e32 v32, s1, v30
	v_add_co_u32 v20, vcc_lo, s4, v1
	v_add_co_ci_u32_e32 v21, vcc_lo, s5, v2, vcc_lo
	v_add_nc_u32_e32 v34, s1, v32
	v_lshlrev_b64 v[1:2], 2, v[22:23]
	v_ashrrev_i32_e32 v25, 31, v24
	v_add_co_u32 v22, vcc_lo, s4, v41
	s_delay_alu instid0(VALU_DEP_4) | instskip(SKIP_3) | instid1(VALU_DEP_4)
	v_add_nc_u32_e32 v36, s1, v34
	v_ashrrev_i32_e32 v27, 31, v26
	v_add_co_ci_u32_e32 v23, vcc_lo, s5, v42, vcc_lo
	v_lshlrev_b64 v[41:42], 2, v[24:25]
	v_add_nc_u32_e32 v38, s1, v36
	v_add_co_u32 v24, vcc_lo, s4, v1
	v_add_co_ci_u32_e32 v25, vcc_lo, s5, v2, vcc_lo
	s_delay_alu instid0(VALU_DEP_3) | instskip(SKIP_3) | instid1(VALU_DEP_4)
	v_add_nc_u32_e32 v40, s1, v38
	v_lshlrev_b64 v[1:2], 2, v[26:27]
	v_ashrrev_i32_e32 v29, 31, v28
	v_add_co_u32 v26, vcc_lo, s4, v41
	v_add_nc_u32_e32 v43, s1, v40
	v_ashrrev_i32_e32 v31, 31, v30
	v_add_co_ci_u32_e32 v27, vcc_lo, s5, v42, vcc_lo
	v_lshlrev_b64 v[41:42], 2, v[28:29]
	s_delay_alu instid0(VALU_DEP_4) | instskip(SKIP_2) | instid1(VALU_DEP_3)
	v_add_nc_u32_e32 v45, s1, v43
	;; [unrolled: 25-line block ×4, first 2 shown]
	v_add_co_u32 v44, vcc_lo, s4, v1
	v_add_co_ci_u32_e32 v45, vcc_lo, s5, v2, vcc_lo
	v_add_nc_u32_e32 v74, s1, v72
	v_lshlrev_b64 v[1:2], 2, v[47:48]
	v_ashrrev_i32_e32 v50, 31, v49
	v_add_co_u32 v46, vcc_lo, s4, v58
	s_delay_alu instid0(VALU_DEP_4) | instskip(SKIP_3) | instid1(VALU_DEP_4)
	v_add_nc_u32_e32 v76, s1, v74
	v_ashrrev_i32_e32 v52, 31, v51
	v_add_co_ci_u32_e32 v47, vcc_lo, s5, v59, vcc_lo
	v_lshlrev_b64 v[58:59], 2, v[49:50]
	v_add_nc_u32_e32 v78, s1, v76
	v_add_co_u32 v48, vcc_lo, s4, v1
	v_ashrrev_i32_e32 v54, 31, v53
	v_add_co_ci_u32_e32 v49, vcc_lo, s5, v2, vcc_lo
	s_delay_alu instid0(VALU_DEP_4) | instskip(SKIP_3) | instid1(VALU_DEP_4)
	v_add_nc_u32_e32 v80, s1, v78
	v_lshlrev_b64 v[1:2], 2, v[51:52]
	v_add_co_u32 v50, vcc_lo, s4, v58
	v_lshlrev_b64 v[69:70], 2, v[53:54]
	v_add_nc_u32_e32 v82, s1, v80
	v_ashrrev_i32_e32 v56, 31, v55
	v_add_co_ci_u32_e32 v51, vcc_lo, s5, v59, vcc_lo
	v_add_co_u32 v52, vcc_lo, s4, v1
	s_delay_alu instid0(VALU_DEP_4) | instskip(SKIP_3) | instid1(VALU_DEP_4)
	v_add_nc_u32_e32 v84, s1, v82
	v_ashrrev_i32_e32 v58, 31, v57
	v_add_co_ci_u32_e32 v53, vcc_lo, s5, v2, vcc_lo
	v_lshlrev_b64 v[1:2], 2, v[55:56]
	v_add_nc_u32_e32 v86, s1, v84
	v_add_co_u32 v54, vcc_lo, s4, v69
	v_lshlrev_b64 v[56:57], 2, v[57:58]
	v_ashrrev_i32_e32 v61, 31, v60
	s_delay_alu instid0(VALU_DEP_4) | instskip(SKIP_2) | instid1(VALU_DEP_3)
	v_add_nc_u32_e32 v88, s1, v86
	v_add_co_ci_u32_e32 v55, vcc_lo, s5, v70, vcc_lo
	v_add_co_u32 v58, vcc_lo, s4, v1
	v_add_nc_u32_e32 v90, s1, v88
	v_add_co_ci_u32_e32 v59, vcc_lo, s5, v2, vcc_lo
	v_lshlrev_b64 v[1:2], 2, v[60:61]
	v_ashrrev_i32_e32 v63, 31, v62
	s_delay_alu instid0(VALU_DEP_4) | instskip(SKIP_2) | instid1(VALU_DEP_3)
	v_add_nc_u32_e32 v92, s1, v90
	v_add_co_u32 v60, vcc_lo, s4, v56
	v_add_co_ci_u32_e32 v61, vcc_lo, s5, v57, vcc_lo
	v_add_nc_u32_e32 v94, s1, v92
	v_ashrrev_i32_e32 v65, 31, v64
	v_lshlrev_b64 v[125:126], 2, v[62:63]
	v_add_co_u32 v62, vcc_lo, s4, v1
	s_delay_alu instid0(VALU_DEP_4) | instskip(SKIP_3) | instid1(VALU_DEP_4)
	v_add_nc_u32_e32 v96, s1, v94
	v_add_co_ci_u32_e32 v63, vcc_lo, s5, v2, vcc_lo
	v_lshlrev_b64 v[1:2], 2, v[64:65]
	v_ashrrev_i32_e32 v67, 31, v66
	v_add_nc_u32_e32 v98, s1, v96
	v_ashrrev_i32_e32 v73, 31, v72
	v_ashrrev_i32_e32 v75, 31, v74
	;; [unrolled: 1-line block ×4, first 2 shown]
	v_add_nc_u32_e32 v69, s1, v98
	v_ashrrev_i32_e32 v81, 31, v80
	v_lshlrev_b64 v[74:75], 2, v[74:75]
	v_ashrrev_i32_e32 v83, 31, v82
	v_lshlrev_b64 v[78:79], 2, v[78:79]
	v_ashrrev_i32_e32 v70, 31, v69
	v_ashrrev_i32_e32 v85, 31, v84
	;; [unrolled: 1-line block ×3, first 2 shown]
	v_lshlrev_b64 v[82:83], 2, v[82:83]
	v_ashrrev_i32_e32 v89, 31, v88
	v_lshlrev_b64 v[56:57], 2, v[69:70]
	v_ashrrev_i32_e32 v69, 31, v68
	v_lshlrev_b64 v[70:71], 2, v[66:67]
	v_lshlrev_b64 v[86:87], 2, v[86:87]
	v_ashrrev_i32_e32 v91, 31, v90
	v_ashrrev_i32_e32 v93, 31, v92
	v_add_co_u32 v56, vcc_lo, s4, v56
	v_add_co_ci_u32_e32 v57, vcc_lo, s5, v57, vcc_lo
	v_add_co_u32 v64, vcc_lo, s4, v125
	v_add_co_ci_u32_e32 v65, vcc_lo, s5, v126, vcc_lo
	;; [unrolled: 2-line block ×3, first 2 shown]
	v_lshlrev_b64 v[1:2], 2, v[68:69]
	v_add_co_u32 v68, vcc_lo, s4, v70
	v_add_co_ci_u32_e32 v69, vcc_lo, s5, v71, vcc_lo
	v_lshlrev_b64 v[90:91], 2, v[90:91]
	s_delay_alu instid0(VALU_DEP_4)
	v_add_co_u32 v70, vcc_lo, s4, v1
	v_add_co_ci_u32_e32 v71, vcc_lo, s5, v2, vcc_lo
	v_lshlrev_b64 v[1:2], 2, v[72:73]
	v_ashrrev_i32_e32 v95, 31, v94
	v_ashrrev_i32_e32 v97, 31, v96
	;; [unrolled: 1-line block ×3, first 2 shown]
	s_clause 0x8
	global_load_b32 v100, v3, s[4:5]
	global_load_b32 v101, v[6:7], off
	global_load_b32 v102, v[8:9], off
	;; [unrolled: 1-line block ×8, first 2 shown]
	v_add_co_u32 v72, vcc_lo, s4, v1
	v_add_co_ci_u32_e32 v73, vcc_lo, s5, v2, vcc_lo
	v_lshlrev_b64 v[1:2], 2, v[76:77]
	v_add_co_u32 v74, vcc_lo, s4, v74
	v_add_co_ci_u32_e32 v75, vcc_lo, s5, v75, vcc_lo
	v_lshlrev_b64 v[94:95], 2, v[94:95]
	s_delay_alu instid0(VALU_DEP_4)
	v_add_co_u32 v76, vcc_lo, s4, v1
	v_add_co_ci_u32_e32 v77, vcc_lo, s5, v2, vcc_lo
	v_lshlrev_b64 v[1:2], 2, v[80:81]
	v_add_co_u32 v78, vcc_lo, s4, v78
	v_add_co_ci_u32_e32 v79, vcc_lo, s5, v79, vcc_lo
	v_lshlrev_b64 v[98:99], 2, v[98:99]
	s_delay_alu instid0(VALU_DEP_4)
	v_add_co_u32 v80, vcc_lo, s4, v1
	v_add_co_ci_u32_e32 v81, vcc_lo, s5, v2, vcc_lo
	v_lshlrev_b64 v[1:2], 2, v[84:85]
	v_add_co_u32 v82, vcc_lo, s4, v82
	v_add_co_ci_u32_e32 v83, vcc_lo, s5, v83, vcc_lo
	s_clause 0x7
	global_load_b32 v109, v[22:23], off
	global_load_b32 v110, v[24:25], off
	global_load_b32 v111, v[26:27], off
	global_load_b32 v112, v[28:29], off
	global_load_b32 v113, v[30:31], off
	global_load_b32 v114, v[32:33], off
	global_load_b32 v115, v[34:35], off
	global_load_b32 v116, v[36:37], off
	v_add_co_u32 v84, vcc_lo, s4, v1
	v_add_co_ci_u32_e32 v85, vcc_lo, s5, v2, vcc_lo
	v_lshlrev_b64 v[1:2], 2, v[88:89]
	v_add_co_u32 v86, vcc_lo, s4, v86
	v_add_co_ci_u32_e32 v87, vcc_lo, s5, v87, vcc_lo
	s_clause 0x7
	global_load_b32 v117, v[38:39], off
	global_load_b32 v118, v[40:41], off
	global_load_b32 v119, v[42:43], off
	global_load_b32 v120, v[44:45], off
	global_load_b32 v121, v[46:47], off
	global_load_b32 v122, v[48:49], off
	global_load_b32 v123, v[50:51], off
	global_load_b32 v124, v[52:53], off
	;; [unrolled: 14-line block ×4, first 2 shown]
	v_add_co_u32 v96, vcc_lo, s4, v1
	v_add_co_ci_u32_e32 v97, vcc_lo, s5, v2, vcc_lo
	v_add_co_u32 v98, vcc_lo, s4, v98
	v_add_co_ci_u32_e32 v99, vcc_lo, s5, v99, vcc_lo
	s_clause 0x6
	global_load_b32 v141, v[88:89], off
	global_load_b32 v142, v[90:91], off
	;; [unrolled: 1-line block ×7, first 2 shown]
	s_bitcmp0_b32 s13, 0
	s_mov_b32 s1, -1
	s_waitcnt vmcnt(44)
	scratch_store_b128 off, v[100:103], off
	s_waitcnt vmcnt(40)
	scratch_store_b128 off, v[104:107], off offset:16
	s_waitcnt vmcnt(36)
	scratch_store_b128 off, v[108:111], off offset:32
	;; [unrolled: 2-line block ×11, first 2 shown]
	s_cbranch_scc1 .LBB111_198
; %bb.4:
	v_cmp_eq_u32_e64 s0, 0, v0
	s_delay_alu instid0(VALU_DEP_1)
	s_and_saveexec_b32 s1, s0
	s_cbranch_execz .LBB111_6
; %bb.5:
	v_mov_b32_e32 v1, 0
	ds_store_b32 v1, v1 offset:384
.LBB111_6:
	s_or_b32 exec_lo, exec_lo, s1
	s_waitcnt lgkmcnt(0)
	s_waitcnt_vscnt null, 0x0
	s_barrier
	buffer_gl0_inv
	scratch_load_b32 v1, v3, off
	s_mov_b32 s4, exec_lo
	s_waitcnt vmcnt(0)
	v_cmpx_eq_f32_e32 0, v1
	s_cbranch_execz .LBB111_10
; %bb.7:
	v_mov_b32_e32 v1, 0
	s_mov_b32 s5, 0
	ds_load_b32 v2, v1 offset:384
	s_waitcnt lgkmcnt(0)
	v_readfirstlane_b32 s1, v2
	v_add_nc_u32_e32 v2, 1, v0
	s_delay_alu instid0(VALU_DEP_2) | instskip(NEXT) | instid1(VALU_DEP_1)
	s_cmp_eq_u32 s1, 0
	v_cmp_gt_i32_e32 vcc_lo, s1, v2
	s_cselect_b32 s10, -1, 0
	s_delay_alu instid0(SALU_CYCLE_1) | instskip(NEXT) | instid1(SALU_CYCLE_1)
	s_or_b32 s10, s10, vcc_lo
	s_and_b32 exec_lo, exec_lo, s10
	s_cbranch_execz .LBB111_10
; %bb.8:
	v_mov_b32_e32 v100, s1
.LBB111_9:                              ; =>This Inner Loop Header: Depth=1
	ds_cmpstore_rtn_b32 v100, v1, v2, v100 offset:384
	s_waitcnt lgkmcnt(0)
	v_cmp_ne_u32_e32 vcc_lo, 0, v100
	v_cmp_le_i32_e64 s1, v100, v2
	s_delay_alu instid0(VALU_DEP_1) | instskip(NEXT) | instid1(SALU_CYCLE_1)
	s_and_b32 s1, vcc_lo, s1
	s_and_b32 s1, exec_lo, s1
	s_delay_alu instid0(SALU_CYCLE_1) | instskip(NEXT) | instid1(SALU_CYCLE_1)
	s_or_b32 s5, s1, s5
	s_and_not1_b32 exec_lo, exec_lo, s5
	s_cbranch_execnz .LBB111_9
.LBB111_10:
	s_or_b32 exec_lo, exec_lo, s4
	v_mov_b32_e32 v1, 0
	s_barrier
	buffer_gl0_inv
	ds_load_b32 v2, v1 offset:384
	s_and_saveexec_b32 s1, s0
	s_cbranch_execz .LBB111_12
; %bb.11:
	s_lshl_b64 s[4:5], s[8:9], 2
	s_delay_alu instid0(SALU_CYCLE_1)
	s_add_u32 s4, s6, s4
	s_addc_u32 s5, s7, s5
	s_waitcnt lgkmcnt(0)
	global_store_b32 v1, v2, s[4:5]
.LBB111_12:
	s_or_b32 exec_lo, exec_lo, s1
	s_waitcnt lgkmcnt(0)
	v_cmp_ne_u32_e32 vcc_lo, 0, v2
	s_mov_b32 s1, 0
	s_cbranch_vccnz .LBB111_198
; %bb.13:
	v_add_nc_u32_e32 v1, 0, v3
	scratch_load_b32 v2, v1, off
	s_waitcnt vmcnt(0)
	v_div_scale_f32 v100, null, v2, v2, 1.0
	v_div_scale_f32 v103, vcc_lo, 1.0, v2, 1.0
	s_delay_alu instid0(VALU_DEP_2) | instskip(SKIP_2) | instid1(VALU_DEP_1)
	v_rcp_f32_e32 v101, v100
	s_waitcnt_depctr 0xfff
	v_fma_f32 v102, -v100, v101, 1.0
	v_fmac_f32_e32 v101, v102, v101
	s_delay_alu instid0(VALU_DEP_1) | instskip(NEXT) | instid1(VALU_DEP_1)
	v_mul_f32_e32 v102, v103, v101
	v_fma_f32 v104, -v100, v102, v103
	s_delay_alu instid0(VALU_DEP_1) | instskip(NEXT) | instid1(VALU_DEP_1)
	v_fmac_f32_e32 v102, v104, v101
	v_fma_f32 v100, -v100, v102, v103
	s_delay_alu instid0(VALU_DEP_1) | instskip(NEXT) | instid1(VALU_DEP_1)
	v_div_fmas_f32 v100, v100, v101, v102
	v_div_fixup_f32 v2, v100, v2, 1.0
	scratch_store_b32 v1, v2, off
	scratch_load_b32 v100, off, off offset:4
	v_xor_b32_e32 v101, 0x80000000, v2
	v_add_nc_u32_e32 v2, 0xc0, v3
	s_waitcnt vmcnt(0)
	ds_store_2addr_b32 v3, v101, v100 offset1:48
	s_waitcnt lgkmcnt(0)
	s_waitcnt_vscnt null, 0x0
	s_barrier
	buffer_gl0_inv
	s_and_saveexec_b32 s1, s0
	s_cbranch_execz .LBB111_15
; %bb.14:
	scratch_load_b32 v100, v1, off
	ds_load_b32 v101, v2
	v_mov_b32_e32 v102, 0
	ds_load_b32 v102, v102 offset:4
	s_waitcnt vmcnt(0) lgkmcnt(1)
	v_fma_f32 v100, v100, v101, 0
	s_waitcnt lgkmcnt(0)
	s_delay_alu instid0(VALU_DEP_1)
	v_mul_f32_e32 v100, v100, v102
	scratch_store_b32 off, v100, off offset:4
.LBB111_15:
	s_or_b32 exec_lo, exec_lo, s1
	s_waitcnt_vscnt null, 0x0
	s_barrier
	buffer_gl0_inv
	scratch_load_b32 v100, off, off offset:8
	s_mov_b32 s1, exec_lo
	s_waitcnt vmcnt(0)
	ds_store_b32 v2, v100
	s_waitcnt lgkmcnt(0)
	s_barrier
	buffer_gl0_inv
	v_cmpx_gt_u32_e32 2, v0
	s_cbranch_execz .LBB111_17
; %bb.16:
	scratch_load_b32 v102, v1, off
	scratch_load_b32 v103, off, off offset:4
	ds_load_b32 v104, v2
	v_mov_b32_e32 v100, 0
	ds_load_2addr_b32 v[100:101], v100 offset0:2 offset1:49
	s_waitcnt vmcnt(1) lgkmcnt(1)
	v_fma_f32 v102, v102, v104, 0
	s_waitcnt vmcnt(0) lgkmcnt(0)
	s_delay_alu instid0(VALU_DEP_1) | instskip(NEXT) | instid1(VALU_DEP_1)
	v_fma_f32 v101, v103, v101, v102
	v_cndmask_b32_e64 v101, v102, v101, s0
	s_delay_alu instid0(VALU_DEP_1)
	v_mul_f32_e32 v100, v101, v100
	scratch_store_b32 off, v100, off offset:8
.LBB111_17:
	s_or_b32 exec_lo, exec_lo, s1
	s_waitcnt_vscnt null, 0x0
	s_barrier
	buffer_gl0_inv
	scratch_load_b32 v101, off, off offset:12
	v_add_nc_u32_e32 v100, -1, v0
	s_mov_b32 s0, exec_lo
	s_waitcnt vmcnt(0)
	ds_store_b32 v2, v101
	s_waitcnt lgkmcnt(0)
	s_barrier
	buffer_gl0_inv
	v_cmpx_gt_u32_e32 3, v0
	s_cbranch_execz .LBB111_21
; %bb.18:
	v_dual_mov_b32 v101, 0 :: v_dual_add_nc_u32 v102, -1, v0
	v_add_nc_u32_e32 v103, 0xc0, v3
	v_add_nc_u32_e32 v104, 0, v3
	s_mov_b32 s1, 0
.LBB111_19:                             ; =>This Inner Loop Header: Depth=1
	scratch_load_b32 v105, v104, off
	ds_load_b32 v106, v103
	v_add_nc_u32_e32 v102, 1, v102
	v_add_nc_u32_e32 v103, 4, v103
	v_add_nc_u32_e32 v104, 4, v104
	s_delay_alu instid0(VALU_DEP_3)
	v_cmp_lt_u32_e32 vcc_lo, 1, v102
	s_or_b32 s1, vcc_lo, s1
	s_waitcnt vmcnt(0) lgkmcnt(0)
	v_fmac_f32_e32 v101, v105, v106
	s_and_not1_b32 exec_lo, exec_lo, s1
	s_cbranch_execnz .LBB111_19
; %bb.20:
	s_or_b32 exec_lo, exec_lo, s1
	v_mov_b32_e32 v102, 0
	ds_load_b32 v102, v102 offset:12
	s_waitcnt lgkmcnt(0)
	v_mul_f32_e32 v101, v101, v102
	scratch_store_b32 off, v101, off offset:12
.LBB111_21:
	s_or_b32 exec_lo, exec_lo, s0
	s_waitcnt_vscnt null, 0x0
	s_barrier
	buffer_gl0_inv
	scratch_load_b32 v101, off, off offset:16
	s_mov_b32 s0, exec_lo
	s_waitcnt vmcnt(0)
	ds_store_b32 v2, v101
	s_waitcnt lgkmcnt(0)
	s_barrier
	buffer_gl0_inv
	v_cmpx_gt_u32_e32 4, v0
	s_cbranch_execz .LBB111_25
; %bb.22:
	v_dual_mov_b32 v101, 0 :: v_dual_add_nc_u32 v102, -1, v0
	v_add_nc_u32_e32 v103, 0xc0, v3
	v_add_nc_u32_e32 v104, 0, v3
	s_mov_b32 s1, 0
.LBB111_23:                             ; =>This Inner Loop Header: Depth=1
	scratch_load_b32 v105, v104, off
	ds_load_b32 v106, v103
	v_add_nc_u32_e32 v102, 1, v102
	v_add_nc_u32_e32 v103, 4, v103
	v_add_nc_u32_e32 v104, 4, v104
	s_delay_alu instid0(VALU_DEP_3)
	v_cmp_lt_u32_e32 vcc_lo, 2, v102
	s_or_b32 s1, vcc_lo, s1
	s_waitcnt vmcnt(0) lgkmcnt(0)
	v_fmac_f32_e32 v101, v105, v106
	s_and_not1_b32 exec_lo, exec_lo, s1
	s_cbranch_execnz .LBB111_23
; %bb.24:
	s_or_b32 exec_lo, exec_lo, s1
	v_mov_b32_e32 v102, 0
	ds_load_b32 v102, v102 offset:16
	s_waitcnt lgkmcnt(0)
	v_mul_f32_e32 v101, v101, v102
	scratch_store_b32 off, v101, off offset:16
.LBB111_25:
	s_or_b32 exec_lo, exec_lo, s0
	s_waitcnt_vscnt null, 0x0
	s_barrier
	buffer_gl0_inv
	scratch_load_b32 v101, off, off offset:20
	;; [unrolled: 39-line block ×21, first 2 shown]
	s_mov_b32 s0, exec_lo
	s_waitcnt vmcnt(0)
	ds_store_b32 v2, v101
	s_waitcnt lgkmcnt(0)
	s_barrier
	buffer_gl0_inv
	v_cmpx_gt_u32_e32 24, v0
	s_cbranch_execz .LBB111_105
; %bb.102:
	v_dual_mov_b32 v101, 0 :: v_dual_add_nc_u32 v102, -1, v0
	v_add_nc_u32_e32 v103, 0xc0, v3
	v_add_nc_u32_e32 v104, 0, v3
	s_mov_b32 s1, 0
.LBB111_103:                            ; =>This Inner Loop Header: Depth=1
	scratch_load_b32 v105, v104, off
	ds_load_b32 v106, v103
	v_add_nc_u32_e32 v102, 1, v102
	v_add_nc_u32_e32 v103, 4, v103
	v_add_nc_u32_e32 v104, 4, v104
	s_delay_alu instid0(VALU_DEP_3)
	v_cmp_lt_u32_e32 vcc_lo, 22, v102
	s_or_b32 s1, vcc_lo, s1
	s_waitcnt vmcnt(0) lgkmcnt(0)
	v_fmac_f32_e32 v101, v105, v106
	s_and_not1_b32 exec_lo, exec_lo, s1
	s_cbranch_execnz .LBB111_103
; %bb.104:
	s_or_b32 exec_lo, exec_lo, s1
	v_mov_b32_e32 v102, 0
	ds_load_b32 v102, v102 offset:96
	s_waitcnt lgkmcnt(0)
	v_mul_f32_e32 v101, v101, v102
	scratch_store_b32 off, v101, off offset:96
.LBB111_105:
	s_or_b32 exec_lo, exec_lo, s0
	s_waitcnt_vscnt null, 0x0
	s_barrier
	buffer_gl0_inv
	scratch_load_b32 v101, off, off offset:100
	s_mov_b32 s0, exec_lo
	s_waitcnt vmcnt(0)
	ds_store_b32 v2, v101
	s_waitcnt lgkmcnt(0)
	s_barrier
	buffer_gl0_inv
	v_cmpx_gt_u32_e32 25, v0
	s_cbranch_execz .LBB111_109
; %bb.106:
	v_dual_mov_b32 v101, 0 :: v_dual_add_nc_u32 v102, -1, v0
	v_add_nc_u32_e32 v103, 0xc0, v3
	v_add_nc_u32_e32 v104, 0, v3
	s_mov_b32 s1, 0
.LBB111_107:                            ; =>This Inner Loop Header: Depth=1
	scratch_load_b32 v105, v104, off
	ds_load_b32 v106, v103
	v_add_nc_u32_e32 v102, 1, v102
	v_add_nc_u32_e32 v103, 4, v103
	v_add_nc_u32_e32 v104, 4, v104
	s_delay_alu instid0(VALU_DEP_3)
	v_cmp_lt_u32_e32 vcc_lo, 23, v102
	s_or_b32 s1, vcc_lo, s1
	s_waitcnt vmcnt(0) lgkmcnt(0)
	v_fmac_f32_e32 v101, v105, v106
	s_and_not1_b32 exec_lo, exec_lo, s1
	s_cbranch_execnz .LBB111_107
; %bb.108:
	s_or_b32 exec_lo, exec_lo, s1
	v_mov_b32_e32 v102, 0
	ds_load_b32 v102, v102 offset:100
	s_waitcnt lgkmcnt(0)
	v_mul_f32_e32 v101, v101, v102
	scratch_store_b32 off, v101, off offset:100
.LBB111_109:
	s_or_b32 exec_lo, exec_lo, s0
	s_waitcnt_vscnt null, 0x0
	s_barrier
	buffer_gl0_inv
	scratch_load_b32 v101, off, off offset:104
	;; [unrolled: 39-line block ×22, first 2 shown]
	s_mov_b32 s0, exec_lo
	s_waitcnt vmcnt(0)
	ds_store_b32 v2, v101
	s_waitcnt lgkmcnt(0)
	s_barrier
	buffer_gl0_inv
	v_cmpx_gt_u32_e32 46, v0
	s_cbranch_execz .LBB111_193
; %bb.190:
	v_add_nc_u32_e32 v101, -1, v0
	v_add_nc_u32_e32 v102, 0xc0, v3
	v_add_nc_u32_e32 v103, 0, v3
	v_mov_b32_e32 v3, 0
	s_mov_b32 s1, 0
.LBB111_191:                            ; =>This Inner Loop Header: Depth=1
	scratch_load_b32 v104, v103, off
	ds_load_b32 v105, v102
	v_add_nc_u32_e32 v101, 1, v101
	v_add_nc_u32_e32 v102, 4, v102
	;; [unrolled: 1-line block ×3, first 2 shown]
	s_delay_alu instid0(VALU_DEP_3)
	v_cmp_lt_u32_e32 vcc_lo, 44, v101
	s_or_b32 s1, vcc_lo, s1
	s_waitcnt vmcnt(0) lgkmcnt(0)
	v_fmac_f32_e32 v3, v104, v105
	s_and_not1_b32 exec_lo, exec_lo, s1
	s_cbranch_execnz .LBB111_191
; %bb.192:
	s_or_b32 exec_lo, exec_lo, s1
	v_mov_b32_e32 v101, 0
	ds_load_b32 v101, v101 offset:184
	s_waitcnt lgkmcnt(0)
	v_mul_f32_e32 v3, v3, v101
	scratch_store_b32 off, v3, off offset:184
.LBB111_193:
	s_or_b32 exec_lo, exec_lo, s0
	s_waitcnt_vscnt null, 0x0
	s_barrier
	buffer_gl0_inv
	scratch_load_b32 v3, off, off offset:188
	s_mov_b32 s0, exec_lo
	s_waitcnt vmcnt(0)
	ds_store_b32 v2, v3
	s_waitcnt lgkmcnt(0)
	s_barrier
	buffer_gl0_inv
	v_cmpx_ne_u32_e32 47, v0
	s_cbranch_execz .LBB111_197
; %bb.194:
	v_mov_b32_e32 v3, 0
	s_mov_b32 s1, 0
.LBB111_195:                            ; =>This Inner Loop Header: Depth=1
	scratch_load_b32 v101, v1, off
	ds_load_b32 v102, v2
	v_add_nc_u32_e32 v100, 1, v100
	v_add_nc_u32_e32 v2, 4, v2
	;; [unrolled: 1-line block ×3, first 2 shown]
	s_waitcnt vmcnt(0) lgkmcnt(0)
	v_fmac_f32_e32 v3, v101, v102
	v_cmp_lt_u32_e32 vcc_lo, 45, v100
	s_or_b32 s1, vcc_lo, s1
	s_delay_alu instid0(SALU_CYCLE_1)
	s_and_not1_b32 exec_lo, exec_lo, s1
	s_cbranch_execnz .LBB111_195
; %bb.196:
	s_or_b32 exec_lo, exec_lo, s1
	v_mov_b32_e32 v1, 0
	ds_load_b32 v1, v1 offset:188
	s_waitcnt lgkmcnt(0)
	v_mul_f32_e32 v1, v3, v1
	scratch_store_b32 off, v1, off offset:188
.LBB111_197:
	s_or_b32 exec_lo, exec_lo, s0
	s_mov_b32 s1, -1
	s_waitcnt_vscnt null, 0x0
	s_barrier
	buffer_gl0_inv
.LBB111_198:
	s_and_b32 vcc_lo, exec_lo, s1
	s_cbranch_vccz .LBB111_200
; %bb.199:
	s_lshl_b64 s[0:1], s[8:9], 2
	v_mov_b32_e32 v1, 0
	s_add_u32 s0, s6, s0
	s_addc_u32 s1, s7, s1
	global_load_b32 v1, v1, s[0:1]
	s_waitcnt vmcnt(0)
	v_cmp_ne_u32_e32 vcc_lo, 0, v1
	s_cbranch_vccz .LBB111_201
.LBB111_200:
	s_endpgm
.LBB111_201:
	v_lshl_add_u32 v1, v0, 2, 0xc0
	s_mov_b32 s0, exec_lo
	v_cmpx_eq_u32_e32 47, v0
	s_cbranch_execz .LBB111_203
; %bb.202:
	scratch_load_b32 v2, off, off offset:184
	v_mov_b32_e32 v3, 0
	scratch_store_b32 off, v3, off offset:184
	s_waitcnt vmcnt(0)
	ds_store_b32 v1, v2
.LBB111_203:
	s_or_b32 exec_lo, exec_lo, s0
	s_waitcnt lgkmcnt(0)
	s_waitcnt_vscnt null, 0x0
	s_barrier
	buffer_gl0_inv
	scratch_load_b64 v[100:101], off, off offset:184
	v_mov_b32_e32 v2, 0
	s_mov_b32 s0, exec_lo
	ds_load_b32 v3, v2 offset:380
	s_waitcnt vmcnt(0) lgkmcnt(0)
	v_fma_f32 v3, v101, v3, 0
	s_delay_alu instid0(VALU_DEP_1)
	v_sub_f32_e32 v3, v100, v3
	scratch_store_b32 off, v3, off offset:184
	v_cmpx_lt_u32_e32 45, v0
	s_cbranch_execz .LBB111_205
; %bb.204:
	scratch_load_b32 v3, off, off offset:180
	scratch_store_b32 off, v2, off offset:180
	s_waitcnt vmcnt(0)
	ds_store_b32 v1, v3
.LBB111_205:
	s_or_b32 exec_lo, exec_lo, s0
	s_waitcnt lgkmcnt(0)
	s_waitcnt_vscnt null, 0x0
	s_barrier
	buffer_gl0_inv
	scratch_load_b96 v[100:102], off, off offset:180
	ds_load_b64 v[2:3], v2 offset:376
	s_mov_b32 s0, exec_lo
	s_waitcnt vmcnt(0) lgkmcnt(0)
	v_fma_f32 v2, v101, v2, 0
	s_delay_alu instid0(VALU_DEP_1) | instskip(NEXT) | instid1(VALU_DEP_1)
	v_fmac_f32_e32 v2, v102, v3
	v_sub_f32_e32 v2, v100, v2
	scratch_store_b32 off, v2, off offset:180
	v_cmpx_lt_u32_e32 44, v0
	s_cbranch_execz .LBB111_207
; %bb.206:
	scratch_load_b32 v2, off, off offset:176
	v_mov_b32_e32 v3, 0
	scratch_store_b32 off, v3, off offset:176
	s_waitcnt vmcnt(0)
	ds_store_b32 v1, v2
.LBB111_207:
	s_or_b32 exec_lo, exec_lo, s0
	s_waitcnt lgkmcnt(0)
	s_waitcnt_vscnt null, 0x0
	s_barrier
	buffer_gl0_inv
	scratch_load_b128 v[100:103], off, off offset:176
	v_mov_b32_e32 v2, 0
	ds_load_2addr_b32 v[104:105], v2 offset0:93 offset1:94
	ds_load_b32 v3, v2 offset:380
	s_mov_b32 s0, exec_lo
	s_waitcnt vmcnt(0) lgkmcnt(1)
	v_fma_f32 v101, v101, v104, 0
	s_delay_alu instid0(VALU_DEP_1) | instskip(SKIP_1) | instid1(VALU_DEP_1)
	v_fmac_f32_e32 v101, v102, v105
	s_waitcnt lgkmcnt(0)
	v_fmac_f32_e32 v101, v103, v3
	s_delay_alu instid0(VALU_DEP_1)
	v_sub_f32_e32 v3, v100, v101
	scratch_store_b32 off, v3, off offset:176
	v_cmpx_lt_u32_e32 43, v0
	s_cbranch_execz .LBB111_209
; %bb.208:
	scratch_load_b32 v3, off, off offset:172
	scratch_store_b32 off, v2, off offset:172
	s_waitcnt vmcnt(0)
	ds_store_b32 v1, v3
.LBB111_209:
	s_or_b32 exec_lo, exec_lo, s0
	s_waitcnt lgkmcnt(0)
	s_waitcnt_vscnt null, 0x0
	s_barrier
	buffer_gl0_inv
	s_clause 0x1
	scratch_load_b128 v[100:103], off, off offset:172
	scratch_load_b32 v3, off, off offset:188
	ds_load_b128 v[104:107], v2 offset:368
	s_mov_b32 s0, exec_lo
	s_waitcnt vmcnt(1) lgkmcnt(0)
	v_fma_f32 v2, v101, v104, 0
	s_delay_alu instid0(VALU_DEP_1) | instskip(NEXT) | instid1(VALU_DEP_1)
	v_fmac_f32_e32 v2, v102, v105
	v_fmac_f32_e32 v2, v103, v106
	s_waitcnt vmcnt(0)
	s_delay_alu instid0(VALU_DEP_1) | instskip(NEXT) | instid1(VALU_DEP_1)
	v_fmac_f32_e32 v2, v3, v107
	v_sub_f32_e32 v2, v100, v2
	scratch_store_b32 off, v2, off offset:172
	v_cmpx_lt_u32_e32 42, v0
	s_cbranch_execz .LBB111_211
; %bb.210:
	scratch_load_b32 v2, off, off offset:168
	v_mov_b32_e32 v3, 0
	scratch_store_b32 off, v3, off offset:168
	s_waitcnt vmcnt(0)
	ds_store_b32 v1, v2
.LBB111_211:
	s_or_b32 exec_lo, exec_lo, s0
	s_waitcnt lgkmcnt(0)
	s_waitcnt_vscnt null, 0x0
	s_barrier
	buffer_gl0_inv
	s_clause 0x1
	scratch_load_b128 v[100:103], off, off offset:168
	scratch_load_b64 v[104:105], off, off offset:184
	v_mov_b32_e32 v2, 0
	ds_load_2addr_b32 v[106:107], v2 offset0:91 offset1:92
	ds_load_2addr_b32 v[108:109], v2 offset0:93 offset1:94
	ds_load_b32 v3, v2 offset:380
	s_mov_b32 s0, exec_lo
	s_waitcnt vmcnt(1) lgkmcnt(2)
	v_fma_f32 v101, v101, v106, 0
	s_delay_alu instid0(VALU_DEP_1) | instskip(SKIP_1) | instid1(VALU_DEP_1)
	v_fmac_f32_e32 v101, v102, v107
	s_waitcnt lgkmcnt(1)
	v_fmac_f32_e32 v101, v103, v108
	s_waitcnt vmcnt(0)
	s_delay_alu instid0(VALU_DEP_1) | instskip(SKIP_1) | instid1(VALU_DEP_1)
	v_fmac_f32_e32 v101, v104, v109
	s_waitcnt lgkmcnt(0)
	v_fmac_f32_e32 v101, v105, v3
	s_delay_alu instid0(VALU_DEP_1)
	v_sub_f32_e32 v3, v100, v101
	scratch_store_b32 off, v3, off offset:168
	v_cmpx_lt_u32_e32 41, v0
	s_cbranch_execz .LBB111_213
; %bb.212:
	scratch_load_b32 v3, off, off offset:164
	scratch_store_b32 off, v2, off offset:164
	s_waitcnt vmcnt(0)
	ds_store_b32 v1, v3
.LBB111_213:
	s_or_b32 exec_lo, exec_lo, s0
	s_waitcnt lgkmcnt(0)
	s_waitcnt_vscnt null, 0x0
	s_barrier
	buffer_gl0_inv
	s_clause 0x1
	scratch_load_b128 v[100:103], off, off offset:164
	scratch_load_b96 v[108:110], off, off offset:180
	ds_load_2addr_b64 v[104:107], v2 offset0:45 offset1:46
	ds_load_b64 v[2:3], v2 offset:376
	s_mov_b32 s0, exec_lo
	s_waitcnt vmcnt(1) lgkmcnt(1)
	v_fma_f32 v101, v101, v104, 0
	s_delay_alu instid0(VALU_DEP_1) | instskip(NEXT) | instid1(VALU_DEP_1)
	v_fmac_f32_e32 v101, v102, v105
	v_fmac_f32_e32 v101, v103, v106
	s_waitcnt vmcnt(0)
	s_delay_alu instid0(VALU_DEP_1) | instskip(SKIP_1) | instid1(VALU_DEP_1)
	v_fmac_f32_e32 v101, v108, v107
	s_waitcnt lgkmcnt(0)
	v_fmac_f32_e32 v101, v109, v2
	s_delay_alu instid0(VALU_DEP_1) | instskip(NEXT) | instid1(VALU_DEP_1)
	v_fmac_f32_e32 v101, v110, v3
	v_sub_f32_e32 v2, v100, v101
	scratch_store_b32 off, v2, off offset:164
	v_cmpx_lt_u32_e32 40, v0
	s_cbranch_execz .LBB111_215
; %bb.214:
	scratch_load_b32 v2, off, off offset:160
	v_mov_b32_e32 v3, 0
	scratch_store_b32 off, v3, off offset:160
	s_waitcnt vmcnt(0)
	ds_store_b32 v1, v2
.LBB111_215:
	s_or_b32 exec_lo, exec_lo, s0
	s_waitcnt lgkmcnt(0)
	s_waitcnt_vscnt null, 0x0
	s_barrier
	buffer_gl0_inv
	s_clause 0x1
	scratch_load_b128 v[100:103], off, off offset:160
	scratch_load_b128 v[104:107], off, off offset:176
	v_mov_b32_e32 v2, 0
	ds_load_2addr_b32 v[108:109], v2 offset0:89 offset1:90
	ds_load_2addr_b32 v[110:111], v2 offset0:91 offset1:92
	;; [unrolled: 1-line block ×3, first 2 shown]
	ds_load_b32 v3, v2 offset:380
	s_mov_b32 s0, exec_lo
	s_waitcnt vmcnt(1) lgkmcnt(3)
	v_fma_f32 v101, v101, v108, 0
	s_delay_alu instid0(VALU_DEP_1) | instskip(SKIP_1) | instid1(VALU_DEP_1)
	v_fmac_f32_e32 v101, v102, v109
	s_waitcnt lgkmcnt(2)
	v_fmac_f32_e32 v101, v103, v110
	s_waitcnt vmcnt(0)
	s_delay_alu instid0(VALU_DEP_1) | instskip(SKIP_1) | instid1(VALU_DEP_1)
	v_fmac_f32_e32 v101, v104, v111
	s_waitcnt lgkmcnt(1)
	v_fmac_f32_e32 v101, v105, v112
	s_delay_alu instid0(VALU_DEP_1) | instskip(SKIP_1) | instid1(VALU_DEP_1)
	v_fmac_f32_e32 v101, v106, v113
	s_waitcnt lgkmcnt(0)
	v_fmac_f32_e32 v101, v107, v3
	s_delay_alu instid0(VALU_DEP_1)
	v_sub_f32_e32 v3, v100, v101
	scratch_store_b32 off, v3, off offset:160
	v_cmpx_lt_u32_e32 39, v0
	s_cbranch_execz .LBB111_217
; %bb.216:
	scratch_load_b32 v3, off, off offset:156
	scratch_store_b32 off, v2, off offset:156
	s_waitcnt vmcnt(0)
	ds_store_b32 v1, v3
.LBB111_217:
	s_or_b32 exec_lo, exec_lo, s0
	s_waitcnt lgkmcnt(0)
	s_waitcnt_vscnt null, 0x0
	s_barrier
	buffer_gl0_inv
	s_clause 0x2
	scratch_load_b128 v[100:103], off, off offset:156
	scratch_load_b128 v[104:107], off, off offset:172
	scratch_load_b32 v3, off, off offset:188
	ds_load_b128 v[108:111], v2 offset:352
	ds_load_b128 v[112:115], v2 offset:368
	s_mov_b32 s0, exec_lo
	s_waitcnt vmcnt(2) lgkmcnt(1)
	v_fma_f32 v2, v101, v108, 0
	s_delay_alu instid0(VALU_DEP_1) | instskip(NEXT) | instid1(VALU_DEP_1)
	v_fmac_f32_e32 v2, v102, v109
	v_fmac_f32_e32 v2, v103, v110
	s_waitcnt vmcnt(1)
	s_delay_alu instid0(VALU_DEP_1) | instskip(SKIP_1) | instid1(VALU_DEP_1)
	v_fmac_f32_e32 v2, v104, v111
	s_waitcnt lgkmcnt(0)
	v_fmac_f32_e32 v2, v105, v112
	s_delay_alu instid0(VALU_DEP_1) | instskip(NEXT) | instid1(VALU_DEP_1)
	v_fmac_f32_e32 v2, v106, v113
	v_fmac_f32_e32 v2, v107, v114
	s_waitcnt vmcnt(0)
	s_delay_alu instid0(VALU_DEP_1) | instskip(NEXT) | instid1(VALU_DEP_1)
	v_fmac_f32_e32 v2, v3, v115
	v_sub_f32_e32 v2, v100, v2
	scratch_store_b32 off, v2, off offset:156
	v_cmpx_lt_u32_e32 38, v0
	s_cbranch_execz .LBB111_219
; %bb.218:
	scratch_load_b32 v2, off, off offset:152
	v_mov_b32_e32 v3, 0
	scratch_store_b32 off, v3, off offset:152
	s_waitcnt vmcnt(0)
	ds_store_b32 v1, v2
.LBB111_219:
	s_or_b32 exec_lo, exec_lo, s0
	s_waitcnt lgkmcnt(0)
	s_waitcnt_vscnt null, 0x0
	s_barrier
	buffer_gl0_inv
	s_clause 0x2
	scratch_load_b128 v[100:103], off, off offset:152
	scratch_load_b128 v[104:107], off, off offset:168
	scratch_load_b64 v[108:109], off, off offset:184
	v_mov_b32_e32 v2, 0
	ds_load_2addr_b32 v[110:111], v2 offset0:87 offset1:88
	ds_load_2addr_b32 v[112:113], v2 offset0:89 offset1:90
	;; [unrolled: 1-line block ×4, first 2 shown]
	s_mov_b32 s0, exec_lo
	s_waitcnt vmcnt(2) lgkmcnt(3)
	v_fma_f32 v3, v101, v110, 0
	s_delay_alu instid0(VALU_DEP_1) | instskip(SKIP_4) | instid1(VALU_DEP_1)
	v_fmac_f32_e32 v3, v102, v111
	ds_load_b32 v101, v2 offset:380
	s_waitcnt lgkmcnt(3)
	v_fmac_f32_e32 v3, v103, v112
	s_waitcnt vmcnt(1)
	v_fmac_f32_e32 v3, v104, v113
	s_waitcnt lgkmcnt(2)
	s_delay_alu instid0(VALU_DEP_1) | instskip(NEXT) | instid1(VALU_DEP_1)
	v_fmac_f32_e32 v3, v105, v114
	v_fmac_f32_e32 v3, v106, v115
	s_waitcnt lgkmcnt(1)
	s_delay_alu instid0(VALU_DEP_1) | instskip(SKIP_1) | instid1(VALU_DEP_1)
	v_fmac_f32_e32 v3, v107, v116
	s_waitcnt vmcnt(0)
	v_fmac_f32_e32 v3, v108, v117
	s_waitcnt lgkmcnt(0)
	s_delay_alu instid0(VALU_DEP_1) | instskip(NEXT) | instid1(VALU_DEP_1)
	v_fmac_f32_e32 v3, v109, v101
	v_sub_f32_e32 v3, v100, v3
	scratch_store_b32 off, v3, off offset:152
	v_cmpx_lt_u32_e32 37, v0
	s_cbranch_execz .LBB111_221
; %bb.220:
	scratch_load_b32 v3, off, off offset:148
	scratch_store_b32 off, v2, off offset:148
	s_waitcnt vmcnt(0)
	ds_store_b32 v1, v3
.LBB111_221:
	s_or_b32 exec_lo, exec_lo, s0
	s_waitcnt lgkmcnt(0)
	s_waitcnt_vscnt null, 0x0
	s_barrier
	buffer_gl0_inv
	s_clause 0x2
	scratch_load_b128 v[100:103], off, off offset:148
	scratch_load_b128 v[104:107], off, off offset:164
	scratch_load_b96 v[116:118], off, off offset:180
	ds_load_2addr_b64 v[108:111], v2 offset0:43 offset1:44
	ds_load_2addr_b64 v[112:115], v2 offset0:45 offset1:46
	ds_load_b64 v[2:3], v2 offset:376
	s_mov_b32 s0, exec_lo
	s_waitcnt vmcnt(2) lgkmcnt(2)
	v_fma_f32 v101, v101, v108, 0
	s_delay_alu instid0(VALU_DEP_1) | instskip(NEXT) | instid1(VALU_DEP_1)
	v_fmac_f32_e32 v101, v102, v109
	v_fmac_f32_e32 v101, v103, v110
	s_waitcnt vmcnt(1)
	s_delay_alu instid0(VALU_DEP_1) | instskip(SKIP_1) | instid1(VALU_DEP_1)
	v_fmac_f32_e32 v101, v104, v111
	s_waitcnt lgkmcnt(1)
	v_fmac_f32_e32 v101, v105, v112
	s_delay_alu instid0(VALU_DEP_1) | instskip(NEXT) | instid1(VALU_DEP_1)
	v_fmac_f32_e32 v101, v106, v113
	v_fmac_f32_e32 v101, v107, v114
	s_waitcnt vmcnt(0)
	s_delay_alu instid0(VALU_DEP_1) | instskip(SKIP_1) | instid1(VALU_DEP_1)
	v_fmac_f32_e32 v101, v116, v115
	s_waitcnt lgkmcnt(0)
	v_fmac_f32_e32 v101, v117, v2
	s_delay_alu instid0(VALU_DEP_1) | instskip(NEXT) | instid1(VALU_DEP_1)
	v_fmac_f32_e32 v101, v118, v3
	v_sub_f32_e32 v2, v100, v101
	scratch_store_b32 off, v2, off offset:148
	v_cmpx_lt_u32_e32 36, v0
	s_cbranch_execz .LBB111_223
; %bb.222:
	scratch_load_b32 v2, off, off offset:144
	v_mov_b32_e32 v3, 0
	scratch_store_b32 off, v3, off offset:144
	s_waitcnt vmcnt(0)
	ds_store_b32 v1, v2
.LBB111_223:
	s_or_b32 exec_lo, exec_lo, s0
	s_waitcnt lgkmcnt(0)
	s_waitcnt_vscnt null, 0x0
	s_barrier
	buffer_gl0_inv
	s_clause 0x2
	scratch_load_b128 v[100:103], off, off offset:144
	scratch_load_b128 v[104:107], off, off offset:160
	scratch_load_b128 v[108:111], off, off offset:176
	v_mov_b32_e32 v2, 0
	ds_load_2addr_b32 v[112:113], v2 offset0:85 offset1:86
	ds_load_2addr_b32 v[114:115], v2 offset0:87 offset1:88
	;; [unrolled: 1-line block ×4, first 2 shown]
	s_mov_b32 s0, exec_lo
	s_waitcnt vmcnt(2) lgkmcnt(3)
	v_fma_f32 v3, v101, v112, 0
	s_delay_alu instid0(VALU_DEP_1)
	v_fmac_f32_e32 v3, v102, v113
	ds_load_2addr_b32 v[101:102], v2 offset0:93 offset1:94
	s_waitcnt lgkmcnt(3)
	v_fmac_f32_e32 v3, v103, v114
	ds_load_b32 v103, v2 offset:380
	s_waitcnt vmcnt(1)
	v_fmac_f32_e32 v3, v104, v115
	s_waitcnt lgkmcnt(3)
	s_delay_alu instid0(VALU_DEP_1) | instskip(NEXT) | instid1(VALU_DEP_1)
	v_fmac_f32_e32 v3, v105, v116
	v_fmac_f32_e32 v3, v106, v117
	s_waitcnt lgkmcnt(2)
	s_delay_alu instid0(VALU_DEP_1) | instskip(SKIP_1) | instid1(VALU_DEP_1)
	v_fmac_f32_e32 v3, v107, v118
	s_waitcnt vmcnt(0)
	v_fmac_f32_e32 v3, v108, v119
	s_waitcnt lgkmcnt(1)
	s_delay_alu instid0(VALU_DEP_1) | instskip(NEXT) | instid1(VALU_DEP_1)
	v_fmac_f32_e32 v3, v109, v101
	v_fmac_f32_e32 v3, v110, v102
	s_waitcnt lgkmcnt(0)
	s_delay_alu instid0(VALU_DEP_1) | instskip(NEXT) | instid1(VALU_DEP_1)
	v_fmac_f32_e32 v3, v111, v103
	v_sub_f32_e32 v3, v100, v3
	scratch_store_b32 off, v3, off offset:144
	v_cmpx_lt_u32_e32 35, v0
	s_cbranch_execz .LBB111_225
; %bb.224:
	scratch_load_b32 v3, off, off offset:140
	scratch_store_b32 off, v2, off offset:140
	s_waitcnt vmcnt(0)
	ds_store_b32 v1, v3
.LBB111_225:
	s_or_b32 exec_lo, exec_lo, s0
	s_waitcnt lgkmcnt(0)
	s_waitcnt_vscnt null, 0x0
	s_barrier
	buffer_gl0_inv
	s_clause 0x3
	scratch_load_b128 v[100:103], off, off offset:140
	scratch_load_b128 v[104:107], off, off offset:156
	scratch_load_b128 v[108:111], off, off offset:172
	scratch_load_b32 v3, off, off offset:188
	ds_load_b128 v[112:115], v2 offset:336
	ds_load_b128 v[116:119], v2 offset:352
	s_mov_b32 s0, exec_lo
	s_waitcnt vmcnt(3) lgkmcnt(1)
	v_fma_f32 v112, v101, v112, 0
	s_delay_alu instid0(VALU_DEP_1) | instskip(NEXT) | instid1(VALU_DEP_1)
	v_fmac_f32_e32 v112, v102, v113
	v_fmac_f32_e32 v112, v103, v114
	s_waitcnt vmcnt(2)
	s_delay_alu instid0(VALU_DEP_1) | instskip(SKIP_3) | instid1(VALU_DEP_1)
	v_fmac_f32_e32 v112, v104, v115
	ds_load_b128 v[101:104], v2 offset:368
	s_waitcnt lgkmcnt(1)
	v_fmac_f32_e32 v112, v105, v116
	v_fmac_f32_e32 v112, v106, v117
	s_delay_alu instid0(VALU_DEP_1) | instskip(SKIP_1) | instid1(VALU_DEP_1)
	v_fmac_f32_e32 v112, v107, v118
	s_waitcnt vmcnt(1)
	v_fmac_f32_e32 v112, v108, v119
	s_waitcnt lgkmcnt(0)
	s_delay_alu instid0(VALU_DEP_1) | instskip(NEXT) | instid1(VALU_DEP_1)
	v_fmac_f32_e32 v112, v109, v101
	v_fmac_f32_e32 v112, v110, v102
	s_delay_alu instid0(VALU_DEP_1) | instskip(SKIP_1) | instid1(VALU_DEP_1)
	v_fmac_f32_e32 v112, v111, v103
	s_waitcnt vmcnt(0)
	v_fmac_f32_e32 v112, v3, v104
	s_delay_alu instid0(VALU_DEP_1)
	v_sub_f32_e32 v2, v100, v112
	scratch_store_b32 off, v2, off offset:140
	v_cmpx_lt_u32_e32 34, v0
	s_cbranch_execz .LBB111_227
; %bb.226:
	scratch_load_b32 v2, off, off offset:136
	v_mov_b32_e32 v3, 0
	scratch_store_b32 off, v3, off offset:136
	s_waitcnt vmcnt(0)
	ds_store_b32 v1, v2
.LBB111_227:
	s_or_b32 exec_lo, exec_lo, s0
	s_waitcnt lgkmcnt(0)
	s_waitcnt_vscnt null, 0x0
	s_barrier
	buffer_gl0_inv
	s_clause 0x3
	scratch_load_b128 v[100:103], off, off offset:136
	scratch_load_b128 v[104:107], off, off offset:152
	;; [unrolled: 1-line block ×3, first 2 shown]
	scratch_load_b64 v[112:113], off, off offset:184
	v_mov_b32_e32 v2, 0
	ds_load_2addr_b32 v[114:115], v2 offset0:83 offset1:84
	ds_load_2addr_b32 v[116:117], v2 offset0:85 offset1:86
	;; [unrolled: 1-line block ×4, first 2 shown]
	s_mov_b32 s0, exec_lo
	s_waitcnt vmcnt(3) lgkmcnt(3)
	v_fma_f32 v3, v101, v114, 0
	s_delay_alu instid0(VALU_DEP_1) | instskip(SKIP_4) | instid1(VALU_DEP_1)
	v_fmac_f32_e32 v3, v102, v115
	ds_load_2addr_b32 v[101:102], v2 offset0:91 offset1:92
	s_waitcnt lgkmcnt(3)
	v_fmac_f32_e32 v3, v103, v116
	s_waitcnt vmcnt(2)
	v_fmac_f32_e32 v3, v104, v117
	ds_load_2addr_b32 v[103:104], v2 offset0:93 offset1:94
	s_waitcnt lgkmcnt(3)
	v_fmac_f32_e32 v3, v105, v118
	ds_load_b32 v105, v2 offset:380
	v_fmac_f32_e32 v3, v106, v119
	s_waitcnt lgkmcnt(3)
	s_delay_alu instid0(VALU_DEP_1) | instskip(SKIP_1) | instid1(VALU_DEP_1)
	v_fmac_f32_e32 v3, v107, v120
	s_waitcnt vmcnt(1)
	v_fmac_f32_e32 v3, v108, v121
	s_waitcnt lgkmcnt(2)
	s_delay_alu instid0(VALU_DEP_1) | instskip(NEXT) | instid1(VALU_DEP_1)
	v_fmac_f32_e32 v3, v109, v101
	v_fmac_f32_e32 v3, v110, v102
	s_waitcnt lgkmcnt(1)
	s_delay_alu instid0(VALU_DEP_1) | instskip(SKIP_1) | instid1(VALU_DEP_1)
	v_fmac_f32_e32 v3, v111, v103
	s_waitcnt vmcnt(0)
	v_fmac_f32_e32 v3, v112, v104
	s_waitcnt lgkmcnt(0)
	s_delay_alu instid0(VALU_DEP_1) | instskip(NEXT) | instid1(VALU_DEP_1)
	v_fmac_f32_e32 v3, v113, v105
	v_sub_f32_e32 v3, v100, v3
	scratch_store_b32 off, v3, off offset:136
	v_cmpx_lt_u32_e32 33, v0
	s_cbranch_execz .LBB111_229
; %bb.228:
	scratch_load_b32 v3, off, off offset:132
	scratch_store_b32 off, v2, off offset:132
	s_waitcnt vmcnt(0)
	ds_store_b32 v1, v3
.LBB111_229:
	s_or_b32 exec_lo, exec_lo, s0
	s_waitcnt lgkmcnt(0)
	s_waitcnt_vscnt null, 0x0
	s_barrier
	buffer_gl0_inv
	s_clause 0x3
	scratch_load_b128 v[100:103], off, off offset:132
	scratch_load_b128 v[104:107], off, off offset:148
	;; [unrolled: 1-line block ×3, first 2 shown]
	scratch_load_b96 v[120:122], off, off offset:180
	ds_load_2addr_b64 v[112:115], v2 offset0:41 offset1:42
	ds_load_2addr_b64 v[116:119], v2 offset0:43 offset1:44
	s_mov_b32 s0, exec_lo
	s_waitcnt vmcnt(3) lgkmcnt(1)
	v_fma_f32 v112, v101, v112, 0
	s_delay_alu instid0(VALU_DEP_1) | instskip(NEXT) | instid1(VALU_DEP_1)
	v_fmac_f32_e32 v112, v102, v113
	v_fmac_f32_e32 v112, v103, v114
	s_waitcnt vmcnt(2)
	s_delay_alu instid0(VALU_DEP_1) | instskip(SKIP_4) | instid1(VALU_DEP_1)
	v_fmac_f32_e32 v112, v104, v115
	ds_load_2addr_b64 v[101:104], v2 offset0:45 offset1:46
	ds_load_b64 v[2:3], v2 offset:376
	s_waitcnt lgkmcnt(2)
	v_fmac_f32_e32 v112, v105, v116
	v_fmac_f32_e32 v112, v106, v117
	s_delay_alu instid0(VALU_DEP_1) | instskip(SKIP_1) | instid1(VALU_DEP_1)
	v_fmac_f32_e32 v112, v107, v118
	s_waitcnt vmcnt(1)
	v_fmac_f32_e32 v112, v108, v119
	s_waitcnt lgkmcnt(1)
	s_delay_alu instid0(VALU_DEP_1) | instskip(NEXT) | instid1(VALU_DEP_1)
	v_fmac_f32_e32 v112, v109, v101
	v_fmac_f32_e32 v112, v110, v102
	s_delay_alu instid0(VALU_DEP_1) | instskip(SKIP_1) | instid1(VALU_DEP_1)
	v_fmac_f32_e32 v112, v111, v103
	s_waitcnt vmcnt(0)
	v_fmac_f32_e32 v112, v120, v104
	s_waitcnt lgkmcnt(0)
	s_delay_alu instid0(VALU_DEP_1) | instskip(NEXT) | instid1(VALU_DEP_1)
	v_fmac_f32_e32 v112, v121, v2
	v_fmac_f32_e32 v112, v122, v3
	s_delay_alu instid0(VALU_DEP_1)
	v_sub_f32_e32 v2, v100, v112
	scratch_store_b32 off, v2, off offset:132
	v_cmpx_lt_u32_e32 32, v0
	s_cbranch_execz .LBB111_231
; %bb.230:
	scratch_load_b32 v2, off, off offset:128
	v_mov_b32_e32 v3, 0
	scratch_store_b32 off, v3, off offset:128
	s_waitcnt vmcnt(0)
	ds_store_b32 v1, v2
.LBB111_231:
	s_or_b32 exec_lo, exec_lo, s0
	s_waitcnt lgkmcnt(0)
	s_waitcnt_vscnt null, 0x0
	s_barrier
	buffer_gl0_inv
	s_clause 0x3
	scratch_load_b128 v[100:103], off, off offset:128
	scratch_load_b128 v[104:107], off, off offset:144
	;; [unrolled: 1-line block ×4, first 2 shown]
	v_mov_b32_e32 v2, 0
	ds_load_2addr_b32 v[116:117], v2 offset0:81 offset1:82
	ds_load_2addr_b32 v[118:119], v2 offset0:83 offset1:84
	;; [unrolled: 1-line block ×4, first 2 shown]
	s_mov_b32 s0, exec_lo
	s_waitcnt vmcnt(3) lgkmcnt(3)
	v_fma_f32 v3, v101, v116, 0
	s_delay_alu instid0(VALU_DEP_1) | instskip(SKIP_4) | instid1(VALU_DEP_1)
	v_fmac_f32_e32 v3, v102, v117
	ds_load_2addr_b32 v[101:102], v2 offset0:89 offset1:90
	s_waitcnt lgkmcnt(3)
	v_fmac_f32_e32 v3, v103, v118
	s_waitcnt vmcnt(2)
	v_fmac_f32_e32 v3, v104, v119
	ds_load_2addr_b32 v[103:104], v2 offset0:91 offset1:92
	s_waitcnt lgkmcnt(3)
	v_fmac_f32_e32 v3, v105, v120
	s_delay_alu instid0(VALU_DEP_1) | instskip(SKIP_1) | instid1(VALU_DEP_1)
	v_fmac_f32_e32 v3, v106, v121
	s_waitcnt lgkmcnt(2)
	v_fmac_f32_e32 v3, v107, v122
	ds_load_2addr_b32 v[105:106], v2 offset0:93 offset1:94
	ds_load_b32 v107, v2 offset:380
	s_waitcnt vmcnt(1)
	v_fmac_f32_e32 v3, v108, v123
	s_waitcnt lgkmcnt(3)
	s_delay_alu instid0(VALU_DEP_1) | instskip(NEXT) | instid1(VALU_DEP_1)
	v_fmac_f32_e32 v3, v109, v101
	v_fmac_f32_e32 v3, v110, v102
	s_waitcnt lgkmcnt(2)
	s_delay_alu instid0(VALU_DEP_1) | instskip(SKIP_1) | instid1(VALU_DEP_1)
	v_fmac_f32_e32 v3, v111, v103
	s_waitcnt vmcnt(0)
	v_fmac_f32_e32 v3, v112, v104
	s_waitcnt lgkmcnt(1)
	s_delay_alu instid0(VALU_DEP_1) | instskip(NEXT) | instid1(VALU_DEP_1)
	v_fmac_f32_e32 v3, v113, v105
	v_fmac_f32_e32 v3, v114, v106
	s_waitcnt lgkmcnt(0)
	s_delay_alu instid0(VALU_DEP_1) | instskip(NEXT) | instid1(VALU_DEP_1)
	v_fmac_f32_e32 v3, v115, v107
	v_sub_f32_e32 v3, v100, v3
	scratch_store_b32 off, v3, off offset:128
	v_cmpx_lt_u32_e32 31, v0
	s_cbranch_execz .LBB111_233
; %bb.232:
	scratch_load_b32 v3, off, off offset:124
	scratch_store_b32 off, v2, off offset:124
	s_waitcnt vmcnt(0)
	ds_store_b32 v1, v3
.LBB111_233:
	s_or_b32 exec_lo, exec_lo, s0
	s_waitcnt lgkmcnt(0)
	s_waitcnt_vscnt null, 0x0
	s_barrier
	buffer_gl0_inv
	s_clause 0x4
	scratch_load_b128 v[100:103], off, off offset:124
	scratch_load_b128 v[104:107], off, off offset:140
	;; [unrolled: 1-line block ×4, first 2 shown]
	scratch_load_b32 v3, off, off offset:188
	ds_load_b128 v[116:119], v2 offset:320
	ds_load_b128 v[120:123], v2 offset:336
	s_mov_b32 s0, exec_lo
	s_waitcnt vmcnt(4) lgkmcnt(1)
	v_fma_f32 v116, v101, v116, 0
	s_delay_alu instid0(VALU_DEP_1) | instskip(NEXT) | instid1(VALU_DEP_1)
	v_fmac_f32_e32 v116, v102, v117
	v_fmac_f32_e32 v116, v103, v118
	s_waitcnt vmcnt(3)
	s_delay_alu instid0(VALU_DEP_1) | instskip(SKIP_3) | instid1(VALU_DEP_1)
	v_fmac_f32_e32 v116, v104, v119
	ds_load_b128 v[101:104], v2 offset:352
	s_waitcnt lgkmcnt(1)
	v_fmac_f32_e32 v116, v105, v120
	v_fmac_f32_e32 v116, v106, v121
	s_delay_alu instid0(VALU_DEP_1) | instskip(SKIP_1) | instid1(VALU_DEP_1)
	v_fmac_f32_e32 v116, v107, v122
	s_waitcnt vmcnt(2)
	v_fmac_f32_e32 v116, v108, v123
	ds_load_b128 v[105:108], v2 offset:368
	s_waitcnt lgkmcnt(1)
	v_fmac_f32_e32 v116, v109, v101
	s_delay_alu instid0(VALU_DEP_1) | instskip(NEXT) | instid1(VALU_DEP_1)
	v_fmac_f32_e32 v116, v110, v102
	v_fmac_f32_e32 v116, v111, v103
	s_waitcnt vmcnt(1)
	s_delay_alu instid0(VALU_DEP_1) | instskip(SKIP_1) | instid1(VALU_DEP_1)
	v_fmac_f32_e32 v116, v112, v104
	s_waitcnt lgkmcnt(0)
	v_fmac_f32_e32 v116, v113, v105
	s_delay_alu instid0(VALU_DEP_1) | instskip(NEXT) | instid1(VALU_DEP_1)
	v_fmac_f32_e32 v116, v114, v106
	v_fmac_f32_e32 v116, v115, v107
	s_waitcnt vmcnt(0)
	s_delay_alu instid0(VALU_DEP_1) | instskip(NEXT) | instid1(VALU_DEP_1)
	v_fmac_f32_e32 v116, v3, v108
	v_sub_f32_e32 v2, v100, v116
	scratch_store_b32 off, v2, off offset:124
	v_cmpx_lt_u32_e32 30, v0
	s_cbranch_execz .LBB111_235
; %bb.234:
	scratch_load_b32 v2, off, off offset:120
	v_mov_b32_e32 v3, 0
	scratch_store_b32 off, v3, off offset:120
	s_waitcnt vmcnt(0)
	ds_store_b32 v1, v2
.LBB111_235:
	s_or_b32 exec_lo, exec_lo, s0
	s_waitcnt lgkmcnt(0)
	s_waitcnt_vscnt null, 0x0
	s_barrier
	buffer_gl0_inv
	s_clause 0x4
	scratch_load_b128 v[100:103], off, off offset:120
	scratch_load_b128 v[104:107], off, off offset:136
	;; [unrolled: 1-line block ×4, first 2 shown]
	scratch_load_b64 v[116:117], off, off offset:184
	v_mov_b32_e32 v2, 0
	ds_load_2addr_b32 v[118:119], v2 offset0:79 offset1:80
	ds_load_2addr_b32 v[120:121], v2 offset0:81 offset1:82
	;; [unrolled: 1-line block ×4, first 2 shown]
	s_mov_b32 s0, exec_lo
	s_waitcnt vmcnt(4) lgkmcnt(3)
	v_fma_f32 v3, v101, v118, 0
	s_delay_alu instid0(VALU_DEP_1) | instskip(SKIP_4) | instid1(VALU_DEP_1)
	v_fmac_f32_e32 v3, v102, v119
	ds_load_2addr_b32 v[101:102], v2 offset0:87 offset1:88
	s_waitcnt lgkmcnt(3)
	v_fmac_f32_e32 v3, v103, v120
	s_waitcnt vmcnt(3)
	v_fmac_f32_e32 v3, v104, v121
	ds_load_2addr_b32 v[103:104], v2 offset0:89 offset1:90
	s_waitcnt lgkmcnt(3)
	v_fmac_f32_e32 v3, v105, v122
	s_delay_alu instid0(VALU_DEP_1) | instskip(SKIP_1) | instid1(VALU_DEP_1)
	v_fmac_f32_e32 v3, v106, v123
	s_waitcnt lgkmcnt(2)
	v_fmac_f32_e32 v3, v107, v124
	s_waitcnt vmcnt(2)
	s_delay_alu instid0(VALU_DEP_1)
	v_fmac_f32_e32 v3, v108, v125
	ds_load_2addr_b32 v[105:106], v2 offset0:91 offset1:92
	ds_load_2addr_b32 v[107:108], v2 offset0:93 offset1:94
	s_waitcnt lgkmcnt(3)
	v_fmac_f32_e32 v3, v109, v101
	ds_load_b32 v101, v2 offset:380
	v_fmac_f32_e32 v3, v110, v102
	s_waitcnt lgkmcnt(3)
	s_delay_alu instid0(VALU_DEP_1) | instskip(SKIP_1) | instid1(VALU_DEP_1)
	v_fmac_f32_e32 v3, v111, v103
	s_waitcnt vmcnt(1)
	v_fmac_f32_e32 v3, v112, v104
	s_waitcnt lgkmcnt(2)
	s_delay_alu instid0(VALU_DEP_1) | instskip(NEXT) | instid1(VALU_DEP_1)
	v_fmac_f32_e32 v3, v113, v105
	v_fmac_f32_e32 v3, v114, v106
	s_waitcnt lgkmcnt(1)
	s_delay_alu instid0(VALU_DEP_1) | instskip(SKIP_1) | instid1(VALU_DEP_1)
	v_fmac_f32_e32 v3, v115, v107
	s_waitcnt vmcnt(0)
	v_fmac_f32_e32 v3, v116, v108
	s_waitcnt lgkmcnt(0)
	s_delay_alu instid0(VALU_DEP_1) | instskip(NEXT) | instid1(VALU_DEP_1)
	v_fmac_f32_e32 v3, v117, v101
	v_sub_f32_e32 v3, v100, v3
	scratch_store_b32 off, v3, off offset:120
	v_cmpx_lt_u32_e32 29, v0
	s_cbranch_execz .LBB111_237
; %bb.236:
	scratch_load_b32 v3, off, off offset:116
	scratch_store_b32 off, v2, off offset:116
	s_waitcnt vmcnt(0)
	ds_store_b32 v1, v3
.LBB111_237:
	s_or_b32 exec_lo, exec_lo, s0
	s_waitcnt lgkmcnt(0)
	s_waitcnt_vscnt null, 0x0
	s_barrier
	buffer_gl0_inv
	s_clause 0x4
	scratch_load_b128 v[100:103], off, off offset:116
	scratch_load_b128 v[104:107], off, off offset:132
	;; [unrolled: 1-line block ×4, first 2 shown]
	scratch_load_b96 v[124:126], off, off offset:180
	ds_load_2addr_b64 v[116:119], v2 offset0:39 offset1:40
	ds_load_2addr_b64 v[120:123], v2 offset0:41 offset1:42
	s_mov_b32 s0, exec_lo
	s_waitcnt vmcnt(4) lgkmcnt(1)
	v_fma_f32 v116, v101, v116, 0
	s_delay_alu instid0(VALU_DEP_1) | instskip(NEXT) | instid1(VALU_DEP_1)
	v_fmac_f32_e32 v116, v102, v117
	v_fmac_f32_e32 v116, v103, v118
	s_waitcnt vmcnt(3)
	s_delay_alu instid0(VALU_DEP_1) | instskip(SKIP_3) | instid1(VALU_DEP_1)
	v_fmac_f32_e32 v116, v104, v119
	ds_load_2addr_b64 v[101:104], v2 offset0:43 offset1:44
	s_waitcnt lgkmcnt(1)
	v_fmac_f32_e32 v116, v105, v120
	v_fmac_f32_e32 v116, v106, v121
	s_delay_alu instid0(VALU_DEP_1) | instskip(SKIP_1) | instid1(VALU_DEP_1)
	v_fmac_f32_e32 v116, v107, v122
	s_waitcnt vmcnt(2)
	v_fmac_f32_e32 v116, v108, v123
	ds_load_2addr_b64 v[105:108], v2 offset0:45 offset1:46
	ds_load_b64 v[2:3], v2 offset:376
	s_waitcnt lgkmcnt(2)
	v_fmac_f32_e32 v116, v109, v101
	s_delay_alu instid0(VALU_DEP_1) | instskip(NEXT) | instid1(VALU_DEP_1)
	v_fmac_f32_e32 v116, v110, v102
	v_fmac_f32_e32 v116, v111, v103
	s_waitcnt vmcnt(1)
	s_delay_alu instid0(VALU_DEP_1) | instskip(SKIP_1) | instid1(VALU_DEP_1)
	v_fmac_f32_e32 v116, v112, v104
	s_waitcnt lgkmcnt(1)
	v_fmac_f32_e32 v116, v113, v105
	s_delay_alu instid0(VALU_DEP_1) | instskip(NEXT) | instid1(VALU_DEP_1)
	v_fmac_f32_e32 v116, v114, v106
	v_fmac_f32_e32 v116, v115, v107
	s_waitcnt vmcnt(0)
	s_delay_alu instid0(VALU_DEP_1) | instskip(SKIP_1) | instid1(VALU_DEP_1)
	v_fmac_f32_e32 v116, v124, v108
	s_waitcnt lgkmcnt(0)
	v_fmac_f32_e32 v116, v125, v2
	s_delay_alu instid0(VALU_DEP_1) | instskip(NEXT) | instid1(VALU_DEP_1)
	v_fmac_f32_e32 v116, v126, v3
	v_sub_f32_e32 v2, v100, v116
	scratch_store_b32 off, v2, off offset:116
	v_cmpx_lt_u32_e32 28, v0
	s_cbranch_execz .LBB111_239
; %bb.238:
	scratch_load_b32 v2, off, off offset:112
	v_mov_b32_e32 v3, 0
	scratch_store_b32 off, v3, off offset:112
	s_waitcnt vmcnt(0)
	ds_store_b32 v1, v2
.LBB111_239:
	s_or_b32 exec_lo, exec_lo, s0
	s_waitcnt lgkmcnt(0)
	s_waitcnt_vscnt null, 0x0
	s_barrier
	buffer_gl0_inv
	s_clause 0x4
	scratch_load_b128 v[100:103], off, off offset:112
	scratch_load_b128 v[104:107], off, off offset:128
	scratch_load_b128 v[108:111], off, off offset:144
	scratch_load_b128 v[112:115], off, off offset:160
	scratch_load_b128 v[116:119], off, off offset:176
	v_mov_b32_e32 v2, 0
	ds_load_2addr_b32 v[120:121], v2 offset0:77 offset1:78
	ds_load_2addr_b32 v[122:123], v2 offset0:79 offset1:80
	;; [unrolled: 1-line block ×4, first 2 shown]
	s_mov_b32 s0, exec_lo
	s_waitcnt vmcnt(4) lgkmcnt(3)
	v_fma_f32 v3, v101, v120, 0
	s_delay_alu instid0(VALU_DEP_1) | instskip(SKIP_4) | instid1(VALU_DEP_1)
	v_fmac_f32_e32 v3, v102, v121
	ds_load_2addr_b32 v[101:102], v2 offset0:85 offset1:86
	s_waitcnt lgkmcnt(3)
	v_fmac_f32_e32 v3, v103, v122
	s_waitcnt vmcnt(3)
	v_fmac_f32_e32 v3, v104, v123
	ds_load_2addr_b32 v[103:104], v2 offset0:87 offset1:88
	s_waitcnt lgkmcnt(3)
	v_fmac_f32_e32 v3, v105, v124
	s_delay_alu instid0(VALU_DEP_1) | instskip(SKIP_1) | instid1(VALU_DEP_1)
	v_fmac_f32_e32 v3, v106, v125
	s_waitcnt lgkmcnt(2)
	v_fmac_f32_e32 v3, v107, v126
	s_waitcnt vmcnt(2)
	s_delay_alu instid0(VALU_DEP_1) | instskip(SKIP_4) | instid1(VALU_DEP_1)
	v_fmac_f32_e32 v3, v108, v127
	ds_load_2addr_b32 v[105:106], v2 offset0:89 offset1:90
	ds_load_2addr_b32 v[107:108], v2 offset0:91 offset1:92
	s_waitcnt lgkmcnt(3)
	v_fmac_f32_e32 v3, v109, v101
	v_fmac_f32_e32 v3, v110, v102
	ds_load_2addr_b32 v[101:102], v2 offset0:93 offset1:94
	s_waitcnt lgkmcnt(3)
	v_fmac_f32_e32 v3, v111, v103
	ds_load_b32 v103, v2 offset:380
	s_waitcnt vmcnt(1)
	v_fmac_f32_e32 v3, v112, v104
	s_waitcnt lgkmcnt(3)
	s_delay_alu instid0(VALU_DEP_1) | instskip(NEXT) | instid1(VALU_DEP_1)
	v_fmac_f32_e32 v3, v113, v105
	v_fmac_f32_e32 v3, v114, v106
	s_waitcnt lgkmcnt(2)
	s_delay_alu instid0(VALU_DEP_1) | instskip(SKIP_1) | instid1(VALU_DEP_1)
	v_fmac_f32_e32 v3, v115, v107
	s_waitcnt vmcnt(0)
	v_fmac_f32_e32 v3, v116, v108
	s_waitcnt lgkmcnt(1)
	s_delay_alu instid0(VALU_DEP_1) | instskip(NEXT) | instid1(VALU_DEP_1)
	v_fmac_f32_e32 v3, v117, v101
	v_fmac_f32_e32 v3, v118, v102
	s_waitcnt lgkmcnt(0)
	s_delay_alu instid0(VALU_DEP_1) | instskip(NEXT) | instid1(VALU_DEP_1)
	v_fmac_f32_e32 v3, v119, v103
	v_sub_f32_e32 v3, v100, v3
	scratch_store_b32 off, v3, off offset:112
	v_cmpx_lt_u32_e32 27, v0
	s_cbranch_execz .LBB111_241
; %bb.240:
	scratch_load_b32 v3, off, off offset:108
	scratch_store_b32 off, v2, off offset:108
	s_waitcnt vmcnt(0)
	ds_store_b32 v1, v3
.LBB111_241:
	s_or_b32 exec_lo, exec_lo, s0
	s_waitcnt lgkmcnt(0)
	s_waitcnt_vscnt null, 0x0
	s_barrier
	buffer_gl0_inv
	s_clause 0x5
	scratch_load_b128 v[100:103], off, off offset:108
	scratch_load_b128 v[104:107], off, off offset:124
	;; [unrolled: 1-line block ×5, first 2 shown]
	scratch_load_b32 v3, off, off offset:188
	ds_load_b128 v[120:123], v2 offset:304
	ds_load_b128 v[124:127], v2 offset:320
	s_mov_b32 s0, exec_lo
	s_waitcnt vmcnt(5) lgkmcnt(1)
	v_fma_f32 v120, v101, v120, 0
	s_delay_alu instid0(VALU_DEP_1) | instskip(NEXT) | instid1(VALU_DEP_1)
	v_fmac_f32_e32 v120, v102, v121
	v_fmac_f32_e32 v120, v103, v122
	s_waitcnt vmcnt(4)
	s_delay_alu instid0(VALU_DEP_1) | instskip(SKIP_3) | instid1(VALU_DEP_1)
	v_fmac_f32_e32 v120, v104, v123
	ds_load_b128 v[101:104], v2 offset:336
	s_waitcnt lgkmcnt(1)
	v_fmac_f32_e32 v120, v105, v124
	v_fmac_f32_e32 v120, v106, v125
	s_delay_alu instid0(VALU_DEP_1) | instskip(SKIP_1) | instid1(VALU_DEP_1)
	v_fmac_f32_e32 v120, v107, v126
	s_waitcnt vmcnt(3)
	v_fmac_f32_e32 v120, v108, v127
	ds_load_b128 v[105:108], v2 offset:352
	s_waitcnt lgkmcnt(1)
	v_fmac_f32_e32 v120, v109, v101
	s_delay_alu instid0(VALU_DEP_1) | instskip(NEXT) | instid1(VALU_DEP_1)
	v_fmac_f32_e32 v120, v110, v102
	v_fmac_f32_e32 v120, v111, v103
	s_waitcnt vmcnt(2)
	s_delay_alu instid0(VALU_DEP_1) | instskip(SKIP_3) | instid1(VALU_DEP_1)
	v_fmac_f32_e32 v120, v112, v104
	ds_load_b128 v[101:104], v2 offset:368
	s_waitcnt lgkmcnt(1)
	v_fmac_f32_e32 v120, v113, v105
	v_fmac_f32_e32 v120, v114, v106
	s_delay_alu instid0(VALU_DEP_1) | instskip(SKIP_1) | instid1(VALU_DEP_1)
	v_fmac_f32_e32 v120, v115, v107
	s_waitcnt vmcnt(1)
	v_fmac_f32_e32 v120, v116, v108
	s_waitcnt lgkmcnt(0)
	s_delay_alu instid0(VALU_DEP_1) | instskip(NEXT) | instid1(VALU_DEP_1)
	v_fmac_f32_e32 v120, v117, v101
	v_fmac_f32_e32 v120, v118, v102
	s_delay_alu instid0(VALU_DEP_1) | instskip(SKIP_1) | instid1(VALU_DEP_1)
	v_fmac_f32_e32 v120, v119, v103
	s_waitcnt vmcnt(0)
	v_fmac_f32_e32 v120, v3, v104
	s_delay_alu instid0(VALU_DEP_1)
	v_sub_f32_e32 v2, v100, v120
	scratch_store_b32 off, v2, off offset:108
	v_cmpx_lt_u32_e32 26, v0
	s_cbranch_execz .LBB111_243
; %bb.242:
	scratch_load_b32 v2, off, off offset:104
	v_mov_b32_e32 v3, 0
	scratch_store_b32 off, v3, off offset:104
	s_waitcnt vmcnt(0)
	ds_store_b32 v1, v2
.LBB111_243:
	s_or_b32 exec_lo, exec_lo, s0
	s_waitcnt lgkmcnt(0)
	s_waitcnt_vscnt null, 0x0
	s_barrier
	buffer_gl0_inv
	s_clause 0x5
	scratch_load_b128 v[100:103], off, off offset:104
	scratch_load_b128 v[104:107], off, off offset:120
	;; [unrolled: 1-line block ×5, first 2 shown]
	scratch_load_b64 v[120:121], off, off offset:184
	v_mov_b32_e32 v2, 0
	ds_load_2addr_b32 v[122:123], v2 offset0:75 offset1:76
	ds_load_2addr_b32 v[124:125], v2 offset0:77 offset1:78
	;; [unrolled: 1-line block ×4, first 2 shown]
	s_mov_b32 s0, exec_lo
	s_waitcnt vmcnt(5) lgkmcnt(3)
	v_fma_f32 v3, v101, v122, 0
	s_delay_alu instid0(VALU_DEP_1) | instskip(SKIP_4) | instid1(VALU_DEP_1)
	v_fmac_f32_e32 v3, v102, v123
	ds_load_2addr_b32 v[101:102], v2 offset0:83 offset1:84
	s_waitcnt lgkmcnt(3)
	v_fmac_f32_e32 v3, v103, v124
	s_waitcnt vmcnt(4)
	v_fmac_f32_e32 v3, v104, v125
	ds_load_2addr_b32 v[103:104], v2 offset0:85 offset1:86
	s_waitcnt lgkmcnt(3)
	v_fmac_f32_e32 v3, v105, v126
	s_delay_alu instid0(VALU_DEP_1) | instskip(SKIP_1) | instid1(VALU_DEP_1)
	v_fmac_f32_e32 v3, v106, v127
	s_waitcnt lgkmcnt(2)
	v_fmac_f32_e32 v3, v107, v128
	s_waitcnt vmcnt(3)
	s_delay_alu instid0(VALU_DEP_1) | instskip(SKIP_4) | instid1(VALU_DEP_1)
	v_fmac_f32_e32 v3, v108, v129
	ds_load_2addr_b32 v[105:106], v2 offset0:87 offset1:88
	ds_load_2addr_b32 v[107:108], v2 offset0:89 offset1:90
	s_waitcnt lgkmcnt(3)
	v_fmac_f32_e32 v3, v109, v101
	v_fmac_f32_e32 v3, v110, v102
	ds_load_2addr_b32 v[101:102], v2 offset0:91 offset1:92
	s_waitcnt lgkmcnt(3)
	v_fmac_f32_e32 v3, v111, v103
	s_waitcnt vmcnt(2)
	s_delay_alu instid0(VALU_DEP_1)
	v_fmac_f32_e32 v3, v112, v104
	ds_load_2addr_b32 v[103:104], v2 offset0:93 offset1:94
	s_waitcnt lgkmcnt(3)
	v_fmac_f32_e32 v3, v113, v105
	ds_load_b32 v105, v2 offset:380
	v_fmac_f32_e32 v3, v114, v106
	s_waitcnt lgkmcnt(3)
	s_delay_alu instid0(VALU_DEP_1) | instskip(SKIP_1) | instid1(VALU_DEP_1)
	v_fmac_f32_e32 v3, v115, v107
	s_waitcnt vmcnt(1)
	v_fmac_f32_e32 v3, v116, v108
	s_waitcnt lgkmcnt(2)
	s_delay_alu instid0(VALU_DEP_1) | instskip(NEXT) | instid1(VALU_DEP_1)
	v_fmac_f32_e32 v3, v117, v101
	v_fmac_f32_e32 v3, v118, v102
	s_waitcnt lgkmcnt(1)
	s_delay_alu instid0(VALU_DEP_1) | instskip(SKIP_1) | instid1(VALU_DEP_1)
	v_fmac_f32_e32 v3, v119, v103
	s_waitcnt vmcnt(0)
	v_fmac_f32_e32 v3, v120, v104
	s_waitcnt lgkmcnt(0)
	s_delay_alu instid0(VALU_DEP_1) | instskip(NEXT) | instid1(VALU_DEP_1)
	v_fmac_f32_e32 v3, v121, v105
	v_sub_f32_e32 v3, v100, v3
	scratch_store_b32 off, v3, off offset:104
	v_cmpx_lt_u32_e32 25, v0
	s_cbranch_execz .LBB111_245
; %bb.244:
	scratch_load_b32 v3, off, off offset:100
	scratch_store_b32 off, v2, off offset:100
	s_waitcnt vmcnt(0)
	ds_store_b32 v1, v3
.LBB111_245:
	s_or_b32 exec_lo, exec_lo, s0
	s_waitcnt lgkmcnt(0)
	s_waitcnt_vscnt null, 0x0
	s_barrier
	buffer_gl0_inv
	s_clause 0x5
	scratch_load_b128 v[100:103], off, off offset:100
	scratch_load_b128 v[104:107], off, off offset:116
	;; [unrolled: 1-line block ×5, first 2 shown]
	scratch_load_b96 v[128:130], off, off offset:180
	ds_load_2addr_b64 v[120:123], v2 offset0:37 offset1:38
	ds_load_2addr_b64 v[124:127], v2 offset0:39 offset1:40
	s_mov_b32 s0, exec_lo
	s_waitcnt vmcnt(5) lgkmcnt(1)
	v_fma_f32 v120, v101, v120, 0
	s_delay_alu instid0(VALU_DEP_1) | instskip(NEXT) | instid1(VALU_DEP_1)
	v_fmac_f32_e32 v120, v102, v121
	v_fmac_f32_e32 v120, v103, v122
	s_waitcnt vmcnt(4)
	s_delay_alu instid0(VALU_DEP_1) | instskip(SKIP_3) | instid1(VALU_DEP_1)
	v_fmac_f32_e32 v120, v104, v123
	ds_load_2addr_b64 v[101:104], v2 offset0:41 offset1:42
	s_waitcnt lgkmcnt(1)
	v_fmac_f32_e32 v120, v105, v124
	v_fmac_f32_e32 v120, v106, v125
	s_delay_alu instid0(VALU_DEP_1) | instskip(SKIP_1) | instid1(VALU_DEP_1)
	v_fmac_f32_e32 v120, v107, v126
	s_waitcnt vmcnt(3)
	v_fmac_f32_e32 v120, v108, v127
	ds_load_2addr_b64 v[105:108], v2 offset0:43 offset1:44
	s_waitcnt lgkmcnt(1)
	v_fmac_f32_e32 v120, v109, v101
	s_delay_alu instid0(VALU_DEP_1) | instskip(NEXT) | instid1(VALU_DEP_1)
	v_fmac_f32_e32 v120, v110, v102
	v_fmac_f32_e32 v120, v111, v103
	s_waitcnt vmcnt(2)
	s_delay_alu instid0(VALU_DEP_1) | instskip(SKIP_4) | instid1(VALU_DEP_1)
	v_fmac_f32_e32 v120, v112, v104
	ds_load_2addr_b64 v[101:104], v2 offset0:45 offset1:46
	ds_load_b64 v[2:3], v2 offset:376
	s_waitcnt lgkmcnt(2)
	v_fmac_f32_e32 v120, v113, v105
	v_fmac_f32_e32 v120, v114, v106
	s_delay_alu instid0(VALU_DEP_1) | instskip(SKIP_1) | instid1(VALU_DEP_1)
	v_fmac_f32_e32 v120, v115, v107
	s_waitcnt vmcnt(1)
	v_fmac_f32_e32 v120, v116, v108
	s_waitcnt lgkmcnt(1)
	s_delay_alu instid0(VALU_DEP_1) | instskip(NEXT) | instid1(VALU_DEP_1)
	v_fmac_f32_e32 v120, v117, v101
	v_fmac_f32_e32 v120, v118, v102
	s_delay_alu instid0(VALU_DEP_1) | instskip(SKIP_1) | instid1(VALU_DEP_1)
	v_fmac_f32_e32 v120, v119, v103
	s_waitcnt vmcnt(0)
	v_fmac_f32_e32 v120, v128, v104
	s_waitcnt lgkmcnt(0)
	s_delay_alu instid0(VALU_DEP_1) | instskip(NEXT) | instid1(VALU_DEP_1)
	v_fmac_f32_e32 v120, v129, v2
	v_fmac_f32_e32 v120, v130, v3
	s_delay_alu instid0(VALU_DEP_1)
	v_sub_f32_e32 v2, v100, v120
	scratch_store_b32 off, v2, off offset:100
	v_cmpx_lt_u32_e32 24, v0
	s_cbranch_execz .LBB111_247
; %bb.246:
	scratch_load_b32 v2, off, off offset:96
	v_mov_b32_e32 v3, 0
	scratch_store_b32 off, v3, off offset:96
	s_waitcnt vmcnt(0)
	ds_store_b32 v1, v2
.LBB111_247:
	s_or_b32 exec_lo, exec_lo, s0
	s_waitcnt lgkmcnt(0)
	s_waitcnt_vscnt null, 0x0
	s_barrier
	buffer_gl0_inv
	s_clause 0x5
	scratch_load_b128 v[100:103], off, off offset:96
	scratch_load_b128 v[104:107], off, off offset:112
	scratch_load_b128 v[108:111], off, off offset:128
	scratch_load_b128 v[112:115], off, off offset:144
	scratch_load_b128 v[116:119], off, off offset:160
	scratch_load_b128 v[120:123], off, off offset:176
	v_mov_b32_e32 v2, 0
	ds_load_2addr_b32 v[124:125], v2 offset0:73 offset1:74
	ds_load_2addr_b32 v[126:127], v2 offset0:75 offset1:76
	;; [unrolled: 1-line block ×4, first 2 shown]
	s_mov_b32 s0, exec_lo
	s_waitcnt vmcnt(5) lgkmcnt(3)
	v_fma_f32 v3, v101, v124, 0
	s_delay_alu instid0(VALU_DEP_1) | instskip(SKIP_4) | instid1(VALU_DEP_1)
	v_fmac_f32_e32 v3, v102, v125
	ds_load_2addr_b32 v[101:102], v2 offset0:81 offset1:82
	s_waitcnt lgkmcnt(3)
	v_fmac_f32_e32 v3, v103, v126
	s_waitcnt vmcnt(4)
	v_fmac_f32_e32 v3, v104, v127
	ds_load_2addr_b32 v[103:104], v2 offset0:83 offset1:84
	s_waitcnt lgkmcnt(3)
	v_fmac_f32_e32 v3, v105, v128
	s_delay_alu instid0(VALU_DEP_1) | instskip(SKIP_1) | instid1(VALU_DEP_1)
	v_fmac_f32_e32 v3, v106, v129
	s_waitcnt lgkmcnt(2)
	v_fmac_f32_e32 v3, v107, v130
	s_waitcnt vmcnt(3)
	s_delay_alu instid0(VALU_DEP_1) | instskip(SKIP_4) | instid1(VALU_DEP_1)
	v_fmac_f32_e32 v3, v108, v131
	ds_load_2addr_b32 v[105:106], v2 offset0:85 offset1:86
	ds_load_2addr_b32 v[107:108], v2 offset0:87 offset1:88
	s_waitcnt lgkmcnt(3)
	v_fmac_f32_e32 v3, v109, v101
	v_fmac_f32_e32 v3, v110, v102
	ds_load_2addr_b32 v[101:102], v2 offset0:89 offset1:90
	s_waitcnt lgkmcnt(3)
	v_fmac_f32_e32 v3, v111, v103
	s_waitcnt vmcnt(2)
	s_delay_alu instid0(VALU_DEP_1) | instskip(SKIP_3) | instid1(VALU_DEP_1)
	v_fmac_f32_e32 v3, v112, v104
	ds_load_2addr_b32 v[103:104], v2 offset0:91 offset1:92
	s_waitcnt lgkmcnt(3)
	v_fmac_f32_e32 v3, v113, v105
	v_fmac_f32_e32 v3, v114, v106
	s_waitcnt lgkmcnt(2)
	s_delay_alu instid0(VALU_DEP_1)
	v_fmac_f32_e32 v3, v115, v107
	ds_load_2addr_b32 v[105:106], v2 offset0:93 offset1:94
	ds_load_b32 v107, v2 offset:380
	s_waitcnt vmcnt(1)
	v_fmac_f32_e32 v3, v116, v108
	s_waitcnt lgkmcnt(3)
	s_delay_alu instid0(VALU_DEP_1) | instskip(NEXT) | instid1(VALU_DEP_1)
	v_fmac_f32_e32 v3, v117, v101
	v_fmac_f32_e32 v3, v118, v102
	s_waitcnt lgkmcnt(2)
	s_delay_alu instid0(VALU_DEP_1) | instskip(SKIP_1) | instid1(VALU_DEP_1)
	v_fmac_f32_e32 v3, v119, v103
	s_waitcnt vmcnt(0)
	v_fmac_f32_e32 v3, v120, v104
	s_waitcnt lgkmcnt(1)
	s_delay_alu instid0(VALU_DEP_1) | instskip(NEXT) | instid1(VALU_DEP_1)
	v_fmac_f32_e32 v3, v121, v105
	v_fmac_f32_e32 v3, v122, v106
	s_waitcnt lgkmcnt(0)
	s_delay_alu instid0(VALU_DEP_1) | instskip(NEXT) | instid1(VALU_DEP_1)
	v_fmac_f32_e32 v3, v123, v107
	v_sub_f32_e32 v3, v100, v3
	scratch_store_b32 off, v3, off offset:96
	v_cmpx_lt_u32_e32 23, v0
	s_cbranch_execz .LBB111_249
; %bb.248:
	scratch_load_b32 v3, off, off offset:92
	scratch_store_b32 off, v2, off offset:92
	s_waitcnt vmcnt(0)
	ds_store_b32 v1, v3
.LBB111_249:
	s_or_b32 exec_lo, exec_lo, s0
	s_waitcnt lgkmcnt(0)
	s_waitcnt_vscnt null, 0x0
	s_barrier
	buffer_gl0_inv
	s_clause 0x6
	scratch_load_b128 v[100:103], off, off offset:92
	scratch_load_b128 v[104:107], off, off offset:108
	;; [unrolled: 1-line block ×6, first 2 shown]
	scratch_load_b32 v3, off, off offset:188
	ds_load_b128 v[124:127], v2 offset:288
	ds_load_b128 v[128:131], v2 offset:304
	s_mov_b32 s0, exec_lo
	s_waitcnt vmcnt(6) lgkmcnt(1)
	v_fma_f32 v124, v101, v124, 0
	s_delay_alu instid0(VALU_DEP_1) | instskip(NEXT) | instid1(VALU_DEP_1)
	v_fmac_f32_e32 v124, v102, v125
	v_fmac_f32_e32 v124, v103, v126
	s_waitcnt vmcnt(5)
	s_delay_alu instid0(VALU_DEP_1) | instskip(SKIP_3) | instid1(VALU_DEP_1)
	v_fmac_f32_e32 v124, v104, v127
	ds_load_b128 v[101:104], v2 offset:320
	s_waitcnt lgkmcnt(1)
	v_fmac_f32_e32 v124, v105, v128
	v_fmac_f32_e32 v124, v106, v129
	s_delay_alu instid0(VALU_DEP_1) | instskip(SKIP_1) | instid1(VALU_DEP_1)
	v_fmac_f32_e32 v124, v107, v130
	s_waitcnt vmcnt(4)
	v_fmac_f32_e32 v124, v108, v131
	ds_load_b128 v[105:108], v2 offset:336
	s_waitcnt lgkmcnt(1)
	v_fmac_f32_e32 v124, v109, v101
	s_delay_alu instid0(VALU_DEP_1) | instskip(NEXT) | instid1(VALU_DEP_1)
	v_fmac_f32_e32 v124, v110, v102
	v_fmac_f32_e32 v124, v111, v103
	s_waitcnt vmcnt(3)
	s_delay_alu instid0(VALU_DEP_1) | instskip(SKIP_3) | instid1(VALU_DEP_1)
	v_fmac_f32_e32 v124, v112, v104
	ds_load_b128 v[101:104], v2 offset:352
	s_waitcnt lgkmcnt(1)
	v_fmac_f32_e32 v124, v113, v105
	v_fmac_f32_e32 v124, v114, v106
	s_delay_alu instid0(VALU_DEP_1) | instskip(SKIP_1) | instid1(VALU_DEP_1)
	v_fmac_f32_e32 v124, v115, v107
	s_waitcnt vmcnt(2)
	v_fmac_f32_e32 v124, v116, v108
	ds_load_b128 v[105:108], v2 offset:368
	s_waitcnt lgkmcnt(1)
	v_fmac_f32_e32 v124, v117, v101
	s_delay_alu instid0(VALU_DEP_1) | instskip(NEXT) | instid1(VALU_DEP_1)
	v_fmac_f32_e32 v124, v118, v102
	v_fmac_f32_e32 v124, v119, v103
	s_waitcnt vmcnt(1)
	s_delay_alu instid0(VALU_DEP_1) | instskip(SKIP_1) | instid1(VALU_DEP_1)
	v_fmac_f32_e32 v124, v120, v104
	s_waitcnt lgkmcnt(0)
	v_fmac_f32_e32 v124, v121, v105
	s_delay_alu instid0(VALU_DEP_1) | instskip(NEXT) | instid1(VALU_DEP_1)
	v_fmac_f32_e32 v124, v122, v106
	v_fmac_f32_e32 v124, v123, v107
	s_waitcnt vmcnt(0)
	s_delay_alu instid0(VALU_DEP_1) | instskip(NEXT) | instid1(VALU_DEP_1)
	v_fmac_f32_e32 v124, v3, v108
	v_sub_f32_e32 v2, v100, v124
	scratch_store_b32 off, v2, off offset:92
	v_cmpx_lt_u32_e32 22, v0
	s_cbranch_execz .LBB111_251
; %bb.250:
	scratch_load_b32 v2, off, off offset:88
	v_mov_b32_e32 v3, 0
	scratch_store_b32 off, v3, off offset:88
	s_waitcnt vmcnt(0)
	ds_store_b32 v1, v2
.LBB111_251:
	s_or_b32 exec_lo, exec_lo, s0
	s_waitcnt lgkmcnt(0)
	s_waitcnt_vscnt null, 0x0
	s_barrier
	buffer_gl0_inv
	s_clause 0x6
	scratch_load_b128 v[100:103], off, off offset:88
	scratch_load_b128 v[104:107], off, off offset:104
	scratch_load_b128 v[108:111], off, off offset:120
	scratch_load_b128 v[112:115], off, off offset:136
	scratch_load_b128 v[116:119], off, off offset:152
	scratch_load_b128 v[120:123], off, off offset:168
	scratch_load_b64 v[124:125], off, off offset:184
	v_mov_b32_e32 v2, 0
	ds_load_2addr_b32 v[126:127], v2 offset0:71 offset1:72
	ds_load_2addr_b32 v[128:129], v2 offset0:73 offset1:74
	;; [unrolled: 1-line block ×4, first 2 shown]
	s_mov_b32 s0, exec_lo
	s_waitcnt vmcnt(6) lgkmcnt(3)
	v_fma_f32 v3, v101, v126, 0
	s_delay_alu instid0(VALU_DEP_1) | instskip(SKIP_4) | instid1(VALU_DEP_1)
	v_fmac_f32_e32 v3, v102, v127
	ds_load_2addr_b32 v[101:102], v2 offset0:79 offset1:80
	s_waitcnt lgkmcnt(3)
	v_fmac_f32_e32 v3, v103, v128
	s_waitcnt vmcnt(5)
	v_fmac_f32_e32 v3, v104, v129
	ds_load_2addr_b32 v[103:104], v2 offset0:81 offset1:82
	s_waitcnt lgkmcnt(3)
	v_fmac_f32_e32 v3, v105, v130
	s_delay_alu instid0(VALU_DEP_1) | instskip(SKIP_1) | instid1(VALU_DEP_1)
	v_fmac_f32_e32 v3, v106, v131
	s_waitcnt lgkmcnt(2)
	v_fmac_f32_e32 v3, v107, v132
	s_waitcnt vmcnt(4)
	s_delay_alu instid0(VALU_DEP_1) | instskip(SKIP_4) | instid1(VALU_DEP_1)
	v_fmac_f32_e32 v3, v108, v133
	ds_load_2addr_b32 v[105:106], v2 offset0:83 offset1:84
	ds_load_2addr_b32 v[107:108], v2 offset0:85 offset1:86
	s_waitcnt lgkmcnt(3)
	v_fmac_f32_e32 v3, v109, v101
	v_fmac_f32_e32 v3, v110, v102
	ds_load_2addr_b32 v[101:102], v2 offset0:87 offset1:88
	s_waitcnt lgkmcnt(3)
	v_fmac_f32_e32 v3, v111, v103
	s_waitcnt vmcnt(3)
	s_delay_alu instid0(VALU_DEP_1) | instskip(SKIP_3) | instid1(VALU_DEP_1)
	v_fmac_f32_e32 v3, v112, v104
	ds_load_2addr_b32 v[103:104], v2 offset0:89 offset1:90
	s_waitcnt lgkmcnt(3)
	v_fmac_f32_e32 v3, v113, v105
	v_fmac_f32_e32 v3, v114, v106
	s_waitcnt lgkmcnt(2)
	s_delay_alu instid0(VALU_DEP_1) | instskip(SKIP_1) | instid1(VALU_DEP_1)
	v_fmac_f32_e32 v3, v115, v107
	s_waitcnt vmcnt(2)
	v_fmac_f32_e32 v3, v116, v108
	ds_load_2addr_b32 v[105:106], v2 offset0:91 offset1:92
	ds_load_2addr_b32 v[107:108], v2 offset0:93 offset1:94
	s_waitcnt lgkmcnt(3)
	v_fmac_f32_e32 v3, v117, v101
	ds_load_b32 v101, v2 offset:380
	v_fmac_f32_e32 v3, v118, v102
	s_waitcnt lgkmcnt(3)
	s_delay_alu instid0(VALU_DEP_1) | instskip(SKIP_1) | instid1(VALU_DEP_1)
	v_fmac_f32_e32 v3, v119, v103
	s_waitcnt vmcnt(1)
	v_fmac_f32_e32 v3, v120, v104
	s_waitcnt lgkmcnt(2)
	s_delay_alu instid0(VALU_DEP_1) | instskip(NEXT) | instid1(VALU_DEP_1)
	v_fmac_f32_e32 v3, v121, v105
	v_fmac_f32_e32 v3, v122, v106
	s_waitcnt lgkmcnt(1)
	s_delay_alu instid0(VALU_DEP_1) | instskip(SKIP_1) | instid1(VALU_DEP_1)
	v_fmac_f32_e32 v3, v123, v107
	s_waitcnt vmcnt(0)
	v_fmac_f32_e32 v3, v124, v108
	s_waitcnt lgkmcnt(0)
	s_delay_alu instid0(VALU_DEP_1) | instskip(NEXT) | instid1(VALU_DEP_1)
	v_fmac_f32_e32 v3, v125, v101
	v_sub_f32_e32 v3, v100, v3
	scratch_store_b32 off, v3, off offset:88
	v_cmpx_lt_u32_e32 21, v0
	s_cbranch_execz .LBB111_253
; %bb.252:
	scratch_load_b32 v3, off, off offset:84
	scratch_store_b32 off, v2, off offset:84
	s_waitcnt vmcnt(0)
	ds_store_b32 v1, v3
.LBB111_253:
	s_or_b32 exec_lo, exec_lo, s0
	s_waitcnt lgkmcnt(0)
	s_waitcnt_vscnt null, 0x0
	s_barrier
	buffer_gl0_inv
	s_clause 0x6
	scratch_load_b128 v[100:103], off, off offset:84
	scratch_load_b128 v[104:107], off, off offset:100
	;; [unrolled: 1-line block ×6, first 2 shown]
	scratch_load_b96 v[132:134], off, off offset:180
	ds_load_2addr_b64 v[124:127], v2 offset0:35 offset1:36
	ds_load_2addr_b64 v[128:131], v2 offset0:37 offset1:38
	s_mov_b32 s0, exec_lo
	s_waitcnt vmcnt(6) lgkmcnt(1)
	v_fma_f32 v124, v101, v124, 0
	s_delay_alu instid0(VALU_DEP_1) | instskip(NEXT) | instid1(VALU_DEP_1)
	v_fmac_f32_e32 v124, v102, v125
	v_fmac_f32_e32 v124, v103, v126
	s_waitcnt vmcnt(5)
	s_delay_alu instid0(VALU_DEP_1) | instskip(SKIP_3) | instid1(VALU_DEP_1)
	v_fmac_f32_e32 v124, v104, v127
	ds_load_2addr_b64 v[101:104], v2 offset0:39 offset1:40
	s_waitcnt lgkmcnt(1)
	v_fmac_f32_e32 v124, v105, v128
	v_fmac_f32_e32 v124, v106, v129
	s_delay_alu instid0(VALU_DEP_1) | instskip(SKIP_1) | instid1(VALU_DEP_1)
	v_fmac_f32_e32 v124, v107, v130
	s_waitcnt vmcnt(4)
	v_fmac_f32_e32 v124, v108, v131
	ds_load_2addr_b64 v[105:108], v2 offset0:41 offset1:42
	s_waitcnt lgkmcnt(1)
	v_fmac_f32_e32 v124, v109, v101
	s_delay_alu instid0(VALU_DEP_1) | instskip(NEXT) | instid1(VALU_DEP_1)
	v_fmac_f32_e32 v124, v110, v102
	v_fmac_f32_e32 v124, v111, v103
	s_waitcnt vmcnt(3)
	s_delay_alu instid0(VALU_DEP_1) | instskip(SKIP_3) | instid1(VALU_DEP_1)
	v_fmac_f32_e32 v124, v112, v104
	ds_load_2addr_b64 v[101:104], v2 offset0:43 offset1:44
	s_waitcnt lgkmcnt(1)
	v_fmac_f32_e32 v124, v113, v105
	v_fmac_f32_e32 v124, v114, v106
	s_delay_alu instid0(VALU_DEP_1) | instskip(SKIP_1) | instid1(VALU_DEP_1)
	v_fmac_f32_e32 v124, v115, v107
	s_waitcnt vmcnt(2)
	v_fmac_f32_e32 v124, v116, v108
	ds_load_2addr_b64 v[105:108], v2 offset0:45 offset1:46
	ds_load_b64 v[2:3], v2 offset:376
	s_waitcnt lgkmcnt(2)
	v_fmac_f32_e32 v124, v117, v101
	s_delay_alu instid0(VALU_DEP_1) | instskip(NEXT) | instid1(VALU_DEP_1)
	v_fmac_f32_e32 v124, v118, v102
	v_fmac_f32_e32 v124, v119, v103
	s_waitcnt vmcnt(1)
	s_delay_alu instid0(VALU_DEP_1) | instskip(SKIP_1) | instid1(VALU_DEP_1)
	v_fmac_f32_e32 v124, v120, v104
	s_waitcnt lgkmcnt(1)
	v_fmac_f32_e32 v124, v121, v105
	s_delay_alu instid0(VALU_DEP_1) | instskip(NEXT) | instid1(VALU_DEP_1)
	v_fmac_f32_e32 v124, v122, v106
	v_fmac_f32_e32 v124, v123, v107
	s_waitcnt vmcnt(0)
	s_delay_alu instid0(VALU_DEP_1) | instskip(SKIP_1) | instid1(VALU_DEP_1)
	v_fmac_f32_e32 v124, v132, v108
	s_waitcnt lgkmcnt(0)
	v_fmac_f32_e32 v124, v133, v2
	s_delay_alu instid0(VALU_DEP_1) | instskip(NEXT) | instid1(VALU_DEP_1)
	v_fmac_f32_e32 v124, v134, v3
	v_sub_f32_e32 v2, v100, v124
	scratch_store_b32 off, v2, off offset:84
	v_cmpx_lt_u32_e32 20, v0
	s_cbranch_execz .LBB111_255
; %bb.254:
	scratch_load_b32 v2, off, off offset:80
	v_mov_b32_e32 v3, 0
	scratch_store_b32 off, v3, off offset:80
	s_waitcnt vmcnt(0)
	ds_store_b32 v1, v2
.LBB111_255:
	s_or_b32 exec_lo, exec_lo, s0
	s_waitcnt lgkmcnt(0)
	s_waitcnt_vscnt null, 0x0
	s_barrier
	buffer_gl0_inv
	s_clause 0x6
	scratch_load_b128 v[100:103], off, off offset:80
	scratch_load_b128 v[104:107], off, off offset:96
	;; [unrolled: 1-line block ×7, first 2 shown]
	v_mov_b32_e32 v2, 0
	ds_load_2addr_b32 v[128:129], v2 offset0:69 offset1:70
	ds_load_2addr_b32 v[130:131], v2 offset0:71 offset1:72
	;; [unrolled: 1-line block ×4, first 2 shown]
	s_mov_b32 s0, exec_lo
	s_waitcnt vmcnt(6) lgkmcnt(3)
	v_fma_f32 v3, v101, v128, 0
	s_delay_alu instid0(VALU_DEP_1) | instskip(SKIP_4) | instid1(VALU_DEP_1)
	v_fmac_f32_e32 v3, v102, v129
	ds_load_2addr_b32 v[101:102], v2 offset0:77 offset1:78
	s_waitcnt lgkmcnt(3)
	v_fmac_f32_e32 v3, v103, v130
	s_waitcnt vmcnt(5)
	v_fmac_f32_e32 v3, v104, v131
	ds_load_2addr_b32 v[103:104], v2 offset0:79 offset1:80
	s_waitcnt lgkmcnt(3)
	v_fmac_f32_e32 v3, v105, v132
	s_delay_alu instid0(VALU_DEP_1) | instskip(SKIP_1) | instid1(VALU_DEP_1)
	v_fmac_f32_e32 v3, v106, v133
	s_waitcnt lgkmcnt(2)
	v_fmac_f32_e32 v3, v107, v134
	s_waitcnt vmcnt(4)
	s_delay_alu instid0(VALU_DEP_1) | instskip(SKIP_4) | instid1(VALU_DEP_1)
	v_fmac_f32_e32 v3, v108, v135
	ds_load_2addr_b32 v[105:106], v2 offset0:81 offset1:82
	ds_load_2addr_b32 v[107:108], v2 offset0:83 offset1:84
	s_waitcnt lgkmcnt(3)
	v_fmac_f32_e32 v3, v109, v101
	v_fmac_f32_e32 v3, v110, v102
	ds_load_2addr_b32 v[101:102], v2 offset0:85 offset1:86
	s_waitcnt lgkmcnt(3)
	v_fmac_f32_e32 v3, v111, v103
	s_waitcnt vmcnt(3)
	s_delay_alu instid0(VALU_DEP_1) | instskip(SKIP_3) | instid1(VALU_DEP_1)
	v_fmac_f32_e32 v3, v112, v104
	ds_load_2addr_b32 v[103:104], v2 offset0:87 offset1:88
	s_waitcnt lgkmcnt(3)
	v_fmac_f32_e32 v3, v113, v105
	v_fmac_f32_e32 v3, v114, v106
	s_waitcnt lgkmcnt(2)
	s_delay_alu instid0(VALU_DEP_1) | instskip(SKIP_1) | instid1(VALU_DEP_1)
	v_fmac_f32_e32 v3, v115, v107
	s_waitcnt vmcnt(2)
	v_fmac_f32_e32 v3, v116, v108
	ds_load_2addr_b32 v[105:106], v2 offset0:89 offset1:90
	ds_load_2addr_b32 v[107:108], v2 offset0:91 offset1:92
	s_waitcnt lgkmcnt(3)
	v_fmac_f32_e32 v3, v117, v101
	s_delay_alu instid0(VALU_DEP_1)
	v_fmac_f32_e32 v3, v118, v102
	ds_load_2addr_b32 v[101:102], v2 offset0:93 offset1:94
	s_waitcnt lgkmcnt(3)
	v_fmac_f32_e32 v3, v119, v103
	ds_load_b32 v103, v2 offset:380
	s_waitcnt vmcnt(1)
	v_fmac_f32_e32 v3, v120, v104
	s_waitcnt lgkmcnt(3)
	s_delay_alu instid0(VALU_DEP_1) | instskip(NEXT) | instid1(VALU_DEP_1)
	v_fmac_f32_e32 v3, v121, v105
	v_fmac_f32_e32 v3, v122, v106
	s_waitcnt lgkmcnt(2)
	s_delay_alu instid0(VALU_DEP_1) | instskip(SKIP_1) | instid1(VALU_DEP_1)
	v_fmac_f32_e32 v3, v123, v107
	s_waitcnt vmcnt(0)
	v_fmac_f32_e32 v3, v124, v108
	s_waitcnt lgkmcnt(1)
	s_delay_alu instid0(VALU_DEP_1) | instskip(NEXT) | instid1(VALU_DEP_1)
	v_fmac_f32_e32 v3, v125, v101
	v_fmac_f32_e32 v3, v126, v102
	s_waitcnt lgkmcnt(0)
	s_delay_alu instid0(VALU_DEP_1) | instskip(NEXT) | instid1(VALU_DEP_1)
	v_fmac_f32_e32 v3, v127, v103
	v_sub_f32_e32 v3, v100, v3
	scratch_store_b32 off, v3, off offset:80
	v_cmpx_lt_u32_e32 19, v0
	s_cbranch_execz .LBB111_257
; %bb.256:
	scratch_load_b32 v3, off, off offset:76
	scratch_store_b32 off, v2, off offset:76
	s_waitcnt vmcnt(0)
	ds_store_b32 v1, v3
.LBB111_257:
	s_or_b32 exec_lo, exec_lo, s0
	s_waitcnt lgkmcnt(0)
	s_waitcnt_vscnt null, 0x0
	s_barrier
	buffer_gl0_inv
	s_clause 0x7
	scratch_load_b128 v[100:103], off, off offset:76
	scratch_load_b128 v[104:107], off, off offset:92
	;; [unrolled: 1-line block ×7, first 2 shown]
	scratch_load_b32 v3, off, off offset:188
	ds_load_b128 v[128:131], v2 offset:272
	ds_load_b128 v[132:135], v2 offset:288
	s_mov_b32 s0, exec_lo
	s_waitcnt vmcnt(7) lgkmcnt(1)
	v_fma_f32 v128, v101, v128, 0
	s_delay_alu instid0(VALU_DEP_1) | instskip(NEXT) | instid1(VALU_DEP_1)
	v_fmac_f32_e32 v128, v102, v129
	v_fmac_f32_e32 v128, v103, v130
	s_waitcnt vmcnt(6)
	s_delay_alu instid0(VALU_DEP_1) | instskip(SKIP_3) | instid1(VALU_DEP_1)
	v_fmac_f32_e32 v128, v104, v131
	ds_load_b128 v[101:104], v2 offset:304
	s_waitcnt lgkmcnt(1)
	v_fmac_f32_e32 v128, v105, v132
	v_fmac_f32_e32 v128, v106, v133
	s_delay_alu instid0(VALU_DEP_1) | instskip(SKIP_1) | instid1(VALU_DEP_1)
	v_fmac_f32_e32 v128, v107, v134
	s_waitcnt vmcnt(5)
	v_fmac_f32_e32 v128, v108, v135
	ds_load_b128 v[105:108], v2 offset:320
	s_waitcnt lgkmcnt(1)
	v_fmac_f32_e32 v128, v109, v101
	s_delay_alu instid0(VALU_DEP_1) | instskip(NEXT) | instid1(VALU_DEP_1)
	v_fmac_f32_e32 v128, v110, v102
	v_fmac_f32_e32 v128, v111, v103
	s_waitcnt vmcnt(4)
	s_delay_alu instid0(VALU_DEP_1) | instskip(SKIP_3) | instid1(VALU_DEP_1)
	v_fmac_f32_e32 v128, v112, v104
	ds_load_b128 v[101:104], v2 offset:336
	s_waitcnt lgkmcnt(1)
	v_fmac_f32_e32 v128, v113, v105
	v_fmac_f32_e32 v128, v114, v106
	s_delay_alu instid0(VALU_DEP_1) | instskip(SKIP_1) | instid1(VALU_DEP_1)
	v_fmac_f32_e32 v128, v115, v107
	s_waitcnt vmcnt(3)
	v_fmac_f32_e32 v128, v116, v108
	ds_load_b128 v[105:108], v2 offset:352
	s_waitcnt lgkmcnt(1)
	v_fmac_f32_e32 v128, v117, v101
	s_delay_alu instid0(VALU_DEP_1) | instskip(NEXT) | instid1(VALU_DEP_1)
	v_fmac_f32_e32 v128, v118, v102
	v_fmac_f32_e32 v128, v119, v103
	s_waitcnt vmcnt(2)
	s_delay_alu instid0(VALU_DEP_1) | instskip(SKIP_3) | instid1(VALU_DEP_1)
	v_fmac_f32_e32 v128, v120, v104
	ds_load_b128 v[101:104], v2 offset:368
	s_waitcnt lgkmcnt(1)
	v_fmac_f32_e32 v128, v121, v105
	v_fmac_f32_e32 v128, v122, v106
	s_delay_alu instid0(VALU_DEP_1) | instskip(SKIP_1) | instid1(VALU_DEP_1)
	v_fmac_f32_e32 v128, v123, v107
	s_waitcnt vmcnt(1)
	v_fmac_f32_e32 v128, v124, v108
	s_waitcnt lgkmcnt(0)
	s_delay_alu instid0(VALU_DEP_1) | instskip(NEXT) | instid1(VALU_DEP_1)
	v_fmac_f32_e32 v128, v125, v101
	v_fmac_f32_e32 v128, v126, v102
	s_delay_alu instid0(VALU_DEP_1) | instskip(SKIP_1) | instid1(VALU_DEP_1)
	v_fmac_f32_e32 v128, v127, v103
	s_waitcnt vmcnt(0)
	v_fmac_f32_e32 v128, v3, v104
	s_delay_alu instid0(VALU_DEP_1)
	v_sub_f32_e32 v2, v100, v128
	scratch_store_b32 off, v2, off offset:76
	v_cmpx_lt_u32_e32 18, v0
	s_cbranch_execz .LBB111_259
; %bb.258:
	scratch_load_b32 v2, off, off offset:72
	v_mov_b32_e32 v3, 0
	scratch_store_b32 off, v3, off offset:72
	s_waitcnt vmcnt(0)
	ds_store_b32 v1, v2
.LBB111_259:
	s_or_b32 exec_lo, exec_lo, s0
	s_waitcnt lgkmcnt(0)
	s_waitcnt_vscnt null, 0x0
	s_barrier
	buffer_gl0_inv
	s_clause 0x7
	scratch_load_b128 v[100:103], off, off offset:72
	scratch_load_b128 v[104:107], off, off offset:88
	;; [unrolled: 1-line block ×7, first 2 shown]
	scratch_load_b64 v[128:129], off, off offset:184
	v_mov_b32_e32 v2, 0
	ds_load_2addr_b32 v[130:131], v2 offset0:67 offset1:68
	ds_load_2addr_b32 v[132:133], v2 offset0:69 offset1:70
	;; [unrolled: 1-line block ×4, first 2 shown]
	s_mov_b32 s0, exec_lo
	s_waitcnt vmcnt(7) lgkmcnt(3)
	v_fma_f32 v3, v101, v130, 0
	s_delay_alu instid0(VALU_DEP_1) | instskip(SKIP_4) | instid1(VALU_DEP_1)
	v_fmac_f32_e32 v3, v102, v131
	ds_load_2addr_b32 v[101:102], v2 offset0:75 offset1:76
	s_waitcnt lgkmcnt(3)
	v_fmac_f32_e32 v3, v103, v132
	s_waitcnt vmcnt(6)
	v_fmac_f32_e32 v3, v104, v133
	ds_load_2addr_b32 v[103:104], v2 offset0:77 offset1:78
	s_waitcnt lgkmcnt(3)
	v_fmac_f32_e32 v3, v105, v134
	s_delay_alu instid0(VALU_DEP_1) | instskip(SKIP_1) | instid1(VALU_DEP_1)
	v_fmac_f32_e32 v3, v106, v135
	s_waitcnt lgkmcnt(2)
	v_fmac_f32_e32 v3, v107, v136
	s_waitcnt vmcnt(5)
	s_delay_alu instid0(VALU_DEP_1) | instskip(SKIP_4) | instid1(VALU_DEP_1)
	v_fmac_f32_e32 v3, v108, v137
	ds_load_2addr_b32 v[105:106], v2 offset0:79 offset1:80
	ds_load_2addr_b32 v[107:108], v2 offset0:81 offset1:82
	s_waitcnt lgkmcnt(3)
	v_fmac_f32_e32 v3, v109, v101
	v_fmac_f32_e32 v3, v110, v102
	ds_load_2addr_b32 v[101:102], v2 offset0:83 offset1:84
	s_waitcnt lgkmcnt(3)
	v_fmac_f32_e32 v3, v111, v103
	s_waitcnt vmcnt(4)
	s_delay_alu instid0(VALU_DEP_1) | instskip(SKIP_3) | instid1(VALU_DEP_1)
	v_fmac_f32_e32 v3, v112, v104
	ds_load_2addr_b32 v[103:104], v2 offset0:85 offset1:86
	s_waitcnt lgkmcnt(3)
	v_fmac_f32_e32 v3, v113, v105
	v_fmac_f32_e32 v3, v114, v106
	s_waitcnt lgkmcnt(2)
	s_delay_alu instid0(VALU_DEP_1) | instskip(SKIP_1) | instid1(VALU_DEP_1)
	v_fmac_f32_e32 v3, v115, v107
	s_waitcnt vmcnt(3)
	v_fmac_f32_e32 v3, v116, v108
	ds_load_2addr_b32 v[105:106], v2 offset0:87 offset1:88
	ds_load_2addr_b32 v[107:108], v2 offset0:89 offset1:90
	s_waitcnt lgkmcnt(3)
	v_fmac_f32_e32 v3, v117, v101
	s_delay_alu instid0(VALU_DEP_1) | instskip(SKIP_4) | instid1(VALU_DEP_1)
	v_fmac_f32_e32 v3, v118, v102
	ds_load_2addr_b32 v[101:102], v2 offset0:91 offset1:92
	s_waitcnt lgkmcnt(3)
	v_fmac_f32_e32 v3, v119, v103
	s_waitcnt vmcnt(2)
	v_fmac_f32_e32 v3, v120, v104
	ds_load_2addr_b32 v[103:104], v2 offset0:93 offset1:94
	s_waitcnt lgkmcnt(3)
	v_fmac_f32_e32 v3, v121, v105
	ds_load_b32 v105, v2 offset:380
	v_fmac_f32_e32 v3, v122, v106
	s_waitcnt lgkmcnt(3)
	s_delay_alu instid0(VALU_DEP_1) | instskip(SKIP_1) | instid1(VALU_DEP_1)
	v_fmac_f32_e32 v3, v123, v107
	s_waitcnt vmcnt(1)
	v_fmac_f32_e32 v3, v124, v108
	s_waitcnt lgkmcnt(2)
	s_delay_alu instid0(VALU_DEP_1) | instskip(NEXT) | instid1(VALU_DEP_1)
	v_fmac_f32_e32 v3, v125, v101
	v_fmac_f32_e32 v3, v126, v102
	s_waitcnt lgkmcnt(1)
	s_delay_alu instid0(VALU_DEP_1) | instskip(SKIP_1) | instid1(VALU_DEP_1)
	v_fmac_f32_e32 v3, v127, v103
	s_waitcnt vmcnt(0)
	v_fmac_f32_e32 v3, v128, v104
	s_waitcnt lgkmcnt(0)
	s_delay_alu instid0(VALU_DEP_1) | instskip(NEXT) | instid1(VALU_DEP_1)
	v_fmac_f32_e32 v3, v129, v105
	v_sub_f32_e32 v3, v100, v3
	scratch_store_b32 off, v3, off offset:72
	v_cmpx_lt_u32_e32 17, v0
	s_cbranch_execz .LBB111_261
; %bb.260:
	scratch_load_b32 v3, off, off offset:68
	scratch_store_b32 off, v2, off offset:68
	s_waitcnt vmcnt(0)
	ds_store_b32 v1, v3
.LBB111_261:
	s_or_b32 exec_lo, exec_lo, s0
	s_waitcnt lgkmcnt(0)
	s_waitcnt_vscnt null, 0x0
	s_barrier
	buffer_gl0_inv
	s_clause 0x7
	scratch_load_b128 v[100:103], off, off offset:68
	scratch_load_b128 v[104:107], off, off offset:84
	scratch_load_b128 v[108:111], off, off offset:100
	scratch_load_b128 v[112:115], off, off offset:116
	scratch_load_b128 v[116:119], off, off offset:132
	scratch_load_b128 v[120:123], off, off offset:148
	scratch_load_b128 v[124:127], off, off offset:164
	scratch_load_b96 v[136:138], off, off offset:180
	ds_load_2addr_b64 v[128:131], v2 offset0:33 offset1:34
	ds_load_2addr_b64 v[132:135], v2 offset0:35 offset1:36
	s_mov_b32 s0, exec_lo
	s_waitcnt vmcnt(7) lgkmcnt(1)
	v_fma_f32 v128, v101, v128, 0
	s_delay_alu instid0(VALU_DEP_1) | instskip(NEXT) | instid1(VALU_DEP_1)
	v_fmac_f32_e32 v128, v102, v129
	v_fmac_f32_e32 v128, v103, v130
	s_waitcnt vmcnt(6)
	s_delay_alu instid0(VALU_DEP_1) | instskip(SKIP_3) | instid1(VALU_DEP_1)
	v_fmac_f32_e32 v128, v104, v131
	ds_load_2addr_b64 v[101:104], v2 offset0:37 offset1:38
	s_waitcnt lgkmcnt(1)
	v_fmac_f32_e32 v128, v105, v132
	v_fmac_f32_e32 v128, v106, v133
	s_delay_alu instid0(VALU_DEP_1) | instskip(SKIP_1) | instid1(VALU_DEP_1)
	v_fmac_f32_e32 v128, v107, v134
	s_waitcnt vmcnt(5)
	v_fmac_f32_e32 v128, v108, v135
	ds_load_2addr_b64 v[105:108], v2 offset0:39 offset1:40
	s_waitcnt lgkmcnt(1)
	v_fmac_f32_e32 v128, v109, v101
	s_delay_alu instid0(VALU_DEP_1) | instskip(NEXT) | instid1(VALU_DEP_1)
	v_fmac_f32_e32 v128, v110, v102
	v_fmac_f32_e32 v128, v111, v103
	s_waitcnt vmcnt(4)
	s_delay_alu instid0(VALU_DEP_1) | instskip(SKIP_3) | instid1(VALU_DEP_1)
	v_fmac_f32_e32 v128, v112, v104
	ds_load_2addr_b64 v[101:104], v2 offset0:41 offset1:42
	s_waitcnt lgkmcnt(1)
	v_fmac_f32_e32 v128, v113, v105
	v_fmac_f32_e32 v128, v114, v106
	s_delay_alu instid0(VALU_DEP_1) | instskip(SKIP_1) | instid1(VALU_DEP_1)
	v_fmac_f32_e32 v128, v115, v107
	s_waitcnt vmcnt(3)
	v_fmac_f32_e32 v128, v116, v108
	ds_load_2addr_b64 v[105:108], v2 offset0:43 offset1:44
	s_waitcnt lgkmcnt(1)
	v_fmac_f32_e32 v128, v117, v101
	s_delay_alu instid0(VALU_DEP_1) | instskip(NEXT) | instid1(VALU_DEP_1)
	v_fmac_f32_e32 v128, v118, v102
	v_fmac_f32_e32 v128, v119, v103
	s_waitcnt vmcnt(2)
	s_delay_alu instid0(VALU_DEP_1) | instskip(SKIP_4) | instid1(VALU_DEP_1)
	v_fmac_f32_e32 v128, v120, v104
	ds_load_2addr_b64 v[101:104], v2 offset0:45 offset1:46
	ds_load_b64 v[2:3], v2 offset:376
	s_waitcnt lgkmcnt(2)
	v_fmac_f32_e32 v128, v121, v105
	v_fmac_f32_e32 v128, v122, v106
	s_delay_alu instid0(VALU_DEP_1) | instskip(SKIP_1) | instid1(VALU_DEP_1)
	v_fmac_f32_e32 v128, v123, v107
	s_waitcnt vmcnt(1)
	v_fmac_f32_e32 v128, v124, v108
	s_waitcnt lgkmcnt(1)
	s_delay_alu instid0(VALU_DEP_1) | instskip(NEXT) | instid1(VALU_DEP_1)
	v_fmac_f32_e32 v128, v125, v101
	v_fmac_f32_e32 v128, v126, v102
	s_delay_alu instid0(VALU_DEP_1) | instskip(SKIP_1) | instid1(VALU_DEP_1)
	v_fmac_f32_e32 v128, v127, v103
	s_waitcnt vmcnt(0)
	v_fmac_f32_e32 v128, v136, v104
	s_waitcnt lgkmcnt(0)
	s_delay_alu instid0(VALU_DEP_1) | instskip(NEXT) | instid1(VALU_DEP_1)
	v_fmac_f32_e32 v128, v137, v2
	v_fmac_f32_e32 v128, v138, v3
	s_delay_alu instid0(VALU_DEP_1)
	v_sub_f32_e32 v2, v100, v128
	scratch_store_b32 off, v2, off offset:68
	v_cmpx_lt_u32_e32 16, v0
	s_cbranch_execz .LBB111_263
; %bb.262:
	scratch_load_b32 v2, off, off offset:64
	v_mov_b32_e32 v3, 0
	scratch_store_b32 off, v3, off offset:64
	s_waitcnt vmcnt(0)
	ds_store_b32 v1, v2
.LBB111_263:
	s_or_b32 exec_lo, exec_lo, s0
	s_waitcnt lgkmcnt(0)
	s_waitcnt_vscnt null, 0x0
	s_barrier
	buffer_gl0_inv
	s_clause 0x7
	scratch_load_b128 v[100:103], off, off offset:64
	scratch_load_b128 v[104:107], off, off offset:80
	;; [unrolled: 1-line block ×8, first 2 shown]
	v_mov_b32_e32 v2, 0
	ds_load_2addr_b32 v[132:133], v2 offset0:65 offset1:66
	ds_load_2addr_b32 v[134:135], v2 offset0:67 offset1:68
	;; [unrolled: 1-line block ×4, first 2 shown]
	s_mov_b32 s0, exec_lo
	s_waitcnt vmcnt(7) lgkmcnt(3)
	v_fma_f32 v3, v101, v132, 0
	s_delay_alu instid0(VALU_DEP_1) | instskip(SKIP_4) | instid1(VALU_DEP_1)
	v_fmac_f32_e32 v3, v102, v133
	ds_load_2addr_b32 v[101:102], v2 offset0:73 offset1:74
	s_waitcnt lgkmcnt(3)
	v_fmac_f32_e32 v3, v103, v134
	s_waitcnt vmcnt(6)
	v_fmac_f32_e32 v3, v104, v135
	ds_load_2addr_b32 v[103:104], v2 offset0:75 offset1:76
	s_waitcnt lgkmcnt(3)
	v_fmac_f32_e32 v3, v105, v136
	s_delay_alu instid0(VALU_DEP_1) | instskip(SKIP_1) | instid1(VALU_DEP_1)
	v_fmac_f32_e32 v3, v106, v137
	s_waitcnt lgkmcnt(2)
	v_fmac_f32_e32 v3, v107, v138
	s_waitcnt vmcnt(5)
	s_delay_alu instid0(VALU_DEP_1) | instskip(SKIP_4) | instid1(VALU_DEP_1)
	v_fmac_f32_e32 v3, v108, v139
	ds_load_2addr_b32 v[105:106], v2 offset0:77 offset1:78
	ds_load_2addr_b32 v[107:108], v2 offset0:79 offset1:80
	s_waitcnt lgkmcnt(3)
	v_fmac_f32_e32 v3, v109, v101
	v_fmac_f32_e32 v3, v110, v102
	ds_load_2addr_b32 v[101:102], v2 offset0:81 offset1:82
	s_waitcnt lgkmcnt(3)
	v_fmac_f32_e32 v3, v111, v103
	s_waitcnt vmcnt(4)
	s_delay_alu instid0(VALU_DEP_1) | instskip(SKIP_3) | instid1(VALU_DEP_1)
	v_fmac_f32_e32 v3, v112, v104
	ds_load_2addr_b32 v[103:104], v2 offset0:83 offset1:84
	s_waitcnt lgkmcnt(3)
	v_fmac_f32_e32 v3, v113, v105
	v_fmac_f32_e32 v3, v114, v106
	s_waitcnt lgkmcnt(2)
	s_delay_alu instid0(VALU_DEP_1) | instskip(SKIP_1) | instid1(VALU_DEP_1)
	v_fmac_f32_e32 v3, v115, v107
	s_waitcnt vmcnt(3)
	v_fmac_f32_e32 v3, v116, v108
	ds_load_2addr_b32 v[105:106], v2 offset0:85 offset1:86
	ds_load_2addr_b32 v[107:108], v2 offset0:87 offset1:88
	s_waitcnt lgkmcnt(3)
	v_fmac_f32_e32 v3, v117, v101
	s_delay_alu instid0(VALU_DEP_1) | instskip(SKIP_4) | instid1(VALU_DEP_1)
	v_fmac_f32_e32 v3, v118, v102
	ds_load_2addr_b32 v[101:102], v2 offset0:89 offset1:90
	s_waitcnt lgkmcnt(3)
	v_fmac_f32_e32 v3, v119, v103
	s_waitcnt vmcnt(2)
	v_fmac_f32_e32 v3, v120, v104
	ds_load_2addr_b32 v[103:104], v2 offset0:91 offset1:92
	s_waitcnt lgkmcnt(3)
	v_fmac_f32_e32 v3, v121, v105
	s_delay_alu instid0(VALU_DEP_1) | instskip(SKIP_1) | instid1(VALU_DEP_1)
	v_fmac_f32_e32 v3, v122, v106
	s_waitcnt lgkmcnt(2)
	v_fmac_f32_e32 v3, v123, v107
	ds_load_2addr_b32 v[105:106], v2 offset0:93 offset1:94
	ds_load_b32 v107, v2 offset:380
	s_waitcnt vmcnt(1)
	v_fmac_f32_e32 v3, v124, v108
	s_waitcnt lgkmcnt(3)
	s_delay_alu instid0(VALU_DEP_1) | instskip(NEXT) | instid1(VALU_DEP_1)
	v_fmac_f32_e32 v3, v125, v101
	v_fmac_f32_e32 v3, v126, v102
	s_waitcnt lgkmcnt(2)
	s_delay_alu instid0(VALU_DEP_1) | instskip(SKIP_1) | instid1(VALU_DEP_1)
	v_fmac_f32_e32 v3, v127, v103
	s_waitcnt vmcnt(0)
	v_fmac_f32_e32 v3, v128, v104
	s_waitcnt lgkmcnt(1)
	s_delay_alu instid0(VALU_DEP_1) | instskip(NEXT) | instid1(VALU_DEP_1)
	v_fmac_f32_e32 v3, v129, v105
	v_fmac_f32_e32 v3, v130, v106
	s_waitcnt lgkmcnt(0)
	s_delay_alu instid0(VALU_DEP_1) | instskip(NEXT) | instid1(VALU_DEP_1)
	v_fmac_f32_e32 v3, v131, v107
	v_sub_f32_e32 v3, v100, v3
	scratch_store_b32 off, v3, off offset:64
	v_cmpx_lt_u32_e32 15, v0
	s_cbranch_execz .LBB111_265
; %bb.264:
	scratch_load_b32 v3, off, off offset:60
	scratch_store_b32 off, v2, off offset:60
	s_waitcnt vmcnt(0)
	ds_store_b32 v1, v3
.LBB111_265:
	s_or_b32 exec_lo, exec_lo, s0
	s_waitcnt lgkmcnt(0)
	s_waitcnt_vscnt null, 0x0
	s_barrier
	buffer_gl0_inv
	s_clause 0x8
	scratch_load_b128 v[100:103], off, off offset:60
	scratch_load_b128 v[104:107], off, off offset:76
	scratch_load_b128 v[108:111], off, off offset:92
	scratch_load_b128 v[112:115], off, off offset:108
	scratch_load_b128 v[116:119], off, off offset:124
	scratch_load_b128 v[120:123], off, off offset:140
	scratch_load_b128 v[124:127], off, off offset:156
	scratch_load_b128 v[128:131], off, off offset:172
	scratch_load_b32 v3, off, off offset:188
	ds_load_b128 v[132:135], v2 offset:256
	ds_load_b128 v[136:139], v2 offset:272
	s_mov_b32 s0, exec_lo
	s_waitcnt vmcnt(8) lgkmcnt(1)
	v_fma_f32 v132, v101, v132, 0
	s_delay_alu instid0(VALU_DEP_1) | instskip(NEXT) | instid1(VALU_DEP_1)
	v_fmac_f32_e32 v132, v102, v133
	v_fmac_f32_e32 v132, v103, v134
	s_waitcnt vmcnt(7)
	s_delay_alu instid0(VALU_DEP_1) | instskip(SKIP_3) | instid1(VALU_DEP_1)
	v_fmac_f32_e32 v132, v104, v135
	ds_load_b128 v[101:104], v2 offset:288
	s_waitcnt lgkmcnt(1)
	v_fmac_f32_e32 v132, v105, v136
	v_fmac_f32_e32 v132, v106, v137
	s_delay_alu instid0(VALU_DEP_1) | instskip(SKIP_1) | instid1(VALU_DEP_1)
	v_fmac_f32_e32 v132, v107, v138
	s_waitcnt vmcnt(6)
	v_fmac_f32_e32 v132, v108, v139
	ds_load_b128 v[105:108], v2 offset:304
	s_waitcnt lgkmcnt(1)
	v_fmac_f32_e32 v132, v109, v101
	s_delay_alu instid0(VALU_DEP_1) | instskip(NEXT) | instid1(VALU_DEP_1)
	v_fmac_f32_e32 v132, v110, v102
	v_fmac_f32_e32 v132, v111, v103
	s_waitcnt vmcnt(5)
	s_delay_alu instid0(VALU_DEP_1) | instskip(SKIP_3) | instid1(VALU_DEP_1)
	v_fmac_f32_e32 v132, v112, v104
	ds_load_b128 v[101:104], v2 offset:320
	s_waitcnt lgkmcnt(1)
	v_fmac_f32_e32 v132, v113, v105
	v_fmac_f32_e32 v132, v114, v106
	s_delay_alu instid0(VALU_DEP_1) | instskip(SKIP_1) | instid1(VALU_DEP_1)
	v_fmac_f32_e32 v132, v115, v107
	s_waitcnt vmcnt(4)
	v_fmac_f32_e32 v132, v116, v108
	ds_load_b128 v[105:108], v2 offset:336
	s_waitcnt lgkmcnt(1)
	v_fmac_f32_e32 v132, v117, v101
	;; [unrolled: 17-line block ×3, first 2 shown]
	s_delay_alu instid0(VALU_DEP_1) | instskip(NEXT) | instid1(VALU_DEP_1)
	v_fmac_f32_e32 v132, v126, v102
	v_fmac_f32_e32 v132, v127, v103
	s_waitcnt vmcnt(1)
	s_delay_alu instid0(VALU_DEP_1) | instskip(SKIP_1) | instid1(VALU_DEP_1)
	v_fmac_f32_e32 v132, v128, v104
	s_waitcnt lgkmcnt(0)
	v_fmac_f32_e32 v132, v129, v105
	s_delay_alu instid0(VALU_DEP_1) | instskip(NEXT) | instid1(VALU_DEP_1)
	v_fmac_f32_e32 v132, v130, v106
	v_fmac_f32_e32 v132, v131, v107
	s_waitcnt vmcnt(0)
	s_delay_alu instid0(VALU_DEP_1) | instskip(NEXT) | instid1(VALU_DEP_1)
	v_fmac_f32_e32 v132, v3, v108
	v_sub_f32_e32 v2, v100, v132
	scratch_store_b32 off, v2, off offset:60
	v_cmpx_lt_u32_e32 14, v0
	s_cbranch_execz .LBB111_267
; %bb.266:
	scratch_load_b32 v2, off, off offset:56
	v_mov_b32_e32 v3, 0
	scratch_store_b32 off, v3, off offset:56
	s_waitcnt vmcnt(0)
	ds_store_b32 v1, v2
.LBB111_267:
	s_or_b32 exec_lo, exec_lo, s0
	s_waitcnt lgkmcnt(0)
	s_waitcnt_vscnt null, 0x0
	s_barrier
	buffer_gl0_inv
	s_clause 0x8
	scratch_load_b128 v[100:103], off, off offset:56
	scratch_load_b128 v[104:107], off, off offset:72
	scratch_load_b128 v[108:111], off, off offset:88
	scratch_load_b128 v[112:115], off, off offset:104
	scratch_load_b128 v[116:119], off, off offset:120
	scratch_load_b128 v[120:123], off, off offset:136
	scratch_load_b128 v[124:127], off, off offset:152
	scratch_load_b128 v[128:131], off, off offset:168
	scratch_load_b64 v[132:133], off, off offset:184
	v_mov_b32_e32 v2, 0
	ds_load_2addr_b32 v[134:135], v2 offset0:63 offset1:64
	ds_load_2addr_b32 v[136:137], v2 offset0:65 offset1:66
	;; [unrolled: 1-line block ×4, first 2 shown]
	s_mov_b32 s0, exec_lo
	s_waitcnt vmcnt(8) lgkmcnt(3)
	v_fma_f32 v3, v101, v134, 0
	s_delay_alu instid0(VALU_DEP_1) | instskip(SKIP_4) | instid1(VALU_DEP_1)
	v_fmac_f32_e32 v3, v102, v135
	ds_load_2addr_b32 v[101:102], v2 offset0:71 offset1:72
	s_waitcnt lgkmcnt(3)
	v_fmac_f32_e32 v3, v103, v136
	s_waitcnt vmcnt(7)
	v_fmac_f32_e32 v3, v104, v137
	ds_load_2addr_b32 v[103:104], v2 offset0:73 offset1:74
	s_waitcnt lgkmcnt(3)
	v_fmac_f32_e32 v3, v105, v138
	s_delay_alu instid0(VALU_DEP_1) | instskip(SKIP_1) | instid1(VALU_DEP_1)
	v_fmac_f32_e32 v3, v106, v139
	s_waitcnt lgkmcnt(2)
	v_fmac_f32_e32 v3, v107, v140
	s_waitcnt vmcnt(6)
	s_delay_alu instid0(VALU_DEP_1) | instskip(SKIP_4) | instid1(VALU_DEP_1)
	v_fmac_f32_e32 v3, v108, v141
	ds_load_2addr_b32 v[105:106], v2 offset0:75 offset1:76
	ds_load_2addr_b32 v[107:108], v2 offset0:77 offset1:78
	s_waitcnt lgkmcnt(3)
	v_fmac_f32_e32 v3, v109, v101
	v_fmac_f32_e32 v3, v110, v102
	ds_load_2addr_b32 v[101:102], v2 offset0:79 offset1:80
	s_waitcnt lgkmcnt(3)
	v_fmac_f32_e32 v3, v111, v103
	s_waitcnt vmcnt(5)
	s_delay_alu instid0(VALU_DEP_1) | instskip(SKIP_3) | instid1(VALU_DEP_1)
	v_fmac_f32_e32 v3, v112, v104
	ds_load_2addr_b32 v[103:104], v2 offset0:81 offset1:82
	s_waitcnt lgkmcnt(3)
	v_fmac_f32_e32 v3, v113, v105
	v_fmac_f32_e32 v3, v114, v106
	s_waitcnt lgkmcnt(2)
	s_delay_alu instid0(VALU_DEP_1) | instskip(SKIP_1) | instid1(VALU_DEP_1)
	v_fmac_f32_e32 v3, v115, v107
	s_waitcnt vmcnt(4)
	v_fmac_f32_e32 v3, v116, v108
	ds_load_2addr_b32 v[105:106], v2 offset0:83 offset1:84
	ds_load_2addr_b32 v[107:108], v2 offset0:85 offset1:86
	s_waitcnt lgkmcnt(3)
	v_fmac_f32_e32 v3, v117, v101
	s_delay_alu instid0(VALU_DEP_1) | instskip(SKIP_4) | instid1(VALU_DEP_1)
	v_fmac_f32_e32 v3, v118, v102
	ds_load_2addr_b32 v[101:102], v2 offset0:87 offset1:88
	s_waitcnt lgkmcnt(3)
	v_fmac_f32_e32 v3, v119, v103
	s_waitcnt vmcnt(3)
	v_fmac_f32_e32 v3, v120, v104
	ds_load_2addr_b32 v[103:104], v2 offset0:89 offset1:90
	s_waitcnt lgkmcnt(3)
	v_fmac_f32_e32 v3, v121, v105
	s_delay_alu instid0(VALU_DEP_1) | instskip(SKIP_1) | instid1(VALU_DEP_1)
	v_fmac_f32_e32 v3, v122, v106
	s_waitcnt lgkmcnt(2)
	v_fmac_f32_e32 v3, v123, v107
	s_waitcnt vmcnt(2)
	s_delay_alu instid0(VALU_DEP_1)
	v_fmac_f32_e32 v3, v124, v108
	ds_load_2addr_b32 v[105:106], v2 offset0:91 offset1:92
	ds_load_2addr_b32 v[107:108], v2 offset0:93 offset1:94
	s_waitcnt lgkmcnt(3)
	v_fmac_f32_e32 v3, v125, v101
	ds_load_b32 v101, v2 offset:380
	v_fmac_f32_e32 v3, v126, v102
	s_waitcnt lgkmcnt(3)
	s_delay_alu instid0(VALU_DEP_1) | instskip(SKIP_1) | instid1(VALU_DEP_1)
	v_fmac_f32_e32 v3, v127, v103
	s_waitcnt vmcnt(1)
	v_fmac_f32_e32 v3, v128, v104
	s_waitcnt lgkmcnt(2)
	s_delay_alu instid0(VALU_DEP_1) | instskip(NEXT) | instid1(VALU_DEP_1)
	v_fmac_f32_e32 v3, v129, v105
	v_fmac_f32_e32 v3, v130, v106
	s_waitcnt lgkmcnt(1)
	s_delay_alu instid0(VALU_DEP_1) | instskip(SKIP_1) | instid1(VALU_DEP_1)
	v_fmac_f32_e32 v3, v131, v107
	s_waitcnt vmcnt(0)
	v_fmac_f32_e32 v3, v132, v108
	s_waitcnt lgkmcnt(0)
	s_delay_alu instid0(VALU_DEP_1) | instskip(NEXT) | instid1(VALU_DEP_1)
	v_fmac_f32_e32 v3, v133, v101
	v_sub_f32_e32 v3, v100, v3
	scratch_store_b32 off, v3, off offset:56
	v_cmpx_lt_u32_e32 13, v0
	s_cbranch_execz .LBB111_269
; %bb.268:
	scratch_load_b32 v3, off, off offset:52
	scratch_store_b32 off, v2, off offset:52
	s_waitcnt vmcnt(0)
	ds_store_b32 v1, v3
.LBB111_269:
	s_or_b32 exec_lo, exec_lo, s0
	s_waitcnt lgkmcnt(0)
	s_waitcnt_vscnt null, 0x0
	s_barrier
	buffer_gl0_inv
	s_clause 0x8
	scratch_load_b128 v[100:103], off, off offset:52
	scratch_load_b128 v[104:107], off, off offset:68
	;; [unrolled: 1-line block ×8, first 2 shown]
	scratch_load_b96 v[140:142], off, off offset:180
	ds_load_2addr_b64 v[132:135], v2 offset0:31 offset1:32
	ds_load_2addr_b64 v[136:139], v2 offset0:33 offset1:34
	s_mov_b32 s0, exec_lo
	s_waitcnt vmcnt(8) lgkmcnt(1)
	v_fma_f32 v132, v101, v132, 0
	s_delay_alu instid0(VALU_DEP_1) | instskip(NEXT) | instid1(VALU_DEP_1)
	v_fmac_f32_e32 v132, v102, v133
	v_fmac_f32_e32 v132, v103, v134
	s_waitcnt vmcnt(7)
	s_delay_alu instid0(VALU_DEP_1) | instskip(SKIP_3) | instid1(VALU_DEP_1)
	v_fmac_f32_e32 v132, v104, v135
	ds_load_2addr_b64 v[101:104], v2 offset0:35 offset1:36
	s_waitcnt lgkmcnt(1)
	v_fmac_f32_e32 v132, v105, v136
	v_fmac_f32_e32 v132, v106, v137
	s_delay_alu instid0(VALU_DEP_1) | instskip(SKIP_1) | instid1(VALU_DEP_1)
	v_fmac_f32_e32 v132, v107, v138
	s_waitcnt vmcnt(6)
	v_fmac_f32_e32 v132, v108, v139
	ds_load_2addr_b64 v[105:108], v2 offset0:37 offset1:38
	s_waitcnt lgkmcnt(1)
	v_fmac_f32_e32 v132, v109, v101
	s_delay_alu instid0(VALU_DEP_1) | instskip(NEXT) | instid1(VALU_DEP_1)
	v_fmac_f32_e32 v132, v110, v102
	v_fmac_f32_e32 v132, v111, v103
	s_waitcnt vmcnt(5)
	s_delay_alu instid0(VALU_DEP_1) | instskip(SKIP_3) | instid1(VALU_DEP_1)
	v_fmac_f32_e32 v132, v112, v104
	ds_load_2addr_b64 v[101:104], v2 offset0:39 offset1:40
	s_waitcnt lgkmcnt(1)
	v_fmac_f32_e32 v132, v113, v105
	v_fmac_f32_e32 v132, v114, v106
	s_delay_alu instid0(VALU_DEP_1) | instskip(SKIP_1) | instid1(VALU_DEP_1)
	v_fmac_f32_e32 v132, v115, v107
	s_waitcnt vmcnt(4)
	v_fmac_f32_e32 v132, v116, v108
	ds_load_2addr_b64 v[105:108], v2 offset0:41 offset1:42
	s_waitcnt lgkmcnt(1)
	v_fmac_f32_e32 v132, v117, v101
	s_delay_alu instid0(VALU_DEP_1) | instskip(NEXT) | instid1(VALU_DEP_1)
	v_fmac_f32_e32 v132, v118, v102
	v_fmac_f32_e32 v132, v119, v103
	s_waitcnt vmcnt(3)
	s_delay_alu instid0(VALU_DEP_1) | instskip(SKIP_3) | instid1(VALU_DEP_1)
	v_fmac_f32_e32 v132, v120, v104
	ds_load_2addr_b64 v[101:104], v2 offset0:43 offset1:44
	s_waitcnt lgkmcnt(1)
	v_fmac_f32_e32 v132, v121, v105
	v_fmac_f32_e32 v132, v122, v106
	s_delay_alu instid0(VALU_DEP_1) | instskip(SKIP_1) | instid1(VALU_DEP_1)
	v_fmac_f32_e32 v132, v123, v107
	s_waitcnt vmcnt(2)
	v_fmac_f32_e32 v132, v124, v108
	ds_load_2addr_b64 v[105:108], v2 offset0:45 offset1:46
	ds_load_b64 v[2:3], v2 offset:376
	s_waitcnt lgkmcnt(2)
	v_fmac_f32_e32 v132, v125, v101
	s_delay_alu instid0(VALU_DEP_1) | instskip(NEXT) | instid1(VALU_DEP_1)
	v_fmac_f32_e32 v132, v126, v102
	v_fmac_f32_e32 v132, v127, v103
	s_waitcnt vmcnt(1)
	s_delay_alu instid0(VALU_DEP_1) | instskip(SKIP_1) | instid1(VALU_DEP_1)
	v_fmac_f32_e32 v132, v128, v104
	s_waitcnt lgkmcnt(1)
	v_fmac_f32_e32 v132, v129, v105
	s_delay_alu instid0(VALU_DEP_1) | instskip(NEXT) | instid1(VALU_DEP_1)
	v_fmac_f32_e32 v132, v130, v106
	v_fmac_f32_e32 v132, v131, v107
	s_waitcnt vmcnt(0)
	s_delay_alu instid0(VALU_DEP_1) | instskip(SKIP_1) | instid1(VALU_DEP_1)
	v_fmac_f32_e32 v132, v140, v108
	s_waitcnt lgkmcnt(0)
	v_fmac_f32_e32 v132, v141, v2
	s_delay_alu instid0(VALU_DEP_1) | instskip(NEXT) | instid1(VALU_DEP_1)
	v_fmac_f32_e32 v132, v142, v3
	v_sub_f32_e32 v2, v100, v132
	scratch_store_b32 off, v2, off offset:52
	v_cmpx_lt_u32_e32 12, v0
	s_cbranch_execz .LBB111_271
; %bb.270:
	scratch_load_b32 v2, off, off offset:48
	v_mov_b32_e32 v3, 0
	scratch_store_b32 off, v3, off offset:48
	s_waitcnt vmcnt(0)
	ds_store_b32 v1, v2
.LBB111_271:
	s_or_b32 exec_lo, exec_lo, s0
	s_waitcnt lgkmcnt(0)
	s_waitcnt_vscnt null, 0x0
	s_barrier
	buffer_gl0_inv
	s_clause 0x8
	scratch_load_b128 v[100:103], off, off offset:48
	scratch_load_b128 v[104:107], off, off offset:64
	;; [unrolled: 1-line block ×9, first 2 shown]
	v_mov_b32_e32 v2, 0
	ds_load_2addr_b32 v[136:137], v2 offset0:61 offset1:62
	ds_load_2addr_b32 v[138:139], v2 offset0:63 offset1:64
	;; [unrolled: 1-line block ×4, first 2 shown]
	s_mov_b32 s0, exec_lo
	s_waitcnt vmcnt(8) lgkmcnt(3)
	v_fma_f32 v3, v101, v136, 0
	s_delay_alu instid0(VALU_DEP_1) | instskip(SKIP_4) | instid1(VALU_DEP_1)
	v_fmac_f32_e32 v3, v102, v137
	ds_load_2addr_b32 v[101:102], v2 offset0:69 offset1:70
	s_waitcnt lgkmcnt(3)
	v_fmac_f32_e32 v3, v103, v138
	s_waitcnt vmcnt(7)
	v_fmac_f32_e32 v3, v104, v139
	ds_load_2addr_b32 v[103:104], v2 offset0:71 offset1:72
	s_waitcnt lgkmcnt(3)
	v_fmac_f32_e32 v3, v105, v140
	s_delay_alu instid0(VALU_DEP_1) | instskip(SKIP_1) | instid1(VALU_DEP_1)
	v_fmac_f32_e32 v3, v106, v141
	s_waitcnt lgkmcnt(2)
	v_fmac_f32_e32 v3, v107, v142
	s_waitcnt vmcnt(6)
	s_delay_alu instid0(VALU_DEP_1) | instskip(SKIP_4) | instid1(VALU_DEP_1)
	v_fmac_f32_e32 v3, v108, v143
	ds_load_2addr_b32 v[105:106], v2 offset0:73 offset1:74
	ds_load_2addr_b32 v[107:108], v2 offset0:75 offset1:76
	s_waitcnt lgkmcnt(3)
	v_fmac_f32_e32 v3, v109, v101
	v_fmac_f32_e32 v3, v110, v102
	ds_load_2addr_b32 v[101:102], v2 offset0:77 offset1:78
	s_waitcnt lgkmcnt(3)
	v_fmac_f32_e32 v3, v111, v103
	s_waitcnt vmcnt(5)
	s_delay_alu instid0(VALU_DEP_1) | instskip(SKIP_3) | instid1(VALU_DEP_1)
	v_fmac_f32_e32 v3, v112, v104
	ds_load_2addr_b32 v[103:104], v2 offset0:79 offset1:80
	s_waitcnt lgkmcnt(3)
	v_fmac_f32_e32 v3, v113, v105
	v_fmac_f32_e32 v3, v114, v106
	s_waitcnt lgkmcnt(2)
	s_delay_alu instid0(VALU_DEP_1) | instskip(SKIP_1) | instid1(VALU_DEP_1)
	v_fmac_f32_e32 v3, v115, v107
	s_waitcnt vmcnt(4)
	v_fmac_f32_e32 v3, v116, v108
	ds_load_2addr_b32 v[105:106], v2 offset0:81 offset1:82
	ds_load_2addr_b32 v[107:108], v2 offset0:83 offset1:84
	s_waitcnt lgkmcnt(3)
	v_fmac_f32_e32 v3, v117, v101
	s_delay_alu instid0(VALU_DEP_1) | instskip(SKIP_4) | instid1(VALU_DEP_1)
	v_fmac_f32_e32 v3, v118, v102
	ds_load_2addr_b32 v[101:102], v2 offset0:85 offset1:86
	s_waitcnt lgkmcnt(3)
	v_fmac_f32_e32 v3, v119, v103
	s_waitcnt vmcnt(3)
	v_fmac_f32_e32 v3, v120, v104
	ds_load_2addr_b32 v[103:104], v2 offset0:87 offset1:88
	s_waitcnt lgkmcnt(3)
	v_fmac_f32_e32 v3, v121, v105
	s_delay_alu instid0(VALU_DEP_1) | instskip(SKIP_1) | instid1(VALU_DEP_1)
	v_fmac_f32_e32 v3, v122, v106
	s_waitcnt lgkmcnt(2)
	v_fmac_f32_e32 v3, v123, v107
	s_waitcnt vmcnt(2)
	s_delay_alu instid0(VALU_DEP_1) | instskip(SKIP_4) | instid1(VALU_DEP_1)
	v_fmac_f32_e32 v3, v124, v108
	ds_load_2addr_b32 v[105:106], v2 offset0:89 offset1:90
	ds_load_2addr_b32 v[107:108], v2 offset0:91 offset1:92
	s_waitcnt lgkmcnt(3)
	v_fmac_f32_e32 v3, v125, v101
	v_fmac_f32_e32 v3, v126, v102
	ds_load_2addr_b32 v[101:102], v2 offset0:93 offset1:94
	s_waitcnt lgkmcnt(3)
	v_fmac_f32_e32 v3, v127, v103
	ds_load_b32 v103, v2 offset:380
	s_waitcnt vmcnt(1)
	v_fmac_f32_e32 v3, v128, v104
	s_waitcnt lgkmcnt(3)
	s_delay_alu instid0(VALU_DEP_1) | instskip(NEXT) | instid1(VALU_DEP_1)
	v_fmac_f32_e32 v3, v129, v105
	v_fmac_f32_e32 v3, v130, v106
	s_waitcnt lgkmcnt(2)
	s_delay_alu instid0(VALU_DEP_1) | instskip(SKIP_1) | instid1(VALU_DEP_1)
	v_fmac_f32_e32 v3, v131, v107
	s_waitcnt vmcnt(0)
	v_fmac_f32_e32 v3, v132, v108
	s_waitcnt lgkmcnt(1)
	s_delay_alu instid0(VALU_DEP_1) | instskip(NEXT) | instid1(VALU_DEP_1)
	v_fmac_f32_e32 v3, v133, v101
	v_fmac_f32_e32 v3, v134, v102
	s_waitcnt lgkmcnt(0)
	s_delay_alu instid0(VALU_DEP_1) | instskip(NEXT) | instid1(VALU_DEP_1)
	v_fmac_f32_e32 v3, v135, v103
	v_sub_f32_e32 v3, v100, v3
	scratch_store_b32 off, v3, off offset:48
	v_cmpx_lt_u32_e32 11, v0
	s_cbranch_execz .LBB111_273
; %bb.272:
	scratch_load_b32 v3, off, off offset:44
	scratch_store_b32 off, v2, off offset:44
	s_waitcnt vmcnt(0)
	ds_store_b32 v1, v3
.LBB111_273:
	s_or_b32 exec_lo, exec_lo, s0
	s_waitcnt lgkmcnt(0)
	s_waitcnt_vscnt null, 0x0
	s_barrier
	buffer_gl0_inv
	s_clause 0x9
	scratch_load_b128 v[100:103], off, off offset:44
	scratch_load_b128 v[104:107], off, off offset:60
	;; [unrolled: 1-line block ×9, first 2 shown]
	scratch_load_b32 v3, off, off offset:188
	ds_load_b128 v[136:139], v2 offset:240
	ds_load_b128 v[140:143], v2 offset:256
	s_mov_b32 s0, exec_lo
	s_waitcnt vmcnt(9) lgkmcnt(1)
	v_fma_f32 v136, v101, v136, 0
	s_delay_alu instid0(VALU_DEP_1) | instskip(NEXT) | instid1(VALU_DEP_1)
	v_fmac_f32_e32 v136, v102, v137
	v_fmac_f32_e32 v136, v103, v138
	s_waitcnt vmcnt(8)
	s_delay_alu instid0(VALU_DEP_1) | instskip(SKIP_3) | instid1(VALU_DEP_1)
	v_fmac_f32_e32 v136, v104, v139
	ds_load_b128 v[101:104], v2 offset:272
	s_waitcnt lgkmcnt(1)
	v_fmac_f32_e32 v136, v105, v140
	v_fmac_f32_e32 v136, v106, v141
	s_delay_alu instid0(VALU_DEP_1) | instskip(SKIP_1) | instid1(VALU_DEP_1)
	v_fmac_f32_e32 v136, v107, v142
	s_waitcnt vmcnt(7)
	v_fmac_f32_e32 v136, v108, v143
	ds_load_b128 v[105:108], v2 offset:288
	s_waitcnt lgkmcnt(1)
	v_fmac_f32_e32 v136, v109, v101
	s_delay_alu instid0(VALU_DEP_1) | instskip(NEXT) | instid1(VALU_DEP_1)
	v_fmac_f32_e32 v136, v110, v102
	v_fmac_f32_e32 v136, v111, v103
	s_waitcnt vmcnt(6)
	s_delay_alu instid0(VALU_DEP_1) | instskip(SKIP_3) | instid1(VALU_DEP_1)
	v_fmac_f32_e32 v136, v112, v104
	ds_load_b128 v[101:104], v2 offset:304
	s_waitcnt lgkmcnt(1)
	v_fmac_f32_e32 v136, v113, v105
	v_fmac_f32_e32 v136, v114, v106
	s_delay_alu instid0(VALU_DEP_1) | instskip(SKIP_1) | instid1(VALU_DEP_1)
	v_fmac_f32_e32 v136, v115, v107
	s_waitcnt vmcnt(5)
	v_fmac_f32_e32 v136, v116, v108
	ds_load_b128 v[105:108], v2 offset:320
	s_waitcnt lgkmcnt(1)
	v_fmac_f32_e32 v136, v117, v101
	;; [unrolled: 17-line block ×3, first 2 shown]
	s_delay_alu instid0(VALU_DEP_1) | instskip(NEXT) | instid1(VALU_DEP_1)
	v_fmac_f32_e32 v136, v126, v102
	v_fmac_f32_e32 v136, v127, v103
	s_waitcnt vmcnt(2)
	s_delay_alu instid0(VALU_DEP_1) | instskip(SKIP_3) | instid1(VALU_DEP_1)
	v_fmac_f32_e32 v136, v128, v104
	ds_load_b128 v[101:104], v2 offset:368
	s_waitcnt lgkmcnt(1)
	v_fmac_f32_e32 v136, v129, v105
	v_fmac_f32_e32 v136, v130, v106
	s_delay_alu instid0(VALU_DEP_1) | instskip(SKIP_1) | instid1(VALU_DEP_1)
	v_fmac_f32_e32 v136, v131, v107
	s_waitcnt vmcnt(1)
	v_fmac_f32_e32 v136, v132, v108
	s_waitcnt lgkmcnt(0)
	s_delay_alu instid0(VALU_DEP_1) | instskip(NEXT) | instid1(VALU_DEP_1)
	v_fmac_f32_e32 v136, v133, v101
	v_fmac_f32_e32 v136, v134, v102
	s_delay_alu instid0(VALU_DEP_1) | instskip(SKIP_1) | instid1(VALU_DEP_1)
	v_fmac_f32_e32 v136, v135, v103
	s_waitcnt vmcnt(0)
	v_fmac_f32_e32 v136, v3, v104
	s_delay_alu instid0(VALU_DEP_1)
	v_sub_f32_e32 v2, v100, v136
	scratch_store_b32 off, v2, off offset:44
	v_cmpx_lt_u32_e32 10, v0
	s_cbranch_execz .LBB111_275
; %bb.274:
	scratch_load_b32 v2, off, off offset:40
	v_mov_b32_e32 v3, 0
	scratch_store_b32 off, v3, off offset:40
	s_waitcnt vmcnt(0)
	ds_store_b32 v1, v2
.LBB111_275:
	s_or_b32 exec_lo, exec_lo, s0
	s_waitcnt lgkmcnt(0)
	s_waitcnt_vscnt null, 0x0
	s_barrier
	buffer_gl0_inv
	s_clause 0x9
	scratch_load_b128 v[100:103], off, off offset:40
	scratch_load_b128 v[104:107], off, off offset:56
	;; [unrolled: 1-line block ×9, first 2 shown]
	scratch_load_b64 v[136:137], off, off offset:184
	v_mov_b32_e32 v2, 0
	ds_load_2addr_b32 v[138:139], v2 offset0:59 offset1:60
	ds_load_2addr_b32 v[140:141], v2 offset0:61 offset1:62
	ds_load_2addr_b32 v[142:143], v2 offset0:63 offset1:64
	ds_load_2addr_b32 v[144:145], v2 offset0:65 offset1:66
	s_mov_b32 s0, exec_lo
	s_waitcnt vmcnt(9) lgkmcnt(3)
	v_fma_f32 v3, v101, v138, 0
	s_delay_alu instid0(VALU_DEP_1) | instskip(SKIP_4) | instid1(VALU_DEP_1)
	v_fmac_f32_e32 v3, v102, v139
	ds_load_2addr_b32 v[101:102], v2 offset0:67 offset1:68
	s_waitcnt lgkmcnt(3)
	v_fmac_f32_e32 v3, v103, v140
	s_waitcnt vmcnt(8)
	v_fmac_f32_e32 v3, v104, v141
	ds_load_2addr_b32 v[103:104], v2 offset0:69 offset1:70
	s_waitcnt lgkmcnt(3)
	v_fmac_f32_e32 v3, v105, v142
	s_delay_alu instid0(VALU_DEP_1) | instskip(SKIP_1) | instid1(VALU_DEP_1)
	v_fmac_f32_e32 v3, v106, v143
	s_waitcnt lgkmcnt(2)
	v_fmac_f32_e32 v3, v107, v144
	s_waitcnt vmcnt(7)
	s_delay_alu instid0(VALU_DEP_1) | instskip(SKIP_4) | instid1(VALU_DEP_1)
	v_fmac_f32_e32 v3, v108, v145
	ds_load_2addr_b32 v[105:106], v2 offset0:71 offset1:72
	ds_load_2addr_b32 v[107:108], v2 offset0:73 offset1:74
	s_waitcnt lgkmcnt(3)
	v_fmac_f32_e32 v3, v109, v101
	v_fmac_f32_e32 v3, v110, v102
	ds_load_2addr_b32 v[101:102], v2 offset0:75 offset1:76
	s_waitcnt lgkmcnt(3)
	v_fmac_f32_e32 v3, v111, v103
	s_waitcnt vmcnt(6)
	s_delay_alu instid0(VALU_DEP_1) | instskip(SKIP_3) | instid1(VALU_DEP_1)
	v_fmac_f32_e32 v3, v112, v104
	ds_load_2addr_b32 v[103:104], v2 offset0:77 offset1:78
	s_waitcnt lgkmcnt(3)
	v_fmac_f32_e32 v3, v113, v105
	v_fmac_f32_e32 v3, v114, v106
	s_waitcnt lgkmcnt(2)
	s_delay_alu instid0(VALU_DEP_1) | instskip(SKIP_1) | instid1(VALU_DEP_1)
	v_fmac_f32_e32 v3, v115, v107
	s_waitcnt vmcnt(5)
	v_fmac_f32_e32 v3, v116, v108
	ds_load_2addr_b32 v[105:106], v2 offset0:79 offset1:80
	ds_load_2addr_b32 v[107:108], v2 offset0:81 offset1:82
	s_waitcnt lgkmcnt(3)
	v_fmac_f32_e32 v3, v117, v101
	s_delay_alu instid0(VALU_DEP_1) | instskip(SKIP_4) | instid1(VALU_DEP_1)
	v_fmac_f32_e32 v3, v118, v102
	ds_load_2addr_b32 v[101:102], v2 offset0:83 offset1:84
	s_waitcnt lgkmcnt(3)
	v_fmac_f32_e32 v3, v119, v103
	s_waitcnt vmcnt(4)
	v_fmac_f32_e32 v3, v120, v104
	ds_load_2addr_b32 v[103:104], v2 offset0:85 offset1:86
	s_waitcnt lgkmcnt(3)
	v_fmac_f32_e32 v3, v121, v105
	s_delay_alu instid0(VALU_DEP_1) | instskip(SKIP_1) | instid1(VALU_DEP_1)
	v_fmac_f32_e32 v3, v122, v106
	s_waitcnt lgkmcnt(2)
	v_fmac_f32_e32 v3, v123, v107
	s_waitcnt vmcnt(3)
	s_delay_alu instid0(VALU_DEP_1) | instskip(SKIP_4) | instid1(VALU_DEP_1)
	v_fmac_f32_e32 v3, v124, v108
	ds_load_2addr_b32 v[105:106], v2 offset0:87 offset1:88
	ds_load_2addr_b32 v[107:108], v2 offset0:89 offset1:90
	s_waitcnt lgkmcnt(3)
	v_fmac_f32_e32 v3, v125, v101
	v_fmac_f32_e32 v3, v126, v102
	ds_load_2addr_b32 v[101:102], v2 offset0:91 offset1:92
	s_waitcnt lgkmcnt(3)
	v_fmac_f32_e32 v3, v127, v103
	s_waitcnt vmcnt(2)
	s_delay_alu instid0(VALU_DEP_1)
	v_fmac_f32_e32 v3, v128, v104
	ds_load_2addr_b32 v[103:104], v2 offset0:93 offset1:94
	s_waitcnt lgkmcnt(3)
	v_fmac_f32_e32 v3, v129, v105
	ds_load_b32 v105, v2 offset:380
	v_fmac_f32_e32 v3, v130, v106
	s_waitcnt lgkmcnt(3)
	s_delay_alu instid0(VALU_DEP_1) | instskip(SKIP_1) | instid1(VALU_DEP_1)
	v_fmac_f32_e32 v3, v131, v107
	s_waitcnt vmcnt(1)
	v_fmac_f32_e32 v3, v132, v108
	s_waitcnt lgkmcnt(2)
	s_delay_alu instid0(VALU_DEP_1) | instskip(NEXT) | instid1(VALU_DEP_1)
	v_fmac_f32_e32 v3, v133, v101
	v_fmac_f32_e32 v3, v134, v102
	s_waitcnt lgkmcnt(1)
	s_delay_alu instid0(VALU_DEP_1) | instskip(SKIP_1) | instid1(VALU_DEP_1)
	v_fmac_f32_e32 v3, v135, v103
	s_waitcnt vmcnt(0)
	v_fmac_f32_e32 v3, v136, v104
	s_waitcnt lgkmcnt(0)
	s_delay_alu instid0(VALU_DEP_1) | instskip(NEXT) | instid1(VALU_DEP_1)
	v_fmac_f32_e32 v3, v137, v105
	v_sub_f32_e32 v3, v100, v3
	scratch_store_b32 off, v3, off offset:40
	v_cmpx_lt_u32_e32 9, v0
	s_cbranch_execz .LBB111_277
; %bb.276:
	scratch_load_b32 v3, off, off offset:36
	scratch_store_b32 off, v2, off offset:36
	s_waitcnt vmcnt(0)
	ds_store_b32 v1, v3
.LBB111_277:
	s_or_b32 exec_lo, exec_lo, s0
	s_waitcnt lgkmcnt(0)
	s_waitcnt_vscnt null, 0x0
	s_barrier
	buffer_gl0_inv
	s_clause 0x9
	scratch_load_b128 v[100:103], off, off offset:36
	scratch_load_b128 v[104:107], off, off offset:52
	;; [unrolled: 1-line block ×9, first 2 shown]
	scratch_load_b96 v[144:146], off, off offset:180
	ds_load_2addr_b64 v[136:139], v2 offset0:29 offset1:30
	ds_load_2addr_b64 v[140:143], v2 offset0:31 offset1:32
	s_mov_b32 s0, exec_lo
	s_waitcnt vmcnt(9) lgkmcnt(1)
	v_fma_f32 v136, v101, v136, 0
	s_delay_alu instid0(VALU_DEP_1) | instskip(NEXT) | instid1(VALU_DEP_1)
	v_fmac_f32_e32 v136, v102, v137
	v_fmac_f32_e32 v136, v103, v138
	s_waitcnt vmcnt(8)
	s_delay_alu instid0(VALU_DEP_1) | instskip(SKIP_3) | instid1(VALU_DEP_1)
	v_fmac_f32_e32 v136, v104, v139
	ds_load_2addr_b64 v[101:104], v2 offset0:33 offset1:34
	s_waitcnt lgkmcnt(1)
	v_fmac_f32_e32 v136, v105, v140
	v_fmac_f32_e32 v136, v106, v141
	s_delay_alu instid0(VALU_DEP_1) | instskip(SKIP_1) | instid1(VALU_DEP_1)
	v_fmac_f32_e32 v136, v107, v142
	s_waitcnt vmcnt(7)
	v_fmac_f32_e32 v136, v108, v143
	ds_load_2addr_b64 v[105:108], v2 offset0:35 offset1:36
	s_waitcnt lgkmcnt(1)
	v_fmac_f32_e32 v136, v109, v101
	s_delay_alu instid0(VALU_DEP_1) | instskip(NEXT) | instid1(VALU_DEP_1)
	v_fmac_f32_e32 v136, v110, v102
	v_fmac_f32_e32 v136, v111, v103
	s_waitcnt vmcnt(6)
	s_delay_alu instid0(VALU_DEP_1) | instskip(SKIP_3) | instid1(VALU_DEP_1)
	v_fmac_f32_e32 v136, v112, v104
	ds_load_2addr_b64 v[101:104], v2 offset0:37 offset1:38
	s_waitcnt lgkmcnt(1)
	v_fmac_f32_e32 v136, v113, v105
	v_fmac_f32_e32 v136, v114, v106
	s_delay_alu instid0(VALU_DEP_1) | instskip(SKIP_1) | instid1(VALU_DEP_1)
	v_fmac_f32_e32 v136, v115, v107
	s_waitcnt vmcnt(5)
	v_fmac_f32_e32 v136, v116, v108
	ds_load_2addr_b64 v[105:108], v2 offset0:39 offset1:40
	s_waitcnt lgkmcnt(1)
	v_fmac_f32_e32 v136, v117, v101
	;; [unrolled: 17-line block ×3, first 2 shown]
	s_delay_alu instid0(VALU_DEP_1) | instskip(NEXT) | instid1(VALU_DEP_1)
	v_fmac_f32_e32 v136, v126, v102
	v_fmac_f32_e32 v136, v127, v103
	s_waitcnt vmcnt(2)
	s_delay_alu instid0(VALU_DEP_1) | instskip(SKIP_4) | instid1(VALU_DEP_1)
	v_fmac_f32_e32 v136, v128, v104
	ds_load_2addr_b64 v[101:104], v2 offset0:45 offset1:46
	ds_load_b64 v[2:3], v2 offset:376
	s_waitcnt lgkmcnt(2)
	v_fmac_f32_e32 v136, v129, v105
	v_fmac_f32_e32 v136, v130, v106
	s_delay_alu instid0(VALU_DEP_1) | instskip(SKIP_1) | instid1(VALU_DEP_1)
	v_fmac_f32_e32 v136, v131, v107
	s_waitcnt vmcnt(1)
	v_fmac_f32_e32 v136, v132, v108
	s_waitcnt lgkmcnt(1)
	s_delay_alu instid0(VALU_DEP_1) | instskip(NEXT) | instid1(VALU_DEP_1)
	v_fmac_f32_e32 v136, v133, v101
	v_fmac_f32_e32 v136, v134, v102
	s_delay_alu instid0(VALU_DEP_1) | instskip(SKIP_1) | instid1(VALU_DEP_1)
	v_fmac_f32_e32 v136, v135, v103
	s_waitcnt vmcnt(0)
	v_fmac_f32_e32 v136, v144, v104
	s_waitcnt lgkmcnt(0)
	s_delay_alu instid0(VALU_DEP_1) | instskip(NEXT) | instid1(VALU_DEP_1)
	v_fmac_f32_e32 v136, v145, v2
	v_fmac_f32_e32 v136, v146, v3
	s_delay_alu instid0(VALU_DEP_1)
	v_sub_f32_e32 v2, v100, v136
	scratch_store_b32 off, v2, off offset:36
	v_cmpx_lt_u32_e32 8, v0
	s_cbranch_execz .LBB111_279
; %bb.278:
	scratch_load_b32 v2, off, off offset:32
	v_mov_b32_e32 v3, 0
	scratch_store_b32 off, v3, off offset:32
	s_waitcnt vmcnt(0)
	ds_store_b32 v1, v2
.LBB111_279:
	s_or_b32 exec_lo, exec_lo, s0
	s_waitcnt lgkmcnt(0)
	s_waitcnt_vscnt null, 0x0
	s_barrier
	buffer_gl0_inv
	s_clause 0x9
	scratch_load_b128 v[100:103], off, off offset:32
	scratch_load_b128 v[104:107], off, off offset:48
	;; [unrolled: 1-line block ×10, first 2 shown]
	v_mov_b32_e32 v2, 0
	ds_load_2addr_b32 v[140:141], v2 offset0:57 offset1:58
	ds_load_2addr_b32 v[142:143], v2 offset0:59 offset1:60
	;; [unrolled: 1-line block ×4, first 2 shown]
	s_mov_b32 s0, exec_lo
	s_waitcnt vmcnt(9) lgkmcnt(3)
	v_fma_f32 v3, v101, v140, 0
	s_delay_alu instid0(VALU_DEP_1) | instskip(SKIP_4) | instid1(VALU_DEP_1)
	v_fmac_f32_e32 v3, v102, v141
	ds_load_2addr_b32 v[101:102], v2 offset0:65 offset1:66
	s_waitcnt lgkmcnt(3)
	v_fmac_f32_e32 v3, v103, v142
	s_waitcnt vmcnt(8)
	v_fmac_f32_e32 v3, v104, v143
	ds_load_2addr_b32 v[103:104], v2 offset0:67 offset1:68
	s_waitcnt lgkmcnt(3)
	v_fmac_f32_e32 v3, v105, v144
	s_delay_alu instid0(VALU_DEP_1) | instskip(SKIP_1) | instid1(VALU_DEP_1)
	v_fmac_f32_e32 v3, v106, v145
	s_waitcnt lgkmcnt(2)
	v_fmac_f32_e32 v3, v107, v146
	s_waitcnt vmcnt(7)
	s_delay_alu instid0(VALU_DEP_1) | instskip(SKIP_4) | instid1(VALU_DEP_1)
	v_fmac_f32_e32 v3, v108, v147
	ds_load_2addr_b32 v[105:106], v2 offset0:69 offset1:70
	ds_load_2addr_b32 v[107:108], v2 offset0:71 offset1:72
	s_waitcnt lgkmcnt(3)
	v_fmac_f32_e32 v3, v109, v101
	v_fmac_f32_e32 v3, v110, v102
	ds_load_2addr_b32 v[101:102], v2 offset0:73 offset1:74
	s_waitcnt lgkmcnt(3)
	v_fmac_f32_e32 v3, v111, v103
	s_waitcnt vmcnt(6)
	s_delay_alu instid0(VALU_DEP_1) | instskip(SKIP_3) | instid1(VALU_DEP_1)
	v_fmac_f32_e32 v3, v112, v104
	ds_load_2addr_b32 v[103:104], v2 offset0:75 offset1:76
	s_waitcnt lgkmcnt(3)
	v_fmac_f32_e32 v3, v113, v105
	v_fmac_f32_e32 v3, v114, v106
	s_waitcnt lgkmcnt(2)
	s_delay_alu instid0(VALU_DEP_1) | instskip(SKIP_1) | instid1(VALU_DEP_1)
	v_fmac_f32_e32 v3, v115, v107
	s_waitcnt vmcnt(5)
	v_fmac_f32_e32 v3, v116, v108
	ds_load_2addr_b32 v[105:106], v2 offset0:77 offset1:78
	ds_load_2addr_b32 v[107:108], v2 offset0:79 offset1:80
	s_waitcnt lgkmcnt(3)
	v_fmac_f32_e32 v3, v117, v101
	s_delay_alu instid0(VALU_DEP_1) | instskip(SKIP_4) | instid1(VALU_DEP_1)
	v_fmac_f32_e32 v3, v118, v102
	ds_load_2addr_b32 v[101:102], v2 offset0:81 offset1:82
	s_waitcnt lgkmcnt(3)
	v_fmac_f32_e32 v3, v119, v103
	s_waitcnt vmcnt(4)
	v_fmac_f32_e32 v3, v120, v104
	ds_load_2addr_b32 v[103:104], v2 offset0:83 offset1:84
	s_waitcnt lgkmcnt(3)
	v_fmac_f32_e32 v3, v121, v105
	s_delay_alu instid0(VALU_DEP_1) | instskip(SKIP_1) | instid1(VALU_DEP_1)
	v_fmac_f32_e32 v3, v122, v106
	s_waitcnt lgkmcnt(2)
	v_fmac_f32_e32 v3, v123, v107
	s_waitcnt vmcnt(3)
	s_delay_alu instid0(VALU_DEP_1) | instskip(SKIP_4) | instid1(VALU_DEP_1)
	v_fmac_f32_e32 v3, v124, v108
	ds_load_2addr_b32 v[105:106], v2 offset0:85 offset1:86
	ds_load_2addr_b32 v[107:108], v2 offset0:87 offset1:88
	s_waitcnt lgkmcnt(3)
	v_fmac_f32_e32 v3, v125, v101
	v_fmac_f32_e32 v3, v126, v102
	ds_load_2addr_b32 v[101:102], v2 offset0:89 offset1:90
	s_waitcnt lgkmcnt(3)
	v_fmac_f32_e32 v3, v127, v103
	s_waitcnt vmcnt(2)
	s_delay_alu instid0(VALU_DEP_1) | instskip(SKIP_3) | instid1(VALU_DEP_1)
	v_fmac_f32_e32 v3, v128, v104
	ds_load_2addr_b32 v[103:104], v2 offset0:91 offset1:92
	s_waitcnt lgkmcnt(3)
	v_fmac_f32_e32 v3, v129, v105
	v_fmac_f32_e32 v3, v130, v106
	s_waitcnt lgkmcnt(2)
	s_delay_alu instid0(VALU_DEP_1)
	v_fmac_f32_e32 v3, v131, v107
	ds_load_2addr_b32 v[105:106], v2 offset0:93 offset1:94
	ds_load_b32 v107, v2 offset:380
	s_waitcnt vmcnt(1)
	v_fmac_f32_e32 v3, v132, v108
	s_waitcnt lgkmcnt(3)
	s_delay_alu instid0(VALU_DEP_1) | instskip(NEXT) | instid1(VALU_DEP_1)
	v_fmac_f32_e32 v3, v133, v101
	v_fmac_f32_e32 v3, v134, v102
	s_waitcnt lgkmcnt(2)
	s_delay_alu instid0(VALU_DEP_1) | instskip(SKIP_1) | instid1(VALU_DEP_1)
	v_fmac_f32_e32 v3, v135, v103
	s_waitcnt vmcnt(0)
	v_fmac_f32_e32 v3, v136, v104
	s_waitcnt lgkmcnt(1)
	s_delay_alu instid0(VALU_DEP_1) | instskip(NEXT) | instid1(VALU_DEP_1)
	v_fmac_f32_e32 v3, v137, v105
	v_fmac_f32_e32 v3, v138, v106
	s_waitcnt lgkmcnt(0)
	s_delay_alu instid0(VALU_DEP_1) | instskip(NEXT) | instid1(VALU_DEP_1)
	v_fmac_f32_e32 v3, v139, v107
	v_sub_f32_e32 v3, v100, v3
	scratch_store_b32 off, v3, off offset:32
	v_cmpx_lt_u32_e32 7, v0
	s_cbranch_execz .LBB111_281
; %bb.280:
	scratch_load_b32 v3, off, off offset:28
	scratch_store_b32 off, v2, off offset:28
	s_waitcnt vmcnt(0)
	ds_store_b32 v1, v3
.LBB111_281:
	s_or_b32 exec_lo, exec_lo, s0
	s_waitcnt lgkmcnt(0)
	s_waitcnt_vscnt null, 0x0
	s_barrier
	buffer_gl0_inv
	s_clause 0xa
	scratch_load_b128 v[100:103], off, off offset:28
	scratch_load_b128 v[104:107], off, off offset:44
	;; [unrolled: 1-line block ×10, first 2 shown]
	scratch_load_b32 v3, off, off offset:188
	ds_load_b128 v[140:143], v2 offset:224
	ds_load_b128 v[144:147], v2 offset:240
	s_mov_b32 s0, exec_lo
	s_waitcnt vmcnt(10) lgkmcnt(1)
	v_fma_f32 v140, v101, v140, 0
	s_delay_alu instid0(VALU_DEP_1) | instskip(NEXT) | instid1(VALU_DEP_1)
	v_fmac_f32_e32 v140, v102, v141
	v_fmac_f32_e32 v140, v103, v142
	s_waitcnt vmcnt(9)
	s_delay_alu instid0(VALU_DEP_1) | instskip(SKIP_3) | instid1(VALU_DEP_1)
	v_fmac_f32_e32 v140, v104, v143
	ds_load_b128 v[101:104], v2 offset:256
	s_waitcnt lgkmcnt(1)
	v_fmac_f32_e32 v140, v105, v144
	v_fmac_f32_e32 v140, v106, v145
	s_delay_alu instid0(VALU_DEP_1) | instskip(SKIP_1) | instid1(VALU_DEP_1)
	v_fmac_f32_e32 v140, v107, v146
	s_waitcnt vmcnt(8)
	v_fmac_f32_e32 v140, v108, v147
	ds_load_b128 v[105:108], v2 offset:272
	s_waitcnt lgkmcnt(1)
	v_fmac_f32_e32 v140, v109, v101
	s_delay_alu instid0(VALU_DEP_1) | instskip(NEXT) | instid1(VALU_DEP_1)
	v_fmac_f32_e32 v140, v110, v102
	v_fmac_f32_e32 v140, v111, v103
	s_waitcnt vmcnt(7)
	s_delay_alu instid0(VALU_DEP_1) | instskip(SKIP_3) | instid1(VALU_DEP_1)
	v_fmac_f32_e32 v140, v112, v104
	ds_load_b128 v[101:104], v2 offset:288
	s_waitcnt lgkmcnt(1)
	v_fmac_f32_e32 v140, v113, v105
	v_fmac_f32_e32 v140, v114, v106
	s_delay_alu instid0(VALU_DEP_1) | instskip(SKIP_1) | instid1(VALU_DEP_1)
	v_fmac_f32_e32 v140, v115, v107
	s_waitcnt vmcnt(6)
	v_fmac_f32_e32 v140, v116, v108
	ds_load_b128 v[105:108], v2 offset:304
	s_waitcnt lgkmcnt(1)
	v_fmac_f32_e32 v140, v117, v101
	;; [unrolled: 17-line block ×4, first 2 shown]
	s_delay_alu instid0(VALU_DEP_1) | instskip(NEXT) | instid1(VALU_DEP_1)
	v_fmac_f32_e32 v140, v134, v102
	v_fmac_f32_e32 v140, v135, v103
	s_waitcnt vmcnt(1)
	s_delay_alu instid0(VALU_DEP_1) | instskip(SKIP_1) | instid1(VALU_DEP_1)
	v_fmac_f32_e32 v140, v136, v104
	s_waitcnt lgkmcnt(0)
	v_fmac_f32_e32 v140, v137, v105
	s_delay_alu instid0(VALU_DEP_1) | instskip(NEXT) | instid1(VALU_DEP_1)
	v_fmac_f32_e32 v140, v138, v106
	v_fmac_f32_e32 v140, v139, v107
	s_waitcnt vmcnt(0)
	s_delay_alu instid0(VALU_DEP_1) | instskip(NEXT) | instid1(VALU_DEP_1)
	v_fmac_f32_e32 v140, v3, v108
	v_sub_f32_e32 v2, v100, v140
	scratch_store_b32 off, v2, off offset:28
	v_cmpx_lt_u32_e32 6, v0
	s_cbranch_execz .LBB111_283
; %bb.282:
	scratch_load_b32 v2, off, off offset:24
	v_mov_b32_e32 v3, 0
	scratch_store_b32 off, v3, off offset:24
	s_waitcnt vmcnt(0)
	ds_store_b32 v1, v2
.LBB111_283:
	s_or_b32 exec_lo, exec_lo, s0
	s_waitcnt lgkmcnt(0)
	s_waitcnt_vscnt null, 0x0
	s_barrier
	buffer_gl0_inv
	s_clause 0xa
	scratch_load_b128 v[100:103], off, off offset:24
	scratch_load_b128 v[104:107], off, off offset:40
	scratch_load_b128 v[108:111], off, off offset:56
	scratch_load_b128 v[112:115], off, off offset:72
	scratch_load_b128 v[116:119], off, off offset:88
	scratch_load_b128 v[120:123], off, off offset:104
	scratch_load_b128 v[124:127], off, off offset:120
	scratch_load_b128 v[128:131], off, off offset:136
	scratch_load_b128 v[132:135], off, off offset:152
	scratch_load_b128 v[136:139], off, off offset:168
	scratch_load_b64 v[140:141], off, off offset:184
	v_mov_b32_e32 v2, 0
	ds_load_2addr_b32 v[142:143], v2 offset0:55 offset1:56
	ds_load_2addr_b32 v[144:145], v2 offset0:57 offset1:58
	;; [unrolled: 1-line block ×4, first 2 shown]
	s_mov_b32 s0, exec_lo
	s_waitcnt vmcnt(10) lgkmcnt(3)
	v_fma_f32 v3, v101, v142, 0
	s_delay_alu instid0(VALU_DEP_1) | instskip(SKIP_4) | instid1(VALU_DEP_1)
	v_fmac_f32_e32 v3, v102, v143
	ds_load_2addr_b32 v[101:102], v2 offset0:63 offset1:64
	s_waitcnt lgkmcnt(3)
	v_fmac_f32_e32 v3, v103, v144
	s_waitcnt vmcnt(9)
	v_fmac_f32_e32 v3, v104, v145
	ds_load_2addr_b32 v[103:104], v2 offset0:65 offset1:66
	s_waitcnt lgkmcnt(3)
	v_fmac_f32_e32 v3, v105, v146
	s_delay_alu instid0(VALU_DEP_1) | instskip(SKIP_1) | instid1(VALU_DEP_1)
	v_fmac_f32_e32 v3, v106, v147
	s_waitcnt lgkmcnt(2)
	v_fmac_f32_e32 v3, v107, v148
	s_waitcnt vmcnt(8)
	s_delay_alu instid0(VALU_DEP_1) | instskip(SKIP_4) | instid1(VALU_DEP_1)
	v_fmac_f32_e32 v3, v108, v149
	ds_load_2addr_b32 v[105:106], v2 offset0:67 offset1:68
	ds_load_2addr_b32 v[107:108], v2 offset0:69 offset1:70
	s_waitcnt lgkmcnt(3)
	v_fmac_f32_e32 v3, v109, v101
	v_fmac_f32_e32 v3, v110, v102
	ds_load_2addr_b32 v[101:102], v2 offset0:71 offset1:72
	s_waitcnt lgkmcnt(3)
	v_fmac_f32_e32 v3, v111, v103
	s_waitcnt vmcnt(7)
	s_delay_alu instid0(VALU_DEP_1) | instskip(SKIP_3) | instid1(VALU_DEP_1)
	v_fmac_f32_e32 v3, v112, v104
	ds_load_2addr_b32 v[103:104], v2 offset0:73 offset1:74
	s_waitcnt lgkmcnt(3)
	v_fmac_f32_e32 v3, v113, v105
	v_fmac_f32_e32 v3, v114, v106
	s_waitcnt lgkmcnt(2)
	s_delay_alu instid0(VALU_DEP_1) | instskip(SKIP_1) | instid1(VALU_DEP_1)
	v_fmac_f32_e32 v3, v115, v107
	s_waitcnt vmcnt(6)
	v_fmac_f32_e32 v3, v116, v108
	ds_load_2addr_b32 v[105:106], v2 offset0:75 offset1:76
	ds_load_2addr_b32 v[107:108], v2 offset0:77 offset1:78
	s_waitcnt lgkmcnt(3)
	v_fmac_f32_e32 v3, v117, v101
	s_delay_alu instid0(VALU_DEP_1) | instskip(SKIP_4) | instid1(VALU_DEP_1)
	v_fmac_f32_e32 v3, v118, v102
	ds_load_2addr_b32 v[101:102], v2 offset0:79 offset1:80
	s_waitcnt lgkmcnt(3)
	v_fmac_f32_e32 v3, v119, v103
	s_waitcnt vmcnt(5)
	v_fmac_f32_e32 v3, v120, v104
	ds_load_2addr_b32 v[103:104], v2 offset0:81 offset1:82
	s_waitcnt lgkmcnt(3)
	v_fmac_f32_e32 v3, v121, v105
	s_delay_alu instid0(VALU_DEP_1) | instskip(SKIP_1) | instid1(VALU_DEP_1)
	v_fmac_f32_e32 v3, v122, v106
	s_waitcnt lgkmcnt(2)
	v_fmac_f32_e32 v3, v123, v107
	s_waitcnt vmcnt(4)
	s_delay_alu instid0(VALU_DEP_1) | instskip(SKIP_4) | instid1(VALU_DEP_1)
	v_fmac_f32_e32 v3, v124, v108
	ds_load_2addr_b32 v[105:106], v2 offset0:83 offset1:84
	ds_load_2addr_b32 v[107:108], v2 offset0:85 offset1:86
	s_waitcnt lgkmcnt(3)
	v_fmac_f32_e32 v3, v125, v101
	v_fmac_f32_e32 v3, v126, v102
	ds_load_2addr_b32 v[101:102], v2 offset0:87 offset1:88
	s_waitcnt lgkmcnt(3)
	v_fmac_f32_e32 v3, v127, v103
	s_waitcnt vmcnt(3)
	s_delay_alu instid0(VALU_DEP_1) | instskip(SKIP_3) | instid1(VALU_DEP_1)
	v_fmac_f32_e32 v3, v128, v104
	ds_load_2addr_b32 v[103:104], v2 offset0:89 offset1:90
	s_waitcnt lgkmcnt(3)
	v_fmac_f32_e32 v3, v129, v105
	v_fmac_f32_e32 v3, v130, v106
	s_waitcnt lgkmcnt(2)
	s_delay_alu instid0(VALU_DEP_1) | instskip(SKIP_1) | instid1(VALU_DEP_1)
	v_fmac_f32_e32 v3, v131, v107
	s_waitcnt vmcnt(2)
	v_fmac_f32_e32 v3, v132, v108
	ds_load_2addr_b32 v[105:106], v2 offset0:91 offset1:92
	ds_load_2addr_b32 v[107:108], v2 offset0:93 offset1:94
	s_waitcnt lgkmcnt(3)
	v_fmac_f32_e32 v3, v133, v101
	ds_load_b32 v101, v2 offset:380
	v_fmac_f32_e32 v3, v134, v102
	s_waitcnt lgkmcnt(3)
	s_delay_alu instid0(VALU_DEP_1) | instskip(SKIP_1) | instid1(VALU_DEP_1)
	v_fmac_f32_e32 v3, v135, v103
	s_waitcnt vmcnt(1)
	v_fmac_f32_e32 v3, v136, v104
	s_waitcnt lgkmcnt(2)
	s_delay_alu instid0(VALU_DEP_1) | instskip(NEXT) | instid1(VALU_DEP_1)
	v_fmac_f32_e32 v3, v137, v105
	v_fmac_f32_e32 v3, v138, v106
	s_waitcnt lgkmcnt(1)
	s_delay_alu instid0(VALU_DEP_1) | instskip(SKIP_1) | instid1(VALU_DEP_1)
	v_fmac_f32_e32 v3, v139, v107
	s_waitcnt vmcnt(0)
	v_fmac_f32_e32 v3, v140, v108
	s_waitcnt lgkmcnt(0)
	s_delay_alu instid0(VALU_DEP_1) | instskip(NEXT) | instid1(VALU_DEP_1)
	v_fmac_f32_e32 v3, v141, v101
	v_sub_f32_e32 v3, v100, v3
	scratch_store_b32 off, v3, off offset:24
	v_cmpx_lt_u32_e32 5, v0
	s_cbranch_execz .LBB111_285
; %bb.284:
	scratch_load_b32 v3, off, off offset:20
	scratch_store_b32 off, v2, off offset:20
	s_waitcnt vmcnt(0)
	ds_store_b32 v1, v3
.LBB111_285:
	s_or_b32 exec_lo, exec_lo, s0
	s_waitcnt lgkmcnt(0)
	s_waitcnt_vscnt null, 0x0
	s_barrier
	buffer_gl0_inv
	s_clause 0xa
	scratch_load_b128 v[100:103], off, off offset:20
	scratch_load_b128 v[104:107], off, off offset:36
	;; [unrolled: 1-line block ×10, first 2 shown]
	scratch_load_b96 v[148:150], off, off offset:180
	ds_load_2addr_b64 v[140:143], v2 offset0:27 offset1:28
	ds_load_2addr_b64 v[144:147], v2 offset0:29 offset1:30
	s_mov_b32 s0, exec_lo
	s_waitcnt vmcnt(10) lgkmcnt(1)
	v_fma_f32 v140, v101, v140, 0
	s_delay_alu instid0(VALU_DEP_1) | instskip(NEXT) | instid1(VALU_DEP_1)
	v_fmac_f32_e32 v140, v102, v141
	v_fmac_f32_e32 v140, v103, v142
	s_waitcnt vmcnt(9)
	s_delay_alu instid0(VALU_DEP_1) | instskip(SKIP_3) | instid1(VALU_DEP_1)
	v_fmac_f32_e32 v140, v104, v143
	ds_load_2addr_b64 v[101:104], v2 offset0:31 offset1:32
	s_waitcnt lgkmcnt(1)
	v_fmac_f32_e32 v140, v105, v144
	v_fmac_f32_e32 v140, v106, v145
	s_delay_alu instid0(VALU_DEP_1) | instskip(SKIP_1) | instid1(VALU_DEP_1)
	v_fmac_f32_e32 v140, v107, v146
	s_waitcnt vmcnt(8)
	v_fmac_f32_e32 v140, v108, v147
	ds_load_2addr_b64 v[105:108], v2 offset0:33 offset1:34
	s_waitcnt lgkmcnt(1)
	v_fmac_f32_e32 v140, v109, v101
	s_delay_alu instid0(VALU_DEP_1) | instskip(NEXT) | instid1(VALU_DEP_1)
	v_fmac_f32_e32 v140, v110, v102
	v_fmac_f32_e32 v140, v111, v103
	s_waitcnt vmcnt(7)
	s_delay_alu instid0(VALU_DEP_1) | instskip(SKIP_3) | instid1(VALU_DEP_1)
	v_fmac_f32_e32 v140, v112, v104
	ds_load_2addr_b64 v[101:104], v2 offset0:35 offset1:36
	s_waitcnt lgkmcnt(1)
	v_fmac_f32_e32 v140, v113, v105
	v_fmac_f32_e32 v140, v114, v106
	s_delay_alu instid0(VALU_DEP_1) | instskip(SKIP_1) | instid1(VALU_DEP_1)
	v_fmac_f32_e32 v140, v115, v107
	s_waitcnt vmcnt(6)
	v_fmac_f32_e32 v140, v116, v108
	ds_load_2addr_b64 v[105:108], v2 offset0:37 offset1:38
	s_waitcnt lgkmcnt(1)
	v_fmac_f32_e32 v140, v117, v101
	;; [unrolled: 17-line block ×3, first 2 shown]
	s_delay_alu instid0(VALU_DEP_1) | instskip(NEXT) | instid1(VALU_DEP_1)
	v_fmac_f32_e32 v140, v126, v102
	v_fmac_f32_e32 v140, v127, v103
	s_waitcnt vmcnt(3)
	s_delay_alu instid0(VALU_DEP_1) | instskip(SKIP_3) | instid1(VALU_DEP_1)
	v_fmac_f32_e32 v140, v128, v104
	ds_load_2addr_b64 v[101:104], v2 offset0:43 offset1:44
	s_waitcnt lgkmcnt(1)
	v_fmac_f32_e32 v140, v129, v105
	v_fmac_f32_e32 v140, v130, v106
	s_delay_alu instid0(VALU_DEP_1) | instskip(SKIP_1) | instid1(VALU_DEP_1)
	v_fmac_f32_e32 v140, v131, v107
	s_waitcnt vmcnt(2)
	v_fmac_f32_e32 v140, v132, v108
	ds_load_2addr_b64 v[105:108], v2 offset0:45 offset1:46
	ds_load_b64 v[2:3], v2 offset:376
	s_waitcnt lgkmcnt(2)
	v_fmac_f32_e32 v140, v133, v101
	s_delay_alu instid0(VALU_DEP_1) | instskip(NEXT) | instid1(VALU_DEP_1)
	v_fmac_f32_e32 v140, v134, v102
	v_fmac_f32_e32 v140, v135, v103
	s_waitcnt vmcnt(1)
	s_delay_alu instid0(VALU_DEP_1) | instskip(SKIP_1) | instid1(VALU_DEP_1)
	v_fmac_f32_e32 v140, v136, v104
	s_waitcnt lgkmcnt(1)
	v_fmac_f32_e32 v140, v137, v105
	s_delay_alu instid0(VALU_DEP_1) | instskip(NEXT) | instid1(VALU_DEP_1)
	v_fmac_f32_e32 v140, v138, v106
	v_fmac_f32_e32 v140, v139, v107
	s_waitcnt vmcnt(0)
	s_delay_alu instid0(VALU_DEP_1) | instskip(SKIP_1) | instid1(VALU_DEP_1)
	v_fmac_f32_e32 v140, v148, v108
	s_waitcnt lgkmcnt(0)
	v_fmac_f32_e32 v140, v149, v2
	s_delay_alu instid0(VALU_DEP_1) | instskip(NEXT) | instid1(VALU_DEP_1)
	v_fmac_f32_e32 v140, v150, v3
	v_sub_f32_e32 v2, v100, v140
	scratch_store_b32 off, v2, off offset:20
	v_cmpx_lt_u32_e32 4, v0
	s_cbranch_execz .LBB111_287
; %bb.286:
	scratch_load_b32 v2, off, off offset:16
	v_mov_b32_e32 v3, 0
	scratch_store_b32 off, v3, off offset:16
	s_waitcnt vmcnt(0)
	ds_store_b32 v1, v2
.LBB111_287:
	s_or_b32 exec_lo, exec_lo, s0
	s_waitcnt lgkmcnt(0)
	s_waitcnt_vscnt null, 0x0
	s_barrier
	buffer_gl0_inv
	s_clause 0xa
	scratch_load_b128 v[100:103], off, off offset:16
	scratch_load_b128 v[104:107], off, off offset:32
	;; [unrolled: 1-line block ×11, first 2 shown]
	v_mov_b32_e32 v2, 0
	ds_load_2addr_b32 v[144:145], v2 offset0:53 offset1:54
	ds_load_2addr_b32 v[146:147], v2 offset0:55 offset1:56
	;; [unrolled: 1-line block ×4, first 2 shown]
	s_mov_b32 s0, exec_lo
	s_waitcnt vmcnt(10) lgkmcnt(3)
	v_fma_f32 v3, v101, v144, 0
	s_delay_alu instid0(VALU_DEP_1) | instskip(SKIP_4) | instid1(VALU_DEP_1)
	v_fmac_f32_e32 v3, v102, v145
	ds_load_2addr_b32 v[101:102], v2 offset0:61 offset1:62
	s_waitcnt lgkmcnt(3)
	v_fmac_f32_e32 v3, v103, v146
	s_waitcnt vmcnt(9)
	v_fmac_f32_e32 v3, v104, v147
	ds_load_2addr_b32 v[103:104], v2 offset0:63 offset1:64
	s_waitcnt lgkmcnt(3)
	v_fmac_f32_e32 v3, v105, v148
	s_delay_alu instid0(VALU_DEP_1) | instskip(SKIP_1) | instid1(VALU_DEP_1)
	v_fmac_f32_e32 v3, v106, v149
	s_waitcnt lgkmcnt(2)
	v_fmac_f32_e32 v3, v107, v150
	s_waitcnt vmcnt(8)
	s_delay_alu instid0(VALU_DEP_1) | instskip(SKIP_4) | instid1(VALU_DEP_1)
	v_fmac_f32_e32 v3, v108, v151
	ds_load_2addr_b32 v[105:106], v2 offset0:65 offset1:66
	ds_load_2addr_b32 v[107:108], v2 offset0:67 offset1:68
	s_waitcnt lgkmcnt(3)
	v_fmac_f32_e32 v3, v109, v101
	v_fmac_f32_e32 v3, v110, v102
	ds_load_2addr_b32 v[101:102], v2 offset0:69 offset1:70
	s_waitcnt lgkmcnt(3)
	v_fmac_f32_e32 v3, v111, v103
	s_waitcnt vmcnt(7)
	s_delay_alu instid0(VALU_DEP_1) | instskip(SKIP_3) | instid1(VALU_DEP_1)
	v_fmac_f32_e32 v3, v112, v104
	ds_load_2addr_b32 v[103:104], v2 offset0:71 offset1:72
	s_waitcnt lgkmcnt(3)
	v_fmac_f32_e32 v3, v113, v105
	v_fmac_f32_e32 v3, v114, v106
	s_waitcnt lgkmcnt(2)
	s_delay_alu instid0(VALU_DEP_1) | instskip(SKIP_1) | instid1(VALU_DEP_1)
	v_fmac_f32_e32 v3, v115, v107
	s_waitcnt vmcnt(6)
	v_fmac_f32_e32 v3, v116, v108
	ds_load_2addr_b32 v[105:106], v2 offset0:73 offset1:74
	ds_load_2addr_b32 v[107:108], v2 offset0:75 offset1:76
	s_waitcnt lgkmcnt(3)
	v_fmac_f32_e32 v3, v117, v101
	s_delay_alu instid0(VALU_DEP_1) | instskip(SKIP_4) | instid1(VALU_DEP_1)
	v_fmac_f32_e32 v3, v118, v102
	ds_load_2addr_b32 v[101:102], v2 offset0:77 offset1:78
	s_waitcnt lgkmcnt(3)
	v_fmac_f32_e32 v3, v119, v103
	s_waitcnt vmcnt(5)
	v_fmac_f32_e32 v3, v120, v104
	ds_load_2addr_b32 v[103:104], v2 offset0:79 offset1:80
	s_waitcnt lgkmcnt(3)
	v_fmac_f32_e32 v3, v121, v105
	s_delay_alu instid0(VALU_DEP_1) | instskip(SKIP_1) | instid1(VALU_DEP_1)
	v_fmac_f32_e32 v3, v122, v106
	s_waitcnt lgkmcnt(2)
	v_fmac_f32_e32 v3, v123, v107
	s_waitcnt vmcnt(4)
	s_delay_alu instid0(VALU_DEP_1) | instskip(SKIP_4) | instid1(VALU_DEP_1)
	v_fmac_f32_e32 v3, v124, v108
	ds_load_2addr_b32 v[105:106], v2 offset0:81 offset1:82
	ds_load_2addr_b32 v[107:108], v2 offset0:83 offset1:84
	s_waitcnt lgkmcnt(3)
	v_fmac_f32_e32 v3, v125, v101
	v_fmac_f32_e32 v3, v126, v102
	ds_load_2addr_b32 v[101:102], v2 offset0:85 offset1:86
	s_waitcnt lgkmcnt(3)
	v_fmac_f32_e32 v3, v127, v103
	s_waitcnt vmcnt(3)
	s_delay_alu instid0(VALU_DEP_1) | instskip(SKIP_3) | instid1(VALU_DEP_1)
	v_fmac_f32_e32 v3, v128, v104
	ds_load_2addr_b32 v[103:104], v2 offset0:87 offset1:88
	s_waitcnt lgkmcnt(3)
	v_fmac_f32_e32 v3, v129, v105
	v_fmac_f32_e32 v3, v130, v106
	s_waitcnt lgkmcnt(2)
	s_delay_alu instid0(VALU_DEP_1) | instskip(SKIP_1) | instid1(VALU_DEP_1)
	v_fmac_f32_e32 v3, v131, v107
	s_waitcnt vmcnt(2)
	v_fmac_f32_e32 v3, v132, v108
	ds_load_2addr_b32 v[105:106], v2 offset0:89 offset1:90
	ds_load_2addr_b32 v[107:108], v2 offset0:91 offset1:92
	s_waitcnt lgkmcnt(3)
	v_fmac_f32_e32 v3, v133, v101
	s_delay_alu instid0(VALU_DEP_1)
	v_fmac_f32_e32 v3, v134, v102
	ds_load_2addr_b32 v[101:102], v2 offset0:93 offset1:94
	s_waitcnt lgkmcnt(3)
	v_fmac_f32_e32 v3, v135, v103
	ds_load_b32 v103, v2 offset:380
	s_waitcnt vmcnt(1)
	v_fmac_f32_e32 v3, v136, v104
	s_waitcnt lgkmcnt(3)
	s_delay_alu instid0(VALU_DEP_1) | instskip(NEXT) | instid1(VALU_DEP_1)
	v_fmac_f32_e32 v3, v137, v105
	v_fmac_f32_e32 v3, v138, v106
	s_waitcnt lgkmcnt(2)
	s_delay_alu instid0(VALU_DEP_1) | instskip(SKIP_1) | instid1(VALU_DEP_1)
	v_fmac_f32_e32 v3, v139, v107
	s_waitcnt vmcnt(0)
	v_fmac_f32_e32 v3, v140, v108
	s_waitcnt lgkmcnt(1)
	s_delay_alu instid0(VALU_DEP_1) | instskip(NEXT) | instid1(VALU_DEP_1)
	v_fmac_f32_e32 v3, v141, v101
	v_fmac_f32_e32 v3, v142, v102
	s_waitcnt lgkmcnt(0)
	s_delay_alu instid0(VALU_DEP_1) | instskip(NEXT) | instid1(VALU_DEP_1)
	v_fmac_f32_e32 v3, v143, v103
	v_sub_f32_e32 v3, v100, v3
	scratch_store_b32 off, v3, off offset:16
	v_cmpx_lt_u32_e32 3, v0
	s_cbranch_execz .LBB111_289
; %bb.288:
	scratch_load_b32 v3, off, off offset:12
	scratch_store_b32 off, v2, off offset:12
	s_waitcnt vmcnt(0)
	ds_store_b32 v1, v3
.LBB111_289:
	s_or_b32 exec_lo, exec_lo, s0
	s_waitcnt lgkmcnt(0)
	s_waitcnt_vscnt null, 0x0
	s_barrier
	buffer_gl0_inv
	s_clause 0xb
	scratch_load_b128 v[100:103], off, off offset:12
	scratch_load_b128 v[104:107], off, off offset:28
	;; [unrolled: 1-line block ×11, first 2 shown]
	scratch_load_b32 v3, off, off offset:188
	ds_load_b128 v[144:147], v2 offset:208
	ds_load_b128 v[148:151], v2 offset:224
	s_mov_b32 s0, exec_lo
	s_waitcnt vmcnt(11) lgkmcnt(1)
	v_fma_f32 v144, v101, v144, 0
	s_delay_alu instid0(VALU_DEP_1) | instskip(NEXT) | instid1(VALU_DEP_1)
	v_fmac_f32_e32 v144, v102, v145
	v_fmac_f32_e32 v144, v103, v146
	s_waitcnt vmcnt(10)
	s_delay_alu instid0(VALU_DEP_1) | instskip(SKIP_3) | instid1(VALU_DEP_1)
	v_fmac_f32_e32 v144, v104, v147
	ds_load_b128 v[101:104], v2 offset:240
	s_waitcnt lgkmcnt(1)
	v_fmac_f32_e32 v144, v105, v148
	v_fmac_f32_e32 v144, v106, v149
	s_delay_alu instid0(VALU_DEP_1) | instskip(SKIP_1) | instid1(VALU_DEP_1)
	v_fmac_f32_e32 v144, v107, v150
	s_waitcnt vmcnt(9)
	v_fmac_f32_e32 v144, v108, v151
	ds_load_b128 v[105:108], v2 offset:256
	s_waitcnt lgkmcnt(1)
	v_fmac_f32_e32 v144, v109, v101
	s_delay_alu instid0(VALU_DEP_1) | instskip(NEXT) | instid1(VALU_DEP_1)
	v_fmac_f32_e32 v144, v110, v102
	v_fmac_f32_e32 v144, v111, v103
	s_waitcnt vmcnt(8)
	s_delay_alu instid0(VALU_DEP_1) | instskip(SKIP_3) | instid1(VALU_DEP_1)
	v_fmac_f32_e32 v144, v112, v104
	ds_load_b128 v[101:104], v2 offset:272
	s_waitcnt lgkmcnt(1)
	v_fmac_f32_e32 v144, v113, v105
	v_fmac_f32_e32 v144, v114, v106
	s_delay_alu instid0(VALU_DEP_1) | instskip(SKIP_1) | instid1(VALU_DEP_1)
	v_fmac_f32_e32 v144, v115, v107
	s_waitcnt vmcnt(7)
	v_fmac_f32_e32 v144, v116, v108
	ds_load_b128 v[105:108], v2 offset:288
	s_waitcnt lgkmcnt(1)
	v_fmac_f32_e32 v144, v117, v101
	;; [unrolled: 17-line block ×4, first 2 shown]
	s_delay_alu instid0(VALU_DEP_1) | instskip(NEXT) | instid1(VALU_DEP_1)
	v_fmac_f32_e32 v144, v134, v102
	v_fmac_f32_e32 v144, v135, v103
	s_waitcnt vmcnt(2)
	s_delay_alu instid0(VALU_DEP_1) | instskip(SKIP_3) | instid1(VALU_DEP_1)
	v_fmac_f32_e32 v144, v136, v104
	ds_load_b128 v[101:104], v2 offset:368
	s_waitcnt lgkmcnt(1)
	v_fmac_f32_e32 v144, v137, v105
	v_fmac_f32_e32 v144, v138, v106
	s_delay_alu instid0(VALU_DEP_1) | instskip(SKIP_1) | instid1(VALU_DEP_1)
	v_fmac_f32_e32 v144, v139, v107
	s_waitcnt vmcnt(1)
	v_fmac_f32_e32 v144, v140, v108
	s_waitcnt lgkmcnt(0)
	s_delay_alu instid0(VALU_DEP_1) | instskip(NEXT) | instid1(VALU_DEP_1)
	v_fmac_f32_e32 v144, v141, v101
	v_fmac_f32_e32 v144, v142, v102
	s_delay_alu instid0(VALU_DEP_1) | instskip(SKIP_1) | instid1(VALU_DEP_1)
	v_fmac_f32_e32 v144, v143, v103
	s_waitcnt vmcnt(0)
	v_fmac_f32_e32 v144, v3, v104
	s_delay_alu instid0(VALU_DEP_1)
	v_sub_f32_e32 v2, v100, v144
	scratch_store_b32 off, v2, off offset:12
	v_cmpx_lt_u32_e32 2, v0
	s_cbranch_execz .LBB111_291
; %bb.290:
	scratch_load_b32 v2, off, off offset:8
	v_mov_b32_e32 v3, 0
	scratch_store_b32 off, v3, off offset:8
	s_waitcnt vmcnt(0)
	ds_store_b32 v1, v2
.LBB111_291:
	s_or_b32 exec_lo, exec_lo, s0
	s_waitcnt lgkmcnt(0)
	s_waitcnt_vscnt null, 0x0
	s_barrier
	buffer_gl0_inv
	s_clause 0xb
	scratch_load_b128 v[100:103], off, off offset:8
	scratch_load_b128 v[104:107], off, off offset:24
	;; [unrolled: 1-line block ×11, first 2 shown]
	scratch_load_b64 v[144:145], off, off offset:184
	v_mov_b32_e32 v2, 0
	ds_load_2addr_b32 v[146:147], v2 offset0:51 offset1:52
	ds_load_2addr_b32 v[148:149], v2 offset0:53 offset1:54
	ds_load_2addr_b32 v[150:151], v2 offset0:55 offset1:56
	ds_load_2addr_b32 v[152:153], v2 offset0:57 offset1:58
	s_mov_b32 s0, exec_lo
	s_waitcnt vmcnt(11) lgkmcnt(3)
	v_fma_f32 v3, v101, v146, 0
	s_delay_alu instid0(VALU_DEP_1) | instskip(SKIP_4) | instid1(VALU_DEP_1)
	v_fmac_f32_e32 v3, v102, v147
	ds_load_2addr_b32 v[101:102], v2 offset0:59 offset1:60
	s_waitcnt lgkmcnt(3)
	v_fmac_f32_e32 v3, v103, v148
	s_waitcnt vmcnt(10)
	v_fmac_f32_e32 v3, v104, v149
	ds_load_2addr_b32 v[103:104], v2 offset0:61 offset1:62
	s_waitcnt lgkmcnt(3)
	v_fmac_f32_e32 v3, v105, v150
	s_delay_alu instid0(VALU_DEP_1) | instskip(SKIP_1) | instid1(VALU_DEP_1)
	v_fmac_f32_e32 v3, v106, v151
	s_waitcnt lgkmcnt(2)
	v_fmac_f32_e32 v3, v107, v152
	s_waitcnt vmcnt(9)
	s_delay_alu instid0(VALU_DEP_1) | instskip(SKIP_4) | instid1(VALU_DEP_1)
	v_fmac_f32_e32 v3, v108, v153
	ds_load_2addr_b32 v[105:106], v2 offset0:63 offset1:64
	ds_load_2addr_b32 v[107:108], v2 offset0:65 offset1:66
	s_waitcnt lgkmcnt(3)
	v_fmac_f32_e32 v3, v109, v101
	v_fmac_f32_e32 v3, v110, v102
	ds_load_2addr_b32 v[101:102], v2 offset0:67 offset1:68
	s_waitcnt lgkmcnt(3)
	v_fmac_f32_e32 v3, v111, v103
	s_waitcnt vmcnt(8)
	s_delay_alu instid0(VALU_DEP_1) | instskip(SKIP_3) | instid1(VALU_DEP_1)
	v_fmac_f32_e32 v3, v112, v104
	ds_load_2addr_b32 v[103:104], v2 offset0:69 offset1:70
	s_waitcnt lgkmcnt(3)
	v_fmac_f32_e32 v3, v113, v105
	v_fmac_f32_e32 v3, v114, v106
	s_waitcnt lgkmcnt(2)
	s_delay_alu instid0(VALU_DEP_1) | instskip(SKIP_1) | instid1(VALU_DEP_1)
	v_fmac_f32_e32 v3, v115, v107
	s_waitcnt vmcnt(7)
	v_fmac_f32_e32 v3, v116, v108
	ds_load_2addr_b32 v[105:106], v2 offset0:71 offset1:72
	ds_load_2addr_b32 v[107:108], v2 offset0:73 offset1:74
	s_waitcnt lgkmcnt(3)
	v_fmac_f32_e32 v3, v117, v101
	s_delay_alu instid0(VALU_DEP_1) | instskip(SKIP_4) | instid1(VALU_DEP_1)
	v_fmac_f32_e32 v3, v118, v102
	ds_load_2addr_b32 v[101:102], v2 offset0:75 offset1:76
	s_waitcnt lgkmcnt(3)
	v_fmac_f32_e32 v3, v119, v103
	s_waitcnt vmcnt(6)
	v_fmac_f32_e32 v3, v120, v104
	ds_load_2addr_b32 v[103:104], v2 offset0:77 offset1:78
	s_waitcnt lgkmcnt(3)
	v_fmac_f32_e32 v3, v121, v105
	s_delay_alu instid0(VALU_DEP_1) | instskip(SKIP_1) | instid1(VALU_DEP_1)
	v_fmac_f32_e32 v3, v122, v106
	s_waitcnt lgkmcnt(2)
	v_fmac_f32_e32 v3, v123, v107
	s_waitcnt vmcnt(5)
	s_delay_alu instid0(VALU_DEP_1) | instskip(SKIP_4) | instid1(VALU_DEP_1)
	v_fmac_f32_e32 v3, v124, v108
	ds_load_2addr_b32 v[105:106], v2 offset0:79 offset1:80
	ds_load_2addr_b32 v[107:108], v2 offset0:81 offset1:82
	s_waitcnt lgkmcnt(3)
	v_fmac_f32_e32 v3, v125, v101
	v_fmac_f32_e32 v3, v126, v102
	ds_load_2addr_b32 v[101:102], v2 offset0:83 offset1:84
	s_waitcnt lgkmcnt(3)
	v_fmac_f32_e32 v3, v127, v103
	s_waitcnt vmcnt(4)
	s_delay_alu instid0(VALU_DEP_1) | instskip(SKIP_3) | instid1(VALU_DEP_1)
	v_fmac_f32_e32 v3, v128, v104
	ds_load_2addr_b32 v[103:104], v2 offset0:85 offset1:86
	s_waitcnt lgkmcnt(3)
	v_fmac_f32_e32 v3, v129, v105
	v_fmac_f32_e32 v3, v130, v106
	s_waitcnt lgkmcnt(2)
	s_delay_alu instid0(VALU_DEP_1) | instskip(SKIP_1) | instid1(VALU_DEP_1)
	v_fmac_f32_e32 v3, v131, v107
	s_waitcnt vmcnt(3)
	v_fmac_f32_e32 v3, v132, v108
	ds_load_2addr_b32 v[105:106], v2 offset0:87 offset1:88
	ds_load_2addr_b32 v[107:108], v2 offset0:89 offset1:90
	s_waitcnt lgkmcnt(3)
	v_fmac_f32_e32 v3, v133, v101
	s_delay_alu instid0(VALU_DEP_1) | instskip(SKIP_4) | instid1(VALU_DEP_1)
	v_fmac_f32_e32 v3, v134, v102
	ds_load_2addr_b32 v[101:102], v2 offset0:91 offset1:92
	s_waitcnt lgkmcnt(3)
	v_fmac_f32_e32 v3, v135, v103
	s_waitcnt vmcnt(2)
	v_fmac_f32_e32 v3, v136, v104
	ds_load_2addr_b32 v[103:104], v2 offset0:93 offset1:94
	s_waitcnt lgkmcnt(3)
	v_fmac_f32_e32 v3, v137, v105
	ds_load_b32 v105, v2 offset:380
	v_fmac_f32_e32 v3, v138, v106
	s_waitcnt lgkmcnt(3)
	s_delay_alu instid0(VALU_DEP_1) | instskip(SKIP_1) | instid1(VALU_DEP_1)
	v_fmac_f32_e32 v3, v139, v107
	s_waitcnt vmcnt(1)
	v_fmac_f32_e32 v3, v140, v108
	s_waitcnt lgkmcnt(2)
	s_delay_alu instid0(VALU_DEP_1) | instskip(NEXT) | instid1(VALU_DEP_1)
	v_fmac_f32_e32 v3, v141, v101
	v_fmac_f32_e32 v3, v142, v102
	s_waitcnt lgkmcnt(1)
	s_delay_alu instid0(VALU_DEP_1) | instskip(SKIP_1) | instid1(VALU_DEP_1)
	v_fmac_f32_e32 v3, v143, v103
	s_waitcnt vmcnt(0)
	v_fmac_f32_e32 v3, v144, v104
	s_waitcnt lgkmcnt(0)
	s_delay_alu instid0(VALU_DEP_1) | instskip(NEXT) | instid1(VALU_DEP_1)
	v_fmac_f32_e32 v3, v145, v105
	v_sub_f32_e32 v3, v100, v3
	scratch_store_b32 off, v3, off offset:8
	v_cmpx_lt_u32_e32 1, v0
	s_cbranch_execz .LBB111_293
; %bb.292:
	scratch_load_b32 v3, off, off offset:4
	scratch_store_b32 off, v2, off offset:4
	s_waitcnt vmcnt(0)
	ds_store_b32 v1, v3
.LBB111_293:
	s_or_b32 exec_lo, exec_lo, s0
	s_waitcnt lgkmcnt(0)
	s_waitcnt_vscnt null, 0x0
	s_barrier
	buffer_gl0_inv
	s_clause 0xb
	scratch_load_b128 v[100:103], off, off offset:4
	scratch_load_b128 v[104:107], off, off offset:20
	;; [unrolled: 1-line block ×11, first 2 shown]
	scratch_load_b96 v[152:154], off, off offset:180
	ds_load_2addr_b64 v[144:147], v2 offset0:25 offset1:26
	ds_load_2addr_b64 v[148:151], v2 offset0:27 offset1:28
	s_mov_b32 s0, exec_lo
	s_waitcnt vmcnt(11) lgkmcnt(1)
	v_fma_f32 v144, v101, v144, 0
	s_delay_alu instid0(VALU_DEP_1) | instskip(NEXT) | instid1(VALU_DEP_1)
	v_fmac_f32_e32 v144, v102, v145
	v_fmac_f32_e32 v144, v103, v146
	s_waitcnt vmcnt(10)
	s_delay_alu instid0(VALU_DEP_1) | instskip(SKIP_3) | instid1(VALU_DEP_1)
	v_fmac_f32_e32 v144, v104, v147
	ds_load_2addr_b64 v[101:104], v2 offset0:29 offset1:30
	s_waitcnt lgkmcnt(1)
	v_fmac_f32_e32 v144, v105, v148
	v_fmac_f32_e32 v144, v106, v149
	s_delay_alu instid0(VALU_DEP_1) | instskip(SKIP_1) | instid1(VALU_DEP_1)
	v_fmac_f32_e32 v144, v107, v150
	s_waitcnt vmcnt(9)
	v_fmac_f32_e32 v144, v108, v151
	ds_load_2addr_b64 v[105:108], v2 offset0:31 offset1:32
	s_waitcnt lgkmcnt(1)
	v_fmac_f32_e32 v144, v109, v101
	s_delay_alu instid0(VALU_DEP_1) | instskip(NEXT) | instid1(VALU_DEP_1)
	v_fmac_f32_e32 v144, v110, v102
	v_fmac_f32_e32 v144, v111, v103
	s_waitcnt vmcnt(8)
	s_delay_alu instid0(VALU_DEP_1) | instskip(SKIP_3) | instid1(VALU_DEP_1)
	v_fmac_f32_e32 v144, v112, v104
	ds_load_2addr_b64 v[101:104], v2 offset0:33 offset1:34
	s_waitcnt lgkmcnt(1)
	v_fmac_f32_e32 v144, v113, v105
	v_fmac_f32_e32 v144, v114, v106
	s_delay_alu instid0(VALU_DEP_1) | instskip(SKIP_1) | instid1(VALU_DEP_1)
	v_fmac_f32_e32 v144, v115, v107
	s_waitcnt vmcnt(7)
	v_fmac_f32_e32 v144, v116, v108
	ds_load_2addr_b64 v[105:108], v2 offset0:35 offset1:36
	s_waitcnt lgkmcnt(1)
	v_fmac_f32_e32 v144, v117, v101
	;; [unrolled: 17-line block ×4, first 2 shown]
	s_delay_alu instid0(VALU_DEP_1) | instskip(NEXT) | instid1(VALU_DEP_1)
	v_fmac_f32_e32 v144, v134, v102
	v_fmac_f32_e32 v144, v135, v103
	s_waitcnt vmcnt(2)
	s_delay_alu instid0(VALU_DEP_1) | instskip(SKIP_4) | instid1(VALU_DEP_1)
	v_fmac_f32_e32 v144, v136, v104
	ds_load_2addr_b64 v[101:104], v2 offset0:45 offset1:46
	ds_load_b64 v[2:3], v2 offset:376
	s_waitcnt lgkmcnt(2)
	v_fmac_f32_e32 v144, v137, v105
	v_fmac_f32_e32 v144, v138, v106
	s_delay_alu instid0(VALU_DEP_1) | instskip(SKIP_1) | instid1(VALU_DEP_1)
	v_fmac_f32_e32 v144, v139, v107
	s_waitcnt vmcnt(1)
	v_fmac_f32_e32 v144, v140, v108
	s_waitcnt lgkmcnt(1)
	s_delay_alu instid0(VALU_DEP_1) | instskip(NEXT) | instid1(VALU_DEP_1)
	v_fmac_f32_e32 v144, v141, v101
	v_fmac_f32_e32 v144, v142, v102
	s_delay_alu instid0(VALU_DEP_1) | instskip(SKIP_1) | instid1(VALU_DEP_1)
	v_fmac_f32_e32 v144, v143, v103
	s_waitcnt vmcnt(0)
	v_fmac_f32_e32 v144, v152, v104
	s_waitcnt lgkmcnt(0)
	s_delay_alu instid0(VALU_DEP_1) | instskip(NEXT) | instid1(VALU_DEP_1)
	v_fmac_f32_e32 v144, v153, v2
	v_fmac_f32_e32 v144, v154, v3
	s_delay_alu instid0(VALU_DEP_1)
	v_sub_f32_e32 v2, v100, v144
	scratch_store_b32 off, v2, off offset:4
	v_cmpx_ne_u32_e32 0, v0
	s_cbranch_execz .LBB111_295
; %bb.294:
	scratch_load_b32 v0, off, off
	v_mov_b32_e32 v2, 0
	scratch_store_b32 off, v2, off
	s_waitcnt vmcnt(0)
	ds_store_b32 v1, v0
.LBB111_295:
	s_or_b32 exec_lo, exec_lo, s0
	s_waitcnt lgkmcnt(0)
	s_waitcnt_vscnt null, 0x0
	s_barrier
	buffer_gl0_inv
	s_clause 0xb
	scratch_load_b128 v[100:103], off, off
	scratch_load_b128 v[104:107], off, off offset:16
	scratch_load_b128 v[108:111], off, off offset:32
	;; [unrolled: 1-line block ×11, first 2 shown]
	v_mov_b32_e32 v152, 0
	ds_load_2addr_b32 v[144:145], v152 offset0:49 offset1:50
	ds_load_2addr_b32 v[146:147], v152 offset0:51 offset1:52
	;; [unrolled: 1-line block ×4, first 2 shown]
	s_and_b32 vcc_lo, exec_lo, s12
	s_waitcnt vmcnt(11) lgkmcnt(3)
	v_fma_f32 v144, v101, v144, 0
	s_delay_alu instid0(VALU_DEP_1) | instskip(SKIP_4) | instid1(VALU_DEP_1)
	v_fmac_f32_e32 v144, v102, v145
	ds_load_2addr_b32 v[101:102], v152 offset0:57 offset1:58
	s_waitcnt lgkmcnt(3)
	v_fmac_f32_e32 v144, v103, v146
	s_waitcnt vmcnt(10)
	v_fmac_f32_e32 v144, v104, v147
	ds_load_2addr_b32 v[103:104], v152 offset0:59 offset1:60
	s_waitcnt lgkmcnt(3)
	v_fmac_f32_e32 v144, v105, v148
	s_delay_alu instid0(VALU_DEP_1) | instskip(SKIP_1) | instid1(VALU_DEP_1)
	v_fmac_f32_e32 v144, v106, v149
	s_waitcnt lgkmcnt(2)
	v_fmac_f32_e32 v144, v107, v150
	s_waitcnt vmcnt(9)
	s_delay_alu instid0(VALU_DEP_1) | instskip(SKIP_4) | instid1(VALU_DEP_1)
	v_fmac_f32_e32 v144, v108, v151
	ds_load_2addr_b32 v[105:106], v152 offset0:61 offset1:62
	ds_load_2addr_b32 v[107:108], v152 offset0:63 offset1:64
	s_waitcnt lgkmcnt(3)
	v_fmac_f32_e32 v144, v109, v101
	v_fmac_f32_e32 v144, v110, v102
	ds_load_2addr_b32 v[101:102], v152 offset0:65 offset1:66
	s_waitcnt lgkmcnt(3)
	v_fmac_f32_e32 v144, v111, v103
	s_waitcnt vmcnt(8)
	s_delay_alu instid0(VALU_DEP_1) | instskip(SKIP_3) | instid1(VALU_DEP_1)
	v_fmac_f32_e32 v144, v112, v104
	ds_load_2addr_b32 v[103:104], v152 offset0:67 offset1:68
	s_waitcnt lgkmcnt(3)
	v_fmac_f32_e32 v144, v113, v105
	v_fmac_f32_e32 v144, v114, v106
	s_waitcnt lgkmcnt(2)
	s_delay_alu instid0(VALU_DEP_1) | instskip(SKIP_1) | instid1(VALU_DEP_1)
	v_fmac_f32_e32 v144, v115, v107
	s_waitcnt vmcnt(7)
	v_fmac_f32_e32 v144, v116, v108
	ds_load_2addr_b32 v[105:106], v152 offset0:69 offset1:70
	ds_load_2addr_b32 v[107:108], v152 offset0:71 offset1:72
	s_waitcnt lgkmcnt(3)
	v_fmac_f32_e32 v144, v117, v101
	s_delay_alu instid0(VALU_DEP_1) | instskip(SKIP_4) | instid1(VALU_DEP_1)
	v_fmac_f32_e32 v144, v118, v102
	ds_load_2addr_b32 v[101:102], v152 offset0:73 offset1:74
	s_waitcnt lgkmcnt(3)
	v_fmac_f32_e32 v144, v119, v103
	s_waitcnt vmcnt(6)
	v_fmac_f32_e32 v144, v120, v104
	ds_load_2addr_b32 v[103:104], v152 offset0:75 offset1:76
	s_waitcnt lgkmcnt(3)
	v_fmac_f32_e32 v144, v121, v105
	s_delay_alu instid0(VALU_DEP_1) | instskip(SKIP_1) | instid1(VALU_DEP_1)
	v_fmac_f32_e32 v144, v122, v106
	s_waitcnt lgkmcnt(2)
	v_fmac_f32_e32 v144, v123, v107
	s_waitcnt vmcnt(5)
	s_delay_alu instid0(VALU_DEP_1) | instskip(SKIP_4) | instid1(VALU_DEP_1)
	v_fmac_f32_e32 v144, v124, v108
	ds_load_2addr_b32 v[105:106], v152 offset0:77 offset1:78
	ds_load_2addr_b32 v[107:108], v152 offset0:79 offset1:80
	s_waitcnt lgkmcnt(3)
	v_fmac_f32_e32 v144, v125, v101
	v_fmac_f32_e32 v144, v126, v102
	ds_load_2addr_b32 v[101:102], v152 offset0:81 offset1:82
	s_waitcnt lgkmcnt(3)
	v_fmac_f32_e32 v144, v127, v103
	s_waitcnt vmcnt(4)
	s_delay_alu instid0(VALU_DEP_1) | instskip(SKIP_3) | instid1(VALU_DEP_1)
	v_fmac_f32_e32 v144, v128, v104
	ds_load_2addr_b32 v[103:104], v152 offset0:83 offset1:84
	s_waitcnt lgkmcnt(3)
	v_fmac_f32_e32 v144, v129, v105
	v_fmac_f32_e32 v144, v130, v106
	s_waitcnt lgkmcnt(2)
	s_delay_alu instid0(VALU_DEP_1) | instskip(SKIP_1) | instid1(VALU_DEP_1)
	v_fmac_f32_e32 v144, v131, v107
	s_waitcnt vmcnt(3)
	v_fmac_f32_e32 v144, v132, v108
	ds_load_2addr_b32 v[105:106], v152 offset0:85 offset1:86
	ds_load_2addr_b32 v[107:108], v152 offset0:87 offset1:88
	s_waitcnt lgkmcnt(3)
	v_fmac_f32_e32 v144, v133, v101
	s_delay_alu instid0(VALU_DEP_1) | instskip(SKIP_4) | instid1(VALU_DEP_1)
	v_fmac_f32_e32 v144, v134, v102
	ds_load_2addr_b32 v[101:102], v152 offset0:89 offset1:90
	s_waitcnt lgkmcnt(3)
	v_fmac_f32_e32 v144, v135, v103
	s_waitcnt vmcnt(2)
	v_fmac_f32_e32 v144, v136, v104
	ds_load_2addr_b32 v[103:104], v152 offset0:91 offset1:92
	s_waitcnt lgkmcnt(3)
	v_fmac_f32_e32 v144, v137, v105
	s_delay_alu instid0(VALU_DEP_1) | instskip(SKIP_1) | instid1(VALU_DEP_1)
	v_fmac_f32_e32 v144, v138, v106
	s_waitcnt lgkmcnt(2)
	v_fmac_f32_e32 v144, v139, v107
	ds_load_2addr_b32 v[105:106], v152 offset0:93 offset1:94
	ds_load_b32 v107, v152 offset:380
	s_waitcnt vmcnt(1)
	v_fmac_f32_e32 v144, v140, v108
	s_waitcnt lgkmcnt(3)
	s_delay_alu instid0(VALU_DEP_1) | instskip(NEXT) | instid1(VALU_DEP_1)
	v_fmac_f32_e32 v144, v141, v101
	v_fmac_f32_e32 v144, v142, v102
	s_waitcnt lgkmcnt(2)
	s_delay_alu instid0(VALU_DEP_1) | instskip(SKIP_1) | instid1(VALU_DEP_1)
	v_fmac_f32_e32 v144, v143, v103
	s_waitcnt vmcnt(0)
	v_fmac_f32_e32 v144, v0, v104
	s_waitcnt lgkmcnt(1)
	s_delay_alu instid0(VALU_DEP_1) | instskip(NEXT) | instid1(VALU_DEP_1)
	v_fmac_f32_e32 v144, v1, v105
	v_fmac_f32_e32 v144, v2, v106
	s_waitcnt lgkmcnt(0)
	s_delay_alu instid0(VALU_DEP_1) | instskip(NEXT) | instid1(VALU_DEP_1)
	v_fmac_f32_e32 v144, v3, v107
	v_sub_f32_e32 v0, v100, v144
	scratch_store_b32 off, v0, off
	s_cbranch_vccz .LBB111_391
; %bb.296:
	v_dual_mov_b32 v0, s2 :: v_dual_mov_b32 v1, s3
	s_mov_b32 s0, exec_lo
	flat_load_b32 v0, v[0:1] offset:184
	s_waitcnt vmcnt(0) lgkmcnt(0)
	v_cmpx_ne_u32_e32 47, v0
	s_cbranch_execz .LBB111_298
; %bb.297:
	v_lshl_add_u32 v0, v0, 2, 0
	scratch_load_b32 v1, v0, off offset:-4
	s_waitcnt vmcnt(0)
	scratch_store_b32 off, v1, off offset:184
	scratch_store_b32 v0, v2, off offset:-4
.LBB111_298:
	s_or_b32 exec_lo, exec_lo, s0
	v_dual_mov_b32 v0, s2 :: v_dual_mov_b32 v1, s3
	s_mov_b32 s0, exec_lo
	flat_load_b32 v0, v[0:1] offset:180
	s_waitcnt vmcnt(0) lgkmcnt(0)
	v_cmpx_ne_u32_e32 46, v0
	s_cbranch_execz .LBB111_300
; %bb.299:
	v_lshl_add_u32 v0, v0, 2, 0
	scratch_load_b32 v1, v0, off offset:-4
	scratch_load_b32 v2, off, off offset:180
	s_waitcnt vmcnt(1)
	scratch_store_b32 off, v1, off offset:180
	s_waitcnt vmcnt(0)
	scratch_store_b32 v0, v2, off offset:-4
.LBB111_300:
	s_or_b32 exec_lo, exec_lo, s0
	v_dual_mov_b32 v0, s2 :: v_dual_mov_b32 v1, s3
	s_mov_b32 s0, exec_lo
	flat_load_b32 v0, v[0:1] offset:176
	s_waitcnt vmcnt(0) lgkmcnt(0)
	v_cmpx_ne_u32_e32 45, v0
	s_cbranch_execz .LBB111_302
; %bb.301:
	v_lshl_add_u32 v0, v0, 2, 0
	scratch_load_b32 v1, v0, off offset:-4
	scratch_load_b32 v2, off, off offset:176
	s_waitcnt vmcnt(1)
	scratch_store_b32 off, v1, off offset:176
	s_waitcnt vmcnt(0)
	scratch_store_b32 v0, v2, off offset:-4
.LBB111_302:
	;; [unrolled: 16-line block ×45, first 2 shown]
	s_or_b32 exec_lo, exec_lo, s0
	v_dual_mov_b32 v0, s2 :: v_dual_mov_b32 v1, s3
	s_mov_b32 s0, exec_lo
	flat_load_b32 v1, v[0:1]
	scratch_load_b32 v0, off, off
	s_waitcnt vmcnt(1) lgkmcnt(0)
	v_cmpx_ne_u32_e32 1, v1
	s_cbranch_execz .LBB111_390
; %bb.389:
	v_lshl_add_u32 v1, v1, 2, 0
	scratch_load_b32 v2, v1, off offset:-4
	s_waitcnt vmcnt(0)
	scratch_store_b32 off, v2, off
	scratch_store_b32 v1, v0, off offset:-4
	scratch_load_b32 v0, off, off
.LBB111_390:
	s_or_b32 exec_lo, exec_lo, s0
.LBB111_391:
	s_clause 0xb
	scratch_load_b128 v[100:103], off, off offset:4
	scratch_load_b128 v[104:107], off, off offset:20
	;; [unrolled: 1-line block ×11, first 2 shown]
	scratch_load_b96 v[1:3], off, off offset:180
	s_waitcnt vmcnt(12)
	global_store_b32 v[4:5], v0, off
	s_waitcnt vmcnt(11)
	s_clause 0x3
	global_store_b32 v[6:7], v100, off
	global_store_b32 v[8:9], v101, off
	global_store_b32 v[10:11], v102, off
	global_store_b32 v[12:13], v103, off
	s_waitcnt vmcnt(10)
	s_clause 0x3
	global_store_b32 v[14:15], v104, off
	global_store_b32 v[16:17], v105, off
	global_store_b32 v[18:19], v106, off
	;; [unrolled: 6-line block ×12, first 2 shown]
	s_endpgm
	.section	.rodata,"a",@progbits
	.p2align	6, 0x0
	.amdhsa_kernel _ZN9rocsolver6v33100L18getri_kernel_smallILi48EfPKPfEEvT1_iilPiilS6_bb
		.amdhsa_group_segment_fixed_size 388
		.amdhsa_private_segment_fixed_size 208
		.amdhsa_kernarg_size 60
		.amdhsa_user_sgpr_count 15
		.amdhsa_user_sgpr_dispatch_ptr 0
		.amdhsa_user_sgpr_queue_ptr 0
		.amdhsa_user_sgpr_kernarg_segment_ptr 1
		.amdhsa_user_sgpr_dispatch_id 0
		.amdhsa_user_sgpr_private_segment_size 0
		.amdhsa_wavefront_size32 1
		.amdhsa_uses_dynamic_stack 0
		.amdhsa_enable_private_segment 1
		.amdhsa_system_sgpr_workgroup_id_x 1
		.amdhsa_system_sgpr_workgroup_id_y 0
		.amdhsa_system_sgpr_workgroup_id_z 0
		.amdhsa_system_sgpr_workgroup_info 0
		.amdhsa_system_vgpr_workitem_id 0
		.amdhsa_next_free_vgpr 155
		.amdhsa_next_free_sgpr 17
		.amdhsa_reserve_vcc 1
		.amdhsa_float_round_mode_32 0
		.amdhsa_float_round_mode_16_64 0
		.amdhsa_float_denorm_mode_32 3
		.amdhsa_float_denorm_mode_16_64 3
		.amdhsa_dx10_clamp 1
		.amdhsa_ieee_mode 1
		.amdhsa_fp16_overflow 0
		.amdhsa_workgroup_processor_mode 1
		.amdhsa_memory_ordered 1
		.amdhsa_forward_progress 0
		.amdhsa_shared_vgpr_count 0
		.amdhsa_exception_fp_ieee_invalid_op 0
		.amdhsa_exception_fp_denorm_src 0
		.amdhsa_exception_fp_ieee_div_zero 0
		.amdhsa_exception_fp_ieee_overflow 0
		.amdhsa_exception_fp_ieee_underflow 0
		.amdhsa_exception_fp_ieee_inexact 0
		.amdhsa_exception_int_div_zero 0
	.end_amdhsa_kernel
	.section	.text._ZN9rocsolver6v33100L18getri_kernel_smallILi48EfPKPfEEvT1_iilPiilS6_bb,"axG",@progbits,_ZN9rocsolver6v33100L18getri_kernel_smallILi48EfPKPfEEvT1_iilPiilS6_bb,comdat
.Lfunc_end111:
	.size	_ZN9rocsolver6v33100L18getri_kernel_smallILi48EfPKPfEEvT1_iilPiilS6_bb, .Lfunc_end111-_ZN9rocsolver6v33100L18getri_kernel_smallILi48EfPKPfEEvT1_iilPiilS6_bb
                                        ; -- End function
	.section	.AMDGPU.csdata,"",@progbits
; Kernel info:
; codeLenInByte = 34904
; NumSgprs: 19
; NumVgprs: 155
; ScratchSize: 208
; MemoryBound: 0
; FloatMode: 240
; IeeeMode: 1
; LDSByteSize: 388 bytes/workgroup (compile time only)
; SGPRBlocks: 2
; VGPRBlocks: 19
; NumSGPRsForWavesPerEU: 19
; NumVGPRsForWavesPerEU: 155
; Occupancy: 9
; WaveLimiterHint : 1
; COMPUTE_PGM_RSRC2:SCRATCH_EN: 1
; COMPUTE_PGM_RSRC2:USER_SGPR: 15
; COMPUTE_PGM_RSRC2:TRAP_HANDLER: 0
; COMPUTE_PGM_RSRC2:TGID_X_EN: 1
; COMPUTE_PGM_RSRC2:TGID_Y_EN: 0
; COMPUTE_PGM_RSRC2:TGID_Z_EN: 0
; COMPUTE_PGM_RSRC2:TIDIG_COMP_CNT: 0
	.section	.text._ZN9rocsolver6v33100L18getri_kernel_smallILi49EfPKPfEEvT1_iilPiilS6_bb,"axG",@progbits,_ZN9rocsolver6v33100L18getri_kernel_smallILi49EfPKPfEEvT1_iilPiilS6_bb,comdat
	.globl	_ZN9rocsolver6v33100L18getri_kernel_smallILi49EfPKPfEEvT1_iilPiilS6_bb ; -- Begin function _ZN9rocsolver6v33100L18getri_kernel_smallILi49EfPKPfEEvT1_iilPiilS6_bb
	.p2align	8
	.type	_ZN9rocsolver6v33100L18getri_kernel_smallILi49EfPKPfEEvT1_iilPiilS6_bb,@function
_ZN9rocsolver6v33100L18getri_kernel_smallILi49EfPKPfEEvT1_iilPiilS6_bb: ; @_ZN9rocsolver6v33100L18getri_kernel_smallILi49EfPKPfEEvT1_iilPiilS6_bb
; %bb.0:
	s_mov_b32 s2, exec_lo
	v_cmpx_gt_u32_e32 49, v0
	s_cbranch_execz .LBB112_204
; %bb.1:
	s_clause 0x1
	s_load_b32 s13, s[0:1], 0x38
	s_load_b64 s[2:3], s[0:1], 0x0
	s_mov_b32 s8, s15
	s_load_b128 s[4:7], s[0:1], 0x28
	s_waitcnt lgkmcnt(0)
	s_bitcmp1_b32 s13, 8
	s_cselect_b32 s12, -1, 0
	s_ashr_i32 s9, s15, 31
	s_delay_alu instid0(SALU_CYCLE_1) | instskip(NEXT) | instid1(SALU_CYCLE_1)
	s_lshl_b64 s[10:11], s[8:9], 3
	s_add_u32 s2, s2, s10
	s_addc_u32 s3, s3, s11
	s_load_b64 s[10:11], s[2:3], 0x0
	s_bfe_u32 s2, s13, 0x10008
	s_delay_alu instid0(SALU_CYCLE_1)
	s_cmp_eq_u32 s2, 0
                                        ; implicit-def: $sgpr2_sgpr3
	s_cbranch_scc1 .LBB112_3
; %bb.2:
	s_clause 0x1
	s_load_b32 s2, s[0:1], 0x20
	s_load_b64 s[14:15], s[0:1], 0x18
	s_mul_i32 s3, s8, s5
	s_mul_hi_u32 s5, s8, s4
	s_mul_i32 s16, s9, s4
	s_add_i32 s3, s5, s3
	s_mul_i32 s4, s8, s4
	s_add_i32 s5, s3, s16
	s_delay_alu instid0(SALU_CYCLE_1)
	s_lshl_b64 s[4:5], s[4:5], 2
	s_waitcnt lgkmcnt(0)
	s_ashr_i32 s3, s2, 31
	s_add_u32 s4, s14, s4
	s_addc_u32 s5, s15, s5
	s_lshl_b64 s[2:3], s[2:3], 2
	s_delay_alu instid0(SALU_CYCLE_1)
	s_add_u32 s2, s4, s2
	s_addc_u32 s3, s5, s3
.LBB112_3:
	s_load_b64 s[0:1], s[0:1], 0x8
	v_lshlrev_b32_e32 v111, 2, v0
	s_waitcnt lgkmcnt(0)
	v_add3_u32 v2, s1, s1, v0
	s_ashr_i32 s5, s0, 31
	s_mov_b32 s4, s0
	s_mov_b32 s14, s1
	s_lshl_b64 s[4:5], s[4:5], 2
	v_add_nc_u32_e32 v4, s1, v2
	v_ashrrev_i32_e32 v3, 31, v2
	s_add_u32 s4, s10, s4
	s_addc_u32 s5, s11, s5
	v_add_co_u32 v13, s0, s4, v111
	v_add_nc_u32_e32 v6, s1, v4
	s_ashr_i32 s15, s1, 31
	v_add_co_ci_u32_e64 v14, null, s5, 0, s0
	v_lshlrev_b64 v[2:3], 2, v[2:3]
	v_ashrrev_i32_e32 v5, 31, v4
	s_lshl_b64 s[10:11], s[14:15], 2
	v_ashrrev_i32_e32 v7, 31, v6
	v_add_co_u32 v15, vcc_lo, v13, s10
	v_add_nc_u32_e32 v8, s1, v6
	v_add_co_ci_u32_e32 v16, vcc_lo, s11, v14, vcc_lo
	v_lshlrev_b64 v[4:5], 2, v[4:5]
	v_add_co_u32 v17, vcc_lo, s4, v2
	v_add_co_ci_u32_e32 v18, vcc_lo, s5, v3, vcc_lo
	v_lshlrev_b64 v[2:3], 2, v[6:7]
	v_ashrrev_i32_e32 v9, 31, v8
	v_add_nc_u32_e32 v6, s1, v8
	v_add_co_u32 v19, vcc_lo, s4, v4
	v_add_co_ci_u32_e32 v20, vcc_lo, s5, v5, vcc_lo
	s_delay_alu instid0(VALU_DEP_4) | instskip(NEXT) | instid1(VALU_DEP_4)
	v_lshlrev_b64 v[4:5], 2, v[8:9]
	v_ashrrev_i32_e32 v7, 31, v6
	v_add_nc_u32_e32 v8, s1, v6
	v_add_co_u32 v21, vcc_lo, s4, v2
	v_add_co_ci_u32_e32 v22, vcc_lo, s5, v3, vcc_lo
	s_delay_alu instid0(VALU_DEP_4) | instskip(NEXT) | instid1(VALU_DEP_4)
	;; [unrolled: 6-line block ×3, first 2 shown]
	v_lshlrev_b64 v[4:5], 2, v[8:9]
	v_add_nc_u32_e32 v8, s1, v6
	v_add_co_u32 v25, vcc_lo, s4, v2
	v_ashrrev_i32_e32 v7, 31, v6
	v_add_co_ci_u32_e32 v26, vcc_lo, s5, v3, vcc_lo
	s_delay_alu instid0(VALU_DEP_4) | instskip(SKIP_1) | instid1(VALU_DEP_4)
	v_add_nc_u32_e32 v2, s1, v8
	v_ashrrev_i32_e32 v9, 31, v8
	v_lshlrev_b64 v[6:7], 2, v[6:7]
	v_add_co_u32 v27, vcc_lo, s4, v4
	s_delay_alu instid0(VALU_DEP_4) | instskip(SKIP_3) | instid1(VALU_DEP_4)
	v_add_nc_u32_e32 v10, s1, v2
	v_ashrrev_i32_e32 v3, 31, v2
	v_lshlrev_b64 v[31:32], 2, v[8:9]
	v_add_co_ci_u32_e32 v28, vcc_lo, s5, v5, vcc_lo
	v_add_nc_u32_e32 v35, s1, v10
	v_ashrrev_i32_e32 v11, 31, v10
	v_add_co_u32 v29, vcc_lo, s4, v6
	v_lshlrev_b64 v[33:34], 2, v[2:3]
	s_delay_alu instid0(VALU_DEP_4) | instskip(SKIP_2) | instid1(VALU_DEP_3)
	v_add_nc_u32_e32 v37, s1, v35
	v_add_co_ci_u32_e32 v30, vcc_lo, s5, v7, vcc_lo
	v_add_co_u32 v31, vcc_lo, s4, v31
	v_add_nc_u32_e32 v41, s1, v37
	v_lshlrev_b64 v[10:11], 2, v[10:11]
	v_ashrrev_i32_e32 v36, 31, v35
	v_add_co_ci_u32_e32 v32, vcc_lo, s5, v32, vcc_lo
	s_delay_alu instid0(VALU_DEP_4) | instskip(SKIP_3) | instid1(VALU_DEP_4)
	v_add_nc_u32_e32 v43, s1, v41
	v_add_co_u32 v33, vcc_lo, s4, v33
	v_ashrrev_i32_e32 v38, 31, v37
	v_add_co_ci_u32_e32 v34, vcc_lo, s5, v34, vcc_lo
	v_add_nc_u32_e32 v45, s1, v43
	v_lshlrev_b64 v[39:40], 2, v[35:36]
	v_add_co_u32 v35, vcc_lo, s4, v10
	v_add_co_ci_u32_e32 v36, vcc_lo, s5, v11, vcc_lo
	s_delay_alu instid0(VALU_DEP_4) | instskip(SKIP_3) | instid1(VALU_DEP_4)
	v_add_nc_u32_e32 v47, s1, v45
	v_lshlrev_b64 v[10:11], 2, v[37:38]
	v_ashrrev_i32_e32 v42, 31, v41
	v_add_co_u32 v37, vcc_lo, s4, v39
	v_add_nc_u32_e32 v49, s1, v47
	v_ashrrev_i32_e32 v44, 31, v43
	v_add_co_ci_u32_e32 v38, vcc_lo, s5, v40, vcc_lo
	v_lshlrev_b64 v[41:42], 2, v[41:42]
	s_delay_alu instid0(VALU_DEP_4) | instskip(SKIP_3) | instid1(VALU_DEP_4)
	v_add_nc_u32_e32 v51, s1, v49
	v_add_co_u32 v39, vcc_lo, s4, v10
	v_ashrrev_i32_e32 v46, 31, v45
	v_add_co_ci_u32_e32 v40, vcc_lo, s5, v11, vcc_lo
	v_add_nc_u32_e32 v53, s1, v51
	v_lshlrev_b64 v[10:11], 2, v[43:44]
	v_ashrrev_i32_e32 v48, 31, v47
	v_add_co_u32 v41, vcc_lo, s4, v41
	s_delay_alu instid0(VALU_DEP_4) | instskip(SKIP_3) | instid1(VALU_DEP_4)
	v_add_nc_u32_e32 v55, s1, v53
	v_lshlrev_b64 v[45:46], 2, v[45:46]
	v_ashrrev_i32_e32 v50, 31, v49
	v_add_co_ci_u32_e32 v42, vcc_lo, s5, v42, vcc_lo
	v_add_nc_u32_e32 v57, s1, v55
	v_add_co_u32 v43, vcc_lo, s4, v10
	v_lshlrev_b64 v[47:48], 2, v[47:48]
	v_ashrrev_i32_e32 v52, 31, v51
	s_delay_alu instid0(VALU_DEP_4) | instskip(SKIP_2) | instid1(VALU_DEP_3)
	v_add_nc_u32_e32 v59, s1, v57
	v_add_co_ci_u32_e32 v44, vcc_lo, s5, v11, vcc_lo
	v_add_co_u32 v45, vcc_lo, s4, v45
	v_add_nc_u32_e32 v61, s1, v59
	v_lshlrev_b64 v[49:50], 2, v[49:50]
	v_ashrrev_i32_e32 v54, 31, v53
	v_add_co_ci_u32_e32 v46, vcc_lo, s5, v46, vcc_lo
	s_delay_alu instid0(VALU_DEP_4) | instskip(SKIP_3) | instid1(VALU_DEP_4)
	v_add_nc_u32_e32 v63, s1, v61
	v_add_co_u32 v47, vcc_lo, s4, v47
	v_lshlrev_b64 v[51:52], 2, v[51:52]
	v_ashrrev_i32_e32 v56, 31, v55
	v_add_nc_u32_e32 v65, s1, v63
	v_add_co_ci_u32_e32 v48, vcc_lo, s5, v48, vcc_lo
	v_add_co_u32 v49, vcc_lo, s4, v49
	s_delay_alu instid0(VALU_DEP_3) | instskip(SKIP_3) | instid1(VALU_DEP_4)
	v_add_nc_u32_e32 v67, s1, v65
	v_lshlrev_b64 v[53:54], 2, v[53:54]
	v_ashrrev_i32_e32 v58, 31, v57
	v_add_co_ci_u32_e32 v50, vcc_lo, s5, v50, vcc_lo
	v_add_nc_u32_e32 v69, s1, v67
	v_add_co_u32 v51, vcc_lo, s4, v51
	v_lshlrev_b64 v[55:56], 2, v[55:56]
	v_ashrrev_i32_e32 v60, 31, v59
	s_delay_alu instid0(VALU_DEP_4) | instskip(SKIP_2) | instid1(VALU_DEP_3)
	v_add_nc_u32_e32 v71, s1, v69
	v_add_co_ci_u32_e32 v52, vcc_lo, s5, v52, vcc_lo
	v_add_co_u32 v53, vcc_lo, s4, v53
	v_add_nc_u32_e32 v73, s1, v71
	v_lshlrev_b64 v[57:58], 2, v[57:58]
	v_ashrrev_i32_e32 v62, 31, v61
	v_add_co_ci_u32_e32 v54, vcc_lo, s5, v54, vcc_lo
	v_add_co_u32 v55, vcc_lo, s4, v55
	v_lshlrev_b64 v[59:60], 2, v[59:60]
	v_ashrrev_i32_e32 v64, 31, v63
	v_add_nc_u32_e32 v75, s1, v73
	v_add_co_ci_u32_e32 v56, vcc_lo, s5, v56, vcc_lo
	v_add_co_u32 v57, vcc_lo, s4, v57
	v_lshlrev_b64 v[61:62], 2, v[61:62]
	v_ashrrev_i32_e32 v66, 31, v65
	v_add_co_ci_u32_e32 v58, vcc_lo, s5, v58, vcc_lo
	v_add_co_u32 v59, vcc_lo, s4, v59
	v_lshlrev_b64 v[63:64], 2, v[63:64]
	v_add_nc_u32_e32 v78, s1, v75
	v_ashrrev_i32_e32 v68, 31, v67
	v_add_co_ci_u32_e32 v60, vcc_lo, s5, v60, vcc_lo
	v_add_co_u32 v61, vcc_lo, s4, v61
	v_lshlrev_b64 v[65:66], 2, v[65:66]
	v_ashrrev_i32_e32 v70, 31, v69
	v_add_co_ci_u32_e32 v62, vcc_lo, s5, v62, vcc_lo
	v_add_nc_u32_e32 v80, s1, v78
	v_add_co_u32 v63, vcc_lo, s4, v63
	v_lshlrev_b64 v[67:68], 2, v[67:68]
	v_ashrrev_i32_e32 v72, 31, v71
	v_add_co_ci_u32_e32 v64, vcc_lo, s5, v64, vcc_lo
	v_add_co_u32 v65, vcc_lo, s4, v65
	v_lshlrev_b64 v[69:70], 2, v[69:70]
	v_ashrrev_i32_e32 v74, 31, v73
	v_add_nc_u32_e32 v82, s1, v80
	v_add_co_ci_u32_e32 v66, vcc_lo, s5, v66, vcc_lo
	v_add_co_u32 v67, vcc_lo, s4, v67
	v_lshlrev_b64 v[71:72], 2, v[71:72]
	v_ashrrev_i32_e32 v76, 31, v75
	v_add_co_ci_u32_e32 v68, vcc_lo, s5, v68, vcc_lo
	v_add_co_u32 v69, vcc_lo, s4, v69
	v_lshlrev_b64 v[73:74], 2, v[73:74]
	v_add_nc_u32_e32 v84, s1, v82
	v_add_co_ci_u32_e32 v70, vcc_lo, s5, v70, vcc_lo
	v_add_co_u32 v71, vcc_lo, s4, v71
	v_lshlrev_b64 v[76:77], 2, v[75:76]
	v_add_co_ci_u32_e32 v72, vcc_lo, s5, v72, vcc_lo
	v_add_nc_u32_e32 v86, s1, v84
	v_add_co_u32 v73, vcc_lo, s4, v73
	v_ashrrev_i32_e32 v79, 31, v78
	v_add_co_ci_u32_e32 v74, vcc_lo, s5, v74, vcc_lo
	v_add_co_u32 v75, vcc_lo, s4, v76
	v_ashrrev_i32_e32 v81, 31, v80
	v_add_nc_u32_e32 v88, s1, v86
	v_add_co_ci_u32_e32 v76, vcc_lo, s5, v77, vcc_lo
	v_lshlrev_b64 v[77:78], 2, v[78:79]
	v_ashrrev_i32_e32 v83, 31, v82
	v_lshlrev_b64 v[79:80], 2, v[80:81]
	v_ashrrev_i32_e32 v85, 31, v84
	v_ashrrev_i32_e32 v87, 31, v86
	;; [unrolled: 1-line block ×3, first 2 shown]
	v_add_nc_u32_e32 v90, s1, v88
	v_add_co_u32 v77, vcc_lo, s4, v77
	v_lshlrev_b64 v[81:82], 2, v[82:83]
	v_add_co_ci_u32_e32 v78, vcc_lo, s5, v78, vcc_lo
	v_add_co_u32 v79, vcc_lo, s4, v79
	v_lshlrev_b64 v[83:84], 2, v[84:85]
	v_lshlrev_b64 v[85:86], 2, v[86:87]
	;; [unrolled: 1-line block ×3, first 2 shown]
	v_add_nc_u32_e32 v89, s1, v90
	v_add_co_ci_u32_e32 v80, vcc_lo, s5, v80, vcc_lo
	v_ashrrev_i32_e32 v91, 31, v90
	v_add_co_u32 v81, vcc_lo, s4, v81
	v_add_co_ci_u32_e32 v82, vcc_lo, s5, v82, vcc_lo
	v_add_nc_u32_e32 v93, s1, v89
	v_add_co_u32 v83, vcc_lo, s4, v83
	v_lshlrev_b64 v[91:92], 2, v[90:91]
	v_ashrrev_i32_e32 v90, 31, v89
	v_add_co_ci_u32_e32 v84, vcc_lo, s5, v84, vcc_lo
	v_add_co_u32 v85, vcc_lo, s4, v85
	v_ashrrev_i32_e32 v94, 31, v93
	v_add_co_ci_u32_e32 v86, vcc_lo, s5, v86, vcc_lo
	v_add_co_u32 v87, vcc_lo, s4, v87
	v_lshlrev_b64 v[95:96], 2, v[89:90]
	v_add_nc_u32_e32 v99, s1, v93
	v_add_co_ci_u32_e32 v88, vcc_lo, s5, v88, vcc_lo
	v_add_co_u32 v89, vcc_lo, s4, v91
	v_lshlrev_b64 v[97:98], 2, v[93:94]
	v_add_co_ci_u32_e32 v90, vcc_lo, s5, v92, vcc_lo
	v_add_co_u32 v91, vcc_lo, s4, v95
	v_ashrrev_i32_e32 v100, 31, v99
	v_add_nc_u32_e32 v95, s1, v99
	v_add_co_ci_u32_e32 v92, vcc_lo, s5, v96, vcc_lo
	v_add_co_u32 v93, vcc_lo, s4, v97
	v_add_co_ci_u32_e32 v94, vcc_lo, s5, v98, vcc_lo
	v_lshlrev_b64 v[97:98], 2, v[99:100]
	v_add_nc_u32_e32 v99, s1, v95
	v_ashrrev_i32_e32 v96, 31, v95
	s_clause 0x10
	global_load_b32 v1, v111, s[4:5]
	global_load_b32 v2, v[15:16], off
	global_load_b32 v3, v[17:18], off
	;; [unrolled: 1-line block ×16, first 2 shown]
	v_add_nc_u32_e32 v103, s1, v99
	v_lshlrev_b64 v[101:102], 2, v[95:96]
	v_add_co_u32 v95, vcc_lo, s4, v97
	v_add_co_ci_u32_e32 v96, vcc_lo, s5, v98, vcc_lo
	s_delay_alu instid0(VALU_DEP_4)
	v_ashrrev_i32_e32 v104, 31, v103
	v_add_nc_u32_e32 v105, s1, v103
	v_ashrrev_i32_e32 v100, 31, v99
	v_add_co_u32 v97, vcc_lo, s4, v101
	v_add_co_ci_u32_e32 v98, vcc_lo, s5, v102, vcc_lo
	v_lshlrev_b64 v[101:102], 2, v[103:104]
	v_add_nc_u32_e32 v103, s1, v105
	v_lshlrev_b64 v[99:100], 2, v[99:100]
	v_ashrrev_i32_e32 v106, 31, v105
	s_clause 0xf
	global_load_b32 v117, v[47:48], off
	global_load_b32 v118, v[49:50], off
	;; [unrolled: 1-line block ×16, first 2 shown]
	v_add_nc_u32_e32 v107, s1, v103
	v_ashrrev_i32_e32 v104, 31, v103
	v_add_co_u32 v99, vcc_lo, s4, v99
	v_lshlrev_b64 v[105:106], 2, v[105:106]
	s_delay_alu instid0(VALU_DEP_4)
	v_add_nc_u32_e32 v141, s1, v107
	v_add_co_ci_u32_e32 v100, vcc_lo, s5, v100, vcc_lo
	v_add_co_u32 v101, vcc_lo, s4, v101
	v_lshlrev_b64 v[109:110], 2, v[103:104]
	v_ashrrev_i32_e32 v108, 31, v107
	v_add_co_ci_u32_e32 v102, vcc_lo, s5, v102, vcc_lo
	v_add_co_u32 v103, vcc_lo, s4, v105
	v_ashrrev_i32_e32 v142, 31, v141
	v_add_co_ci_u32_e32 v104, vcc_lo, s5, v106, vcc_lo
	v_lshlrev_b64 v[107:108], 2, v[107:108]
	v_add_co_u32 v105, vcc_lo, s4, v109
	v_add_co_ci_u32_e32 v106, vcc_lo, s5, v110, vcc_lo
	v_lshlrev_b64 v[109:110], 2, v[141:142]
	s_delay_alu instid0(VALU_DEP_4)
	v_add_co_u32 v107, vcc_lo, s4, v107
	v_add_co_ci_u32_e32 v108, vcc_lo, s5, v108, vcc_lo
	s_clause 0x7
	global_load_b32 v133, v[79:80], off
	global_load_b32 v134, v[81:82], off
	;; [unrolled: 1-line block ×8, first 2 shown]
	v_add_co_u32 v109, vcc_lo, s4, v109
	v_add_co_ci_u32_e32 v110, vcc_lo, s5, v110, vcc_lo
	s_clause 0x7
	global_load_b32 v141, v[95:96], off
	global_load_b32 v142, v[97:98], off
	;; [unrolled: 1-line block ×8, first 2 shown]
	s_bitcmp0_b32 s13, 0
	s_mov_b32 s1, -1
	s_waitcnt vmcnt(45)
	scratch_store_b128 off, v[1:4], off
	s_waitcnt vmcnt(41)
	scratch_store_b128 off, v[5:8], off offset:16
	s_waitcnt vmcnt(37)
	scratch_store_b128 off, v[9:12], off offset:32
	;; [unrolled: 2-line block ×11, first 2 shown]
	s_waitcnt vmcnt(0)
	scratch_store_b32 off, v148, off offset:192
	s_cbranch_scc1 .LBB112_202
; %bb.4:
	v_cmp_eq_u32_e64 s0, 0, v0
	s_delay_alu instid0(VALU_DEP_1)
	s_and_saveexec_b32 s1, s0
	s_cbranch_execz .LBB112_6
; %bb.5:
	v_mov_b32_e32 v1, 0
	ds_store_b32 v1, v1 offset:196
.LBB112_6:
	s_or_b32 exec_lo, exec_lo, s1
	s_waitcnt lgkmcnt(0)
	s_waitcnt_vscnt null, 0x0
	s_barrier
	buffer_gl0_inv
	scratch_load_b32 v1, v111, off
	s_mov_b32 s4, exec_lo
	s_waitcnt vmcnt(0)
	v_cmpx_eq_f32_e32 0, v1
	s_cbranch_execz .LBB112_10
; %bb.7:
	v_mov_b32_e32 v1, 0
	s_mov_b32 s5, 0
	ds_load_b32 v2, v1 offset:196
	s_waitcnt lgkmcnt(0)
	v_readfirstlane_b32 s1, v2
	v_add_nc_u32_e32 v2, 1, v0
	s_delay_alu instid0(VALU_DEP_2) | instskip(NEXT) | instid1(VALU_DEP_1)
	s_cmp_eq_u32 s1, 0
	v_cmp_gt_i32_e32 vcc_lo, s1, v2
	s_cselect_b32 s10, -1, 0
	s_delay_alu instid0(SALU_CYCLE_1) | instskip(NEXT) | instid1(SALU_CYCLE_1)
	s_or_b32 s10, s10, vcc_lo
	s_and_b32 exec_lo, exec_lo, s10
	s_cbranch_execz .LBB112_10
; %bb.8:
	v_mov_b32_e32 v3, s1
.LBB112_9:                              ; =>This Inner Loop Header: Depth=1
	ds_cmpstore_rtn_b32 v3, v1, v2, v3 offset:196
	s_waitcnt lgkmcnt(0)
	v_cmp_ne_u32_e32 vcc_lo, 0, v3
	v_cmp_le_i32_e64 s1, v3, v2
	s_delay_alu instid0(VALU_DEP_1) | instskip(NEXT) | instid1(SALU_CYCLE_1)
	s_and_b32 s1, vcc_lo, s1
	s_and_b32 s1, exec_lo, s1
	s_delay_alu instid0(SALU_CYCLE_1) | instskip(NEXT) | instid1(SALU_CYCLE_1)
	s_or_b32 s5, s1, s5
	s_and_not1_b32 exec_lo, exec_lo, s5
	s_cbranch_execnz .LBB112_9
.LBB112_10:
	s_or_b32 exec_lo, exec_lo, s4
	v_mov_b32_e32 v1, 0
	s_barrier
	buffer_gl0_inv
	ds_load_b32 v2, v1 offset:196
	s_and_saveexec_b32 s1, s0
	s_cbranch_execz .LBB112_12
; %bb.11:
	s_lshl_b64 s[4:5], s[8:9], 2
	s_delay_alu instid0(SALU_CYCLE_1)
	s_add_u32 s4, s6, s4
	s_addc_u32 s5, s7, s5
	s_waitcnt lgkmcnt(0)
	global_store_b32 v1, v2, s[4:5]
.LBB112_12:
	s_or_b32 exec_lo, exec_lo, s1
	s_waitcnt lgkmcnt(0)
	v_cmp_ne_u32_e32 vcc_lo, 0, v2
	s_mov_b32 s1, 0
	s_cbranch_vccnz .LBB112_202
; %bb.13:
	v_add_nc_u32_e32 v1, 0, v111
	scratch_load_b32 v2, v1, off
	s_waitcnt vmcnt(0)
	v_div_scale_f32 v3, null, v2, v2, 1.0
	v_div_scale_f32 v6, vcc_lo, 1.0, v2, 1.0
	s_delay_alu instid0(VALU_DEP_2) | instskip(SKIP_2) | instid1(VALU_DEP_1)
	v_rcp_f32_e32 v4, v3
	s_waitcnt_depctr 0xfff
	v_fma_f32 v5, -v3, v4, 1.0
	v_fmac_f32_e32 v4, v5, v4
	s_delay_alu instid0(VALU_DEP_1) | instskip(NEXT) | instid1(VALU_DEP_1)
	v_mul_f32_e32 v5, v6, v4
	v_fma_f32 v7, -v3, v5, v6
	s_delay_alu instid0(VALU_DEP_1) | instskip(NEXT) | instid1(VALU_DEP_1)
	v_fmac_f32_e32 v5, v7, v4
	v_fma_f32 v3, -v3, v5, v6
	s_delay_alu instid0(VALU_DEP_1) | instskip(NEXT) | instid1(VALU_DEP_1)
	v_div_fmas_f32 v3, v3, v4, v5
	v_div_fixup_f32 v2, v3, v2, 1.0
	scratch_store_b32 v1, v2, off
	scratch_load_b32 v3, off, off offset:4
	v_xor_b32_e32 v4, 0x80000000, v2
	v_add_nc_u32_e32 v2, 0xd0, v111
	s_waitcnt vmcnt(0)
	ds_store_2addr_b32 v111, v4, v3 offset1:52
	s_waitcnt lgkmcnt(0)
	s_waitcnt_vscnt null, 0x0
	s_barrier
	buffer_gl0_inv
	s_and_saveexec_b32 s1, s0
	s_cbranch_execz .LBB112_15
; %bb.14:
	scratch_load_b32 v3, v1, off
	ds_load_b32 v4, v2
	v_mov_b32_e32 v5, 0
	ds_load_b32 v5, v5 offset:4
	s_waitcnt vmcnt(0) lgkmcnt(1)
	v_fma_f32 v3, v3, v4, 0
	s_waitcnt lgkmcnt(0)
	s_delay_alu instid0(VALU_DEP_1)
	v_mul_f32_e32 v3, v3, v5
	scratch_store_b32 off, v3, off offset:4
.LBB112_15:
	s_or_b32 exec_lo, exec_lo, s1
	s_waitcnt_vscnt null, 0x0
	s_barrier
	buffer_gl0_inv
	scratch_load_b32 v3, off, off offset:8
	s_mov_b32 s1, exec_lo
	s_waitcnt vmcnt(0)
	ds_store_b32 v2, v3
	s_waitcnt lgkmcnt(0)
	s_barrier
	buffer_gl0_inv
	v_cmpx_gt_u32_e32 2, v0
	s_cbranch_execz .LBB112_17
; %bb.16:
	scratch_load_b32 v5, v1, off
	scratch_load_b32 v6, off, off offset:4
	ds_load_b32 v7, v2
	v_mov_b32_e32 v3, 0
	ds_load_2addr_b32 v[3:4], v3 offset0:2 offset1:53
	s_waitcnt vmcnt(1) lgkmcnt(1)
	v_fma_f32 v5, v5, v7, 0
	s_waitcnt vmcnt(0) lgkmcnt(0)
	s_delay_alu instid0(VALU_DEP_1) | instskip(NEXT) | instid1(VALU_DEP_1)
	v_fma_f32 v4, v6, v4, v5
	v_cndmask_b32_e64 v4, v5, v4, s0
	s_delay_alu instid0(VALU_DEP_1)
	v_mul_f32_e32 v3, v4, v3
	scratch_store_b32 off, v3, off offset:8
.LBB112_17:
	s_or_b32 exec_lo, exec_lo, s1
	s_waitcnt_vscnt null, 0x0
	s_barrier
	buffer_gl0_inv
	scratch_load_b32 v4, off, off offset:12
	v_add_nc_u32_e32 v3, -1, v0
	s_mov_b32 s0, exec_lo
	s_waitcnt vmcnt(0)
	ds_store_b32 v2, v4
	s_waitcnt lgkmcnt(0)
	s_barrier
	buffer_gl0_inv
	v_cmpx_gt_u32_e32 3, v0
	s_cbranch_execz .LBB112_21
; %bb.18:
	v_dual_mov_b32 v4, 0 :: v_dual_add_nc_u32 v5, -1, v0
	v_add_nc_u32_e32 v6, 0xd0, v111
	v_add_nc_u32_e32 v7, 0, v111
	s_mov_b32 s1, 0
.LBB112_19:                             ; =>This Inner Loop Header: Depth=1
	scratch_load_b32 v8, v7, off
	ds_load_b32 v9, v6
	v_add_nc_u32_e32 v5, 1, v5
	v_add_nc_u32_e32 v6, 4, v6
	v_add_nc_u32_e32 v7, 4, v7
	s_delay_alu instid0(VALU_DEP_3)
	v_cmp_lt_u32_e32 vcc_lo, 1, v5
	s_or_b32 s1, vcc_lo, s1
	s_waitcnt vmcnt(0) lgkmcnt(0)
	v_fmac_f32_e32 v4, v8, v9
	s_and_not1_b32 exec_lo, exec_lo, s1
	s_cbranch_execnz .LBB112_19
; %bb.20:
	s_or_b32 exec_lo, exec_lo, s1
	v_mov_b32_e32 v5, 0
	ds_load_b32 v5, v5 offset:12
	s_waitcnt lgkmcnt(0)
	v_mul_f32_e32 v4, v4, v5
	scratch_store_b32 off, v4, off offset:12
.LBB112_21:
	s_or_b32 exec_lo, exec_lo, s0
	s_waitcnt_vscnt null, 0x0
	s_barrier
	buffer_gl0_inv
	scratch_load_b32 v4, off, off offset:16
	s_mov_b32 s0, exec_lo
	s_waitcnt vmcnt(0)
	ds_store_b32 v2, v4
	s_waitcnt lgkmcnt(0)
	s_barrier
	buffer_gl0_inv
	v_cmpx_gt_u32_e32 4, v0
	s_cbranch_execz .LBB112_25
; %bb.22:
	v_dual_mov_b32 v4, 0 :: v_dual_add_nc_u32 v5, -1, v0
	v_add_nc_u32_e32 v6, 0xd0, v111
	v_add_nc_u32_e32 v7, 0, v111
	s_mov_b32 s1, 0
.LBB112_23:                             ; =>This Inner Loop Header: Depth=1
	scratch_load_b32 v8, v7, off
	ds_load_b32 v9, v6
	v_add_nc_u32_e32 v5, 1, v5
	v_add_nc_u32_e32 v6, 4, v6
	v_add_nc_u32_e32 v7, 4, v7
	s_delay_alu instid0(VALU_DEP_3)
	v_cmp_lt_u32_e32 vcc_lo, 2, v5
	s_or_b32 s1, vcc_lo, s1
	s_waitcnt vmcnt(0) lgkmcnt(0)
	v_fmac_f32_e32 v4, v8, v9
	s_and_not1_b32 exec_lo, exec_lo, s1
	s_cbranch_execnz .LBB112_23
; %bb.24:
	s_or_b32 exec_lo, exec_lo, s1
	v_mov_b32_e32 v5, 0
	ds_load_b32 v5, v5 offset:16
	s_waitcnt lgkmcnt(0)
	v_mul_f32_e32 v4, v4, v5
	scratch_store_b32 off, v4, off offset:16
.LBB112_25:
	s_or_b32 exec_lo, exec_lo, s0
	s_waitcnt_vscnt null, 0x0
	s_barrier
	buffer_gl0_inv
	scratch_load_b32 v4, off, off offset:20
	;; [unrolled: 39-line block ×21, first 2 shown]
	s_mov_b32 s0, exec_lo
	s_waitcnt vmcnt(0)
	ds_store_b32 v2, v4
	s_waitcnt lgkmcnt(0)
	s_barrier
	buffer_gl0_inv
	v_cmpx_gt_u32_e32 24, v0
	s_cbranch_execz .LBB112_105
; %bb.102:
	v_dual_mov_b32 v4, 0 :: v_dual_add_nc_u32 v5, -1, v0
	v_add_nc_u32_e32 v6, 0xd0, v111
	v_add_nc_u32_e32 v7, 0, v111
	s_mov_b32 s1, 0
.LBB112_103:                            ; =>This Inner Loop Header: Depth=1
	scratch_load_b32 v8, v7, off
	ds_load_b32 v9, v6
	v_add_nc_u32_e32 v5, 1, v5
	v_add_nc_u32_e32 v6, 4, v6
	v_add_nc_u32_e32 v7, 4, v7
	s_delay_alu instid0(VALU_DEP_3)
	v_cmp_lt_u32_e32 vcc_lo, 22, v5
	s_or_b32 s1, vcc_lo, s1
	s_waitcnt vmcnt(0) lgkmcnt(0)
	v_fmac_f32_e32 v4, v8, v9
	s_and_not1_b32 exec_lo, exec_lo, s1
	s_cbranch_execnz .LBB112_103
; %bb.104:
	s_or_b32 exec_lo, exec_lo, s1
	v_mov_b32_e32 v5, 0
	ds_load_b32 v5, v5 offset:96
	s_waitcnt lgkmcnt(0)
	v_mul_f32_e32 v4, v4, v5
	scratch_store_b32 off, v4, off offset:96
.LBB112_105:
	s_or_b32 exec_lo, exec_lo, s0
	s_waitcnt_vscnt null, 0x0
	s_barrier
	buffer_gl0_inv
	scratch_load_b32 v4, off, off offset:100
	s_mov_b32 s0, exec_lo
	s_waitcnt vmcnt(0)
	ds_store_b32 v2, v4
	s_waitcnt lgkmcnt(0)
	s_barrier
	buffer_gl0_inv
	v_cmpx_gt_u32_e32 25, v0
	s_cbranch_execz .LBB112_109
; %bb.106:
	v_dual_mov_b32 v4, 0 :: v_dual_add_nc_u32 v5, -1, v0
	v_add_nc_u32_e32 v6, 0xd0, v111
	v_add_nc_u32_e32 v7, 0, v111
	s_mov_b32 s1, 0
.LBB112_107:                            ; =>This Inner Loop Header: Depth=1
	scratch_load_b32 v8, v7, off
	ds_load_b32 v9, v6
	v_add_nc_u32_e32 v5, 1, v5
	v_add_nc_u32_e32 v6, 4, v6
	v_add_nc_u32_e32 v7, 4, v7
	s_delay_alu instid0(VALU_DEP_3)
	v_cmp_lt_u32_e32 vcc_lo, 23, v5
	s_or_b32 s1, vcc_lo, s1
	s_waitcnt vmcnt(0) lgkmcnt(0)
	v_fmac_f32_e32 v4, v8, v9
	s_and_not1_b32 exec_lo, exec_lo, s1
	s_cbranch_execnz .LBB112_107
; %bb.108:
	s_or_b32 exec_lo, exec_lo, s1
	v_mov_b32_e32 v5, 0
	ds_load_b32 v5, v5 offset:100
	s_waitcnt lgkmcnt(0)
	v_mul_f32_e32 v4, v4, v5
	scratch_store_b32 off, v4, off offset:100
.LBB112_109:
	s_or_b32 exec_lo, exec_lo, s0
	s_waitcnt_vscnt null, 0x0
	s_barrier
	buffer_gl0_inv
	scratch_load_b32 v4, off, off offset:104
	s_mov_b32 s0, exec_lo
	s_waitcnt vmcnt(0)
	ds_store_b32 v2, v4
	s_waitcnt lgkmcnt(0)
	s_barrier
	buffer_gl0_inv
	v_cmpx_gt_u32_e32 26, v0
	s_cbranch_execz .LBB112_113
; %bb.110:
	v_dual_mov_b32 v4, 0 :: v_dual_add_nc_u32 v5, -1, v0
	v_add_nc_u32_e32 v6, 0xd0, v111
	v_add_nc_u32_e32 v7, 0, v111
	s_mov_b32 s1, 0
.LBB112_111:                            ; =>This Inner Loop Header: Depth=1
	scratch_load_b32 v8, v7, off
	ds_load_b32 v9, v6
	v_add_nc_u32_e32 v5, 1, v5
	v_add_nc_u32_e32 v6, 4, v6
	v_add_nc_u32_e32 v7, 4, v7
	s_delay_alu instid0(VALU_DEP_3)
	v_cmp_lt_u32_e32 vcc_lo, 24, v5
	s_or_b32 s1, vcc_lo, s1
	s_waitcnt vmcnt(0) lgkmcnt(0)
	v_fmac_f32_e32 v4, v8, v9
	s_and_not1_b32 exec_lo, exec_lo, s1
	s_cbranch_execnz .LBB112_111
; %bb.112:
	s_or_b32 exec_lo, exec_lo, s1
	v_mov_b32_e32 v5, 0
	ds_load_b32 v5, v5 offset:104
	s_waitcnt lgkmcnt(0)
	v_mul_f32_e32 v4, v4, v5
	scratch_store_b32 off, v4, off offset:104
.LBB112_113:
	s_or_b32 exec_lo, exec_lo, s0
	s_waitcnt_vscnt null, 0x0
	s_barrier
	buffer_gl0_inv
	scratch_load_b32 v4, off, off offset:108
	s_mov_b32 s0, exec_lo
	s_waitcnt vmcnt(0)
	ds_store_b32 v2, v4
	s_waitcnt lgkmcnt(0)
	s_barrier
	buffer_gl0_inv
	v_cmpx_gt_u32_e32 27, v0
	s_cbranch_execz .LBB112_117
; %bb.114:
	v_dual_mov_b32 v4, 0 :: v_dual_add_nc_u32 v5, -1, v0
	v_add_nc_u32_e32 v6, 0xd0, v111
	v_add_nc_u32_e32 v7, 0, v111
	s_mov_b32 s1, 0
.LBB112_115:                            ; =>This Inner Loop Header: Depth=1
	scratch_load_b32 v8, v7, off
	ds_load_b32 v9, v6
	v_add_nc_u32_e32 v5, 1, v5
	v_add_nc_u32_e32 v6, 4, v6
	v_add_nc_u32_e32 v7, 4, v7
	s_delay_alu instid0(VALU_DEP_3)
	v_cmp_lt_u32_e32 vcc_lo, 25, v5
	s_or_b32 s1, vcc_lo, s1
	s_waitcnt vmcnt(0) lgkmcnt(0)
	v_fmac_f32_e32 v4, v8, v9
	s_and_not1_b32 exec_lo, exec_lo, s1
	s_cbranch_execnz .LBB112_115
; %bb.116:
	s_or_b32 exec_lo, exec_lo, s1
	v_mov_b32_e32 v5, 0
	ds_load_b32 v5, v5 offset:108
	s_waitcnt lgkmcnt(0)
	v_mul_f32_e32 v4, v4, v5
	scratch_store_b32 off, v4, off offset:108
.LBB112_117:
	s_or_b32 exec_lo, exec_lo, s0
	s_waitcnt_vscnt null, 0x0
	s_barrier
	buffer_gl0_inv
	scratch_load_b32 v4, off, off offset:112
	s_mov_b32 s0, exec_lo
	s_waitcnt vmcnt(0)
	ds_store_b32 v2, v4
	s_waitcnt lgkmcnt(0)
	s_barrier
	buffer_gl0_inv
	v_cmpx_gt_u32_e32 28, v0
	s_cbranch_execz .LBB112_121
; %bb.118:
	v_dual_mov_b32 v4, 0 :: v_dual_add_nc_u32 v5, -1, v0
	v_add_nc_u32_e32 v6, 0xd0, v111
	v_add_nc_u32_e32 v7, 0, v111
	s_mov_b32 s1, 0
.LBB112_119:                            ; =>This Inner Loop Header: Depth=1
	scratch_load_b32 v8, v7, off
	ds_load_b32 v9, v6
	v_add_nc_u32_e32 v5, 1, v5
	v_add_nc_u32_e32 v6, 4, v6
	v_add_nc_u32_e32 v7, 4, v7
	s_delay_alu instid0(VALU_DEP_3)
	v_cmp_lt_u32_e32 vcc_lo, 26, v5
	s_or_b32 s1, vcc_lo, s1
	s_waitcnt vmcnt(0) lgkmcnt(0)
	v_fmac_f32_e32 v4, v8, v9
	s_and_not1_b32 exec_lo, exec_lo, s1
	s_cbranch_execnz .LBB112_119
; %bb.120:
	s_or_b32 exec_lo, exec_lo, s1
	v_mov_b32_e32 v5, 0
	ds_load_b32 v5, v5 offset:112
	s_waitcnt lgkmcnt(0)
	v_mul_f32_e32 v4, v4, v5
	scratch_store_b32 off, v4, off offset:112
.LBB112_121:
	s_or_b32 exec_lo, exec_lo, s0
	s_waitcnt_vscnt null, 0x0
	s_barrier
	buffer_gl0_inv
	scratch_load_b32 v4, off, off offset:116
	s_mov_b32 s0, exec_lo
	s_waitcnt vmcnt(0)
	ds_store_b32 v2, v4
	s_waitcnt lgkmcnt(0)
	s_barrier
	buffer_gl0_inv
	v_cmpx_gt_u32_e32 29, v0
	s_cbranch_execz .LBB112_125
; %bb.122:
	v_dual_mov_b32 v4, 0 :: v_dual_add_nc_u32 v5, -1, v0
	v_add_nc_u32_e32 v6, 0xd0, v111
	v_add_nc_u32_e32 v7, 0, v111
	s_mov_b32 s1, 0
.LBB112_123:                            ; =>This Inner Loop Header: Depth=1
	scratch_load_b32 v8, v7, off
	ds_load_b32 v9, v6
	v_add_nc_u32_e32 v5, 1, v5
	v_add_nc_u32_e32 v6, 4, v6
	v_add_nc_u32_e32 v7, 4, v7
	s_delay_alu instid0(VALU_DEP_3)
	v_cmp_lt_u32_e32 vcc_lo, 27, v5
	s_or_b32 s1, vcc_lo, s1
	s_waitcnt vmcnt(0) lgkmcnt(0)
	v_fmac_f32_e32 v4, v8, v9
	s_and_not1_b32 exec_lo, exec_lo, s1
	s_cbranch_execnz .LBB112_123
; %bb.124:
	s_or_b32 exec_lo, exec_lo, s1
	v_mov_b32_e32 v5, 0
	ds_load_b32 v5, v5 offset:116
	s_waitcnt lgkmcnt(0)
	v_mul_f32_e32 v4, v4, v5
	scratch_store_b32 off, v4, off offset:116
.LBB112_125:
	s_or_b32 exec_lo, exec_lo, s0
	s_waitcnt_vscnt null, 0x0
	s_barrier
	buffer_gl0_inv
	scratch_load_b32 v4, off, off offset:120
	s_mov_b32 s0, exec_lo
	s_waitcnt vmcnt(0)
	ds_store_b32 v2, v4
	s_waitcnt lgkmcnt(0)
	s_barrier
	buffer_gl0_inv
	v_cmpx_gt_u32_e32 30, v0
	s_cbranch_execz .LBB112_129
; %bb.126:
	v_dual_mov_b32 v4, 0 :: v_dual_add_nc_u32 v5, -1, v0
	v_add_nc_u32_e32 v6, 0xd0, v111
	v_add_nc_u32_e32 v7, 0, v111
	s_mov_b32 s1, 0
.LBB112_127:                            ; =>This Inner Loop Header: Depth=1
	scratch_load_b32 v8, v7, off
	ds_load_b32 v9, v6
	v_add_nc_u32_e32 v5, 1, v5
	v_add_nc_u32_e32 v6, 4, v6
	v_add_nc_u32_e32 v7, 4, v7
	s_delay_alu instid0(VALU_DEP_3)
	v_cmp_lt_u32_e32 vcc_lo, 28, v5
	s_or_b32 s1, vcc_lo, s1
	s_waitcnt vmcnt(0) lgkmcnt(0)
	v_fmac_f32_e32 v4, v8, v9
	s_and_not1_b32 exec_lo, exec_lo, s1
	s_cbranch_execnz .LBB112_127
; %bb.128:
	s_or_b32 exec_lo, exec_lo, s1
	v_mov_b32_e32 v5, 0
	ds_load_b32 v5, v5 offset:120
	s_waitcnt lgkmcnt(0)
	v_mul_f32_e32 v4, v4, v5
	scratch_store_b32 off, v4, off offset:120
.LBB112_129:
	s_or_b32 exec_lo, exec_lo, s0
	s_waitcnt_vscnt null, 0x0
	s_barrier
	buffer_gl0_inv
	scratch_load_b32 v4, off, off offset:124
	s_mov_b32 s0, exec_lo
	s_waitcnt vmcnt(0)
	ds_store_b32 v2, v4
	s_waitcnt lgkmcnt(0)
	s_barrier
	buffer_gl0_inv
	v_cmpx_gt_u32_e32 31, v0
	s_cbranch_execz .LBB112_133
; %bb.130:
	v_dual_mov_b32 v4, 0 :: v_dual_add_nc_u32 v5, -1, v0
	v_add_nc_u32_e32 v6, 0xd0, v111
	v_add_nc_u32_e32 v7, 0, v111
	s_mov_b32 s1, 0
.LBB112_131:                            ; =>This Inner Loop Header: Depth=1
	scratch_load_b32 v8, v7, off
	ds_load_b32 v9, v6
	v_add_nc_u32_e32 v5, 1, v5
	v_add_nc_u32_e32 v6, 4, v6
	v_add_nc_u32_e32 v7, 4, v7
	s_delay_alu instid0(VALU_DEP_3)
	v_cmp_lt_u32_e32 vcc_lo, 29, v5
	s_or_b32 s1, vcc_lo, s1
	s_waitcnt vmcnt(0) lgkmcnt(0)
	v_fmac_f32_e32 v4, v8, v9
	s_and_not1_b32 exec_lo, exec_lo, s1
	s_cbranch_execnz .LBB112_131
; %bb.132:
	s_or_b32 exec_lo, exec_lo, s1
	v_mov_b32_e32 v5, 0
	ds_load_b32 v5, v5 offset:124
	s_waitcnt lgkmcnt(0)
	v_mul_f32_e32 v4, v4, v5
	scratch_store_b32 off, v4, off offset:124
.LBB112_133:
	s_or_b32 exec_lo, exec_lo, s0
	s_waitcnt_vscnt null, 0x0
	s_barrier
	buffer_gl0_inv
	scratch_load_b32 v4, off, off offset:128
	s_mov_b32 s0, exec_lo
	s_waitcnt vmcnt(0)
	ds_store_b32 v2, v4
	s_waitcnt lgkmcnt(0)
	s_barrier
	buffer_gl0_inv
	v_cmpx_gt_u32_e32 32, v0
	s_cbranch_execz .LBB112_137
; %bb.134:
	v_dual_mov_b32 v4, 0 :: v_dual_add_nc_u32 v5, -1, v0
	v_add_nc_u32_e32 v6, 0xd0, v111
	v_add_nc_u32_e32 v7, 0, v111
	s_mov_b32 s1, 0
.LBB112_135:                            ; =>This Inner Loop Header: Depth=1
	scratch_load_b32 v8, v7, off
	ds_load_b32 v9, v6
	v_add_nc_u32_e32 v5, 1, v5
	v_add_nc_u32_e32 v6, 4, v6
	v_add_nc_u32_e32 v7, 4, v7
	s_delay_alu instid0(VALU_DEP_3)
	v_cmp_lt_u32_e32 vcc_lo, 30, v5
	s_or_b32 s1, vcc_lo, s1
	s_waitcnt vmcnt(0) lgkmcnt(0)
	v_fmac_f32_e32 v4, v8, v9
	s_and_not1_b32 exec_lo, exec_lo, s1
	s_cbranch_execnz .LBB112_135
; %bb.136:
	s_or_b32 exec_lo, exec_lo, s1
	v_mov_b32_e32 v5, 0
	ds_load_b32 v5, v5 offset:128
	s_waitcnt lgkmcnt(0)
	v_mul_f32_e32 v4, v4, v5
	scratch_store_b32 off, v4, off offset:128
.LBB112_137:
	s_or_b32 exec_lo, exec_lo, s0
	s_waitcnt_vscnt null, 0x0
	s_barrier
	buffer_gl0_inv
	scratch_load_b32 v4, off, off offset:132
	s_mov_b32 s0, exec_lo
	s_waitcnt vmcnt(0)
	ds_store_b32 v2, v4
	s_waitcnt lgkmcnt(0)
	s_barrier
	buffer_gl0_inv
	v_cmpx_gt_u32_e32 33, v0
	s_cbranch_execz .LBB112_141
; %bb.138:
	v_dual_mov_b32 v4, 0 :: v_dual_add_nc_u32 v5, -1, v0
	v_add_nc_u32_e32 v6, 0xd0, v111
	v_add_nc_u32_e32 v7, 0, v111
	s_mov_b32 s1, 0
.LBB112_139:                            ; =>This Inner Loop Header: Depth=1
	scratch_load_b32 v8, v7, off
	ds_load_b32 v9, v6
	v_add_nc_u32_e32 v5, 1, v5
	v_add_nc_u32_e32 v6, 4, v6
	v_add_nc_u32_e32 v7, 4, v7
	s_delay_alu instid0(VALU_DEP_3)
	v_cmp_lt_u32_e32 vcc_lo, 31, v5
	s_or_b32 s1, vcc_lo, s1
	s_waitcnt vmcnt(0) lgkmcnt(0)
	v_fmac_f32_e32 v4, v8, v9
	s_and_not1_b32 exec_lo, exec_lo, s1
	s_cbranch_execnz .LBB112_139
; %bb.140:
	s_or_b32 exec_lo, exec_lo, s1
	v_mov_b32_e32 v5, 0
	ds_load_b32 v5, v5 offset:132
	s_waitcnt lgkmcnt(0)
	v_mul_f32_e32 v4, v4, v5
	scratch_store_b32 off, v4, off offset:132
.LBB112_141:
	s_or_b32 exec_lo, exec_lo, s0
	s_waitcnt_vscnt null, 0x0
	s_barrier
	buffer_gl0_inv
	scratch_load_b32 v4, off, off offset:136
	s_mov_b32 s0, exec_lo
	s_waitcnt vmcnt(0)
	ds_store_b32 v2, v4
	s_waitcnt lgkmcnt(0)
	s_barrier
	buffer_gl0_inv
	v_cmpx_gt_u32_e32 34, v0
	s_cbranch_execz .LBB112_145
; %bb.142:
	v_dual_mov_b32 v4, 0 :: v_dual_add_nc_u32 v5, -1, v0
	v_add_nc_u32_e32 v6, 0xd0, v111
	v_add_nc_u32_e32 v7, 0, v111
	s_mov_b32 s1, 0
.LBB112_143:                            ; =>This Inner Loop Header: Depth=1
	scratch_load_b32 v8, v7, off
	ds_load_b32 v9, v6
	v_add_nc_u32_e32 v5, 1, v5
	v_add_nc_u32_e32 v6, 4, v6
	v_add_nc_u32_e32 v7, 4, v7
	s_delay_alu instid0(VALU_DEP_3)
	v_cmp_lt_u32_e32 vcc_lo, 32, v5
	s_or_b32 s1, vcc_lo, s1
	s_waitcnt vmcnt(0) lgkmcnt(0)
	v_fmac_f32_e32 v4, v8, v9
	s_and_not1_b32 exec_lo, exec_lo, s1
	s_cbranch_execnz .LBB112_143
; %bb.144:
	s_or_b32 exec_lo, exec_lo, s1
	v_mov_b32_e32 v5, 0
	ds_load_b32 v5, v5 offset:136
	s_waitcnt lgkmcnt(0)
	v_mul_f32_e32 v4, v4, v5
	scratch_store_b32 off, v4, off offset:136
.LBB112_145:
	s_or_b32 exec_lo, exec_lo, s0
	s_waitcnt_vscnt null, 0x0
	s_barrier
	buffer_gl0_inv
	scratch_load_b32 v4, off, off offset:140
	s_mov_b32 s0, exec_lo
	s_waitcnt vmcnt(0)
	ds_store_b32 v2, v4
	s_waitcnt lgkmcnt(0)
	s_barrier
	buffer_gl0_inv
	v_cmpx_gt_u32_e32 35, v0
	s_cbranch_execz .LBB112_149
; %bb.146:
	v_dual_mov_b32 v4, 0 :: v_dual_add_nc_u32 v5, -1, v0
	v_add_nc_u32_e32 v6, 0xd0, v111
	v_add_nc_u32_e32 v7, 0, v111
	s_mov_b32 s1, 0
.LBB112_147:                            ; =>This Inner Loop Header: Depth=1
	scratch_load_b32 v8, v7, off
	ds_load_b32 v9, v6
	v_add_nc_u32_e32 v5, 1, v5
	v_add_nc_u32_e32 v6, 4, v6
	v_add_nc_u32_e32 v7, 4, v7
	s_delay_alu instid0(VALU_DEP_3)
	v_cmp_lt_u32_e32 vcc_lo, 33, v5
	s_or_b32 s1, vcc_lo, s1
	s_waitcnt vmcnt(0) lgkmcnt(0)
	v_fmac_f32_e32 v4, v8, v9
	s_and_not1_b32 exec_lo, exec_lo, s1
	s_cbranch_execnz .LBB112_147
; %bb.148:
	s_or_b32 exec_lo, exec_lo, s1
	v_mov_b32_e32 v5, 0
	ds_load_b32 v5, v5 offset:140
	s_waitcnt lgkmcnt(0)
	v_mul_f32_e32 v4, v4, v5
	scratch_store_b32 off, v4, off offset:140
.LBB112_149:
	s_or_b32 exec_lo, exec_lo, s0
	s_waitcnt_vscnt null, 0x0
	s_barrier
	buffer_gl0_inv
	scratch_load_b32 v4, off, off offset:144
	s_mov_b32 s0, exec_lo
	s_waitcnt vmcnt(0)
	ds_store_b32 v2, v4
	s_waitcnt lgkmcnt(0)
	s_barrier
	buffer_gl0_inv
	v_cmpx_gt_u32_e32 36, v0
	s_cbranch_execz .LBB112_153
; %bb.150:
	v_dual_mov_b32 v4, 0 :: v_dual_add_nc_u32 v5, -1, v0
	v_add_nc_u32_e32 v6, 0xd0, v111
	v_add_nc_u32_e32 v7, 0, v111
	s_mov_b32 s1, 0
.LBB112_151:                            ; =>This Inner Loop Header: Depth=1
	scratch_load_b32 v8, v7, off
	ds_load_b32 v9, v6
	v_add_nc_u32_e32 v5, 1, v5
	v_add_nc_u32_e32 v6, 4, v6
	v_add_nc_u32_e32 v7, 4, v7
	s_delay_alu instid0(VALU_DEP_3)
	v_cmp_lt_u32_e32 vcc_lo, 34, v5
	s_or_b32 s1, vcc_lo, s1
	s_waitcnt vmcnt(0) lgkmcnt(0)
	v_fmac_f32_e32 v4, v8, v9
	s_and_not1_b32 exec_lo, exec_lo, s1
	s_cbranch_execnz .LBB112_151
; %bb.152:
	s_or_b32 exec_lo, exec_lo, s1
	v_mov_b32_e32 v5, 0
	ds_load_b32 v5, v5 offset:144
	s_waitcnt lgkmcnt(0)
	v_mul_f32_e32 v4, v4, v5
	scratch_store_b32 off, v4, off offset:144
.LBB112_153:
	s_or_b32 exec_lo, exec_lo, s0
	s_waitcnt_vscnt null, 0x0
	s_barrier
	buffer_gl0_inv
	scratch_load_b32 v4, off, off offset:148
	s_mov_b32 s0, exec_lo
	s_waitcnt vmcnt(0)
	ds_store_b32 v2, v4
	s_waitcnt lgkmcnt(0)
	s_barrier
	buffer_gl0_inv
	v_cmpx_gt_u32_e32 37, v0
	s_cbranch_execz .LBB112_157
; %bb.154:
	v_dual_mov_b32 v4, 0 :: v_dual_add_nc_u32 v5, -1, v0
	v_add_nc_u32_e32 v6, 0xd0, v111
	v_add_nc_u32_e32 v7, 0, v111
	s_mov_b32 s1, 0
.LBB112_155:                            ; =>This Inner Loop Header: Depth=1
	scratch_load_b32 v8, v7, off
	ds_load_b32 v9, v6
	v_add_nc_u32_e32 v5, 1, v5
	v_add_nc_u32_e32 v6, 4, v6
	v_add_nc_u32_e32 v7, 4, v7
	s_delay_alu instid0(VALU_DEP_3)
	v_cmp_lt_u32_e32 vcc_lo, 35, v5
	s_or_b32 s1, vcc_lo, s1
	s_waitcnt vmcnt(0) lgkmcnt(0)
	v_fmac_f32_e32 v4, v8, v9
	s_and_not1_b32 exec_lo, exec_lo, s1
	s_cbranch_execnz .LBB112_155
; %bb.156:
	s_or_b32 exec_lo, exec_lo, s1
	v_mov_b32_e32 v5, 0
	ds_load_b32 v5, v5 offset:148
	s_waitcnt lgkmcnt(0)
	v_mul_f32_e32 v4, v4, v5
	scratch_store_b32 off, v4, off offset:148
.LBB112_157:
	s_or_b32 exec_lo, exec_lo, s0
	s_waitcnt_vscnt null, 0x0
	s_barrier
	buffer_gl0_inv
	scratch_load_b32 v4, off, off offset:152
	s_mov_b32 s0, exec_lo
	s_waitcnt vmcnt(0)
	ds_store_b32 v2, v4
	s_waitcnt lgkmcnt(0)
	s_barrier
	buffer_gl0_inv
	v_cmpx_gt_u32_e32 38, v0
	s_cbranch_execz .LBB112_161
; %bb.158:
	v_dual_mov_b32 v4, 0 :: v_dual_add_nc_u32 v5, -1, v0
	v_add_nc_u32_e32 v6, 0xd0, v111
	v_add_nc_u32_e32 v7, 0, v111
	s_mov_b32 s1, 0
.LBB112_159:                            ; =>This Inner Loop Header: Depth=1
	scratch_load_b32 v8, v7, off
	ds_load_b32 v9, v6
	v_add_nc_u32_e32 v5, 1, v5
	v_add_nc_u32_e32 v6, 4, v6
	v_add_nc_u32_e32 v7, 4, v7
	s_delay_alu instid0(VALU_DEP_3)
	v_cmp_lt_u32_e32 vcc_lo, 36, v5
	s_or_b32 s1, vcc_lo, s1
	s_waitcnt vmcnt(0) lgkmcnt(0)
	v_fmac_f32_e32 v4, v8, v9
	s_and_not1_b32 exec_lo, exec_lo, s1
	s_cbranch_execnz .LBB112_159
; %bb.160:
	s_or_b32 exec_lo, exec_lo, s1
	v_mov_b32_e32 v5, 0
	ds_load_b32 v5, v5 offset:152
	s_waitcnt lgkmcnt(0)
	v_mul_f32_e32 v4, v4, v5
	scratch_store_b32 off, v4, off offset:152
.LBB112_161:
	s_or_b32 exec_lo, exec_lo, s0
	s_waitcnt_vscnt null, 0x0
	s_barrier
	buffer_gl0_inv
	scratch_load_b32 v4, off, off offset:156
	s_mov_b32 s0, exec_lo
	s_waitcnt vmcnt(0)
	ds_store_b32 v2, v4
	s_waitcnt lgkmcnt(0)
	s_barrier
	buffer_gl0_inv
	v_cmpx_gt_u32_e32 39, v0
	s_cbranch_execz .LBB112_165
; %bb.162:
	v_dual_mov_b32 v4, 0 :: v_dual_add_nc_u32 v5, -1, v0
	v_add_nc_u32_e32 v6, 0xd0, v111
	v_add_nc_u32_e32 v7, 0, v111
	s_mov_b32 s1, 0
.LBB112_163:                            ; =>This Inner Loop Header: Depth=1
	scratch_load_b32 v8, v7, off
	ds_load_b32 v9, v6
	v_add_nc_u32_e32 v5, 1, v5
	v_add_nc_u32_e32 v6, 4, v6
	v_add_nc_u32_e32 v7, 4, v7
	s_delay_alu instid0(VALU_DEP_3)
	v_cmp_lt_u32_e32 vcc_lo, 37, v5
	s_or_b32 s1, vcc_lo, s1
	s_waitcnt vmcnt(0) lgkmcnt(0)
	v_fmac_f32_e32 v4, v8, v9
	s_and_not1_b32 exec_lo, exec_lo, s1
	s_cbranch_execnz .LBB112_163
; %bb.164:
	s_or_b32 exec_lo, exec_lo, s1
	v_mov_b32_e32 v5, 0
	ds_load_b32 v5, v5 offset:156
	s_waitcnt lgkmcnt(0)
	v_mul_f32_e32 v4, v4, v5
	scratch_store_b32 off, v4, off offset:156
.LBB112_165:
	s_or_b32 exec_lo, exec_lo, s0
	s_waitcnt_vscnt null, 0x0
	s_barrier
	buffer_gl0_inv
	scratch_load_b32 v4, off, off offset:160
	s_mov_b32 s0, exec_lo
	s_waitcnt vmcnt(0)
	ds_store_b32 v2, v4
	s_waitcnt lgkmcnt(0)
	s_barrier
	buffer_gl0_inv
	v_cmpx_gt_u32_e32 40, v0
	s_cbranch_execz .LBB112_169
; %bb.166:
	v_dual_mov_b32 v4, 0 :: v_dual_add_nc_u32 v5, -1, v0
	v_add_nc_u32_e32 v6, 0xd0, v111
	v_add_nc_u32_e32 v7, 0, v111
	s_mov_b32 s1, 0
.LBB112_167:                            ; =>This Inner Loop Header: Depth=1
	scratch_load_b32 v8, v7, off
	ds_load_b32 v9, v6
	v_add_nc_u32_e32 v5, 1, v5
	v_add_nc_u32_e32 v6, 4, v6
	v_add_nc_u32_e32 v7, 4, v7
	s_delay_alu instid0(VALU_DEP_3)
	v_cmp_lt_u32_e32 vcc_lo, 38, v5
	s_or_b32 s1, vcc_lo, s1
	s_waitcnt vmcnt(0) lgkmcnt(0)
	v_fmac_f32_e32 v4, v8, v9
	s_and_not1_b32 exec_lo, exec_lo, s1
	s_cbranch_execnz .LBB112_167
; %bb.168:
	s_or_b32 exec_lo, exec_lo, s1
	v_mov_b32_e32 v5, 0
	ds_load_b32 v5, v5 offset:160
	s_waitcnt lgkmcnt(0)
	v_mul_f32_e32 v4, v4, v5
	scratch_store_b32 off, v4, off offset:160
.LBB112_169:
	s_or_b32 exec_lo, exec_lo, s0
	s_waitcnt_vscnt null, 0x0
	s_barrier
	buffer_gl0_inv
	scratch_load_b32 v4, off, off offset:164
	s_mov_b32 s0, exec_lo
	s_waitcnt vmcnt(0)
	ds_store_b32 v2, v4
	s_waitcnt lgkmcnt(0)
	s_barrier
	buffer_gl0_inv
	v_cmpx_gt_u32_e32 41, v0
	s_cbranch_execz .LBB112_173
; %bb.170:
	v_dual_mov_b32 v4, 0 :: v_dual_add_nc_u32 v5, -1, v0
	v_add_nc_u32_e32 v6, 0xd0, v111
	v_add_nc_u32_e32 v7, 0, v111
	s_mov_b32 s1, 0
.LBB112_171:                            ; =>This Inner Loop Header: Depth=1
	scratch_load_b32 v8, v7, off
	ds_load_b32 v9, v6
	v_add_nc_u32_e32 v5, 1, v5
	v_add_nc_u32_e32 v6, 4, v6
	v_add_nc_u32_e32 v7, 4, v7
	s_delay_alu instid0(VALU_DEP_3)
	v_cmp_lt_u32_e32 vcc_lo, 39, v5
	s_or_b32 s1, vcc_lo, s1
	s_waitcnt vmcnt(0) lgkmcnt(0)
	v_fmac_f32_e32 v4, v8, v9
	s_and_not1_b32 exec_lo, exec_lo, s1
	s_cbranch_execnz .LBB112_171
; %bb.172:
	s_or_b32 exec_lo, exec_lo, s1
	v_mov_b32_e32 v5, 0
	ds_load_b32 v5, v5 offset:164
	s_waitcnt lgkmcnt(0)
	v_mul_f32_e32 v4, v4, v5
	scratch_store_b32 off, v4, off offset:164
.LBB112_173:
	s_or_b32 exec_lo, exec_lo, s0
	s_waitcnt_vscnt null, 0x0
	s_barrier
	buffer_gl0_inv
	scratch_load_b32 v4, off, off offset:168
	s_mov_b32 s0, exec_lo
	s_waitcnt vmcnt(0)
	ds_store_b32 v2, v4
	s_waitcnt lgkmcnt(0)
	s_barrier
	buffer_gl0_inv
	v_cmpx_gt_u32_e32 42, v0
	s_cbranch_execz .LBB112_177
; %bb.174:
	v_dual_mov_b32 v4, 0 :: v_dual_add_nc_u32 v5, -1, v0
	v_add_nc_u32_e32 v6, 0xd0, v111
	v_add_nc_u32_e32 v7, 0, v111
	s_mov_b32 s1, 0
.LBB112_175:                            ; =>This Inner Loop Header: Depth=1
	scratch_load_b32 v8, v7, off
	ds_load_b32 v9, v6
	v_add_nc_u32_e32 v5, 1, v5
	v_add_nc_u32_e32 v6, 4, v6
	v_add_nc_u32_e32 v7, 4, v7
	s_delay_alu instid0(VALU_DEP_3)
	v_cmp_lt_u32_e32 vcc_lo, 40, v5
	s_or_b32 s1, vcc_lo, s1
	s_waitcnt vmcnt(0) lgkmcnt(0)
	v_fmac_f32_e32 v4, v8, v9
	s_and_not1_b32 exec_lo, exec_lo, s1
	s_cbranch_execnz .LBB112_175
; %bb.176:
	s_or_b32 exec_lo, exec_lo, s1
	v_mov_b32_e32 v5, 0
	ds_load_b32 v5, v5 offset:168
	s_waitcnt lgkmcnt(0)
	v_mul_f32_e32 v4, v4, v5
	scratch_store_b32 off, v4, off offset:168
.LBB112_177:
	s_or_b32 exec_lo, exec_lo, s0
	s_waitcnt_vscnt null, 0x0
	s_barrier
	buffer_gl0_inv
	scratch_load_b32 v4, off, off offset:172
	s_mov_b32 s0, exec_lo
	s_waitcnt vmcnt(0)
	ds_store_b32 v2, v4
	s_waitcnt lgkmcnt(0)
	s_barrier
	buffer_gl0_inv
	v_cmpx_gt_u32_e32 43, v0
	s_cbranch_execz .LBB112_181
; %bb.178:
	v_dual_mov_b32 v4, 0 :: v_dual_add_nc_u32 v5, -1, v0
	v_add_nc_u32_e32 v6, 0xd0, v111
	v_add_nc_u32_e32 v7, 0, v111
	s_mov_b32 s1, 0
.LBB112_179:                            ; =>This Inner Loop Header: Depth=1
	scratch_load_b32 v8, v7, off
	ds_load_b32 v9, v6
	v_add_nc_u32_e32 v5, 1, v5
	v_add_nc_u32_e32 v6, 4, v6
	v_add_nc_u32_e32 v7, 4, v7
	s_delay_alu instid0(VALU_DEP_3)
	v_cmp_lt_u32_e32 vcc_lo, 41, v5
	s_or_b32 s1, vcc_lo, s1
	s_waitcnt vmcnt(0) lgkmcnt(0)
	v_fmac_f32_e32 v4, v8, v9
	s_and_not1_b32 exec_lo, exec_lo, s1
	s_cbranch_execnz .LBB112_179
; %bb.180:
	s_or_b32 exec_lo, exec_lo, s1
	v_mov_b32_e32 v5, 0
	ds_load_b32 v5, v5 offset:172
	s_waitcnt lgkmcnt(0)
	v_mul_f32_e32 v4, v4, v5
	scratch_store_b32 off, v4, off offset:172
.LBB112_181:
	s_or_b32 exec_lo, exec_lo, s0
	s_waitcnt_vscnt null, 0x0
	s_barrier
	buffer_gl0_inv
	scratch_load_b32 v4, off, off offset:176
	s_mov_b32 s0, exec_lo
	s_waitcnt vmcnt(0)
	ds_store_b32 v2, v4
	s_waitcnt lgkmcnt(0)
	s_barrier
	buffer_gl0_inv
	v_cmpx_gt_u32_e32 44, v0
	s_cbranch_execz .LBB112_185
; %bb.182:
	v_dual_mov_b32 v4, 0 :: v_dual_add_nc_u32 v5, -1, v0
	v_add_nc_u32_e32 v6, 0xd0, v111
	v_add_nc_u32_e32 v7, 0, v111
	s_mov_b32 s1, 0
.LBB112_183:                            ; =>This Inner Loop Header: Depth=1
	scratch_load_b32 v8, v7, off
	ds_load_b32 v9, v6
	v_add_nc_u32_e32 v5, 1, v5
	v_add_nc_u32_e32 v6, 4, v6
	v_add_nc_u32_e32 v7, 4, v7
	s_delay_alu instid0(VALU_DEP_3)
	v_cmp_lt_u32_e32 vcc_lo, 42, v5
	s_or_b32 s1, vcc_lo, s1
	s_waitcnt vmcnt(0) lgkmcnt(0)
	v_fmac_f32_e32 v4, v8, v9
	s_and_not1_b32 exec_lo, exec_lo, s1
	s_cbranch_execnz .LBB112_183
; %bb.184:
	s_or_b32 exec_lo, exec_lo, s1
	v_mov_b32_e32 v5, 0
	ds_load_b32 v5, v5 offset:176
	s_waitcnt lgkmcnt(0)
	v_mul_f32_e32 v4, v4, v5
	scratch_store_b32 off, v4, off offset:176
.LBB112_185:
	s_or_b32 exec_lo, exec_lo, s0
	s_waitcnt_vscnt null, 0x0
	s_barrier
	buffer_gl0_inv
	scratch_load_b32 v4, off, off offset:180
	s_mov_b32 s0, exec_lo
	s_waitcnt vmcnt(0)
	ds_store_b32 v2, v4
	s_waitcnt lgkmcnt(0)
	s_barrier
	buffer_gl0_inv
	v_cmpx_gt_u32_e32 45, v0
	s_cbranch_execz .LBB112_189
; %bb.186:
	v_dual_mov_b32 v4, 0 :: v_dual_add_nc_u32 v5, -1, v0
	v_add_nc_u32_e32 v6, 0xd0, v111
	v_add_nc_u32_e32 v7, 0, v111
	s_mov_b32 s1, 0
.LBB112_187:                            ; =>This Inner Loop Header: Depth=1
	scratch_load_b32 v8, v7, off
	ds_load_b32 v9, v6
	v_add_nc_u32_e32 v5, 1, v5
	v_add_nc_u32_e32 v6, 4, v6
	v_add_nc_u32_e32 v7, 4, v7
	s_delay_alu instid0(VALU_DEP_3)
	v_cmp_lt_u32_e32 vcc_lo, 43, v5
	s_or_b32 s1, vcc_lo, s1
	s_waitcnt vmcnt(0) lgkmcnt(0)
	v_fmac_f32_e32 v4, v8, v9
	s_and_not1_b32 exec_lo, exec_lo, s1
	s_cbranch_execnz .LBB112_187
; %bb.188:
	s_or_b32 exec_lo, exec_lo, s1
	v_mov_b32_e32 v5, 0
	ds_load_b32 v5, v5 offset:180
	s_waitcnt lgkmcnt(0)
	v_mul_f32_e32 v4, v4, v5
	scratch_store_b32 off, v4, off offset:180
.LBB112_189:
	s_or_b32 exec_lo, exec_lo, s0
	s_waitcnt_vscnt null, 0x0
	s_barrier
	buffer_gl0_inv
	scratch_load_b32 v4, off, off offset:184
	s_mov_b32 s0, exec_lo
	s_waitcnt vmcnt(0)
	ds_store_b32 v2, v4
	s_waitcnt lgkmcnt(0)
	s_barrier
	buffer_gl0_inv
	v_cmpx_gt_u32_e32 46, v0
	s_cbranch_execz .LBB112_193
; %bb.190:
	v_dual_mov_b32 v4, 0 :: v_dual_add_nc_u32 v5, -1, v0
	v_add_nc_u32_e32 v6, 0xd0, v111
	v_add_nc_u32_e32 v7, 0, v111
	s_mov_b32 s1, 0
.LBB112_191:                            ; =>This Inner Loop Header: Depth=1
	scratch_load_b32 v8, v7, off
	ds_load_b32 v9, v6
	v_add_nc_u32_e32 v5, 1, v5
	v_add_nc_u32_e32 v6, 4, v6
	v_add_nc_u32_e32 v7, 4, v7
	s_delay_alu instid0(VALU_DEP_3)
	v_cmp_lt_u32_e32 vcc_lo, 44, v5
	s_or_b32 s1, vcc_lo, s1
	s_waitcnt vmcnt(0) lgkmcnt(0)
	v_fmac_f32_e32 v4, v8, v9
	s_and_not1_b32 exec_lo, exec_lo, s1
	s_cbranch_execnz .LBB112_191
; %bb.192:
	s_or_b32 exec_lo, exec_lo, s1
	v_mov_b32_e32 v5, 0
	ds_load_b32 v5, v5 offset:184
	s_waitcnt lgkmcnt(0)
	v_mul_f32_e32 v4, v4, v5
	scratch_store_b32 off, v4, off offset:184
.LBB112_193:
	s_or_b32 exec_lo, exec_lo, s0
	s_waitcnt_vscnt null, 0x0
	s_barrier
	buffer_gl0_inv
	scratch_load_b32 v4, off, off offset:188
	s_mov_b32 s0, exec_lo
	s_waitcnt vmcnt(0)
	ds_store_b32 v2, v4
	s_waitcnt lgkmcnt(0)
	s_barrier
	buffer_gl0_inv
	v_cmpx_gt_u32_e32 47, v0
	s_cbranch_execz .LBB112_197
; %bb.194:
	v_dual_mov_b32 v4, 0 :: v_dual_add_nc_u32 v5, -1, v0
	v_add_nc_u32_e32 v6, 0xd0, v111
	v_add_nc_u32_e32 v7, 0, v111
	s_mov_b32 s1, 0
.LBB112_195:                            ; =>This Inner Loop Header: Depth=1
	scratch_load_b32 v8, v7, off
	ds_load_b32 v9, v6
	v_add_nc_u32_e32 v5, 1, v5
	v_add_nc_u32_e32 v6, 4, v6
	v_add_nc_u32_e32 v7, 4, v7
	s_delay_alu instid0(VALU_DEP_3)
	v_cmp_lt_u32_e32 vcc_lo, 45, v5
	s_or_b32 s1, vcc_lo, s1
	s_waitcnt vmcnt(0) lgkmcnt(0)
	v_fmac_f32_e32 v4, v8, v9
	s_and_not1_b32 exec_lo, exec_lo, s1
	s_cbranch_execnz .LBB112_195
; %bb.196:
	s_or_b32 exec_lo, exec_lo, s1
	v_mov_b32_e32 v5, 0
	ds_load_b32 v5, v5 offset:188
	s_waitcnt lgkmcnt(0)
	v_mul_f32_e32 v4, v4, v5
	scratch_store_b32 off, v4, off offset:188
.LBB112_197:
	s_or_b32 exec_lo, exec_lo, s0
	s_waitcnt_vscnt null, 0x0
	s_barrier
	buffer_gl0_inv
	scratch_load_b32 v4, off, off offset:192
	s_mov_b32 s0, exec_lo
	s_waitcnt vmcnt(0)
	ds_store_b32 v2, v4
	s_waitcnt lgkmcnt(0)
	s_barrier
	buffer_gl0_inv
	v_cmpx_ne_u32_e32 48, v0
	s_cbranch_execz .LBB112_201
; %bb.198:
	v_mov_b32_e32 v4, 0
	s_mov_b32 s1, 0
.LBB112_199:                            ; =>This Inner Loop Header: Depth=1
	scratch_load_b32 v5, v1, off
	ds_load_b32 v6, v2
	v_add_nc_u32_e32 v3, 1, v3
	v_add_nc_u32_e32 v2, 4, v2
	s_waitcnt vmcnt(0) lgkmcnt(0)
	v_dual_fmac_f32 v4, v5, v6 :: v_dual_add_nc_u32 v1, 4, v1
	s_delay_alu instid0(VALU_DEP_3) | instskip(SKIP_1) | instid1(SALU_CYCLE_1)
	v_cmp_lt_u32_e32 vcc_lo, 46, v3
	s_or_b32 s1, vcc_lo, s1
	s_and_not1_b32 exec_lo, exec_lo, s1
	s_cbranch_execnz .LBB112_199
; %bb.200:
	s_or_b32 exec_lo, exec_lo, s1
	v_mov_b32_e32 v1, 0
	ds_load_b32 v1, v1 offset:192
	s_waitcnt lgkmcnt(0)
	v_mul_f32_e32 v1, v4, v1
	scratch_store_b32 off, v1, off offset:192
.LBB112_201:
	s_or_b32 exec_lo, exec_lo, s0
	s_mov_b32 s1, -1
	s_waitcnt_vscnt null, 0x0
	s_barrier
	buffer_gl0_inv
.LBB112_202:
	s_and_b32 vcc_lo, exec_lo, s1
	s_cbranch_vccz .LBB112_204
; %bb.203:
	s_lshl_b64 s[0:1], s[8:9], 2
	v_mov_b32_e32 v1, 0
	s_add_u32 s0, s6, s0
	s_addc_u32 s1, s7, s1
	global_load_b32 v1, v1, s[0:1]
	s_waitcnt vmcnt(0)
	v_cmp_ne_u32_e32 vcc_lo, 0, v1
	s_cbranch_vccz .LBB112_205
.LBB112_204:
	s_endpgm
.LBB112_205:
	v_lshl_add_u32 v1, v0, 2, 0xd0
	s_mov_b32 s0, exec_lo
	v_cmpx_eq_u32_e32 48, v0
	s_cbranch_execz .LBB112_207
; %bb.206:
	scratch_load_b32 v2, off, off offset:188
	v_mov_b32_e32 v3, 0
	scratch_store_b32 off, v3, off offset:188
	s_waitcnt vmcnt(0)
	ds_store_b32 v1, v2
.LBB112_207:
	s_or_b32 exec_lo, exec_lo, s0
	s_waitcnt lgkmcnt(0)
	s_waitcnt_vscnt null, 0x0
	s_barrier
	buffer_gl0_inv
	scratch_load_b64 v[3:4], off, off offset:188
	v_mov_b32_e32 v2, 0
	s_mov_b32 s0, exec_lo
	ds_load_b32 v5, v2 offset:400
	s_waitcnt vmcnt(0) lgkmcnt(0)
	v_fma_f32 v4, v4, v5, 0
	s_delay_alu instid0(VALU_DEP_1)
	v_sub_f32_e32 v3, v3, v4
	scratch_store_b32 off, v3, off offset:188
	v_cmpx_lt_u32_e32 46, v0
	s_cbranch_execz .LBB112_209
; %bb.208:
	scratch_load_b32 v3, off, off offset:184
	scratch_store_b32 off, v2, off offset:184
	s_waitcnt vmcnt(0)
	ds_store_b32 v1, v3
.LBB112_209:
	s_or_b32 exec_lo, exec_lo, s0
	s_waitcnt lgkmcnt(0)
	s_waitcnt_vscnt null, 0x0
	s_barrier
	buffer_gl0_inv
	scratch_load_b96 v[3:5], off, off offset:184
	ds_load_2addr_b32 v[6:7], v2 offset0:99 offset1:100
	s_mov_b32 s0, exec_lo
	s_waitcnt vmcnt(0) lgkmcnt(0)
	v_fma_f32 v2, v4, v6, 0
	s_delay_alu instid0(VALU_DEP_1) | instskip(NEXT) | instid1(VALU_DEP_1)
	v_fmac_f32_e32 v2, v5, v7
	v_sub_f32_e32 v2, v3, v2
	scratch_store_b32 off, v2, off offset:184
	v_cmpx_lt_u32_e32 45, v0
	s_cbranch_execz .LBB112_211
; %bb.210:
	scratch_load_b32 v2, off, off offset:180
	v_mov_b32_e32 v3, 0
	scratch_store_b32 off, v3, off offset:180
	s_waitcnt vmcnt(0)
	ds_store_b32 v1, v2
.LBB112_211:
	s_or_b32 exec_lo, exec_lo, s0
	s_waitcnt lgkmcnt(0)
	s_waitcnt_vscnt null, 0x0
	s_barrier
	buffer_gl0_inv
	scratch_load_b128 v[3:6], off, off offset:180
	v_mov_b32_e32 v2, 0
	ds_load_b64 v[7:8], v2 offset:392
	ds_load_b32 v9, v2 offset:400
	s_mov_b32 s0, exec_lo
	s_waitcnt vmcnt(0) lgkmcnt(1)
	v_fma_f32 v4, v4, v7, 0
	s_delay_alu instid0(VALU_DEP_1) | instskip(SKIP_1) | instid1(VALU_DEP_1)
	v_fmac_f32_e32 v4, v5, v8
	s_waitcnt lgkmcnt(0)
	v_fmac_f32_e32 v4, v6, v9
	s_delay_alu instid0(VALU_DEP_1)
	v_sub_f32_e32 v3, v3, v4
	scratch_store_b32 off, v3, off offset:180
	v_cmpx_lt_u32_e32 44, v0
	s_cbranch_execz .LBB112_213
; %bb.212:
	scratch_load_b32 v3, off, off offset:176
	scratch_store_b32 off, v2, off offset:176
	s_waitcnt vmcnt(0)
	ds_store_b32 v1, v3
.LBB112_213:
	s_or_b32 exec_lo, exec_lo, s0
	s_waitcnt lgkmcnt(0)
	s_waitcnt_vscnt null, 0x0
	s_barrier
	buffer_gl0_inv
	s_clause 0x1
	scratch_load_b128 v[3:6], off, off offset:176
	scratch_load_b32 v11, off, off offset:192
	ds_load_2addr_b32 v[7:8], v2 offset0:97 offset1:98
	ds_load_2addr_b32 v[9:10], v2 offset0:99 offset1:100
	s_mov_b32 s0, exec_lo
	s_waitcnt vmcnt(1) lgkmcnt(1)
	v_fma_f32 v2, v4, v7, 0
	s_delay_alu instid0(VALU_DEP_1) | instskip(SKIP_1) | instid1(VALU_DEP_1)
	v_fmac_f32_e32 v2, v5, v8
	s_waitcnt lgkmcnt(0)
	v_fmac_f32_e32 v2, v6, v9
	s_waitcnt vmcnt(0)
	s_delay_alu instid0(VALU_DEP_1) | instskip(NEXT) | instid1(VALU_DEP_1)
	v_fmac_f32_e32 v2, v11, v10
	v_sub_f32_e32 v2, v3, v2
	scratch_store_b32 off, v2, off offset:176
	v_cmpx_lt_u32_e32 43, v0
	s_cbranch_execz .LBB112_215
; %bb.214:
	scratch_load_b32 v2, off, off offset:172
	v_mov_b32_e32 v3, 0
	scratch_store_b32 off, v3, off offset:172
	s_waitcnt vmcnt(0)
	ds_store_b32 v1, v2
.LBB112_215:
	s_or_b32 exec_lo, exec_lo, s0
	s_waitcnt lgkmcnt(0)
	s_waitcnt_vscnt null, 0x0
	s_barrier
	buffer_gl0_inv
	s_clause 0x1
	scratch_load_b128 v[3:6], off, off offset:172
	scratch_load_b64 v[11:12], off, off offset:188
	v_mov_b32_e32 v2, 0
	ds_load_b128 v[7:10], v2 offset:384
	ds_load_b32 v111, v2 offset:400
	s_mov_b32 s0, exec_lo
	s_waitcnt vmcnt(1) lgkmcnt(1)
	v_fma_f32 v4, v4, v7, 0
	s_delay_alu instid0(VALU_DEP_1) | instskip(NEXT) | instid1(VALU_DEP_1)
	v_fmac_f32_e32 v4, v5, v8
	v_fmac_f32_e32 v4, v6, v9
	s_waitcnt vmcnt(0)
	s_delay_alu instid0(VALU_DEP_1) | instskip(SKIP_1) | instid1(VALU_DEP_1)
	v_fmac_f32_e32 v4, v11, v10
	s_waitcnt lgkmcnt(0)
	v_fmac_f32_e32 v4, v12, v111
	s_delay_alu instid0(VALU_DEP_1)
	v_sub_f32_e32 v3, v3, v4
	scratch_store_b32 off, v3, off offset:172
	v_cmpx_lt_u32_e32 42, v0
	s_cbranch_execz .LBB112_217
; %bb.216:
	scratch_load_b32 v3, off, off offset:168
	scratch_store_b32 off, v2, off offset:168
	s_waitcnt vmcnt(0)
	ds_store_b32 v1, v3
.LBB112_217:
	s_or_b32 exec_lo, exec_lo, s0
	s_waitcnt lgkmcnt(0)
	s_waitcnt_vscnt null, 0x0
	s_barrier
	buffer_gl0_inv
	s_clause 0x1
	scratch_load_b128 v[3:6], off, off offset:168
	scratch_load_b96 v[7:9], off, off offset:184
	ds_load_2addr_b32 v[10:11], v2 offset0:95 offset1:96
	ds_load_2addr_b32 v[111:112], v2 offset0:97 offset1:98
	;; [unrolled: 1-line block ×3, first 2 shown]
	s_mov_b32 s0, exec_lo
	s_waitcnt vmcnt(1) lgkmcnt(2)
	v_fma_f32 v2, v4, v10, 0
	s_delay_alu instid0(VALU_DEP_1) | instskip(SKIP_1) | instid1(VALU_DEP_1)
	v_fmac_f32_e32 v2, v5, v11
	s_waitcnt lgkmcnt(1)
	v_fmac_f32_e32 v2, v6, v111
	s_waitcnt vmcnt(0)
	s_delay_alu instid0(VALU_DEP_1) | instskip(SKIP_1) | instid1(VALU_DEP_1)
	v_fmac_f32_e32 v2, v7, v112
	s_waitcnt lgkmcnt(0)
	v_fmac_f32_e32 v2, v8, v113
	s_delay_alu instid0(VALU_DEP_1) | instskip(NEXT) | instid1(VALU_DEP_1)
	v_fmac_f32_e32 v2, v9, v114
	v_sub_f32_e32 v2, v3, v2
	scratch_store_b32 off, v2, off offset:168
	v_cmpx_lt_u32_e32 41, v0
	s_cbranch_execz .LBB112_219
; %bb.218:
	scratch_load_b32 v2, off, off offset:164
	v_mov_b32_e32 v3, 0
	scratch_store_b32 off, v3, off offset:164
	s_waitcnt vmcnt(0)
	ds_store_b32 v1, v2
.LBB112_219:
	s_or_b32 exec_lo, exec_lo, s0
	s_waitcnt lgkmcnt(0)
	s_waitcnt_vscnt null, 0x0
	s_barrier
	buffer_gl0_inv
	s_clause 0x1
	scratch_load_b128 v[3:6], off, off offset:164
	scratch_load_b128 v[7:10], off, off offset:180
	v_mov_b32_e32 v2, 0
	ds_load_2addr_b64 v[111:114], v2 offset0:47 offset1:48
	ds_load_b64 v[11:12], v2 offset:392
	s_mov_b32 s0, exec_lo
	s_waitcnt vmcnt(1) lgkmcnt(1)
	v_fma_f32 v4, v4, v111, 0
	s_delay_alu instid0(VALU_DEP_1) | instskip(SKIP_3) | instid1(VALU_DEP_1)
	v_fmac_f32_e32 v4, v5, v112
	ds_load_b32 v5, v2 offset:400
	v_fmac_f32_e32 v4, v6, v113
	s_waitcnt vmcnt(0)
	v_fmac_f32_e32 v4, v7, v114
	s_waitcnt lgkmcnt(1)
	s_delay_alu instid0(VALU_DEP_1) | instskip(NEXT) | instid1(VALU_DEP_1)
	v_fmac_f32_e32 v4, v8, v11
	v_fmac_f32_e32 v4, v9, v12
	s_waitcnt lgkmcnt(0)
	s_delay_alu instid0(VALU_DEP_1) | instskip(NEXT) | instid1(VALU_DEP_1)
	v_fmac_f32_e32 v4, v10, v5
	v_sub_f32_e32 v3, v3, v4
	scratch_store_b32 off, v3, off offset:164
	v_cmpx_lt_u32_e32 40, v0
	s_cbranch_execz .LBB112_221
; %bb.220:
	scratch_load_b32 v3, off, off offset:160
	scratch_store_b32 off, v2, off offset:160
	s_waitcnt vmcnt(0)
	ds_store_b32 v1, v3
.LBB112_221:
	s_or_b32 exec_lo, exec_lo, s0
	s_waitcnt lgkmcnt(0)
	s_waitcnt_vscnt null, 0x0
	s_barrier
	buffer_gl0_inv
	s_clause 0x2
	scratch_load_b128 v[3:6], off, off offset:160
	scratch_load_b128 v[7:10], off, off offset:176
	scratch_load_b32 v117, off, off offset:192
	ds_load_2addr_b32 v[11:12], v2 offset0:93 offset1:94
	ds_load_2addr_b32 v[111:112], v2 offset0:95 offset1:96
	;; [unrolled: 1-line block ×4, first 2 shown]
	s_mov_b32 s0, exec_lo
	s_waitcnt vmcnt(2) lgkmcnt(3)
	v_fma_f32 v2, v4, v11, 0
	s_delay_alu instid0(VALU_DEP_1) | instskip(SKIP_1) | instid1(VALU_DEP_1)
	v_fmac_f32_e32 v2, v5, v12
	s_waitcnt lgkmcnt(2)
	v_fmac_f32_e32 v2, v6, v111
	s_waitcnt vmcnt(1)
	s_delay_alu instid0(VALU_DEP_1) | instskip(SKIP_1) | instid1(VALU_DEP_1)
	v_fmac_f32_e32 v2, v7, v112
	s_waitcnt lgkmcnt(1)
	v_fmac_f32_e32 v2, v8, v113
	s_delay_alu instid0(VALU_DEP_1) | instskip(SKIP_1) | instid1(VALU_DEP_1)
	v_fmac_f32_e32 v2, v9, v114
	s_waitcnt lgkmcnt(0)
	v_fmac_f32_e32 v2, v10, v115
	s_waitcnt vmcnt(0)
	s_delay_alu instid0(VALU_DEP_1) | instskip(NEXT) | instid1(VALU_DEP_1)
	v_fmac_f32_e32 v2, v117, v116
	v_sub_f32_e32 v2, v3, v2
	scratch_store_b32 off, v2, off offset:160
	v_cmpx_lt_u32_e32 39, v0
	s_cbranch_execz .LBB112_223
; %bb.222:
	scratch_load_b32 v2, off, off offset:156
	v_mov_b32_e32 v3, 0
	scratch_store_b32 off, v3, off offset:156
	s_waitcnt vmcnt(0)
	ds_store_b32 v1, v2
.LBB112_223:
	s_or_b32 exec_lo, exec_lo, s0
	s_waitcnt lgkmcnt(0)
	s_waitcnt_vscnt null, 0x0
	s_barrier
	buffer_gl0_inv
	s_clause 0x2
	scratch_load_b128 v[3:6], off, off offset:156
	scratch_load_b128 v[7:10], off, off offset:172
	scratch_load_b64 v[11:12], off, off offset:188
	v_mov_b32_e32 v2, 0
	ds_load_b128 v[111:114], v2 offset:368
	ds_load_b128 v[115:118], v2 offset:384
	s_mov_b32 s0, exec_lo
	s_waitcnt vmcnt(2) lgkmcnt(1)
	v_fma_f32 v4, v4, v111, 0
	s_delay_alu instid0(VALU_DEP_1) | instskip(SKIP_3) | instid1(VALU_DEP_1)
	v_fmac_f32_e32 v4, v5, v112
	ds_load_b32 v5, v2 offset:400
	v_fmac_f32_e32 v4, v6, v113
	s_waitcnt vmcnt(1)
	v_fmac_f32_e32 v4, v7, v114
	s_waitcnt lgkmcnt(1)
	s_delay_alu instid0(VALU_DEP_1) | instskip(NEXT) | instid1(VALU_DEP_1)
	v_fmac_f32_e32 v4, v8, v115
	v_fmac_f32_e32 v4, v9, v116
	s_delay_alu instid0(VALU_DEP_1) | instskip(SKIP_1) | instid1(VALU_DEP_1)
	v_fmac_f32_e32 v4, v10, v117
	s_waitcnt vmcnt(0)
	v_fmac_f32_e32 v4, v11, v118
	s_waitcnt lgkmcnt(0)
	s_delay_alu instid0(VALU_DEP_1) | instskip(NEXT) | instid1(VALU_DEP_1)
	v_fmac_f32_e32 v4, v12, v5
	v_sub_f32_e32 v3, v3, v4
	scratch_store_b32 off, v3, off offset:156
	v_cmpx_lt_u32_e32 38, v0
	s_cbranch_execz .LBB112_225
; %bb.224:
	scratch_load_b32 v3, off, off offset:152
	scratch_store_b32 off, v2, off offset:152
	s_waitcnt vmcnt(0)
	ds_store_b32 v1, v3
.LBB112_225:
	s_or_b32 exec_lo, exec_lo, s0
	s_waitcnt lgkmcnt(0)
	s_waitcnt_vscnt null, 0x0
	s_barrier
	buffer_gl0_inv
	s_clause 0x2
	scratch_load_b128 v[3:6], off, off offset:152
	scratch_load_b128 v[7:10], off, off offset:168
	scratch_load_b96 v[111:113], off, off offset:184
	ds_load_2addr_b32 v[11:12], v2 offset0:91 offset1:92
	ds_load_2addr_b32 v[114:115], v2 offset0:93 offset1:94
	;; [unrolled: 1-line block ×4, first 2 shown]
	s_mov_b32 s0, exec_lo
	s_waitcnt vmcnt(2) lgkmcnt(3)
	v_fma_f32 v11, v4, v11, 0
	s_delay_alu instid0(VALU_DEP_1) | instskip(SKIP_4) | instid1(VALU_DEP_1)
	v_fmac_f32_e32 v11, v5, v12
	ds_load_2addr_b32 v[4:5], v2 offset0:99 offset1:100
	s_waitcnt lgkmcnt(3)
	v_fmac_f32_e32 v11, v6, v114
	s_waitcnt vmcnt(1)
	v_fmac_f32_e32 v11, v7, v115
	s_waitcnt lgkmcnt(2)
	s_delay_alu instid0(VALU_DEP_1) | instskip(NEXT) | instid1(VALU_DEP_1)
	v_fmac_f32_e32 v11, v8, v116
	v_fmac_f32_e32 v11, v9, v117
	s_waitcnt lgkmcnt(1)
	s_delay_alu instid0(VALU_DEP_1) | instskip(SKIP_1) | instid1(VALU_DEP_1)
	v_fmac_f32_e32 v11, v10, v118
	s_waitcnt vmcnt(0)
	v_fmac_f32_e32 v11, v111, v119
	s_waitcnt lgkmcnt(0)
	s_delay_alu instid0(VALU_DEP_1) | instskip(NEXT) | instid1(VALU_DEP_1)
	v_fmac_f32_e32 v11, v112, v4
	v_fmac_f32_e32 v11, v113, v5
	s_delay_alu instid0(VALU_DEP_1)
	v_sub_f32_e32 v2, v3, v11
	scratch_store_b32 off, v2, off offset:152
	v_cmpx_lt_u32_e32 37, v0
	s_cbranch_execz .LBB112_227
; %bb.226:
	scratch_load_b32 v2, off, off offset:148
	v_mov_b32_e32 v3, 0
	scratch_store_b32 off, v3, off offset:148
	s_waitcnt vmcnt(0)
	ds_store_b32 v1, v2
.LBB112_227:
	s_or_b32 exec_lo, exec_lo, s0
	s_waitcnt lgkmcnt(0)
	s_waitcnt_vscnt null, 0x0
	s_barrier
	buffer_gl0_inv
	s_clause 0x2
	scratch_load_b128 v[3:6], off, off offset:148
	scratch_load_b128 v[7:10], off, off offset:164
	;; [unrolled: 1-line block ×3, first 2 shown]
	v_mov_b32_e32 v2, 0
	ds_load_2addr_b64 v[115:118], v2 offset0:45 offset1:46
	ds_load_2addr_b64 v[119:122], v2 offset0:47 offset1:48
	s_mov_b32 s0, exec_lo
	s_waitcnt vmcnt(2) lgkmcnt(1)
	v_fma_f32 v11, v4, v115, 0
	s_delay_alu instid0(VALU_DEP_1)
	v_fmac_f32_e32 v11, v5, v116
	ds_load_b64 v[4:5], v2 offset:392
	v_fmac_f32_e32 v11, v6, v117
	ds_load_b32 v6, v2 offset:400
	s_waitcnt vmcnt(1)
	v_fmac_f32_e32 v11, v7, v118
	s_waitcnt lgkmcnt(2)
	s_delay_alu instid0(VALU_DEP_1) | instskip(NEXT) | instid1(VALU_DEP_1)
	v_fmac_f32_e32 v11, v8, v119
	v_fmac_f32_e32 v11, v9, v120
	s_delay_alu instid0(VALU_DEP_1) | instskip(SKIP_1) | instid1(VALU_DEP_1)
	v_fmac_f32_e32 v11, v10, v121
	s_waitcnt vmcnt(0)
	v_fmac_f32_e32 v11, v111, v122
	s_waitcnt lgkmcnt(1)
	s_delay_alu instid0(VALU_DEP_1) | instskip(NEXT) | instid1(VALU_DEP_1)
	v_fmac_f32_e32 v11, v112, v4
	v_fmac_f32_e32 v11, v113, v5
	s_waitcnt lgkmcnt(0)
	s_delay_alu instid0(VALU_DEP_1) | instskip(NEXT) | instid1(VALU_DEP_1)
	v_fmac_f32_e32 v11, v114, v6
	v_sub_f32_e32 v3, v3, v11
	scratch_store_b32 off, v3, off offset:148
	v_cmpx_lt_u32_e32 36, v0
	s_cbranch_execz .LBB112_229
; %bb.228:
	scratch_load_b32 v3, off, off offset:144
	scratch_store_b32 off, v2, off offset:144
	s_waitcnt vmcnt(0)
	ds_store_b32 v1, v3
.LBB112_229:
	s_or_b32 exec_lo, exec_lo, s0
	s_waitcnt lgkmcnt(0)
	s_waitcnt_vscnt null, 0x0
	s_barrier
	buffer_gl0_inv
	s_clause 0x3
	scratch_load_b128 v[3:6], off, off offset:144
	scratch_load_b128 v[7:10], off, off offset:160
	;; [unrolled: 1-line block ×3, first 2 shown]
	scratch_load_b32 v121, off, off offset:192
	ds_load_2addr_b32 v[11:12], v2 offset0:89 offset1:90
	ds_load_2addr_b32 v[115:116], v2 offset0:91 offset1:92
	;; [unrolled: 1-line block ×4, first 2 shown]
	s_mov_b32 s0, exec_lo
	s_waitcnt vmcnt(3) lgkmcnt(3)
	v_fma_f32 v11, v4, v11, 0
	s_delay_alu instid0(VALU_DEP_1) | instskip(SKIP_4) | instid1(VALU_DEP_1)
	v_fmac_f32_e32 v11, v5, v12
	ds_load_2addr_b32 v[4:5], v2 offset0:97 offset1:98
	s_waitcnt lgkmcnt(3)
	v_fmac_f32_e32 v11, v6, v115
	s_waitcnt vmcnt(2)
	v_fmac_f32_e32 v11, v7, v116
	ds_load_2addr_b32 v[6:7], v2 offset0:99 offset1:100
	s_waitcnt lgkmcnt(3)
	v_fmac_f32_e32 v11, v8, v117
	s_delay_alu instid0(VALU_DEP_1) | instskip(SKIP_1) | instid1(VALU_DEP_1)
	v_fmac_f32_e32 v11, v9, v118
	s_waitcnt lgkmcnt(2)
	v_fmac_f32_e32 v11, v10, v119
	s_waitcnt vmcnt(1)
	s_delay_alu instid0(VALU_DEP_1) | instskip(SKIP_1) | instid1(VALU_DEP_1)
	v_fmac_f32_e32 v11, v111, v120
	s_waitcnt lgkmcnt(1)
	v_fmac_f32_e32 v11, v112, v4
	s_delay_alu instid0(VALU_DEP_1) | instskip(SKIP_1) | instid1(VALU_DEP_1)
	v_fmac_f32_e32 v11, v113, v5
	s_waitcnt lgkmcnt(0)
	v_fmac_f32_e32 v11, v114, v6
	s_waitcnt vmcnt(0)
	s_delay_alu instid0(VALU_DEP_1) | instskip(NEXT) | instid1(VALU_DEP_1)
	v_fmac_f32_e32 v11, v121, v7
	v_sub_f32_e32 v2, v3, v11
	scratch_store_b32 off, v2, off offset:144
	v_cmpx_lt_u32_e32 35, v0
	s_cbranch_execz .LBB112_231
; %bb.230:
	scratch_load_b32 v2, off, off offset:140
	v_mov_b32_e32 v3, 0
	scratch_store_b32 off, v3, off offset:140
	s_waitcnt vmcnt(0)
	ds_store_b32 v1, v2
.LBB112_231:
	s_or_b32 exec_lo, exec_lo, s0
	s_waitcnt lgkmcnt(0)
	s_waitcnt_vscnt null, 0x0
	s_barrier
	buffer_gl0_inv
	s_clause 0x3
	scratch_load_b128 v[3:6], off, off offset:140
	scratch_load_b128 v[7:10], off, off offset:156
	;; [unrolled: 1-line block ×3, first 2 shown]
	scratch_load_b64 v[11:12], off, off offset:188
	v_mov_b32_e32 v2, 0
	ds_load_b128 v[115:118], v2 offset:352
	ds_load_b128 v[119:122], v2 offset:368
	s_mov_b32 s0, exec_lo
	s_waitcnt vmcnt(3) lgkmcnt(1)
	v_fma_f32 v115, v4, v115, 0
	s_delay_alu instid0(VALU_DEP_1) | instskip(NEXT) | instid1(VALU_DEP_1)
	v_fmac_f32_e32 v115, v5, v116
	v_fmac_f32_e32 v115, v6, v117
	s_waitcnt vmcnt(2)
	s_delay_alu instid0(VALU_DEP_1)
	v_fmac_f32_e32 v115, v7, v118
	ds_load_b128 v[4:7], v2 offset:384
	s_waitcnt lgkmcnt(1)
	v_fmac_f32_e32 v115, v8, v119
	ds_load_b32 v8, v2 offset:400
	v_fmac_f32_e32 v115, v9, v120
	s_delay_alu instid0(VALU_DEP_1) | instskip(SKIP_1) | instid1(VALU_DEP_1)
	v_fmac_f32_e32 v115, v10, v121
	s_waitcnt vmcnt(1)
	v_fmac_f32_e32 v115, v111, v122
	s_waitcnt lgkmcnt(1)
	s_delay_alu instid0(VALU_DEP_1) | instskip(NEXT) | instid1(VALU_DEP_1)
	v_fmac_f32_e32 v115, v112, v4
	v_fmac_f32_e32 v115, v113, v5
	s_delay_alu instid0(VALU_DEP_1) | instskip(SKIP_1) | instid1(VALU_DEP_1)
	v_fmac_f32_e32 v115, v114, v6
	s_waitcnt vmcnt(0)
	v_fmac_f32_e32 v115, v11, v7
	s_waitcnt lgkmcnt(0)
	s_delay_alu instid0(VALU_DEP_1) | instskip(NEXT) | instid1(VALU_DEP_1)
	v_fmac_f32_e32 v115, v12, v8
	v_sub_f32_e32 v3, v3, v115
	scratch_store_b32 off, v3, off offset:140
	v_cmpx_lt_u32_e32 34, v0
	s_cbranch_execz .LBB112_233
; %bb.232:
	scratch_load_b32 v3, off, off offset:136
	scratch_store_b32 off, v2, off offset:136
	s_waitcnt vmcnt(0)
	ds_store_b32 v1, v3
.LBB112_233:
	s_or_b32 exec_lo, exec_lo, s0
	s_waitcnt lgkmcnt(0)
	s_waitcnt_vscnt null, 0x0
	s_barrier
	buffer_gl0_inv
	s_clause 0x3
	scratch_load_b128 v[3:6], off, off offset:136
	scratch_load_b128 v[7:10], off, off offset:152
	;; [unrolled: 1-line block ×3, first 2 shown]
	scratch_load_b96 v[115:117], off, off offset:184
	ds_load_2addr_b32 v[11:12], v2 offset0:87 offset1:88
	ds_load_2addr_b32 v[118:119], v2 offset0:89 offset1:90
	;; [unrolled: 1-line block ×4, first 2 shown]
	s_mov_b32 s0, exec_lo
	s_waitcnt vmcnt(3) lgkmcnt(3)
	v_fma_f32 v11, v4, v11, 0
	s_delay_alu instid0(VALU_DEP_1) | instskip(SKIP_4) | instid1(VALU_DEP_1)
	v_fmac_f32_e32 v11, v5, v12
	ds_load_2addr_b32 v[4:5], v2 offset0:95 offset1:96
	s_waitcnt lgkmcnt(3)
	v_fmac_f32_e32 v11, v6, v118
	s_waitcnt vmcnt(2)
	v_fmac_f32_e32 v11, v7, v119
	ds_load_2addr_b32 v[6:7], v2 offset0:97 offset1:98
	s_waitcnt lgkmcnt(3)
	v_fmac_f32_e32 v11, v8, v120
	s_delay_alu instid0(VALU_DEP_1) | instskip(SKIP_4) | instid1(VALU_DEP_1)
	v_fmac_f32_e32 v11, v9, v121
	ds_load_2addr_b32 v[8:9], v2 offset0:99 offset1:100
	s_waitcnt lgkmcnt(3)
	v_fmac_f32_e32 v11, v10, v122
	s_waitcnt vmcnt(1)
	v_fmac_f32_e32 v11, v111, v123
	s_waitcnt lgkmcnt(2)
	s_delay_alu instid0(VALU_DEP_1) | instskip(NEXT) | instid1(VALU_DEP_1)
	v_fmac_f32_e32 v11, v112, v4
	v_fmac_f32_e32 v11, v113, v5
	s_waitcnt lgkmcnt(1)
	s_delay_alu instid0(VALU_DEP_1) | instskip(SKIP_1) | instid1(VALU_DEP_1)
	v_fmac_f32_e32 v11, v114, v6
	s_waitcnt vmcnt(0)
	v_fmac_f32_e32 v11, v115, v7
	s_waitcnt lgkmcnt(0)
	s_delay_alu instid0(VALU_DEP_1) | instskip(NEXT) | instid1(VALU_DEP_1)
	v_fmac_f32_e32 v11, v116, v8
	v_fmac_f32_e32 v11, v117, v9
	s_delay_alu instid0(VALU_DEP_1)
	v_sub_f32_e32 v2, v3, v11
	scratch_store_b32 off, v2, off offset:136
	v_cmpx_lt_u32_e32 33, v0
	s_cbranch_execz .LBB112_235
; %bb.234:
	scratch_load_b32 v2, off, off offset:132
	v_mov_b32_e32 v3, 0
	scratch_store_b32 off, v3, off offset:132
	s_waitcnt vmcnt(0)
	ds_store_b32 v1, v2
.LBB112_235:
	s_or_b32 exec_lo, exec_lo, s0
	s_waitcnt lgkmcnt(0)
	s_waitcnt_vscnt null, 0x0
	s_barrier
	buffer_gl0_inv
	s_clause 0x3
	scratch_load_b128 v[3:6], off, off offset:132
	scratch_load_b128 v[7:10], off, off offset:148
	;; [unrolled: 1-line block ×4, first 2 shown]
	v_mov_b32_e32 v2, 0
	ds_load_2addr_b64 v[119:122], v2 offset0:43 offset1:44
	ds_load_2addr_b64 v[123:126], v2 offset0:45 offset1:46
	s_mov_b32 s0, exec_lo
	s_waitcnt vmcnt(3) lgkmcnt(1)
	v_fma_f32 v11, v4, v119, 0
	s_delay_alu instid0(VALU_DEP_1) | instskip(NEXT) | instid1(VALU_DEP_1)
	v_fmac_f32_e32 v11, v5, v120
	v_fmac_f32_e32 v11, v6, v121
	s_waitcnt vmcnt(2)
	s_delay_alu instid0(VALU_DEP_1) | instskip(SKIP_3) | instid1(VALU_DEP_1)
	v_fmac_f32_e32 v11, v7, v122
	ds_load_2addr_b64 v[4:7], v2 offset0:47 offset1:48
	s_waitcnt lgkmcnt(1)
	v_fmac_f32_e32 v11, v8, v123
	v_fmac_f32_e32 v11, v9, v124
	ds_load_b64 v[8:9], v2 offset:392
	v_fmac_f32_e32 v11, v10, v125
	s_waitcnt vmcnt(1)
	s_delay_alu instid0(VALU_DEP_1) | instskip(SKIP_1) | instid1(VALU_DEP_1)
	v_fmac_f32_e32 v11, v111, v126
	s_waitcnt lgkmcnt(1)
	v_fmac_f32_e32 v11, v112, v4
	ds_load_b32 v4, v2 offset:400
	v_fmac_f32_e32 v11, v113, v5
	s_delay_alu instid0(VALU_DEP_1) | instskip(SKIP_1) | instid1(VALU_DEP_1)
	v_fmac_f32_e32 v11, v114, v6
	s_waitcnt vmcnt(0)
	v_fmac_f32_e32 v11, v115, v7
	s_waitcnt lgkmcnt(1)
	s_delay_alu instid0(VALU_DEP_1) | instskip(NEXT) | instid1(VALU_DEP_1)
	v_fmac_f32_e32 v11, v116, v8
	v_fmac_f32_e32 v11, v117, v9
	s_waitcnt lgkmcnt(0)
	s_delay_alu instid0(VALU_DEP_1) | instskip(NEXT) | instid1(VALU_DEP_1)
	v_fmac_f32_e32 v11, v118, v4
	v_sub_f32_e32 v3, v3, v11
	scratch_store_b32 off, v3, off offset:132
	v_cmpx_lt_u32_e32 32, v0
	s_cbranch_execz .LBB112_237
; %bb.236:
	scratch_load_b32 v3, off, off offset:128
	scratch_store_b32 off, v2, off offset:128
	s_waitcnt vmcnt(0)
	ds_store_b32 v1, v3
.LBB112_237:
	s_or_b32 exec_lo, exec_lo, s0
	s_waitcnt lgkmcnt(0)
	s_waitcnt_vscnt null, 0x0
	s_barrier
	buffer_gl0_inv
	s_clause 0x4
	scratch_load_b128 v[3:6], off, off offset:128
	scratch_load_b128 v[7:10], off, off offset:144
	;; [unrolled: 1-line block ×4, first 2 shown]
	scratch_load_b32 v125, off, off offset:192
	ds_load_2addr_b32 v[11:12], v2 offset0:85 offset1:86
	ds_load_2addr_b32 v[119:120], v2 offset0:87 offset1:88
	;; [unrolled: 1-line block ×4, first 2 shown]
	s_mov_b32 s0, exec_lo
	s_waitcnt vmcnt(4) lgkmcnt(3)
	v_fma_f32 v126, v4, v11, 0
	s_delay_alu instid0(VALU_DEP_1) | instskip(SKIP_4) | instid1(VALU_DEP_1)
	v_fmac_f32_e32 v126, v5, v12
	ds_load_2addr_b32 v[4:5], v2 offset0:93 offset1:94
	s_waitcnt lgkmcnt(3)
	v_fmac_f32_e32 v126, v6, v119
	s_waitcnt vmcnt(3)
	v_fmac_f32_e32 v126, v7, v120
	ds_load_2addr_b32 v[6:7], v2 offset0:95 offset1:96
	s_waitcnt lgkmcnt(3)
	v_fmac_f32_e32 v126, v8, v121
	s_delay_alu instid0(VALU_DEP_1) | instskip(SKIP_1) | instid1(VALU_DEP_1)
	v_fmac_f32_e32 v126, v9, v122
	s_waitcnt lgkmcnt(2)
	v_fmac_f32_e32 v126, v10, v123
	ds_load_2addr_b32 v[8:9], v2 offset0:97 offset1:98
	ds_load_2addr_b32 v[10:11], v2 offset0:99 offset1:100
	s_waitcnt vmcnt(2)
	v_fmac_f32_e32 v126, v111, v124
	s_waitcnt lgkmcnt(3)
	s_delay_alu instid0(VALU_DEP_1) | instskip(NEXT) | instid1(VALU_DEP_1)
	v_fmac_f32_e32 v126, v112, v4
	v_fmac_f32_e32 v126, v113, v5
	s_waitcnt lgkmcnt(2)
	s_delay_alu instid0(VALU_DEP_1) | instskip(SKIP_1) | instid1(VALU_DEP_1)
	v_fmac_f32_e32 v126, v114, v6
	s_waitcnt vmcnt(1)
	v_fmac_f32_e32 v126, v115, v7
	s_waitcnt lgkmcnt(1)
	s_delay_alu instid0(VALU_DEP_1) | instskip(NEXT) | instid1(VALU_DEP_1)
	v_fmac_f32_e32 v126, v116, v8
	v_fmac_f32_e32 v126, v117, v9
	s_waitcnt lgkmcnt(0)
	s_delay_alu instid0(VALU_DEP_1) | instskip(SKIP_1) | instid1(VALU_DEP_1)
	v_fmac_f32_e32 v126, v118, v10
	s_waitcnt vmcnt(0)
	v_fmac_f32_e32 v126, v125, v11
	s_delay_alu instid0(VALU_DEP_1)
	v_sub_f32_e32 v2, v3, v126
	scratch_store_b32 off, v2, off offset:128
	v_cmpx_lt_u32_e32 31, v0
	s_cbranch_execz .LBB112_239
; %bb.238:
	scratch_load_b32 v2, off, off offset:124
	v_mov_b32_e32 v3, 0
	scratch_store_b32 off, v3, off offset:124
	s_waitcnt vmcnt(0)
	ds_store_b32 v1, v2
.LBB112_239:
	s_or_b32 exec_lo, exec_lo, s0
	s_waitcnt lgkmcnt(0)
	s_waitcnt_vscnt null, 0x0
	s_barrier
	buffer_gl0_inv
	s_clause 0x4
	scratch_load_b128 v[3:6], off, off offset:124
	scratch_load_b128 v[7:10], off, off offset:140
	;; [unrolled: 1-line block ×4, first 2 shown]
	scratch_load_b64 v[127:128], off, off offset:188
	v_mov_b32_e32 v2, 0
	ds_load_b128 v[119:122], v2 offset:336
	ds_load_b128 v[123:126], v2 offset:352
	s_mov_b32 s0, exec_lo
	s_waitcnt vmcnt(4) lgkmcnt(1)
	v_fma_f32 v12, v4, v119, 0
	s_delay_alu instid0(VALU_DEP_1) | instskip(NEXT) | instid1(VALU_DEP_1)
	v_fmac_f32_e32 v12, v5, v120
	v_fmac_f32_e32 v12, v6, v121
	s_waitcnt vmcnt(3)
	s_delay_alu instid0(VALU_DEP_1) | instskip(SKIP_3) | instid1(VALU_DEP_1)
	v_fmac_f32_e32 v12, v7, v122
	ds_load_b128 v[4:7], v2 offset:368
	s_waitcnt lgkmcnt(1)
	v_fmac_f32_e32 v12, v8, v123
	v_fmac_f32_e32 v12, v9, v124
	s_delay_alu instid0(VALU_DEP_1) | instskip(SKIP_4) | instid1(VALU_DEP_1)
	v_fmac_f32_e32 v12, v10, v125
	ds_load_b128 v[8:11], v2 offset:384
	s_waitcnt vmcnt(2)
	v_fmac_f32_e32 v12, v111, v126
	s_waitcnt lgkmcnt(1)
	v_fmac_f32_e32 v12, v112, v4
	ds_load_b32 v4, v2 offset:400
	v_fmac_f32_e32 v12, v113, v5
	s_delay_alu instid0(VALU_DEP_1) | instskip(SKIP_1) | instid1(VALU_DEP_1)
	v_fmac_f32_e32 v12, v114, v6
	s_waitcnt vmcnt(1)
	v_fmac_f32_e32 v12, v115, v7
	s_waitcnt lgkmcnt(1)
	s_delay_alu instid0(VALU_DEP_1) | instskip(NEXT) | instid1(VALU_DEP_1)
	v_fmac_f32_e32 v12, v116, v8
	v_fmac_f32_e32 v12, v117, v9
	s_delay_alu instid0(VALU_DEP_1) | instskip(SKIP_1) | instid1(VALU_DEP_1)
	v_fmac_f32_e32 v12, v118, v10
	s_waitcnt vmcnt(0)
	v_fmac_f32_e32 v12, v127, v11
	s_waitcnt lgkmcnt(0)
	s_delay_alu instid0(VALU_DEP_1) | instskip(NEXT) | instid1(VALU_DEP_1)
	v_fmac_f32_e32 v12, v128, v4
	v_sub_f32_e32 v3, v3, v12
	scratch_store_b32 off, v3, off offset:124
	v_cmpx_lt_u32_e32 30, v0
	s_cbranch_execz .LBB112_241
; %bb.240:
	scratch_load_b32 v3, off, off offset:120
	scratch_store_b32 off, v2, off offset:120
	s_waitcnt vmcnt(0)
	ds_store_b32 v1, v3
.LBB112_241:
	s_or_b32 exec_lo, exec_lo, s0
	s_waitcnt lgkmcnt(0)
	s_waitcnt_vscnt null, 0x0
	s_barrier
	buffer_gl0_inv
	s_clause 0x4
	scratch_load_b128 v[3:6], off, off offset:120
	scratch_load_b128 v[7:10], off, off offset:136
	;; [unrolled: 1-line block ×4, first 2 shown]
	scratch_load_b96 v[119:121], off, off offset:184
	ds_load_2addr_b32 v[11:12], v2 offset0:83 offset1:84
	ds_load_2addr_b32 v[122:123], v2 offset0:85 offset1:86
	ds_load_2addr_b32 v[124:125], v2 offset0:87 offset1:88
	ds_load_2addr_b32 v[126:127], v2 offset0:89 offset1:90
	s_mov_b32 s0, exec_lo
	s_waitcnt vmcnt(4) lgkmcnt(3)
	v_fma_f32 v128, v4, v11, 0
	s_delay_alu instid0(VALU_DEP_1) | instskip(SKIP_4) | instid1(VALU_DEP_1)
	v_fmac_f32_e32 v128, v5, v12
	ds_load_2addr_b32 v[4:5], v2 offset0:91 offset1:92
	s_waitcnt lgkmcnt(3)
	v_fmac_f32_e32 v128, v6, v122
	s_waitcnt vmcnt(3)
	v_fmac_f32_e32 v128, v7, v123
	ds_load_2addr_b32 v[6:7], v2 offset0:93 offset1:94
	s_waitcnt lgkmcnt(3)
	v_fmac_f32_e32 v128, v8, v124
	s_delay_alu instid0(VALU_DEP_1) | instskip(SKIP_1) | instid1(VALU_DEP_1)
	v_fmac_f32_e32 v128, v9, v125
	s_waitcnt lgkmcnt(2)
	v_fmac_f32_e32 v128, v10, v126
	ds_load_2addr_b32 v[8:9], v2 offset0:95 offset1:96
	ds_load_2addr_b32 v[10:11], v2 offset0:97 offset1:98
	s_waitcnt vmcnt(2)
	v_fmac_f32_e32 v128, v111, v127
	s_waitcnt lgkmcnt(3)
	s_delay_alu instid0(VALU_DEP_1) | instskip(NEXT) | instid1(VALU_DEP_1)
	v_fmac_f32_e32 v128, v112, v4
	v_fmac_f32_e32 v128, v113, v5
	ds_load_2addr_b32 v[4:5], v2 offset0:99 offset1:100
	s_waitcnt lgkmcnt(3)
	v_fmac_f32_e32 v128, v114, v6
	s_waitcnt vmcnt(1)
	s_delay_alu instid0(VALU_DEP_1) | instskip(SKIP_1) | instid1(VALU_DEP_1)
	v_fmac_f32_e32 v128, v115, v7
	s_waitcnt lgkmcnt(2)
	v_fmac_f32_e32 v128, v116, v8
	s_delay_alu instid0(VALU_DEP_1) | instskip(SKIP_1) | instid1(VALU_DEP_1)
	v_fmac_f32_e32 v128, v117, v9
	s_waitcnt lgkmcnt(1)
	v_fmac_f32_e32 v128, v118, v10
	s_waitcnt vmcnt(0)
	s_delay_alu instid0(VALU_DEP_1) | instskip(SKIP_1) | instid1(VALU_DEP_1)
	v_fmac_f32_e32 v128, v119, v11
	s_waitcnt lgkmcnt(0)
	v_fmac_f32_e32 v128, v120, v4
	s_delay_alu instid0(VALU_DEP_1) | instskip(NEXT) | instid1(VALU_DEP_1)
	v_fmac_f32_e32 v128, v121, v5
	v_sub_f32_e32 v2, v3, v128
	scratch_store_b32 off, v2, off offset:120
	v_cmpx_lt_u32_e32 29, v0
	s_cbranch_execz .LBB112_243
; %bb.242:
	scratch_load_b32 v2, off, off offset:116
	v_mov_b32_e32 v3, 0
	scratch_store_b32 off, v3, off offset:116
	s_waitcnt vmcnt(0)
	ds_store_b32 v1, v2
.LBB112_243:
	s_or_b32 exec_lo, exec_lo, s0
	s_waitcnt lgkmcnt(0)
	s_waitcnt_vscnt null, 0x0
	s_barrier
	buffer_gl0_inv
	s_clause 0x4
	scratch_load_b128 v[3:6], off, off offset:116
	scratch_load_b128 v[7:10], off, off offset:132
	scratch_load_b128 v[111:114], off, off offset:148
	scratch_load_b128 v[115:118], off, off offset:164
	scratch_load_b128 v[119:122], off, off offset:180
	v_mov_b32_e32 v2, 0
	ds_load_2addr_b64 v[123:126], v2 offset0:41 offset1:42
	ds_load_2addr_b64 v[127:130], v2 offset0:43 offset1:44
	s_mov_b32 s0, exec_lo
	s_waitcnt vmcnt(4) lgkmcnt(1)
	v_fma_f32 v12, v4, v123, 0
	s_delay_alu instid0(VALU_DEP_1) | instskip(NEXT) | instid1(VALU_DEP_1)
	v_fmac_f32_e32 v12, v5, v124
	v_fmac_f32_e32 v12, v6, v125
	s_waitcnt vmcnt(3)
	s_delay_alu instid0(VALU_DEP_1) | instskip(SKIP_3) | instid1(VALU_DEP_1)
	v_fmac_f32_e32 v12, v7, v126
	ds_load_2addr_b64 v[4:7], v2 offset0:45 offset1:46
	s_waitcnt lgkmcnt(1)
	v_fmac_f32_e32 v12, v8, v127
	v_fmac_f32_e32 v12, v9, v128
	s_delay_alu instid0(VALU_DEP_1) | instskip(SKIP_4) | instid1(VALU_DEP_1)
	v_fmac_f32_e32 v12, v10, v129
	ds_load_2addr_b64 v[8:11], v2 offset0:47 offset1:48
	s_waitcnt vmcnt(2)
	v_fmac_f32_e32 v12, v111, v130
	s_waitcnt lgkmcnt(1)
	v_fmac_f32_e32 v12, v112, v4
	s_delay_alu instid0(VALU_DEP_1)
	v_fmac_f32_e32 v12, v113, v5
	ds_load_b64 v[4:5], v2 offset:392
	v_fmac_f32_e32 v12, v114, v6
	ds_load_b32 v6, v2 offset:400
	s_waitcnt vmcnt(1)
	v_fmac_f32_e32 v12, v115, v7
	s_waitcnt lgkmcnt(2)
	s_delay_alu instid0(VALU_DEP_1) | instskip(NEXT) | instid1(VALU_DEP_1)
	v_fmac_f32_e32 v12, v116, v8
	v_fmac_f32_e32 v12, v117, v9
	s_delay_alu instid0(VALU_DEP_1) | instskip(SKIP_1) | instid1(VALU_DEP_1)
	v_fmac_f32_e32 v12, v118, v10
	s_waitcnt vmcnt(0)
	v_fmac_f32_e32 v12, v119, v11
	s_waitcnt lgkmcnt(1)
	s_delay_alu instid0(VALU_DEP_1) | instskip(NEXT) | instid1(VALU_DEP_1)
	v_fmac_f32_e32 v12, v120, v4
	v_fmac_f32_e32 v12, v121, v5
	s_waitcnt lgkmcnt(0)
	s_delay_alu instid0(VALU_DEP_1) | instskip(NEXT) | instid1(VALU_DEP_1)
	v_fmac_f32_e32 v12, v122, v6
	v_sub_f32_e32 v3, v3, v12
	scratch_store_b32 off, v3, off offset:116
	v_cmpx_lt_u32_e32 28, v0
	s_cbranch_execz .LBB112_245
; %bb.244:
	scratch_load_b32 v3, off, off offset:112
	scratch_store_b32 off, v2, off offset:112
	s_waitcnt vmcnt(0)
	ds_store_b32 v1, v3
.LBB112_245:
	s_or_b32 exec_lo, exec_lo, s0
	s_waitcnt lgkmcnt(0)
	s_waitcnt_vscnt null, 0x0
	s_barrier
	buffer_gl0_inv
	s_clause 0x5
	scratch_load_b128 v[3:6], off, off offset:112
	scratch_load_b128 v[7:10], off, off offset:128
	;; [unrolled: 1-line block ×5, first 2 shown]
	scratch_load_b32 v129, off, off offset:192
	ds_load_2addr_b32 v[11:12], v2 offset0:81 offset1:82
	ds_load_2addr_b32 v[123:124], v2 offset0:83 offset1:84
	;; [unrolled: 1-line block ×4, first 2 shown]
	s_mov_b32 s0, exec_lo
	s_waitcnt vmcnt(5) lgkmcnt(3)
	v_fma_f32 v130, v4, v11, 0
	s_delay_alu instid0(VALU_DEP_1) | instskip(SKIP_4) | instid1(VALU_DEP_1)
	v_fmac_f32_e32 v130, v5, v12
	ds_load_2addr_b32 v[4:5], v2 offset0:89 offset1:90
	s_waitcnt lgkmcnt(3)
	v_fmac_f32_e32 v130, v6, v123
	s_waitcnt vmcnt(4)
	v_fmac_f32_e32 v130, v7, v124
	ds_load_2addr_b32 v[6:7], v2 offset0:91 offset1:92
	s_waitcnt lgkmcnt(3)
	v_fmac_f32_e32 v130, v8, v125
	s_delay_alu instid0(VALU_DEP_1) | instskip(SKIP_1) | instid1(VALU_DEP_1)
	v_fmac_f32_e32 v130, v9, v126
	s_waitcnt lgkmcnt(2)
	v_fmac_f32_e32 v130, v10, v127
	ds_load_2addr_b32 v[8:9], v2 offset0:93 offset1:94
	ds_load_2addr_b32 v[10:11], v2 offset0:95 offset1:96
	s_waitcnt vmcnt(3)
	v_fmac_f32_e32 v130, v111, v128
	s_waitcnt lgkmcnt(3)
	s_delay_alu instid0(VALU_DEP_1) | instskip(NEXT) | instid1(VALU_DEP_1)
	v_fmac_f32_e32 v130, v112, v4
	v_fmac_f32_e32 v130, v113, v5
	ds_load_2addr_b32 v[4:5], v2 offset0:97 offset1:98
	s_waitcnt lgkmcnt(3)
	v_fmac_f32_e32 v130, v114, v6
	s_waitcnt vmcnt(2)
	s_delay_alu instid0(VALU_DEP_1) | instskip(SKIP_3) | instid1(VALU_DEP_1)
	v_fmac_f32_e32 v130, v115, v7
	ds_load_2addr_b32 v[6:7], v2 offset0:99 offset1:100
	s_waitcnt lgkmcnt(3)
	v_fmac_f32_e32 v130, v116, v8
	v_fmac_f32_e32 v130, v117, v9
	s_waitcnt lgkmcnt(2)
	s_delay_alu instid0(VALU_DEP_1) | instskip(SKIP_1) | instid1(VALU_DEP_1)
	v_fmac_f32_e32 v130, v118, v10
	s_waitcnt vmcnt(1)
	v_fmac_f32_e32 v130, v119, v11
	s_waitcnt lgkmcnt(1)
	s_delay_alu instid0(VALU_DEP_1) | instskip(NEXT) | instid1(VALU_DEP_1)
	v_fmac_f32_e32 v130, v120, v4
	v_fmac_f32_e32 v130, v121, v5
	s_waitcnt lgkmcnt(0)
	s_delay_alu instid0(VALU_DEP_1) | instskip(SKIP_1) | instid1(VALU_DEP_1)
	v_fmac_f32_e32 v130, v122, v6
	s_waitcnt vmcnt(0)
	v_fmac_f32_e32 v130, v129, v7
	s_delay_alu instid0(VALU_DEP_1)
	v_sub_f32_e32 v2, v3, v130
	scratch_store_b32 off, v2, off offset:112
	v_cmpx_lt_u32_e32 27, v0
	s_cbranch_execz .LBB112_247
; %bb.246:
	scratch_load_b32 v2, off, off offset:108
	v_mov_b32_e32 v3, 0
	scratch_store_b32 off, v3, off offset:108
	s_waitcnt vmcnt(0)
	ds_store_b32 v1, v2
.LBB112_247:
	s_or_b32 exec_lo, exec_lo, s0
	s_waitcnt lgkmcnt(0)
	s_waitcnt_vscnt null, 0x0
	s_barrier
	buffer_gl0_inv
	s_clause 0x5
	scratch_load_b128 v[3:6], off, off offset:108
	scratch_load_b128 v[7:10], off, off offset:124
	;; [unrolled: 1-line block ×5, first 2 shown]
	scratch_load_b64 v[131:132], off, off offset:188
	v_mov_b32_e32 v2, 0
	ds_load_b128 v[123:126], v2 offset:320
	ds_load_b128 v[127:130], v2 offset:336
	s_mov_b32 s0, exec_lo
	s_waitcnt vmcnt(5) lgkmcnt(1)
	v_fma_f32 v12, v4, v123, 0
	s_delay_alu instid0(VALU_DEP_1) | instskip(NEXT) | instid1(VALU_DEP_1)
	v_fmac_f32_e32 v12, v5, v124
	v_fmac_f32_e32 v12, v6, v125
	s_waitcnt vmcnt(4)
	s_delay_alu instid0(VALU_DEP_1) | instskip(SKIP_3) | instid1(VALU_DEP_1)
	v_fmac_f32_e32 v12, v7, v126
	ds_load_b128 v[4:7], v2 offset:352
	s_waitcnt lgkmcnt(1)
	v_fmac_f32_e32 v12, v8, v127
	v_fmac_f32_e32 v12, v9, v128
	s_delay_alu instid0(VALU_DEP_1) | instskip(SKIP_4) | instid1(VALU_DEP_1)
	v_fmac_f32_e32 v12, v10, v129
	ds_load_b128 v[8:11], v2 offset:368
	s_waitcnt vmcnt(3)
	v_fmac_f32_e32 v12, v111, v130
	s_waitcnt lgkmcnt(1)
	v_fmac_f32_e32 v12, v112, v4
	s_delay_alu instid0(VALU_DEP_1) | instskip(NEXT) | instid1(VALU_DEP_1)
	v_fmac_f32_e32 v12, v113, v5
	v_fmac_f32_e32 v12, v114, v6
	s_waitcnt vmcnt(2)
	s_delay_alu instid0(VALU_DEP_1)
	v_fmac_f32_e32 v12, v115, v7
	ds_load_b128 v[4:7], v2 offset:384
	s_waitcnt lgkmcnt(1)
	v_fmac_f32_e32 v12, v116, v8
	ds_load_b32 v8, v2 offset:400
	v_fmac_f32_e32 v12, v117, v9
	s_delay_alu instid0(VALU_DEP_1) | instskip(SKIP_1) | instid1(VALU_DEP_1)
	v_fmac_f32_e32 v12, v118, v10
	s_waitcnt vmcnt(1)
	v_fmac_f32_e32 v12, v119, v11
	s_waitcnt lgkmcnt(1)
	s_delay_alu instid0(VALU_DEP_1) | instskip(NEXT) | instid1(VALU_DEP_1)
	v_fmac_f32_e32 v12, v120, v4
	v_fmac_f32_e32 v12, v121, v5
	s_delay_alu instid0(VALU_DEP_1) | instskip(SKIP_1) | instid1(VALU_DEP_1)
	v_fmac_f32_e32 v12, v122, v6
	s_waitcnt vmcnt(0)
	v_fmac_f32_e32 v12, v131, v7
	s_waitcnt lgkmcnt(0)
	s_delay_alu instid0(VALU_DEP_1) | instskip(NEXT) | instid1(VALU_DEP_1)
	v_fmac_f32_e32 v12, v132, v8
	v_sub_f32_e32 v3, v3, v12
	scratch_store_b32 off, v3, off offset:108
	v_cmpx_lt_u32_e32 26, v0
	s_cbranch_execz .LBB112_249
; %bb.248:
	scratch_load_b32 v3, off, off offset:104
	scratch_store_b32 off, v2, off offset:104
	s_waitcnt vmcnt(0)
	ds_store_b32 v1, v3
.LBB112_249:
	s_or_b32 exec_lo, exec_lo, s0
	s_waitcnt lgkmcnt(0)
	s_waitcnt_vscnt null, 0x0
	s_barrier
	buffer_gl0_inv
	s_clause 0x5
	scratch_load_b128 v[3:6], off, off offset:104
	scratch_load_b128 v[7:10], off, off offset:120
	;; [unrolled: 1-line block ×5, first 2 shown]
	scratch_load_b96 v[123:125], off, off offset:184
	ds_load_2addr_b32 v[11:12], v2 offset0:79 offset1:80
	ds_load_2addr_b32 v[126:127], v2 offset0:81 offset1:82
	;; [unrolled: 1-line block ×4, first 2 shown]
	s_mov_b32 s0, exec_lo
	s_waitcnt vmcnt(5) lgkmcnt(3)
	v_fma_f32 v132, v4, v11, 0
	s_delay_alu instid0(VALU_DEP_1) | instskip(SKIP_4) | instid1(VALU_DEP_1)
	v_fmac_f32_e32 v132, v5, v12
	ds_load_2addr_b32 v[4:5], v2 offset0:87 offset1:88
	s_waitcnt lgkmcnt(3)
	v_fmac_f32_e32 v132, v6, v126
	s_waitcnt vmcnt(4)
	v_fmac_f32_e32 v132, v7, v127
	ds_load_2addr_b32 v[6:7], v2 offset0:89 offset1:90
	s_waitcnt lgkmcnt(3)
	v_fmac_f32_e32 v132, v8, v128
	s_delay_alu instid0(VALU_DEP_1) | instskip(SKIP_1) | instid1(VALU_DEP_1)
	v_fmac_f32_e32 v132, v9, v129
	s_waitcnt lgkmcnt(2)
	v_fmac_f32_e32 v132, v10, v130
	ds_load_2addr_b32 v[8:9], v2 offset0:91 offset1:92
	ds_load_2addr_b32 v[10:11], v2 offset0:93 offset1:94
	s_waitcnt vmcnt(3)
	v_fmac_f32_e32 v132, v111, v131
	s_waitcnt lgkmcnt(3)
	s_delay_alu instid0(VALU_DEP_1) | instskip(NEXT) | instid1(VALU_DEP_1)
	v_fmac_f32_e32 v132, v112, v4
	v_fmac_f32_e32 v132, v113, v5
	ds_load_2addr_b32 v[4:5], v2 offset0:95 offset1:96
	s_waitcnt lgkmcnt(3)
	v_fmac_f32_e32 v132, v114, v6
	s_waitcnt vmcnt(2)
	s_delay_alu instid0(VALU_DEP_1) | instskip(SKIP_3) | instid1(VALU_DEP_1)
	v_fmac_f32_e32 v132, v115, v7
	ds_load_2addr_b32 v[6:7], v2 offset0:97 offset1:98
	s_waitcnt lgkmcnt(3)
	v_fmac_f32_e32 v132, v116, v8
	v_fmac_f32_e32 v132, v117, v9
	ds_load_2addr_b32 v[8:9], v2 offset0:99 offset1:100
	s_waitcnt lgkmcnt(3)
	v_fmac_f32_e32 v132, v118, v10
	s_waitcnt vmcnt(1)
	s_delay_alu instid0(VALU_DEP_1) | instskip(SKIP_1) | instid1(VALU_DEP_1)
	v_fmac_f32_e32 v132, v119, v11
	s_waitcnt lgkmcnt(2)
	v_fmac_f32_e32 v132, v120, v4
	s_delay_alu instid0(VALU_DEP_1) | instskip(SKIP_1) | instid1(VALU_DEP_1)
	v_fmac_f32_e32 v132, v121, v5
	s_waitcnt lgkmcnt(1)
	v_fmac_f32_e32 v132, v122, v6
	s_waitcnt vmcnt(0)
	s_delay_alu instid0(VALU_DEP_1) | instskip(SKIP_1) | instid1(VALU_DEP_1)
	v_fmac_f32_e32 v132, v123, v7
	s_waitcnt lgkmcnt(0)
	v_fmac_f32_e32 v132, v124, v8
	s_delay_alu instid0(VALU_DEP_1) | instskip(NEXT) | instid1(VALU_DEP_1)
	v_fmac_f32_e32 v132, v125, v9
	v_sub_f32_e32 v2, v3, v132
	scratch_store_b32 off, v2, off offset:104
	v_cmpx_lt_u32_e32 25, v0
	s_cbranch_execz .LBB112_251
; %bb.250:
	scratch_load_b32 v2, off, off offset:100
	v_mov_b32_e32 v3, 0
	scratch_store_b32 off, v3, off offset:100
	s_waitcnt vmcnt(0)
	ds_store_b32 v1, v2
.LBB112_251:
	s_or_b32 exec_lo, exec_lo, s0
	s_waitcnt lgkmcnt(0)
	s_waitcnt_vscnt null, 0x0
	s_barrier
	buffer_gl0_inv
	s_clause 0x5
	scratch_load_b128 v[3:6], off, off offset:100
	scratch_load_b128 v[7:10], off, off offset:116
	scratch_load_b128 v[111:114], off, off offset:132
	scratch_load_b128 v[115:118], off, off offset:148
	scratch_load_b128 v[119:122], off, off offset:164
	scratch_load_b128 v[123:126], off, off offset:180
	v_mov_b32_e32 v2, 0
	ds_load_2addr_b64 v[127:130], v2 offset0:39 offset1:40
	ds_load_2addr_b64 v[131:134], v2 offset0:41 offset1:42
	s_mov_b32 s0, exec_lo
	s_waitcnt vmcnt(5) lgkmcnt(1)
	v_fma_f32 v12, v4, v127, 0
	s_delay_alu instid0(VALU_DEP_1) | instskip(NEXT) | instid1(VALU_DEP_1)
	v_fmac_f32_e32 v12, v5, v128
	v_fmac_f32_e32 v12, v6, v129
	s_waitcnt vmcnt(4)
	s_delay_alu instid0(VALU_DEP_1) | instskip(SKIP_3) | instid1(VALU_DEP_1)
	v_fmac_f32_e32 v12, v7, v130
	ds_load_2addr_b64 v[4:7], v2 offset0:43 offset1:44
	s_waitcnt lgkmcnt(1)
	v_fmac_f32_e32 v12, v8, v131
	v_fmac_f32_e32 v12, v9, v132
	s_delay_alu instid0(VALU_DEP_1) | instskip(SKIP_4) | instid1(VALU_DEP_1)
	v_fmac_f32_e32 v12, v10, v133
	ds_load_2addr_b64 v[8:11], v2 offset0:45 offset1:46
	s_waitcnt vmcnt(3)
	v_fmac_f32_e32 v12, v111, v134
	s_waitcnt lgkmcnt(1)
	v_fmac_f32_e32 v12, v112, v4
	s_delay_alu instid0(VALU_DEP_1) | instskip(NEXT) | instid1(VALU_DEP_1)
	v_fmac_f32_e32 v12, v113, v5
	v_fmac_f32_e32 v12, v114, v6
	s_waitcnt vmcnt(2)
	s_delay_alu instid0(VALU_DEP_1) | instskip(SKIP_3) | instid1(VALU_DEP_1)
	v_fmac_f32_e32 v12, v115, v7
	ds_load_2addr_b64 v[4:7], v2 offset0:47 offset1:48
	s_waitcnt lgkmcnt(1)
	v_fmac_f32_e32 v12, v116, v8
	v_fmac_f32_e32 v12, v117, v9
	ds_load_b64 v[8:9], v2 offset:392
	v_fmac_f32_e32 v12, v118, v10
	s_waitcnt vmcnt(1)
	s_delay_alu instid0(VALU_DEP_1) | instskip(SKIP_1) | instid1(VALU_DEP_1)
	v_fmac_f32_e32 v12, v119, v11
	s_waitcnt lgkmcnt(1)
	v_fmac_f32_e32 v12, v120, v4
	ds_load_b32 v4, v2 offset:400
	v_fmac_f32_e32 v12, v121, v5
	s_delay_alu instid0(VALU_DEP_1) | instskip(SKIP_1) | instid1(VALU_DEP_1)
	v_fmac_f32_e32 v12, v122, v6
	s_waitcnt vmcnt(0)
	v_fmac_f32_e32 v12, v123, v7
	s_waitcnt lgkmcnt(1)
	s_delay_alu instid0(VALU_DEP_1) | instskip(NEXT) | instid1(VALU_DEP_1)
	v_fmac_f32_e32 v12, v124, v8
	v_fmac_f32_e32 v12, v125, v9
	s_waitcnt lgkmcnt(0)
	s_delay_alu instid0(VALU_DEP_1) | instskip(NEXT) | instid1(VALU_DEP_1)
	v_fmac_f32_e32 v12, v126, v4
	v_sub_f32_e32 v3, v3, v12
	scratch_store_b32 off, v3, off offset:100
	v_cmpx_lt_u32_e32 24, v0
	s_cbranch_execz .LBB112_253
; %bb.252:
	scratch_load_b32 v3, off, off offset:96
	scratch_store_b32 off, v2, off offset:96
	s_waitcnt vmcnt(0)
	ds_store_b32 v1, v3
.LBB112_253:
	s_or_b32 exec_lo, exec_lo, s0
	s_waitcnt lgkmcnt(0)
	s_waitcnt_vscnt null, 0x0
	s_barrier
	buffer_gl0_inv
	s_clause 0x6
	scratch_load_b128 v[3:6], off, off offset:96
	scratch_load_b128 v[7:10], off, off offset:112
	;; [unrolled: 1-line block ×6, first 2 shown]
	scratch_load_b32 v133, off, off offset:192
	ds_load_2addr_b32 v[11:12], v2 offset0:77 offset1:78
	ds_load_2addr_b32 v[127:128], v2 offset0:79 offset1:80
	;; [unrolled: 1-line block ×4, first 2 shown]
	s_mov_b32 s0, exec_lo
	s_waitcnt vmcnt(6) lgkmcnt(3)
	v_fma_f32 v134, v4, v11, 0
	s_delay_alu instid0(VALU_DEP_1) | instskip(SKIP_4) | instid1(VALU_DEP_1)
	v_fmac_f32_e32 v134, v5, v12
	ds_load_2addr_b32 v[4:5], v2 offset0:85 offset1:86
	s_waitcnt lgkmcnt(3)
	v_fmac_f32_e32 v134, v6, v127
	s_waitcnt vmcnt(5)
	v_fmac_f32_e32 v134, v7, v128
	ds_load_2addr_b32 v[6:7], v2 offset0:87 offset1:88
	s_waitcnt lgkmcnt(3)
	v_fmac_f32_e32 v134, v8, v129
	s_delay_alu instid0(VALU_DEP_1) | instskip(SKIP_1) | instid1(VALU_DEP_1)
	v_fmac_f32_e32 v134, v9, v130
	s_waitcnt lgkmcnt(2)
	v_fmac_f32_e32 v134, v10, v131
	ds_load_2addr_b32 v[8:9], v2 offset0:89 offset1:90
	ds_load_2addr_b32 v[10:11], v2 offset0:91 offset1:92
	s_waitcnt vmcnt(4)
	v_fmac_f32_e32 v134, v111, v132
	s_waitcnt lgkmcnt(3)
	s_delay_alu instid0(VALU_DEP_1) | instskip(NEXT) | instid1(VALU_DEP_1)
	v_fmac_f32_e32 v134, v112, v4
	v_fmac_f32_e32 v134, v113, v5
	ds_load_2addr_b32 v[4:5], v2 offset0:93 offset1:94
	s_waitcnt lgkmcnt(3)
	v_fmac_f32_e32 v134, v114, v6
	s_waitcnt vmcnt(3)
	s_delay_alu instid0(VALU_DEP_1) | instskip(SKIP_3) | instid1(VALU_DEP_1)
	v_fmac_f32_e32 v134, v115, v7
	ds_load_2addr_b32 v[6:7], v2 offset0:95 offset1:96
	s_waitcnt lgkmcnt(3)
	v_fmac_f32_e32 v134, v116, v8
	v_fmac_f32_e32 v134, v117, v9
	s_waitcnt lgkmcnt(2)
	s_delay_alu instid0(VALU_DEP_1) | instskip(SKIP_1) | instid1(VALU_DEP_1)
	v_fmac_f32_e32 v134, v118, v10
	s_waitcnt vmcnt(2)
	v_fmac_f32_e32 v134, v119, v11
	ds_load_2addr_b32 v[8:9], v2 offset0:97 offset1:98
	ds_load_2addr_b32 v[10:11], v2 offset0:99 offset1:100
	s_waitcnt lgkmcnt(3)
	v_fmac_f32_e32 v134, v120, v4
	s_delay_alu instid0(VALU_DEP_1) | instskip(SKIP_1) | instid1(VALU_DEP_1)
	v_fmac_f32_e32 v134, v121, v5
	s_waitcnt lgkmcnt(2)
	v_fmac_f32_e32 v134, v122, v6
	s_waitcnt vmcnt(1)
	s_delay_alu instid0(VALU_DEP_1) | instskip(SKIP_1) | instid1(VALU_DEP_1)
	v_fmac_f32_e32 v134, v123, v7
	s_waitcnt lgkmcnt(1)
	v_fmac_f32_e32 v134, v124, v8
	s_delay_alu instid0(VALU_DEP_1) | instskip(SKIP_1) | instid1(VALU_DEP_1)
	v_fmac_f32_e32 v134, v125, v9
	s_waitcnt lgkmcnt(0)
	v_fmac_f32_e32 v134, v126, v10
	s_waitcnt vmcnt(0)
	s_delay_alu instid0(VALU_DEP_1) | instskip(NEXT) | instid1(VALU_DEP_1)
	v_fmac_f32_e32 v134, v133, v11
	v_sub_f32_e32 v2, v3, v134
	scratch_store_b32 off, v2, off offset:96
	v_cmpx_lt_u32_e32 23, v0
	s_cbranch_execz .LBB112_255
; %bb.254:
	scratch_load_b32 v2, off, off offset:92
	v_mov_b32_e32 v3, 0
	scratch_store_b32 off, v3, off offset:92
	s_waitcnt vmcnt(0)
	ds_store_b32 v1, v2
.LBB112_255:
	s_or_b32 exec_lo, exec_lo, s0
	s_waitcnt lgkmcnt(0)
	s_waitcnt_vscnt null, 0x0
	s_barrier
	buffer_gl0_inv
	s_clause 0x6
	scratch_load_b128 v[3:6], off, off offset:92
	scratch_load_b128 v[7:10], off, off offset:108
	;; [unrolled: 1-line block ×6, first 2 shown]
	scratch_load_b64 v[135:136], off, off offset:188
	v_mov_b32_e32 v2, 0
	ds_load_b128 v[127:130], v2 offset:304
	ds_load_b128 v[131:134], v2 offset:320
	s_mov_b32 s0, exec_lo
	s_waitcnt vmcnt(6) lgkmcnt(1)
	v_fma_f32 v12, v4, v127, 0
	s_delay_alu instid0(VALU_DEP_1) | instskip(NEXT) | instid1(VALU_DEP_1)
	v_fmac_f32_e32 v12, v5, v128
	v_fmac_f32_e32 v12, v6, v129
	s_waitcnt vmcnt(5)
	s_delay_alu instid0(VALU_DEP_1) | instskip(SKIP_3) | instid1(VALU_DEP_1)
	v_fmac_f32_e32 v12, v7, v130
	ds_load_b128 v[4:7], v2 offset:336
	s_waitcnt lgkmcnt(1)
	v_fmac_f32_e32 v12, v8, v131
	v_fmac_f32_e32 v12, v9, v132
	s_delay_alu instid0(VALU_DEP_1) | instskip(SKIP_4) | instid1(VALU_DEP_1)
	v_fmac_f32_e32 v12, v10, v133
	ds_load_b128 v[8:11], v2 offset:352
	s_waitcnt vmcnt(4)
	v_fmac_f32_e32 v12, v111, v134
	s_waitcnt lgkmcnt(1)
	v_fmac_f32_e32 v12, v112, v4
	s_delay_alu instid0(VALU_DEP_1) | instskip(NEXT) | instid1(VALU_DEP_1)
	v_fmac_f32_e32 v12, v113, v5
	v_fmac_f32_e32 v12, v114, v6
	s_waitcnt vmcnt(3)
	s_delay_alu instid0(VALU_DEP_1) | instskip(SKIP_3) | instid1(VALU_DEP_1)
	v_fmac_f32_e32 v12, v115, v7
	ds_load_b128 v[4:7], v2 offset:368
	s_waitcnt lgkmcnt(1)
	v_fmac_f32_e32 v12, v116, v8
	v_fmac_f32_e32 v12, v117, v9
	s_delay_alu instid0(VALU_DEP_1) | instskip(SKIP_1) | instid1(VALU_DEP_1)
	v_fmac_f32_e32 v12, v118, v10
	s_waitcnt vmcnt(2)
	v_fmac_f32_e32 v12, v119, v11
	ds_load_b128 v[8:11], v2 offset:384
	s_waitcnt lgkmcnt(1)
	v_fmac_f32_e32 v12, v120, v4
	ds_load_b32 v4, v2 offset:400
	v_fmac_f32_e32 v12, v121, v5
	s_delay_alu instid0(VALU_DEP_1) | instskip(SKIP_1) | instid1(VALU_DEP_1)
	v_fmac_f32_e32 v12, v122, v6
	s_waitcnt vmcnt(1)
	v_fmac_f32_e32 v12, v123, v7
	s_waitcnt lgkmcnt(1)
	s_delay_alu instid0(VALU_DEP_1) | instskip(NEXT) | instid1(VALU_DEP_1)
	v_fmac_f32_e32 v12, v124, v8
	v_fmac_f32_e32 v12, v125, v9
	s_delay_alu instid0(VALU_DEP_1) | instskip(SKIP_1) | instid1(VALU_DEP_1)
	v_fmac_f32_e32 v12, v126, v10
	s_waitcnt vmcnt(0)
	v_fmac_f32_e32 v12, v135, v11
	s_waitcnt lgkmcnt(0)
	s_delay_alu instid0(VALU_DEP_1) | instskip(NEXT) | instid1(VALU_DEP_1)
	v_fmac_f32_e32 v12, v136, v4
	v_sub_f32_e32 v3, v3, v12
	scratch_store_b32 off, v3, off offset:92
	v_cmpx_lt_u32_e32 22, v0
	s_cbranch_execz .LBB112_257
; %bb.256:
	scratch_load_b32 v3, off, off offset:88
	scratch_store_b32 off, v2, off offset:88
	s_waitcnt vmcnt(0)
	ds_store_b32 v1, v3
.LBB112_257:
	s_or_b32 exec_lo, exec_lo, s0
	s_waitcnt lgkmcnt(0)
	s_waitcnt_vscnt null, 0x0
	s_barrier
	buffer_gl0_inv
	s_clause 0x6
	scratch_load_b128 v[3:6], off, off offset:88
	scratch_load_b128 v[7:10], off, off offset:104
	;; [unrolled: 1-line block ×6, first 2 shown]
	scratch_load_b96 v[127:129], off, off offset:184
	ds_load_2addr_b32 v[11:12], v2 offset0:75 offset1:76
	ds_load_2addr_b32 v[130:131], v2 offset0:77 offset1:78
	;; [unrolled: 1-line block ×4, first 2 shown]
	s_mov_b32 s0, exec_lo
	s_waitcnt vmcnt(6) lgkmcnt(3)
	v_fma_f32 v136, v4, v11, 0
	s_delay_alu instid0(VALU_DEP_1) | instskip(SKIP_4) | instid1(VALU_DEP_1)
	v_fmac_f32_e32 v136, v5, v12
	ds_load_2addr_b32 v[4:5], v2 offset0:83 offset1:84
	s_waitcnt lgkmcnt(3)
	v_fmac_f32_e32 v136, v6, v130
	s_waitcnt vmcnt(5)
	v_fmac_f32_e32 v136, v7, v131
	ds_load_2addr_b32 v[6:7], v2 offset0:85 offset1:86
	s_waitcnt lgkmcnt(3)
	v_fmac_f32_e32 v136, v8, v132
	s_delay_alu instid0(VALU_DEP_1) | instskip(SKIP_1) | instid1(VALU_DEP_1)
	v_fmac_f32_e32 v136, v9, v133
	s_waitcnt lgkmcnt(2)
	v_fmac_f32_e32 v136, v10, v134
	ds_load_2addr_b32 v[8:9], v2 offset0:87 offset1:88
	ds_load_2addr_b32 v[10:11], v2 offset0:89 offset1:90
	s_waitcnt vmcnt(4)
	v_fmac_f32_e32 v136, v111, v135
	s_waitcnt lgkmcnt(3)
	s_delay_alu instid0(VALU_DEP_1) | instskip(NEXT) | instid1(VALU_DEP_1)
	v_fmac_f32_e32 v136, v112, v4
	v_fmac_f32_e32 v136, v113, v5
	ds_load_2addr_b32 v[4:5], v2 offset0:91 offset1:92
	s_waitcnt lgkmcnt(3)
	v_fmac_f32_e32 v136, v114, v6
	s_waitcnt vmcnt(3)
	s_delay_alu instid0(VALU_DEP_1) | instskip(SKIP_3) | instid1(VALU_DEP_1)
	v_fmac_f32_e32 v136, v115, v7
	ds_load_2addr_b32 v[6:7], v2 offset0:93 offset1:94
	s_waitcnt lgkmcnt(3)
	v_fmac_f32_e32 v136, v116, v8
	v_fmac_f32_e32 v136, v117, v9
	s_waitcnt lgkmcnt(2)
	s_delay_alu instid0(VALU_DEP_1) | instskip(SKIP_1) | instid1(VALU_DEP_1)
	v_fmac_f32_e32 v136, v118, v10
	s_waitcnt vmcnt(2)
	v_fmac_f32_e32 v136, v119, v11
	ds_load_2addr_b32 v[8:9], v2 offset0:95 offset1:96
	ds_load_2addr_b32 v[10:11], v2 offset0:97 offset1:98
	s_waitcnt lgkmcnt(3)
	v_fmac_f32_e32 v136, v120, v4
	s_delay_alu instid0(VALU_DEP_1) | instskip(SKIP_4) | instid1(VALU_DEP_1)
	v_fmac_f32_e32 v136, v121, v5
	ds_load_2addr_b32 v[4:5], v2 offset0:99 offset1:100
	s_waitcnt lgkmcnt(3)
	v_fmac_f32_e32 v136, v122, v6
	s_waitcnt vmcnt(1)
	v_fmac_f32_e32 v136, v123, v7
	s_waitcnt lgkmcnt(2)
	s_delay_alu instid0(VALU_DEP_1) | instskip(NEXT) | instid1(VALU_DEP_1)
	v_fmac_f32_e32 v136, v124, v8
	v_fmac_f32_e32 v136, v125, v9
	s_waitcnt lgkmcnt(1)
	s_delay_alu instid0(VALU_DEP_1) | instskip(SKIP_1) | instid1(VALU_DEP_1)
	v_fmac_f32_e32 v136, v126, v10
	s_waitcnt vmcnt(0)
	v_fmac_f32_e32 v136, v127, v11
	s_waitcnt lgkmcnt(0)
	s_delay_alu instid0(VALU_DEP_1) | instskip(NEXT) | instid1(VALU_DEP_1)
	v_fmac_f32_e32 v136, v128, v4
	v_fmac_f32_e32 v136, v129, v5
	s_delay_alu instid0(VALU_DEP_1)
	v_sub_f32_e32 v2, v3, v136
	scratch_store_b32 off, v2, off offset:88
	v_cmpx_lt_u32_e32 21, v0
	s_cbranch_execz .LBB112_259
; %bb.258:
	scratch_load_b32 v2, off, off offset:84
	v_mov_b32_e32 v3, 0
	scratch_store_b32 off, v3, off offset:84
	s_waitcnt vmcnt(0)
	ds_store_b32 v1, v2
.LBB112_259:
	s_or_b32 exec_lo, exec_lo, s0
	s_waitcnt lgkmcnt(0)
	s_waitcnt_vscnt null, 0x0
	s_barrier
	buffer_gl0_inv
	s_clause 0x6
	scratch_load_b128 v[3:6], off, off offset:84
	scratch_load_b128 v[7:10], off, off offset:100
	scratch_load_b128 v[111:114], off, off offset:116
	scratch_load_b128 v[115:118], off, off offset:132
	scratch_load_b128 v[119:122], off, off offset:148
	scratch_load_b128 v[123:126], off, off offset:164
	scratch_load_b128 v[127:130], off, off offset:180
	v_mov_b32_e32 v2, 0
	ds_load_2addr_b64 v[131:134], v2 offset0:37 offset1:38
	ds_load_2addr_b64 v[135:138], v2 offset0:39 offset1:40
	s_mov_b32 s0, exec_lo
	s_waitcnt vmcnt(6) lgkmcnt(1)
	v_fma_f32 v12, v4, v131, 0
	s_delay_alu instid0(VALU_DEP_1) | instskip(NEXT) | instid1(VALU_DEP_1)
	v_fmac_f32_e32 v12, v5, v132
	v_fmac_f32_e32 v12, v6, v133
	s_waitcnt vmcnt(5)
	s_delay_alu instid0(VALU_DEP_1) | instskip(SKIP_3) | instid1(VALU_DEP_1)
	v_fmac_f32_e32 v12, v7, v134
	ds_load_2addr_b64 v[4:7], v2 offset0:41 offset1:42
	s_waitcnt lgkmcnt(1)
	v_fmac_f32_e32 v12, v8, v135
	v_fmac_f32_e32 v12, v9, v136
	s_delay_alu instid0(VALU_DEP_1) | instskip(SKIP_4) | instid1(VALU_DEP_1)
	v_fmac_f32_e32 v12, v10, v137
	ds_load_2addr_b64 v[8:11], v2 offset0:43 offset1:44
	s_waitcnt vmcnt(4)
	v_fmac_f32_e32 v12, v111, v138
	s_waitcnt lgkmcnt(1)
	v_fmac_f32_e32 v12, v112, v4
	s_delay_alu instid0(VALU_DEP_1) | instskip(NEXT) | instid1(VALU_DEP_1)
	v_fmac_f32_e32 v12, v113, v5
	v_fmac_f32_e32 v12, v114, v6
	s_waitcnt vmcnt(3)
	s_delay_alu instid0(VALU_DEP_1) | instskip(SKIP_3) | instid1(VALU_DEP_1)
	v_fmac_f32_e32 v12, v115, v7
	ds_load_2addr_b64 v[4:7], v2 offset0:45 offset1:46
	s_waitcnt lgkmcnt(1)
	v_fmac_f32_e32 v12, v116, v8
	v_fmac_f32_e32 v12, v117, v9
	s_delay_alu instid0(VALU_DEP_1) | instskip(SKIP_1) | instid1(VALU_DEP_1)
	v_fmac_f32_e32 v12, v118, v10
	s_waitcnt vmcnt(2)
	v_fmac_f32_e32 v12, v119, v11
	ds_load_2addr_b64 v[8:11], v2 offset0:47 offset1:48
	s_waitcnt lgkmcnt(1)
	v_fmac_f32_e32 v12, v120, v4
	s_delay_alu instid0(VALU_DEP_1)
	v_fmac_f32_e32 v12, v121, v5
	ds_load_b64 v[4:5], v2 offset:392
	v_fmac_f32_e32 v12, v122, v6
	ds_load_b32 v6, v2 offset:400
	s_waitcnt vmcnt(1)
	v_fmac_f32_e32 v12, v123, v7
	s_waitcnt lgkmcnt(2)
	s_delay_alu instid0(VALU_DEP_1) | instskip(NEXT) | instid1(VALU_DEP_1)
	v_fmac_f32_e32 v12, v124, v8
	v_fmac_f32_e32 v12, v125, v9
	s_delay_alu instid0(VALU_DEP_1) | instskip(SKIP_1) | instid1(VALU_DEP_1)
	v_fmac_f32_e32 v12, v126, v10
	s_waitcnt vmcnt(0)
	v_fmac_f32_e32 v12, v127, v11
	s_waitcnt lgkmcnt(1)
	s_delay_alu instid0(VALU_DEP_1) | instskip(NEXT) | instid1(VALU_DEP_1)
	v_fmac_f32_e32 v12, v128, v4
	v_fmac_f32_e32 v12, v129, v5
	s_waitcnt lgkmcnt(0)
	s_delay_alu instid0(VALU_DEP_1) | instskip(NEXT) | instid1(VALU_DEP_1)
	v_fmac_f32_e32 v12, v130, v6
	v_sub_f32_e32 v3, v3, v12
	scratch_store_b32 off, v3, off offset:84
	v_cmpx_lt_u32_e32 20, v0
	s_cbranch_execz .LBB112_261
; %bb.260:
	scratch_load_b32 v3, off, off offset:80
	scratch_store_b32 off, v2, off offset:80
	s_waitcnt vmcnt(0)
	ds_store_b32 v1, v3
.LBB112_261:
	s_or_b32 exec_lo, exec_lo, s0
	s_waitcnt lgkmcnt(0)
	s_waitcnt_vscnt null, 0x0
	s_barrier
	buffer_gl0_inv
	s_clause 0x7
	scratch_load_b128 v[3:6], off, off offset:80
	scratch_load_b128 v[7:10], off, off offset:96
	;; [unrolled: 1-line block ×7, first 2 shown]
	scratch_load_b32 v137, off, off offset:192
	ds_load_2addr_b32 v[11:12], v2 offset0:73 offset1:74
	ds_load_2addr_b32 v[131:132], v2 offset0:75 offset1:76
	;; [unrolled: 1-line block ×4, first 2 shown]
	s_mov_b32 s0, exec_lo
	s_waitcnt vmcnt(7) lgkmcnt(3)
	v_fma_f32 v138, v4, v11, 0
	s_delay_alu instid0(VALU_DEP_1) | instskip(SKIP_4) | instid1(VALU_DEP_1)
	v_fmac_f32_e32 v138, v5, v12
	ds_load_2addr_b32 v[4:5], v2 offset0:81 offset1:82
	s_waitcnt lgkmcnt(3)
	v_fmac_f32_e32 v138, v6, v131
	s_waitcnt vmcnt(6)
	v_fmac_f32_e32 v138, v7, v132
	ds_load_2addr_b32 v[6:7], v2 offset0:83 offset1:84
	s_waitcnt lgkmcnt(3)
	v_fmac_f32_e32 v138, v8, v133
	s_delay_alu instid0(VALU_DEP_1) | instskip(SKIP_1) | instid1(VALU_DEP_1)
	v_fmac_f32_e32 v138, v9, v134
	s_waitcnt lgkmcnt(2)
	v_fmac_f32_e32 v138, v10, v135
	ds_load_2addr_b32 v[8:9], v2 offset0:85 offset1:86
	ds_load_2addr_b32 v[10:11], v2 offset0:87 offset1:88
	s_waitcnt vmcnt(5)
	v_fmac_f32_e32 v138, v111, v136
	s_waitcnt lgkmcnt(3)
	s_delay_alu instid0(VALU_DEP_1) | instskip(NEXT) | instid1(VALU_DEP_1)
	v_fmac_f32_e32 v138, v112, v4
	v_fmac_f32_e32 v138, v113, v5
	ds_load_2addr_b32 v[4:5], v2 offset0:89 offset1:90
	s_waitcnt lgkmcnt(3)
	v_fmac_f32_e32 v138, v114, v6
	s_waitcnt vmcnt(4)
	s_delay_alu instid0(VALU_DEP_1) | instskip(SKIP_3) | instid1(VALU_DEP_1)
	v_fmac_f32_e32 v138, v115, v7
	ds_load_2addr_b32 v[6:7], v2 offset0:91 offset1:92
	s_waitcnt lgkmcnt(3)
	v_fmac_f32_e32 v138, v116, v8
	v_fmac_f32_e32 v138, v117, v9
	s_waitcnt lgkmcnt(2)
	s_delay_alu instid0(VALU_DEP_1) | instskip(SKIP_1) | instid1(VALU_DEP_1)
	v_fmac_f32_e32 v138, v118, v10
	s_waitcnt vmcnt(3)
	v_fmac_f32_e32 v138, v119, v11
	ds_load_2addr_b32 v[8:9], v2 offset0:93 offset1:94
	ds_load_2addr_b32 v[10:11], v2 offset0:95 offset1:96
	s_waitcnt lgkmcnt(3)
	v_fmac_f32_e32 v138, v120, v4
	s_delay_alu instid0(VALU_DEP_1) | instskip(SKIP_4) | instid1(VALU_DEP_1)
	v_fmac_f32_e32 v138, v121, v5
	ds_load_2addr_b32 v[4:5], v2 offset0:97 offset1:98
	s_waitcnt lgkmcnt(3)
	v_fmac_f32_e32 v138, v122, v6
	s_waitcnt vmcnt(2)
	v_fmac_f32_e32 v138, v123, v7
	ds_load_2addr_b32 v[6:7], v2 offset0:99 offset1:100
	s_waitcnt lgkmcnt(3)
	v_fmac_f32_e32 v138, v124, v8
	s_delay_alu instid0(VALU_DEP_1) | instskip(SKIP_1) | instid1(VALU_DEP_1)
	v_fmac_f32_e32 v138, v125, v9
	s_waitcnt lgkmcnt(2)
	v_fmac_f32_e32 v138, v126, v10
	s_waitcnt vmcnt(1)
	s_delay_alu instid0(VALU_DEP_1) | instskip(SKIP_1) | instid1(VALU_DEP_1)
	v_fmac_f32_e32 v138, v127, v11
	s_waitcnt lgkmcnt(1)
	v_fmac_f32_e32 v138, v128, v4
	s_delay_alu instid0(VALU_DEP_1) | instskip(SKIP_1) | instid1(VALU_DEP_1)
	v_fmac_f32_e32 v138, v129, v5
	s_waitcnt lgkmcnt(0)
	v_fmac_f32_e32 v138, v130, v6
	s_waitcnt vmcnt(0)
	s_delay_alu instid0(VALU_DEP_1) | instskip(NEXT) | instid1(VALU_DEP_1)
	v_fmac_f32_e32 v138, v137, v7
	v_sub_f32_e32 v2, v3, v138
	scratch_store_b32 off, v2, off offset:80
	v_cmpx_lt_u32_e32 19, v0
	s_cbranch_execz .LBB112_263
; %bb.262:
	scratch_load_b32 v2, off, off offset:76
	v_mov_b32_e32 v3, 0
	scratch_store_b32 off, v3, off offset:76
	s_waitcnt vmcnt(0)
	ds_store_b32 v1, v2
.LBB112_263:
	s_or_b32 exec_lo, exec_lo, s0
	s_waitcnt lgkmcnt(0)
	s_waitcnt_vscnt null, 0x0
	s_barrier
	buffer_gl0_inv
	s_clause 0x7
	scratch_load_b128 v[3:6], off, off offset:76
	scratch_load_b128 v[7:10], off, off offset:92
	;; [unrolled: 1-line block ×7, first 2 shown]
	scratch_load_b64 v[139:140], off, off offset:188
	v_mov_b32_e32 v2, 0
	ds_load_b128 v[131:134], v2 offset:288
	ds_load_b128 v[135:138], v2 offset:304
	s_mov_b32 s0, exec_lo
	s_waitcnt vmcnt(7) lgkmcnt(1)
	v_fma_f32 v12, v4, v131, 0
	s_delay_alu instid0(VALU_DEP_1) | instskip(NEXT) | instid1(VALU_DEP_1)
	v_fmac_f32_e32 v12, v5, v132
	v_fmac_f32_e32 v12, v6, v133
	s_waitcnt vmcnt(6)
	s_delay_alu instid0(VALU_DEP_1) | instskip(SKIP_3) | instid1(VALU_DEP_1)
	v_fmac_f32_e32 v12, v7, v134
	ds_load_b128 v[4:7], v2 offset:320
	s_waitcnt lgkmcnt(1)
	v_fmac_f32_e32 v12, v8, v135
	v_fmac_f32_e32 v12, v9, v136
	s_delay_alu instid0(VALU_DEP_1) | instskip(SKIP_4) | instid1(VALU_DEP_1)
	v_fmac_f32_e32 v12, v10, v137
	ds_load_b128 v[8:11], v2 offset:336
	s_waitcnt vmcnt(5)
	v_fmac_f32_e32 v12, v111, v138
	s_waitcnt lgkmcnt(1)
	v_fmac_f32_e32 v12, v112, v4
	s_delay_alu instid0(VALU_DEP_1) | instskip(NEXT) | instid1(VALU_DEP_1)
	v_fmac_f32_e32 v12, v113, v5
	v_fmac_f32_e32 v12, v114, v6
	s_waitcnt vmcnt(4)
	s_delay_alu instid0(VALU_DEP_1) | instskip(SKIP_3) | instid1(VALU_DEP_1)
	v_fmac_f32_e32 v12, v115, v7
	ds_load_b128 v[4:7], v2 offset:352
	s_waitcnt lgkmcnt(1)
	v_fmac_f32_e32 v12, v116, v8
	v_fmac_f32_e32 v12, v117, v9
	s_delay_alu instid0(VALU_DEP_1) | instskip(SKIP_1) | instid1(VALU_DEP_1)
	v_fmac_f32_e32 v12, v118, v10
	s_waitcnt vmcnt(3)
	v_fmac_f32_e32 v12, v119, v11
	ds_load_b128 v[8:11], v2 offset:368
	s_waitcnt lgkmcnt(1)
	v_fmac_f32_e32 v12, v120, v4
	s_delay_alu instid0(VALU_DEP_1) | instskip(NEXT) | instid1(VALU_DEP_1)
	v_fmac_f32_e32 v12, v121, v5
	v_fmac_f32_e32 v12, v122, v6
	s_waitcnt vmcnt(2)
	s_delay_alu instid0(VALU_DEP_1)
	v_fmac_f32_e32 v12, v123, v7
	ds_load_b128 v[4:7], v2 offset:384
	s_waitcnt lgkmcnt(1)
	v_fmac_f32_e32 v12, v124, v8
	ds_load_b32 v8, v2 offset:400
	v_fmac_f32_e32 v12, v125, v9
	s_delay_alu instid0(VALU_DEP_1) | instskip(SKIP_1) | instid1(VALU_DEP_1)
	v_fmac_f32_e32 v12, v126, v10
	s_waitcnt vmcnt(1)
	v_fmac_f32_e32 v12, v127, v11
	s_waitcnt lgkmcnt(1)
	s_delay_alu instid0(VALU_DEP_1) | instskip(NEXT) | instid1(VALU_DEP_1)
	v_fmac_f32_e32 v12, v128, v4
	v_fmac_f32_e32 v12, v129, v5
	s_delay_alu instid0(VALU_DEP_1) | instskip(SKIP_1) | instid1(VALU_DEP_1)
	v_fmac_f32_e32 v12, v130, v6
	s_waitcnt vmcnt(0)
	v_fmac_f32_e32 v12, v139, v7
	s_waitcnt lgkmcnt(0)
	s_delay_alu instid0(VALU_DEP_1) | instskip(NEXT) | instid1(VALU_DEP_1)
	v_fmac_f32_e32 v12, v140, v8
	v_sub_f32_e32 v3, v3, v12
	scratch_store_b32 off, v3, off offset:76
	v_cmpx_lt_u32_e32 18, v0
	s_cbranch_execz .LBB112_265
; %bb.264:
	scratch_load_b32 v3, off, off offset:72
	scratch_store_b32 off, v2, off offset:72
	s_waitcnt vmcnt(0)
	ds_store_b32 v1, v3
.LBB112_265:
	s_or_b32 exec_lo, exec_lo, s0
	s_waitcnt lgkmcnt(0)
	s_waitcnt_vscnt null, 0x0
	s_barrier
	buffer_gl0_inv
	s_clause 0x7
	scratch_load_b128 v[3:6], off, off offset:72
	scratch_load_b128 v[7:10], off, off offset:88
	;; [unrolled: 1-line block ×7, first 2 shown]
	scratch_load_b96 v[131:133], off, off offset:184
	ds_load_2addr_b32 v[11:12], v2 offset0:71 offset1:72
	ds_load_2addr_b32 v[134:135], v2 offset0:73 offset1:74
	ds_load_2addr_b32 v[136:137], v2 offset0:75 offset1:76
	ds_load_2addr_b32 v[138:139], v2 offset0:77 offset1:78
	s_mov_b32 s0, exec_lo
	s_waitcnt vmcnt(7) lgkmcnt(3)
	v_fma_f32 v140, v4, v11, 0
	s_delay_alu instid0(VALU_DEP_1) | instskip(SKIP_4) | instid1(VALU_DEP_1)
	v_fmac_f32_e32 v140, v5, v12
	ds_load_2addr_b32 v[4:5], v2 offset0:79 offset1:80
	s_waitcnt lgkmcnt(3)
	v_fmac_f32_e32 v140, v6, v134
	s_waitcnt vmcnt(6)
	v_fmac_f32_e32 v140, v7, v135
	ds_load_2addr_b32 v[6:7], v2 offset0:81 offset1:82
	s_waitcnt lgkmcnt(3)
	v_fmac_f32_e32 v140, v8, v136
	s_delay_alu instid0(VALU_DEP_1) | instskip(SKIP_1) | instid1(VALU_DEP_1)
	v_fmac_f32_e32 v140, v9, v137
	s_waitcnt lgkmcnt(2)
	v_fmac_f32_e32 v140, v10, v138
	ds_load_2addr_b32 v[8:9], v2 offset0:83 offset1:84
	ds_load_2addr_b32 v[10:11], v2 offset0:85 offset1:86
	s_waitcnt vmcnt(5)
	v_fmac_f32_e32 v140, v111, v139
	s_waitcnt lgkmcnt(3)
	s_delay_alu instid0(VALU_DEP_1) | instskip(NEXT) | instid1(VALU_DEP_1)
	v_fmac_f32_e32 v140, v112, v4
	v_fmac_f32_e32 v140, v113, v5
	ds_load_2addr_b32 v[4:5], v2 offset0:87 offset1:88
	s_waitcnt lgkmcnt(3)
	v_fmac_f32_e32 v140, v114, v6
	s_waitcnt vmcnt(4)
	s_delay_alu instid0(VALU_DEP_1) | instskip(SKIP_3) | instid1(VALU_DEP_1)
	v_fmac_f32_e32 v140, v115, v7
	ds_load_2addr_b32 v[6:7], v2 offset0:89 offset1:90
	s_waitcnt lgkmcnt(3)
	v_fmac_f32_e32 v140, v116, v8
	v_fmac_f32_e32 v140, v117, v9
	s_waitcnt lgkmcnt(2)
	s_delay_alu instid0(VALU_DEP_1) | instskip(SKIP_1) | instid1(VALU_DEP_1)
	v_fmac_f32_e32 v140, v118, v10
	s_waitcnt vmcnt(3)
	v_fmac_f32_e32 v140, v119, v11
	ds_load_2addr_b32 v[8:9], v2 offset0:91 offset1:92
	ds_load_2addr_b32 v[10:11], v2 offset0:93 offset1:94
	s_waitcnt lgkmcnt(3)
	v_fmac_f32_e32 v140, v120, v4
	s_delay_alu instid0(VALU_DEP_1) | instskip(SKIP_4) | instid1(VALU_DEP_1)
	v_fmac_f32_e32 v140, v121, v5
	ds_load_2addr_b32 v[4:5], v2 offset0:95 offset1:96
	s_waitcnt lgkmcnt(3)
	v_fmac_f32_e32 v140, v122, v6
	s_waitcnt vmcnt(2)
	v_fmac_f32_e32 v140, v123, v7
	ds_load_2addr_b32 v[6:7], v2 offset0:97 offset1:98
	s_waitcnt lgkmcnt(3)
	v_fmac_f32_e32 v140, v124, v8
	s_delay_alu instid0(VALU_DEP_1) | instskip(SKIP_4) | instid1(VALU_DEP_1)
	v_fmac_f32_e32 v140, v125, v9
	ds_load_2addr_b32 v[8:9], v2 offset0:99 offset1:100
	s_waitcnt lgkmcnt(3)
	v_fmac_f32_e32 v140, v126, v10
	s_waitcnt vmcnt(1)
	v_fmac_f32_e32 v140, v127, v11
	s_waitcnt lgkmcnt(2)
	s_delay_alu instid0(VALU_DEP_1) | instskip(NEXT) | instid1(VALU_DEP_1)
	v_fmac_f32_e32 v140, v128, v4
	v_fmac_f32_e32 v140, v129, v5
	s_waitcnt lgkmcnt(1)
	s_delay_alu instid0(VALU_DEP_1) | instskip(SKIP_1) | instid1(VALU_DEP_1)
	v_fmac_f32_e32 v140, v130, v6
	s_waitcnt vmcnt(0)
	v_fmac_f32_e32 v140, v131, v7
	s_waitcnt lgkmcnt(0)
	s_delay_alu instid0(VALU_DEP_1) | instskip(NEXT) | instid1(VALU_DEP_1)
	v_fmac_f32_e32 v140, v132, v8
	v_fmac_f32_e32 v140, v133, v9
	s_delay_alu instid0(VALU_DEP_1)
	v_sub_f32_e32 v2, v3, v140
	scratch_store_b32 off, v2, off offset:72
	v_cmpx_lt_u32_e32 17, v0
	s_cbranch_execz .LBB112_267
; %bb.266:
	scratch_load_b32 v2, off, off offset:68
	v_mov_b32_e32 v3, 0
	scratch_store_b32 off, v3, off offset:68
	s_waitcnt vmcnt(0)
	ds_store_b32 v1, v2
.LBB112_267:
	s_or_b32 exec_lo, exec_lo, s0
	s_waitcnt lgkmcnt(0)
	s_waitcnt_vscnt null, 0x0
	s_barrier
	buffer_gl0_inv
	s_clause 0x7
	scratch_load_b128 v[3:6], off, off offset:68
	scratch_load_b128 v[7:10], off, off offset:84
	;; [unrolled: 1-line block ×8, first 2 shown]
	v_mov_b32_e32 v2, 0
	ds_load_2addr_b64 v[135:138], v2 offset0:35 offset1:36
	ds_load_2addr_b64 v[139:142], v2 offset0:37 offset1:38
	s_mov_b32 s0, exec_lo
	s_waitcnt vmcnt(7) lgkmcnt(1)
	v_fma_f32 v12, v4, v135, 0
	s_delay_alu instid0(VALU_DEP_1) | instskip(NEXT) | instid1(VALU_DEP_1)
	v_fmac_f32_e32 v12, v5, v136
	v_fmac_f32_e32 v12, v6, v137
	s_waitcnt vmcnt(6)
	s_delay_alu instid0(VALU_DEP_1) | instskip(SKIP_3) | instid1(VALU_DEP_1)
	v_fmac_f32_e32 v12, v7, v138
	ds_load_2addr_b64 v[4:7], v2 offset0:39 offset1:40
	s_waitcnt lgkmcnt(1)
	v_fmac_f32_e32 v12, v8, v139
	v_fmac_f32_e32 v12, v9, v140
	s_delay_alu instid0(VALU_DEP_1) | instskip(SKIP_4) | instid1(VALU_DEP_1)
	v_fmac_f32_e32 v12, v10, v141
	ds_load_2addr_b64 v[8:11], v2 offset0:41 offset1:42
	s_waitcnt vmcnt(5)
	v_fmac_f32_e32 v12, v111, v142
	s_waitcnt lgkmcnt(1)
	v_fmac_f32_e32 v12, v112, v4
	s_delay_alu instid0(VALU_DEP_1) | instskip(NEXT) | instid1(VALU_DEP_1)
	v_fmac_f32_e32 v12, v113, v5
	v_fmac_f32_e32 v12, v114, v6
	s_waitcnt vmcnt(4)
	s_delay_alu instid0(VALU_DEP_1) | instskip(SKIP_3) | instid1(VALU_DEP_1)
	v_fmac_f32_e32 v12, v115, v7
	ds_load_2addr_b64 v[4:7], v2 offset0:43 offset1:44
	s_waitcnt lgkmcnt(1)
	v_fmac_f32_e32 v12, v116, v8
	v_fmac_f32_e32 v12, v117, v9
	s_delay_alu instid0(VALU_DEP_1) | instskip(SKIP_1) | instid1(VALU_DEP_1)
	v_fmac_f32_e32 v12, v118, v10
	s_waitcnt vmcnt(3)
	v_fmac_f32_e32 v12, v119, v11
	ds_load_2addr_b64 v[8:11], v2 offset0:45 offset1:46
	s_waitcnt lgkmcnt(1)
	v_fmac_f32_e32 v12, v120, v4
	s_delay_alu instid0(VALU_DEP_1) | instskip(NEXT) | instid1(VALU_DEP_1)
	v_fmac_f32_e32 v12, v121, v5
	v_fmac_f32_e32 v12, v122, v6
	s_waitcnt vmcnt(2)
	s_delay_alu instid0(VALU_DEP_1) | instskip(SKIP_3) | instid1(VALU_DEP_1)
	v_fmac_f32_e32 v12, v123, v7
	ds_load_2addr_b64 v[4:7], v2 offset0:47 offset1:48
	s_waitcnt lgkmcnt(1)
	v_fmac_f32_e32 v12, v124, v8
	v_fmac_f32_e32 v12, v125, v9
	ds_load_b64 v[8:9], v2 offset:392
	v_fmac_f32_e32 v12, v126, v10
	s_waitcnt vmcnt(1)
	s_delay_alu instid0(VALU_DEP_1) | instskip(SKIP_1) | instid1(VALU_DEP_1)
	v_fmac_f32_e32 v12, v127, v11
	s_waitcnt lgkmcnt(1)
	v_fmac_f32_e32 v12, v128, v4
	ds_load_b32 v4, v2 offset:400
	v_fmac_f32_e32 v12, v129, v5
	s_delay_alu instid0(VALU_DEP_1) | instskip(SKIP_1) | instid1(VALU_DEP_1)
	v_fmac_f32_e32 v12, v130, v6
	s_waitcnt vmcnt(0)
	v_fmac_f32_e32 v12, v131, v7
	s_waitcnt lgkmcnt(1)
	s_delay_alu instid0(VALU_DEP_1) | instskip(NEXT) | instid1(VALU_DEP_1)
	v_fmac_f32_e32 v12, v132, v8
	v_fmac_f32_e32 v12, v133, v9
	s_waitcnt lgkmcnt(0)
	s_delay_alu instid0(VALU_DEP_1) | instskip(NEXT) | instid1(VALU_DEP_1)
	v_fmac_f32_e32 v12, v134, v4
	v_sub_f32_e32 v3, v3, v12
	scratch_store_b32 off, v3, off offset:68
	v_cmpx_lt_u32_e32 16, v0
	s_cbranch_execz .LBB112_269
; %bb.268:
	scratch_load_b32 v3, off, off offset:64
	scratch_store_b32 off, v2, off offset:64
	s_waitcnt vmcnt(0)
	ds_store_b32 v1, v3
.LBB112_269:
	s_or_b32 exec_lo, exec_lo, s0
	s_waitcnt lgkmcnt(0)
	s_waitcnt_vscnt null, 0x0
	s_barrier
	buffer_gl0_inv
	s_clause 0x8
	scratch_load_b128 v[3:6], off, off offset:64
	scratch_load_b128 v[7:10], off, off offset:80
	;; [unrolled: 1-line block ×8, first 2 shown]
	scratch_load_b32 v141, off, off offset:192
	ds_load_2addr_b32 v[11:12], v2 offset0:69 offset1:70
	ds_load_2addr_b32 v[135:136], v2 offset0:71 offset1:72
	ds_load_2addr_b32 v[137:138], v2 offset0:73 offset1:74
	ds_load_2addr_b32 v[139:140], v2 offset0:75 offset1:76
	s_mov_b32 s0, exec_lo
	s_waitcnt vmcnt(8) lgkmcnt(3)
	v_fma_f32 v142, v4, v11, 0
	s_delay_alu instid0(VALU_DEP_1) | instskip(SKIP_4) | instid1(VALU_DEP_1)
	v_fmac_f32_e32 v142, v5, v12
	ds_load_2addr_b32 v[4:5], v2 offset0:77 offset1:78
	s_waitcnt lgkmcnt(3)
	v_fmac_f32_e32 v142, v6, v135
	s_waitcnt vmcnt(7)
	v_fmac_f32_e32 v142, v7, v136
	ds_load_2addr_b32 v[6:7], v2 offset0:79 offset1:80
	s_waitcnt lgkmcnt(3)
	v_fmac_f32_e32 v142, v8, v137
	s_delay_alu instid0(VALU_DEP_1) | instskip(SKIP_1) | instid1(VALU_DEP_1)
	v_fmac_f32_e32 v142, v9, v138
	s_waitcnt lgkmcnt(2)
	v_fmac_f32_e32 v142, v10, v139
	ds_load_2addr_b32 v[8:9], v2 offset0:81 offset1:82
	ds_load_2addr_b32 v[10:11], v2 offset0:83 offset1:84
	s_waitcnt vmcnt(6)
	v_fmac_f32_e32 v142, v111, v140
	s_waitcnt lgkmcnt(3)
	s_delay_alu instid0(VALU_DEP_1) | instskip(NEXT) | instid1(VALU_DEP_1)
	v_fmac_f32_e32 v142, v112, v4
	v_fmac_f32_e32 v142, v113, v5
	ds_load_2addr_b32 v[4:5], v2 offset0:85 offset1:86
	s_waitcnt lgkmcnt(3)
	v_fmac_f32_e32 v142, v114, v6
	s_waitcnt vmcnt(5)
	s_delay_alu instid0(VALU_DEP_1) | instskip(SKIP_3) | instid1(VALU_DEP_1)
	v_fmac_f32_e32 v142, v115, v7
	ds_load_2addr_b32 v[6:7], v2 offset0:87 offset1:88
	s_waitcnt lgkmcnt(3)
	v_fmac_f32_e32 v142, v116, v8
	v_fmac_f32_e32 v142, v117, v9
	s_waitcnt lgkmcnt(2)
	s_delay_alu instid0(VALU_DEP_1) | instskip(SKIP_1) | instid1(VALU_DEP_1)
	v_fmac_f32_e32 v142, v118, v10
	s_waitcnt vmcnt(4)
	v_fmac_f32_e32 v142, v119, v11
	ds_load_2addr_b32 v[8:9], v2 offset0:89 offset1:90
	ds_load_2addr_b32 v[10:11], v2 offset0:91 offset1:92
	s_waitcnt lgkmcnt(3)
	v_fmac_f32_e32 v142, v120, v4
	s_delay_alu instid0(VALU_DEP_1) | instskip(SKIP_4) | instid1(VALU_DEP_1)
	v_fmac_f32_e32 v142, v121, v5
	ds_load_2addr_b32 v[4:5], v2 offset0:93 offset1:94
	s_waitcnt lgkmcnt(3)
	v_fmac_f32_e32 v142, v122, v6
	s_waitcnt vmcnt(3)
	v_fmac_f32_e32 v142, v123, v7
	ds_load_2addr_b32 v[6:7], v2 offset0:95 offset1:96
	s_waitcnt lgkmcnt(3)
	v_fmac_f32_e32 v142, v124, v8
	s_delay_alu instid0(VALU_DEP_1) | instskip(SKIP_1) | instid1(VALU_DEP_1)
	v_fmac_f32_e32 v142, v125, v9
	s_waitcnt lgkmcnt(2)
	v_fmac_f32_e32 v142, v126, v10
	s_waitcnt vmcnt(2)
	s_delay_alu instid0(VALU_DEP_1) | instskip(SKIP_4) | instid1(VALU_DEP_1)
	v_fmac_f32_e32 v142, v127, v11
	ds_load_2addr_b32 v[8:9], v2 offset0:97 offset1:98
	ds_load_2addr_b32 v[10:11], v2 offset0:99 offset1:100
	s_waitcnt lgkmcnt(3)
	v_fmac_f32_e32 v142, v128, v4
	v_fmac_f32_e32 v142, v129, v5
	s_waitcnt lgkmcnt(2)
	s_delay_alu instid0(VALU_DEP_1) | instskip(SKIP_1) | instid1(VALU_DEP_1)
	v_fmac_f32_e32 v142, v130, v6
	s_waitcnt vmcnt(1)
	v_fmac_f32_e32 v142, v131, v7
	s_waitcnt lgkmcnt(1)
	s_delay_alu instid0(VALU_DEP_1) | instskip(NEXT) | instid1(VALU_DEP_1)
	v_fmac_f32_e32 v142, v132, v8
	v_fmac_f32_e32 v142, v133, v9
	s_waitcnt lgkmcnt(0)
	s_delay_alu instid0(VALU_DEP_1) | instskip(SKIP_1) | instid1(VALU_DEP_1)
	v_fmac_f32_e32 v142, v134, v10
	s_waitcnt vmcnt(0)
	v_fmac_f32_e32 v142, v141, v11
	s_delay_alu instid0(VALU_DEP_1)
	v_sub_f32_e32 v2, v3, v142
	scratch_store_b32 off, v2, off offset:64
	v_cmpx_lt_u32_e32 15, v0
	s_cbranch_execz .LBB112_271
; %bb.270:
	scratch_load_b32 v2, off, off offset:60
	v_mov_b32_e32 v3, 0
	scratch_store_b32 off, v3, off offset:60
	s_waitcnt vmcnt(0)
	ds_store_b32 v1, v2
.LBB112_271:
	s_or_b32 exec_lo, exec_lo, s0
	s_waitcnt lgkmcnt(0)
	s_waitcnt_vscnt null, 0x0
	s_barrier
	buffer_gl0_inv
	s_clause 0x8
	scratch_load_b128 v[3:6], off, off offset:60
	scratch_load_b128 v[7:10], off, off offset:76
	;; [unrolled: 1-line block ×8, first 2 shown]
	scratch_load_b64 v[143:144], off, off offset:188
	v_mov_b32_e32 v2, 0
	ds_load_b128 v[135:138], v2 offset:272
	ds_load_b128 v[139:142], v2 offset:288
	s_mov_b32 s0, exec_lo
	s_waitcnt vmcnt(8) lgkmcnt(1)
	v_fma_f32 v12, v4, v135, 0
	s_delay_alu instid0(VALU_DEP_1) | instskip(NEXT) | instid1(VALU_DEP_1)
	v_fmac_f32_e32 v12, v5, v136
	v_fmac_f32_e32 v12, v6, v137
	s_waitcnt vmcnt(7)
	s_delay_alu instid0(VALU_DEP_1) | instskip(SKIP_3) | instid1(VALU_DEP_1)
	v_fmac_f32_e32 v12, v7, v138
	ds_load_b128 v[4:7], v2 offset:304
	s_waitcnt lgkmcnt(1)
	v_fmac_f32_e32 v12, v8, v139
	v_fmac_f32_e32 v12, v9, v140
	s_delay_alu instid0(VALU_DEP_1) | instskip(SKIP_4) | instid1(VALU_DEP_1)
	v_fmac_f32_e32 v12, v10, v141
	ds_load_b128 v[8:11], v2 offset:320
	s_waitcnt vmcnt(6)
	v_fmac_f32_e32 v12, v111, v142
	s_waitcnt lgkmcnt(1)
	v_fmac_f32_e32 v12, v112, v4
	s_delay_alu instid0(VALU_DEP_1) | instskip(NEXT) | instid1(VALU_DEP_1)
	v_fmac_f32_e32 v12, v113, v5
	v_fmac_f32_e32 v12, v114, v6
	s_waitcnt vmcnt(5)
	s_delay_alu instid0(VALU_DEP_1) | instskip(SKIP_3) | instid1(VALU_DEP_1)
	v_fmac_f32_e32 v12, v115, v7
	ds_load_b128 v[4:7], v2 offset:336
	s_waitcnt lgkmcnt(1)
	v_fmac_f32_e32 v12, v116, v8
	v_fmac_f32_e32 v12, v117, v9
	s_delay_alu instid0(VALU_DEP_1) | instskip(SKIP_1) | instid1(VALU_DEP_1)
	v_fmac_f32_e32 v12, v118, v10
	s_waitcnt vmcnt(4)
	v_fmac_f32_e32 v12, v119, v11
	ds_load_b128 v[8:11], v2 offset:352
	s_waitcnt lgkmcnt(1)
	v_fmac_f32_e32 v12, v120, v4
	s_delay_alu instid0(VALU_DEP_1) | instskip(NEXT) | instid1(VALU_DEP_1)
	v_fmac_f32_e32 v12, v121, v5
	v_fmac_f32_e32 v12, v122, v6
	s_waitcnt vmcnt(3)
	s_delay_alu instid0(VALU_DEP_1) | instskip(SKIP_3) | instid1(VALU_DEP_1)
	v_fmac_f32_e32 v12, v123, v7
	ds_load_b128 v[4:7], v2 offset:368
	s_waitcnt lgkmcnt(1)
	v_fmac_f32_e32 v12, v124, v8
	v_fmac_f32_e32 v12, v125, v9
	s_delay_alu instid0(VALU_DEP_1) | instskip(SKIP_1) | instid1(VALU_DEP_1)
	v_fmac_f32_e32 v12, v126, v10
	s_waitcnt vmcnt(2)
	v_fmac_f32_e32 v12, v127, v11
	ds_load_b128 v[8:11], v2 offset:384
	s_waitcnt lgkmcnt(1)
	v_fmac_f32_e32 v12, v128, v4
	ds_load_b32 v4, v2 offset:400
	v_fmac_f32_e32 v12, v129, v5
	s_delay_alu instid0(VALU_DEP_1) | instskip(SKIP_1) | instid1(VALU_DEP_1)
	v_fmac_f32_e32 v12, v130, v6
	s_waitcnt vmcnt(1)
	v_fmac_f32_e32 v12, v131, v7
	s_waitcnt lgkmcnt(1)
	s_delay_alu instid0(VALU_DEP_1) | instskip(NEXT) | instid1(VALU_DEP_1)
	v_fmac_f32_e32 v12, v132, v8
	v_fmac_f32_e32 v12, v133, v9
	s_delay_alu instid0(VALU_DEP_1) | instskip(SKIP_1) | instid1(VALU_DEP_1)
	v_fmac_f32_e32 v12, v134, v10
	s_waitcnt vmcnt(0)
	v_fmac_f32_e32 v12, v143, v11
	s_waitcnt lgkmcnt(0)
	s_delay_alu instid0(VALU_DEP_1) | instskip(NEXT) | instid1(VALU_DEP_1)
	v_fmac_f32_e32 v12, v144, v4
	v_sub_f32_e32 v3, v3, v12
	scratch_store_b32 off, v3, off offset:60
	v_cmpx_lt_u32_e32 14, v0
	s_cbranch_execz .LBB112_273
; %bb.272:
	scratch_load_b32 v3, off, off offset:56
	scratch_store_b32 off, v2, off offset:56
	s_waitcnt vmcnt(0)
	ds_store_b32 v1, v3
.LBB112_273:
	s_or_b32 exec_lo, exec_lo, s0
	s_waitcnt lgkmcnt(0)
	s_waitcnt_vscnt null, 0x0
	s_barrier
	buffer_gl0_inv
	s_clause 0x8
	scratch_load_b128 v[3:6], off, off offset:56
	scratch_load_b128 v[7:10], off, off offset:72
	;; [unrolled: 1-line block ×8, first 2 shown]
	scratch_load_b96 v[135:137], off, off offset:184
	ds_load_2addr_b32 v[11:12], v2 offset0:67 offset1:68
	ds_load_2addr_b32 v[138:139], v2 offset0:69 offset1:70
	;; [unrolled: 1-line block ×3, first 2 shown]
	s_mov_b32 s0, exec_lo
	s_waitcnt vmcnt(8) lgkmcnt(2)
	v_fma_f32 v11, v4, v11, 0
	s_delay_alu instid0(VALU_DEP_1) | instskip(SKIP_4) | instid1(VALU_DEP_1)
	v_fmac_f32_e32 v11, v5, v12
	ds_load_2addr_b32 v[4:5], v2 offset0:73 offset1:74
	s_waitcnt lgkmcnt(2)
	v_fmac_f32_e32 v11, v6, v138
	s_waitcnt vmcnt(7)
	v_fmac_f32_e32 v11, v7, v139
	ds_load_2addr_b32 v[6:7], v2 offset0:75 offset1:76
	s_waitcnt lgkmcnt(2)
	v_fmac_f32_e32 v11, v8, v140
	s_delay_alu instid0(VALU_DEP_1) | instskip(SKIP_4) | instid1(VALU_DEP_1)
	v_fmac_f32_e32 v11, v9, v141
	ds_load_2addr_b32 v[8:9], v2 offset0:77 offset1:78
	s_waitcnt lgkmcnt(2)
	v_fmac_f32_e32 v11, v10, v4
	s_waitcnt vmcnt(6)
	v_fmac_f32_e32 v11, v111, v5
	ds_load_2addr_b32 v[4:5], v2 offset0:79 offset1:80
	s_waitcnt lgkmcnt(2)
	v_fmac_f32_e32 v11, v112, v6
	;; [unrolled: 10-line block ×7, first 2 shown]
	s_delay_alu instid0(VALU_DEP_1) | instskip(SKIP_1) | instid1(VALU_DEP_1)
	v_fmac_f32_e32 v11, v133, v9
	s_waitcnt lgkmcnt(1)
	v_fmac_f32_e32 v11, v134, v4
	s_waitcnt vmcnt(0)
	s_delay_alu instid0(VALU_DEP_1) | instskip(SKIP_1) | instid1(VALU_DEP_1)
	v_fmac_f32_e32 v11, v135, v5
	s_waitcnt lgkmcnt(0)
	v_fmac_f32_e32 v11, v136, v6
	s_delay_alu instid0(VALU_DEP_1) | instskip(NEXT) | instid1(VALU_DEP_1)
	v_fmac_f32_e32 v11, v137, v7
	v_sub_f32_e32 v2, v3, v11
	scratch_store_b32 off, v2, off offset:56
	v_cmpx_lt_u32_e32 13, v0
	s_cbranch_execz .LBB112_275
; %bb.274:
	scratch_load_b32 v2, off, off offset:52
	v_mov_b32_e32 v3, 0
	scratch_store_b32 off, v3, off offset:52
	s_waitcnt vmcnt(0)
	ds_store_b32 v1, v2
.LBB112_275:
	s_or_b32 exec_lo, exec_lo, s0
	s_waitcnt lgkmcnt(0)
	s_waitcnt_vscnt null, 0x0
	s_barrier
	buffer_gl0_inv
	s_clause 0x8
	scratch_load_b128 v[3:6], off, off offset:52
	scratch_load_b128 v[7:10], off, off offset:68
	;; [unrolled: 1-line block ×9, first 2 shown]
	v_mov_b32_e32 v2, 0
	ds_load_2addr_b64 v[139:142], v2 offset0:33 offset1:34
	ds_load_2addr_b64 v[143:146], v2 offset0:35 offset1:36
	s_mov_b32 s0, exec_lo
	s_waitcnt vmcnt(8) lgkmcnt(1)
	v_fma_f32 v12, v4, v139, 0
	s_delay_alu instid0(VALU_DEP_1) | instskip(NEXT) | instid1(VALU_DEP_1)
	v_fmac_f32_e32 v12, v5, v140
	v_fmac_f32_e32 v12, v6, v141
	s_waitcnt vmcnt(7)
	s_delay_alu instid0(VALU_DEP_1) | instskip(SKIP_3) | instid1(VALU_DEP_1)
	v_fmac_f32_e32 v12, v7, v142
	ds_load_2addr_b64 v[4:7], v2 offset0:37 offset1:38
	s_waitcnt lgkmcnt(1)
	v_fmac_f32_e32 v12, v8, v143
	v_fmac_f32_e32 v12, v9, v144
	s_delay_alu instid0(VALU_DEP_1) | instskip(SKIP_4) | instid1(VALU_DEP_1)
	v_fmac_f32_e32 v12, v10, v145
	ds_load_2addr_b64 v[8:11], v2 offset0:39 offset1:40
	s_waitcnt vmcnt(6)
	v_fmac_f32_e32 v12, v111, v146
	s_waitcnt lgkmcnt(1)
	v_fmac_f32_e32 v12, v112, v4
	s_delay_alu instid0(VALU_DEP_1) | instskip(NEXT) | instid1(VALU_DEP_1)
	v_fmac_f32_e32 v12, v113, v5
	v_fmac_f32_e32 v12, v114, v6
	s_waitcnt vmcnt(5)
	s_delay_alu instid0(VALU_DEP_1) | instskip(SKIP_3) | instid1(VALU_DEP_1)
	v_fmac_f32_e32 v12, v115, v7
	ds_load_2addr_b64 v[4:7], v2 offset0:41 offset1:42
	s_waitcnt lgkmcnt(1)
	v_fmac_f32_e32 v12, v116, v8
	v_fmac_f32_e32 v12, v117, v9
	s_delay_alu instid0(VALU_DEP_1) | instskip(SKIP_1) | instid1(VALU_DEP_1)
	v_fmac_f32_e32 v12, v118, v10
	s_waitcnt vmcnt(4)
	v_fmac_f32_e32 v12, v119, v11
	ds_load_2addr_b64 v[8:11], v2 offset0:43 offset1:44
	s_waitcnt lgkmcnt(1)
	v_fmac_f32_e32 v12, v120, v4
	s_delay_alu instid0(VALU_DEP_1) | instskip(NEXT) | instid1(VALU_DEP_1)
	v_fmac_f32_e32 v12, v121, v5
	v_fmac_f32_e32 v12, v122, v6
	s_waitcnt vmcnt(3)
	s_delay_alu instid0(VALU_DEP_1) | instskip(SKIP_3) | instid1(VALU_DEP_1)
	v_fmac_f32_e32 v12, v123, v7
	ds_load_2addr_b64 v[4:7], v2 offset0:45 offset1:46
	s_waitcnt lgkmcnt(1)
	v_fmac_f32_e32 v12, v124, v8
	v_fmac_f32_e32 v12, v125, v9
	s_delay_alu instid0(VALU_DEP_1) | instskip(SKIP_1) | instid1(VALU_DEP_1)
	v_fmac_f32_e32 v12, v126, v10
	s_waitcnt vmcnt(2)
	v_fmac_f32_e32 v12, v127, v11
	ds_load_2addr_b64 v[8:11], v2 offset0:47 offset1:48
	s_waitcnt lgkmcnt(1)
	v_fmac_f32_e32 v12, v128, v4
	s_delay_alu instid0(VALU_DEP_1)
	v_fmac_f32_e32 v12, v129, v5
	ds_load_b64 v[4:5], v2 offset:392
	v_fmac_f32_e32 v12, v130, v6
	ds_load_b32 v6, v2 offset:400
	s_waitcnt vmcnt(1)
	v_fmac_f32_e32 v12, v131, v7
	s_waitcnt lgkmcnt(2)
	s_delay_alu instid0(VALU_DEP_1) | instskip(NEXT) | instid1(VALU_DEP_1)
	v_fmac_f32_e32 v12, v132, v8
	v_fmac_f32_e32 v12, v133, v9
	s_delay_alu instid0(VALU_DEP_1) | instskip(SKIP_1) | instid1(VALU_DEP_1)
	v_fmac_f32_e32 v12, v134, v10
	s_waitcnt vmcnt(0)
	v_fmac_f32_e32 v12, v135, v11
	s_waitcnt lgkmcnt(1)
	s_delay_alu instid0(VALU_DEP_1) | instskip(NEXT) | instid1(VALU_DEP_1)
	v_fmac_f32_e32 v12, v136, v4
	v_fmac_f32_e32 v12, v137, v5
	s_waitcnt lgkmcnt(0)
	s_delay_alu instid0(VALU_DEP_1) | instskip(NEXT) | instid1(VALU_DEP_1)
	v_fmac_f32_e32 v12, v138, v6
	v_sub_f32_e32 v3, v3, v12
	scratch_store_b32 off, v3, off offset:52
	v_cmpx_lt_u32_e32 12, v0
	s_cbranch_execz .LBB112_277
; %bb.276:
	scratch_load_b32 v3, off, off offset:48
	scratch_store_b32 off, v2, off offset:48
	s_waitcnt vmcnt(0)
	ds_store_b32 v1, v3
.LBB112_277:
	s_or_b32 exec_lo, exec_lo, s0
	s_waitcnt lgkmcnt(0)
	s_waitcnt_vscnt null, 0x0
	s_barrier
	buffer_gl0_inv
	s_clause 0x9
	scratch_load_b128 v[3:6], off, off offset:48
	scratch_load_b128 v[7:10], off, off offset:64
	;; [unrolled: 1-line block ×9, first 2 shown]
	scratch_load_b32 v145, off, off offset:192
	ds_load_2addr_b32 v[11:12], v2 offset0:65 offset1:66
	ds_load_2addr_b32 v[139:140], v2 offset0:67 offset1:68
	;; [unrolled: 1-line block ×4, first 2 shown]
	s_mov_b32 s0, exec_lo
	s_waitcnt vmcnt(9) lgkmcnt(3)
	v_fma_f32 v146, v4, v11, 0
	s_delay_alu instid0(VALU_DEP_1) | instskip(SKIP_4) | instid1(VALU_DEP_1)
	v_fmac_f32_e32 v146, v5, v12
	ds_load_2addr_b32 v[4:5], v2 offset0:73 offset1:74
	s_waitcnt lgkmcnt(3)
	v_fmac_f32_e32 v146, v6, v139
	s_waitcnt vmcnt(8)
	v_fmac_f32_e32 v146, v7, v140
	ds_load_2addr_b32 v[6:7], v2 offset0:75 offset1:76
	s_waitcnt lgkmcnt(3)
	v_fmac_f32_e32 v146, v8, v141
	s_delay_alu instid0(VALU_DEP_1) | instskip(SKIP_1) | instid1(VALU_DEP_1)
	v_fmac_f32_e32 v146, v9, v142
	s_waitcnt lgkmcnt(2)
	v_fmac_f32_e32 v146, v10, v143
	ds_load_2addr_b32 v[8:9], v2 offset0:77 offset1:78
	ds_load_2addr_b32 v[10:11], v2 offset0:79 offset1:80
	s_waitcnt vmcnt(7)
	v_fmac_f32_e32 v146, v111, v144
	s_waitcnt lgkmcnt(3)
	s_delay_alu instid0(VALU_DEP_1) | instskip(NEXT) | instid1(VALU_DEP_1)
	v_fmac_f32_e32 v146, v112, v4
	v_fmac_f32_e32 v146, v113, v5
	ds_load_2addr_b32 v[4:5], v2 offset0:81 offset1:82
	s_waitcnt lgkmcnt(3)
	v_fmac_f32_e32 v146, v114, v6
	s_waitcnt vmcnt(6)
	s_delay_alu instid0(VALU_DEP_1) | instskip(SKIP_3) | instid1(VALU_DEP_1)
	v_fmac_f32_e32 v146, v115, v7
	ds_load_2addr_b32 v[6:7], v2 offset0:83 offset1:84
	s_waitcnt lgkmcnt(3)
	v_fmac_f32_e32 v146, v116, v8
	v_fmac_f32_e32 v146, v117, v9
	s_waitcnt lgkmcnt(2)
	s_delay_alu instid0(VALU_DEP_1) | instskip(SKIP_1) | instid1(VALU_DEP_1)
	v_fmac_f32_e32 v146, v118, v10
	s_waitcnt vmcnt(5)
	v_fmac_f32_e32 v146, v119, v11
	ds_load_2addr_b32 v[8:9], v2 offset0:85 offset1:86
	ds_load_2addr_b32 v[10:11], v2 offset0:87 offset1:88
	s_waitcnt lgkmcnt(3)
	v_fmac_f32_e32 v146, v120, v4
	s_delay_alu instid0(VALU_DEP_1) | instskip(SKIP_4) | instid1(VALU_DEP_1)
	v_fmac_f32_e32 v146, v121, v5
	ds_load_2addr_b32 v[4:5], v2 offset0:89 offset1:90
	s_waitcnt lgkmcnt(3)
	v_fmac_f32_e32 v146, v122, v6
	s_waitcnt vmcnt(4)
	v_fmac_f32_e32 v146, v123, v7
	ds_load_2addr_b32 v[6:7], v2 offset0:91 offset1:92
	s_waitcnt lgkmcnt(3)
	v_fmac_f32_e32 v146, v124, v8
	s_delay_alu instid0(VALU_DEP_1) | instskip(SKIP_1) | instid1(VALU_DEP_1)
	v_fmac_f32_e32 v146, v125, v9
	s_waitcnt lgkmcnt(2)
	v_fmac_f32_e32 v146, v126, v10
	s_waitcnt vmcnt(3)
	s_delay_alu instid0(VALU_DEP_1) | instskip(SKIP_4) | instid1(VALU_DEP_1)
	v_fmac_f32_e32 v146, v127, v11
	ds_load_2addr_b32 v[8:9], v2 offset0:93 offset1:94
	ds_load_2addr_b32 v[10:11], v2 offset0:95 offset1:96
	s_waitcnt lgkmcnt(3)
	v_fmac_f32_e32 v146, v128, v4
	v_fmac_f32_e32 v146, v129, v5
	ds_load_2addr_b32 v[4:5], v2 offset0:97 offset1:98
	s_waitcnt lgkmcnt(3)
	v_fmac_f32_e32 v146, v130, v6
	s_waitcnt vmcnt(2)
	s_delay_alu instid0(VALU_DEP_1) | instskip(SKIP_3) | instid1(VALU_DEP_1)
	v_fmac_f32_e32 v146, v131, v7
	ds_load_2addr_b32 v[6:7], v2 offset0:99 offset1:100
	s_waitcnt lgkmcnt(3)
	v_fmac_f32_e32 v146, v132, v8
	v_fmac_f32_e32 v146, v133, v9
	s_waitcnt lgkmcnt(2)
	s_delay_alu instid0(VALU_DEP_1) | instskip(SKIP_1) | instid1(VALU_DEP_1)
	v_fmac_f32_e32 v146, v134, v10
	s_waitcnt vmcnt(1)
	v_fmac_f32_e32 v146, v135, v11
	s_waitcnt lgkmcnt(1)
	s_delay_alu instid0(VALU_DEP_1) | instskip(NEXT) | instid1(VALU_DEP_1)
	v_fmac_f32_e32 v146, v136, v4
	v_fmac_f32_e32 v146, v137, v5
	s_waitcnt lgkmcnt(0)
	s_delay_alu instid0(VALU_DEP_1) | instskip(SKIP_1) | instid1(VALU_DEP_1)
	v_fmac_f32_e32 v146, v138, v6
	s_waitcnt vmcnt(0)
	v_fmac_f32_e32 v146, v145, v7
	s_delay_alu instid0(VALU_DEP_1)
	v_sub_f32_e32 v2, v3, v146
	scratch_store_b32 off, v2, off offset:48
	v_cmpx_lt_u32_e32 11, v0
	s_cbranch_execz .LBB112_279
; %bb.278:
	scratch_load_b32 v2, off, off offset:44
	v_mov_b32_e32 v3, 0
	scratch_store_b32 off, v3, off offset:44
	s_waitcnt vmcnt(0)
	ds_store_b32 v1, v2
.LBB112_279:
	s_or_b32 exec_lo, exec_lo, s0
	s_waitcnt lgkmcnt(0)
	s_waitcnt_vscnt null, 0x0
	s_barrier
	buffer_gl0_inv
	s_clause 0x9
	scratch_load_b128 v[3:6], off, off offset:44
	scratch_load_b128 v[7:10], off, off offset:60
	;; [unrolled: 1-line block ×9, first 2 shown]
	scratch_load_b64 v[147:148], off, off offset:188
	v_mov_b32_e32 v2, 0
	ds_load_b128 v[139:142], v2 offset:256
	ds_load_b128 v[143:146], v2 offset:272
	s_mov_b32 s0, exec_lo
	s_waitcnt vmcnt(9) lgkmcnt(1)
	v_fma_f32 v12, v4, v139, 0
	s_delay_alu instid0(VALU_DEP_1) | instskip(NEXT) | instid1(VALU_DEP_1)
	v_fmac_f32_e32 v12, v5, v140
	v_fmac_f32_e32 v12, v6, v141
	s_waitcnt vmcnt(8)
	s_delay_alu instid0(VALU_DEP_1) | instskip(SKIP_3) | instid1(VALU_DEP_1)
	v_fmac_f32_e32 v12, v7, v142
	ds_load_b128 v[4:7], v2 offset:288
	s_waitcnt lgkmcnt(1)
	v_fmac_f32_e32 v12, v8, v143
	v_fmac_f32_e32 v12, v9, v144
	s_delay_alu instid0(VALU_DEP_1) | instskip(SKIP_4) | instid1(VALU_DEP_1)
	v_fmac_f32_e32 v12, v10, v145
	ds_load_b128 v[8:11], v2 offset:304
	s_waitcnt vmcnt(7)
	v_fmac_f32_e32 v12, v111, v146
	s_waitcnt lgkmcnt(1)
	v_fmac_f32_e32 v12, v112, v4
	s_delay_alu instid0(VALU_DEP_1) | instskip(NEXT) | instid1(VALU_DEP_1)
	v_fmac_f32_e32 v12, v113, v5
	v_fmac_f32_e32 v12, v114, v6
	s_waitcnt vmcnt(6)
	s_delay_alu instid0(VALU_DEP_1) | instskip(SKIP_3) | instid1(VALU_DEP_1)
	v_fmac_f32_e32 v12, v115, v7
	ds_load_b128 v[4:7], v2 offset:320
	s_waitcnt lgkmcnt(1)
	v_fmac_f32_e32 v12, v116, v8
	v_fmac_f32_e32 v12, v117, v9
	s_delay_alu instid0(VALU_DEP_1) | instskip(SKIP_1) | instid1(VALU_DEP_1)
	v_fmac_f32_e32 v12, v118, v10
	s_waitcnt vmcnt(5)
	v_fmac_f32_e32 v12, v119, v11
	ds_load_b128 v[8:11], v2 offset:336
	s_waitcnt lgkmcnt(1)
	v_fmac_f32_e32 v12, v120, v4
	s_delay_alu instid0(VALU_DEP_1) | instskip(NEXT) | instid1(VALU_DEP_1)
	v_fmac_f32_e32 v12, v121, v5
	v_fmac_f32_e32 v12, v122, v6
	s_waitcnt vmcnt(4)
	s_delay_alu instid0(VALU_DEP_1) | instskip(SKIP_3) | instid1(VALU_DEP_1)
	v_fmac_f32_e32 v12, v123, v7
	ds_load_b128 v[4:7], v2 offset:352
	s_waitcnt lgkmcnt(1)
	v_fmac_f32_e32 v12, v124, v8
	v_fmac_f32_e32 v12, v125, v9
	s_delay_alu instid0(VALU_DEP_1) | instskip(SKIP_1) | instid1(VALU_DEP_1)
	v_fmac_f32_e32 v12, v126, v10
	s_waitcnt vmcnt(3)
	v_fmac_f32_e32 v12, v127, v11
	ds_load_b128 v[8:11], v2 offset:368
	s_waitcnt lgkmcnt(1)
	v_fmac_f32_e32 v12, v128, v4
	s_delay_alu instid0(VALU_DEP_1) | instskip(NEXT) | instid1(VALU_DEP_1)
	v_fmac_f32_e32 v12, v129, v5
	v_fmac_f32_e32 v12, v130, v6
	s_waitcnt vmcnt(2)
	s_delay_alu instid0(VALU_DEP_1)
	v_fmac_f32_e32 v12, v131, v7
	ds_load_b128 v[4:7], v2 offset:384
	s_waitcnt lgkmcnt(1)
	v_fmac_f32_e32 v12, v132, v8
	ds_load_b32 v8, v2 offset:400
	v_fmac_f32_e32 v12, v133, v9
	s_delay_alu instid0(VALU_DEP_1) | instskip(SKIP_1) | instid1(VALU_DEP_1)
	v_fmac_f32_e32 v12, v134, v10
	s_waitcnt vmcnt(1)
	v_fmac_f32_e32 v12, v135, v11
	s_waitcnt lgkmcnt(1)
	s_delay_alu instid0(VALU_DEP_1) | instskip(NEXT) | instid1(VALU_DEP_1)
	v_fmac_f32_e32 v12, v136, v4
	v_fmac_f32_e32 v12, v137, v5
	s_delay_alu instid0(VALU_DEP_1) | instskip(SKIP_1) | instid1(VALU_DEP_1)
	v_fmac_f32_e32 v12, v138, v6
	s_waitcnt vmcnt(0)
	v_fmac_f32_e32 v12, v147, v7
	s_waitcnt lgkmcnt(0)
	s_delay_alu instid0(VALU_DEP_1) | instskip(NEXT) | instid1(VALU_DEP_1)
	v_fmac_f32_e32 v12, v148, v8
	v_sub_f32_e32 v3, v3, v12
	scratch_store_b32 off, v3, off offset:44
	v_cmpx_lt_u32_e32 10, v0
	s_cbranch_execz .LBB112_281
; %bb.280:
	scratch_load_b32 v3, off, off offset:40
	scratch_store_b32 off, v2, off offset:40
	s_waitcnt vmcnt(0)
	ds_store_b32 v1, v3
.LBB112_281:
	s_or_b32 exec_lo, exec_lo, s0
	s_waitcnt lgkmcnt(0)
	s_waitcnt_vscnt null, 0x0
	s_barrier
	buffer_gl0_inv
	s_clause 0x9
	scratch_load_b128 v[3:6], off, off offset:40
	scratch_load_b128 v[7:10], off, off offset:56
	;; [unrolled: 1-line block ×9, first 2 shown]
	scratch_load_b96 v[139:141], off, off offset:184
	ds_load_2addr_b32 v[11:12], v2 offset0:63 offset1:64
	ds_load_2addr_b32 v[142:143], v2 offset0:65 offset1:66
	;; [unrolled: 1-line block ×4, first 2 shown]
	s_mov_b32 s0, exec_lo
	s_waitcnt vmcnt(9) lgkmcnt(3)
	v_fma_f32 v148, v4, v11, 0
	s_delay_alu instid0(VALU_DEP_1) | instskip(SKIP_4) | instid1(VALU_DEP_1)
	v_fmac_f32_e32 v148, v5, v12
	ds_load_2addr_b32 v[4:5], v2 offset0:71 offset1:72
	s_waitcnt lgkmcnt(3)
	v_fmac_f32_e32 v148, v6, v142
	s_waitcnt vmcnt(8)
	v_fmac_f32_e32 v148, v7, v143
	ds_load_2addr_b32 v[6:7], v2 offset0:73 offset1:74
	s_waitcnt lgkmcnt(3)
	v_fmac_f32_e32 v148, v8, v144
	s_delay_alu instid0(VALU_DEP_1) | instskip(SKIP_1) | instid1(VALU_DEP_1)
	v_fmac_f32_e32 v148, v9, v145
	s_waitcnt lgkmcnt(2)
	v_fmac_f32_e32 v148, v10, v146
	ds_load_2addr_b32 v[8:9], v2 offset0:75 offset1:76
	ds_load_2addr_b32 v[10:11], v2 offset0:77 offset1:78
	s_waitcnt vmcnt(7)
	v_fmac_f32_e32 v148, v111, v147
	s_waitcnt lgkmcnt(3)
	s_delay_alu instid0(VALU_DEP_1) | instskip(NEXT) | instid1(VALU_DEP_1)
	v_fmac_f32_e32 v148, v112, v4
	v_fmac_f32_e32 v148, v113, v5
	ds_load_2addr_b32 v[4:5], v2 offset0:79 offset1:80
	s_waitcnt lgkmcnt(3)
	v_fmac_f32_e32 v148, v114, v6
	s_waitcnt vmcnt(6)
	s_delay_alu instid0(VALU_DEP_1) | instskip(SKIP_3) | instid1(VALU_DEP_1)
	v_fmac_f32_e32 v148, v115, v7
	ds_load_2addr_b32 v[6:7], v2 offset0:81 offset1:82
	s_waitcnt lgkmcnt(3)
	v_fmac_f32_e32 v148, v116, v8
	v_fmac_f32_e32 v148, v117, v9
	s_waitcnt lgkmcnt(2)
	s_delay_alu instid0(VALU_DEP_1) | instskip(SKIP_1) | instid1(VALU_DEP_1)
	v_fmac_f32_e32 v148, v118, v10
	s_waitcnt vmcnt(5)
	v_fmac_f32_e32 v148, v119, v11
	ds_load_2addr_b32 v[8:9], v2 offset0:83 offset1:84
	ds_load_2addr_b32 v[10:11], v2 offset0:85 offset1:86
	s_waitcnt lgkmcnt(3)
	v_fmac_f32_e32 v148, v120, v4
	s_delay_alu instid0(VALU_DEP_1) | instskip(SKIP_4) | instid1(VALU_DEP_1)
	v_fmac_f32_e32 v148, v121, v5
	ds_load_2addr_b32 v[4:5], v2 offset0:87 offset1:88
	s_waitcnt lgkmcnt(3)
	v_fmac_f32_e32 v148, v122, v6
	s_waitcnt vmcnt(4)
	v_fmac_f32_e32 v148, v123, v7
	ds_load_2addr_b32 v[6:7], v2 offset0:89 offset1:90
	s_waitcnt lgkmcnt(3)
	v_fmac_f32_e32 v148, v124, v8
	s_delay_alu instid0(VALU_DEP_1) | instskip(SKIP_1) | instid1(VALU_DEP_1)
	v_fmac_f32_e32 v148, v125, v9
	s_waitcnt lgkmcnt(2)
	v_fmac_f32_e32 v148, v126, v10
	s_waitcnt vmcnt(3)
	s_delay_alu instid0(VALU_DEP_1) | instskip(SKIP_4) | instid1(VALU_DEP_1)
	v_fmac_f32_e32 v148, v127, v11
	ds_load_2addr_b32 v[8:9], v2 offset0:91 offset1:92
	ds_load_2addr_b32 v[10:11], v2 offset0:93 offset1:94
	s_waitcnt lgkmcnt(3)
	v_fmac_f32_e32 v148, v128, v4
	v_fmac_f32_e32 v148, v129, v5
	ds_load_2addr_b32 v[4:5], v2 offset0:95 offset1:96
	s_waitcnt lgkmcnt(3)
	v_fmac_f32_e32 v148, v130, v6
	s_waitcnt vmcnt(2)
	s_delay_alu instid0(VALU_DEP_1) | instskip(SKIP_3) | instid1(VALU_DEP_1)
	v_fmac_f32_e32 v148, v131, v7
	ds_load_2addr_b32 v[6:7], v2 offset0:97 offset1:98
	s_waitcnt lgkmcnt(3)
	v_fmac_f32_e32 v148, v132, v8
	v_fmac_f32_e32 v148, v133, v9
	ds_load_2addr_b32 v[8:9], v2 offset0:99 offset1:100
	s_waitcnt lgkmcnt(3)
	v_fmac_f32_e32 v148, v134, v10
	s_waitcnt vmcnt(1)
	s_delay_alu instid0(VALU_DEP_1) | instskip(SKIP_1) | instid1(VALU_DEP_1)
	v_fmac_f32_e32 v148, v135, v11
	s_waitcnt lgkmcnt(2)
	v_fmac_f32_e32 v148, v136, v4
	s_delay_alu instid0(VALU_DEP_1) | instskip(SKIP_1) | instid1(VALU_DEP_1)
	v_fmac_f32_e32 v148, v137, v5
	s_waitcnt lgkmcnt(1)
	v_fmac_f32_e32 v148, v138, v6
	s_waitcnt vmcnt(0)
	s_delay_alu instid0(VALU_DEP_1) | instskip(SKIP_1) | instid1(VALU_DEP_1)
	v_fmac_f32_e32 v148, v139, v7
	s_waitcnt lgkmcnt(0)
	v_fmac_f32_e32 v148, v140, v8
	s_delay_alu instid0(VALU_DEP_1) | instskip(NEXT) | instid1(VALU_DEP_1)
	v_fmac_f32_e32 v148, v141, v9
	v_sub_f32_e32 v2, v3, v148
	scratch_store_b32 off, v2, off offset:40
	v_cmpx_lt_u32_e32 9, v0
	s_cbranch_execz .LBB112_283
; %bb.282:
	scratch_load_b32 v2, off, off offset:36
	v_mov_b32_e32 v3, 0
	scratch_store_b32 off, v3, off offset:36
	s_waitcnt vmcnt(0)
	ds_store_b32 v1, v2
.LBB112_283:
	s_or_b32 exec_lo, exec_lo, s0
	s_waitcnt lgkmcnt(0)
	s_waitcnt_vscnt null, 0x0
	s_barrier
	buffer_gl0_inv
	s_clause 0x9
	scratch_load_b128 v[3:6], off, off offset:36
	scratch_load_b128 v[7:10], off, off offset:52
	;; [unrolled: 1-line block ×10, first 2 shown]
	v_mov_b32_e32 v2, 0
	ds_load_2addr_b64 v[143:146], v2 offset0:31 offset1:32
	ds_load_2addr_b64 v[147:150], v2 offset0:33 offset1:34
	s_mov_b32 s0, exec_lo
	s_waitcnt vmcnt(9) lgkmcnt(1)
	v_fma_f32 v12, v4, v143, 0
	s_delay_alu instid0(VALU_DEP_1) | instskip(NEXT) | instid1(VALU_DEP_1)
	v_fmac_f32_e32 v12, v5, v144
	v_fmac_f32_e32 v12, v6, v145
	s_waitcnt vmcnt(8)
	s_delay_alu instid0(VALU_DEP_1) | instskip(SKIP_3) | instid1(VALU_DEP_1)
	v_fmac_f32_e32 v12, v7, v146
	ds_load_2addr_b64 v[4:7], v2 offset0:35 offset1:36
	s_waitcnt lgkmcnt(1)
	v_fmac_f32_e32 v12, v8, v147
	v_fmac_f32_e32 v12, v9, v148
	s_delay_alu instid0(VALU_DEP_1) | instskip(SKIP_4) | instid1(VALU_DEP_1)
	v_fmac_f32_e32 v12, v10, v149
	ds_load_2addr_b64 v[8:11], v2 offset0:37 offset1:38
	s_waitcnt vmcnt(7)
	v_fmac_f32_e32 v12, v111, v150
	s_waitcnt lgkmcnt(1)
	v_fmac_f32_e32 v12, v112, v4
	s_delay_alu instid0(VALU_DEP_1) | instskip(NEXT) | instid1(VALU_DEP_1)
	v_fmac_f32_e32 v12, v113, v5
	v_fmac_f32_e32 v12, v114, v6
	s_waitcnt vmcnt(6)
	s_delay_alu instid0(VALU_DEP_1) | instskip(SKIP_3) | instid1(VALU_DEP_1)
	v_fmac_f32_e32 v12, v115, v7
	ds_load_2addr_b64 v[4:7], v2 offset0:39 offset1:40
	s_waitcnt lgkmcnt(1)
	v_fmac_f32_e32 v12, v116, v8
	v_fmac_f32_e32 v12, v117, v9
	s_delay_alu instid0(VALU_DEP_1) | instskip(SKIP_1) | instid1(VALU_DEP_1)
	v_fmac_f32_e32 v12, v118, v10
	s_waitcnt vmcnt(5)
	v_fmac_f32_e32 v12, v119, v11
	ds_load_2addr_b64 v[8:11], v2 offset0:41 offset1:42
	s_waitcnt lgkmcnt(1)
	v_fmac_f32_e32 v12, v120, v4
	s_delay_alu instid0(VALU_DEP_1) | instskip(NEXT) | instid1(VALU_DEP_1)
	v_fmac_f32_e32 v12, v121, v5
	v_fmac_f32_e32 v12, v122, v6
	s_waitcnt vmcnt(4)
	s_delay_alu instid0(VALU_DEP_1) | instskip(SKIP_3) | instid1(VALU_DEP_1)
	v_fmac_f32_e32 v12, v123, v7
	ds_load_2addr_b64 v[4:7], v2 offset0:43 offset1:44
	s_waitcnt lgkmcnt(1)
	v_fmac_f32_e32 v12, v124, v8
	v_fmac_f32_e32 v12, v125, v9
	s_delay_alu instid0(VALU_DEP_1) | instskip(SKIP_1) | instid1(VALU_DEP_1)
	v_fmac_f32_e32 v12, v126, v10
	s_waitcnt vmcnt(3)
	v_fmac_f32_e32 v12, v127, v11
	ds_load_2addr_b64 v[8:11], v2 offset0:45 offset1:46
	s_waitcnt lgkmcnt(1)
	v_fmac_f32_e32 v12, v128, v4
	s_delay_alu instid0(VALU_DEP_1) | instskip(NEXT) | instid1(VALU_DEP_1)
	v_fmac_f32_e32 v12, v129, v5
	v_fmac_f32_e32 v12, v130, v6
	s_waitcnt vmcnt(2)
	s_delay_alu instid0(VALU_DEP_1) | instskip(SKIP_3) | instid1(VALU_DEP_1)
	v_fmac_f32_e32 v12, v131, v7
	ds_load_2addr_b64 v[4:7], v2 offset0:47 offset1:48
	s_waitcnt lgkmcnt(1)
	v_fmac_f32_e32 v12, v132, v8
	v_fmac_f32_e32 v12, v133, v9
	ds_load_b64 v[8:9], v2 offset:392
	v_fmac_f32_e32 v12, v134, v10
	s_waitcnt vmcnt(1)
	s_delay_alu instid0(VALU_DEP_1) | instskip(SKIP_1) | instid1(VALU_DEP_1)
	v_fmac_f32_e32 v12, v135, v11
	s_waitcnt lgkmcnt(1)
	v_fmac_f32_e32 v12, v136, v4
	ds_load_b32 v4, v2 offset:400
	v_fmac_f32_e32 v12, v137, v5
	s_delay_alu instid0(VALU_DEP_1) | instskip(SKIP_1) | instid1(VALU_DEP_1)
	v_fmac_f32_e32 v12, v138, v6
	s_waitcnt vmcnt(0)
	v_fmac_f32_e32 v12, v139, v7
	s_waitcnt lgkmcnt(1)
	s_delay_alu instid0(VALU_DEP_1) | instskip(NEXT) | instid1(VALU_DEP_1)
	v_fmac_f32_e32 v12, v140, v8
	v_fmac_f32_e32 v12, v141, v9
	s_waitcnt lgkmcnt(0)
	s_delay_alu instid0(VALU_DEP_1) | instskip(NEXT) | instid1(VALU_DEP_1)
	v_fmac_f32_e32 v12, v142, v4
	v_sub_f32_e32 v3, v3, v12
	scratch_store_b32 off, v3, off offset:36
	v_cmpx_lt_u32_e32 8, v0
	s_cbranch_execz .LBB112_285
; %bb.284:
	scratch_load_b32 v3, off, off offset:32
	scratch_store_b32 off, v2, off offset:32
	s_waitcnt vmcnt(0)
	ds_store_b32 v1, v3
.LBB112_285:
	s_or_b32 exec_lo, exec_lo, s0
	s_waitcnt lgkmcnt(0)
	s_waitcnt_vscnt null, 0x0
	s_barrier
	buffer_gl0_inv
	s_clause 0xa
	scratch_load_b128 v[3:6], off, off offset:32
	scratch_load_b128 v[7:10], off, off offset:48
	;; [unrolled: 1-line block ×10, first 2 shown]
	scratch_load_b32 v149, off, off offset:192
	ds_load_2addr_b32 v[11:12], v2 offset0:61 offset1:62
	ds_load_2addr_b32 v[143:144], v2 offset0:63 offset1:64
	;; [unrolled: 1-line block ×4, first 2 shown]
	s_mov_b32 s0, exec_lo
	s_waitcnt vmcnt(10) lgkmcnt(3)
	v_fma_f32 v150, v4, v11, 0
	s_delay_alu instid0(VALU_DEP_1) | instskip(SKIP_4) | instid1(VALU_DEP_1)
	v_fmac_f32_e32 v150, v5, v12
	ds_load_2addr_b32 v[4:5], v2 offset0:69 offset1:70
	s_waitcnt lgkmcnt(3)
	v_fmac_f32_e32 v150, v6, v143
	s_waitcnt vmcnt(9)
	v_fmac_f32_e32 v150, v7, v144
	ds_load_2addr_b32 v[6:7], v2 offset0:71 offset1:72
	s_waitcnt lgkmcnt(3)
	v_fmac_f32_e32 v150, v8, v145
	s_delay_alu instid0(VALU_DEP_1) | instskip(SKIP_1) | instid1(VALU_DEP_1)
	v_fmac_f32_e32 v150, v9, v146
	s_waitcnt lgkmcnt(2)
	v_fmac_f32_e32 v150, v10, v147
	ds_load_2addr_b32 v[8:9], v2 offset0:73 offset1:74
	ds_load_2addr_b32 v[10:11], v2 offset0:75 offset1:76
	s_waitcnt vmcnt(8)
	v_fmac_f32_e32 v150, v111, v148
	s_waitcnt lgkmcnt(3)
	s_delay_alu instid0(VALU_DEP_1) | instskip(NEXT) | instid1(VALU_DEP_1)
	v_fmac_f32_e32 v150, v112, v4
	v_fmac_f32_e32 v150, v113, v5
	ds_load_2addr_b32 v[4:5], v2 offset0:77 offset1:78
	s_waitcnt lgkmcnt(3)
	v_fmac_f32_e32 v150, v114, v6
	s_waitcnt vmcnt(7)
	s_delay_alu instid0(VALU_DEP_1) | instskip(SKIP_3) | instid1(VALU_DEP_1)
	v_fmac_f32_e32 v150, v115, v7
	ds_load_2addr_b32 v[6:7], v2 offset0:79 offset1:80
	s_waitcnt lgkmcnt(3)
	v_fmac_f32_e32 v150, v116, v8
	v_fmac_f32_e32 v150, v117, v9
	s_waitcnt lgkmcnt(2)
	s_delay_alu instid0(VALU_DEP_1) | instskip(SKIP_1) | instid1(VALU_DEP_1)
	v_fmac_f32_e32 v150, v118, v10
	s_waitcnt vmcnt(6)
	v_fmac_f32_e32 v150, v119, v11
	ds_load_2addr_b32 v[8:9], v2 offset0:81 offset1:82
	ds_load_2addr_b32 v[10:11], v2 offset0:83 offset1:84
	s_waitcnt lgkmcnt(3)
	v_fmac_f32_e32 v150, v120, v4
	s_delay_alu instid0(VALU_DEP_1) | instskip(SKIP_4) | instid1(VALU_DEP_1)
	v_fmac_f32_e32 v150, v121, v5
	ds_load_2addr_b32 v[4:5], v2 offset0:85 offset1:86
	s_waitcnt lgkmcnt(3)
	v_fmac_f32_e32 v150, v122, v6
	s_waitcnt vmcnt(5)
	v_fmac_f32_e32 v150, v123, v7
	ds_load_2addr_b32 v[6:7], v2 offset0:87 offset1:88
	s_waitcnt lgkmcnt(3)
	v_fmac_f32_e32 v150, v124, v8
	s_delay_alu instid0(VALU_DEP_1) | instskip(SKIP_1) | instid1(VALU_DEP_1)
	v_fmac_f32_e32 v150, v125, v9
	s_waitcnt lgkmcnt(2)
	v_fmac_f32_e32 v150, v126, v10
	s_waitcnt vmcnt(4)
	s_delay_alu instid0(VALU_DEP_1) | instskip(SKIP_4) | instid1(VALU_DEP_1)
	v_fmac_f32_e32 v150, v127, v11
	ds_load_2addr_b32 v[8:9], v2 offset0:89 offset1:90
	ds_load_2addr_b32 v[10:11], v2 offset0:91 offset1:92
	s_waitcnt lgkmcnt(3)
	v_fmac_f32_e32 v150, v128, v4
	v_fmac_f32_e32 v150, v129, v5
	ds_load_2addr_b32 v[4:5], v2 offset0:93 offset1:94
	s_waitcnt lgkmcnt(3)
	v_fmac_f32_e32 v150, v130, v6
	s_waitcnt vmcnt(3)
	s_delay_alu instid0(VALU_DEP_1) | instskip(SKIP_3) | instid1(VALU_DEP_1)
	v_fmac_f32_e32 v150, v131, v7
	ds_load_2addr_b32 v[6:7], v2 offset0:95 offset1:96
	s_waitcnt lgkmcnt(3)
	v_fmac_f32_e32 v150, v132, v8
	v_fmac_f32_e32 v150, v133, v9
	s_waitcnt lgkmcnt(2)
	s_delay_alu instid0(VALU_DEP_1) | instskip(SKIP_1) | instid1(VALU_DEP_1)
	v_fmac_f32_e32 v150, v134, v10
	s_waitcnt vmcnt(2)
	v_fmac_f32_e32 v150, v135, v11
	ds_load_2addr_b32 v[8:9], v2 offset0:97 offset1:98
	ds_load_2addr_b32 v[10:11], v2 offset0:99 offset1:100
	s_waitcnt lgkmcnt(3)
	v_fmac_f32_e32 v150, v136, v4
	s_delay_alu instid0(VALU_DEP_1) | instskip(SKIP_1) | instid1(VALU_DEP_1)
	v_fmac_f32_e32 v150, v137, v5
	s_waitcnt lgkmcnt(2)
	v_fmac_f32_e32 v150, v138, v6
	s_waitcnt vmcnt(1)
	s_delay_alu instid0(VALU_DEP_1) | instskip(SKIP_1) | instid1(VALU_DEP_1)
	v_fmac_f32_e32 v150, v139, v7
	s_waitcnt lgkmcnt(1)
	v_fmac_f32_e32 v150, v140, v8
	s_delay_alu instid0(VALU_DEP_1) | instskip(SKIP_1) | instid1(VALU_DEP_1)
	v_fmac_f32_e32 v150, v141, v9
	s_waitcnt lgkmcnt(0)
	v_fmac_f32_e32 v150, v142, v10
	s_waitcnt vmcnt(0)
	s_delay_alu instid0(VALU_DEP_1) | instskip(NEXT) | instid1(VALU_DEP_1)
	v_fmac_f32_e32 v150, v149, v11
	v_sub_f32_e32 v2, v3, v150
	scratch_store_b32 off, v2, off offset:32
	v_cmpx_lt_u32_e32 7, v0
	s_cbranch_execz .LBB112_287
; %bb.286:
	scratch_load_b32 v2, off, off offset:28
	v_mov_b32_e32 v3, 0
	scratch_store_b32 off, v3, off offset:28
	s_waitcnt vmcnt(0)
	ds_store_b32 v1, v2
.LBB112_287:
	s_or_b32 exec_lo, exec_lo, s0
	s_waitcnt lgkmcnt(0)
	s_waitcnt_vscnt null, 0x0
	s_barrier
	buffer_gl0_inv
	s_clause 0xa
	scratch_load_b128 v[3:6], off, off offset:28
	scratch_load_b128 v[7:10], off, off offset:44
	;; [unrolled: 1-line block ×10, first 2 shown]
	scratch_load_b64 v[151:152], off, off offset:188
	v_mov_b32_e32 v2, 0
	ds_load_b128 v[143:146], v2 offset:240
	ds_load_b128 v[147:150], v2 offset:256
	s_mov_b32 s0, exec_lo
	s_waitcnt vmcnt(10) lgkmcnt(1)
	v_fma_f32 v12, v4, v143, 0
	s_delay_alu instid0(VALU_DEP_1) | instskip(NEXT) | instid1(VALU_DEP_1)
	v_fmac_f32_e32 v12, v5, v144
	v_fmac_f32_e32 v12, v6, v145
	s_waitcnt vmcnt(9)
	s_delay_alu instid0(VALU_DEP_1) | instskip(SKIP_3) | instid1(VALU_DEP_1)
	v_fmac_f32_e32 v12, v7, v146
	ds_load_b128 v[4:7], v2 offset:272
	s_waitcnt lgkmcnt(1)
	v_fmac_f32_e32 v12, v8, v147
	v_fmac_f32_e32 v12, v9, v148
	s_delay_alu instid0(VALU_DEP_1) | instskip(SKIP_4) | instid1(VALU_DEP_1)
	v_fmac_f32_e32 v12, v10, v149
	ds_load_b128 v[8:11], v2 offset:288
	s_waitcnt vmcnt(8)
	v_fmac_f32_e32 v12, v111, v150
	s_waitcnt lgkmcnt(1)
	v_fmac_f32_e32 v12, v112, v4
	s_delay_alu instid0(VALU_DEP_1) | instskip(NEXT) | instid1(VALU_DEP_1)
	v_fmac_f32_e32 v12, v113, v5
	v_fmac_f32_e32 v12, v114, v6
	s_waitcnt vmcnt(7)
	s_delay_alu instid0(VALU_DEP_1) | instskip(SKIP_3) | instid1(VALU_DEP_1)
	v_fmac_f32_e32 v12, v115, v7
	ds_load_b128 v[4:7], v2 offset:304
	s_waitcnt lgkmcnt(1)
	v_fmac_f32_e32 v12, v116, v8
	v_fmac_f32_e32 v12, v117, v9
	s_delay_alu instid0(VALU_DEP_1) | instskip(SKIP_1) | instid1(VALU_DEP_1)
	v_fmac_f32_e32 v12, v118, v10
	s_waitcnt vmcnt(6)
	v_fmac_f32_e32 v12, v119, v11
	ds_load_b128 v[8:11], v2 offset:320
	s_waitcnt lgkmcnt(1)
	v_fmac_f32_e32 v12, v120, v4
	s_delay_alu instid0(VALU_DEP_1) | instskip(NEXT) | instid1(VALU_DEP_1)
	v_fmac_f32_e32 v12, v121, v5
	v_fmac_f32_e32 v12, v122, v6
	s_waitcnt vmcnt(5)
	s_delay_alu instid0(VALU_DEP_1) | instskip(SKIP_3) | instid1(VALU_DEP_1)
	v_fmac_f32_e32 v12, v123, v7
	ds_load_b128 v[4:7], v2 offset:336
	s_waitcnt lgkmcnt(1)
	v_fmac_f32_e32 v12, v124, v8
	v_fmac_f32_e32 v12, v125, v9
	s_delay_alu instid0(VALU_DEP_1) | instskip(SKIP_1) | instid1(VALU_DEP_1)
	v_fmac_f32_e32 v12, v126, v10
	s_waitcnt vmcnt(4)
	v_fmac_f32_e32 v12, v127, v11
	ds_load_b128 v[8:11], v2 offset:352
	;; [unrolled: 17-line block ×3, first 2 shown]
	s_waitcnt lgkmcnt(1)
	v_fmac_f32_e32 v12, v136, v4
	ds_load_b32 v4, v2 offset:400
	v_fmac_f32_e32 v12, v137, v5
	s_delay_alu instid0(VALU_DEP_1) | instskip(SKIP_1) | instid1(VALU_DEP_1)
	v_fmac_f32_e32 v12, v138, v6
	s_waitcnt vmcnt(1)
	v_fmac_f32_e32 v12, v139, v7
	s_waitcnt lgkmcnt(1)
	s_delay_alu instid0(VALU_DEP_1) | instskip(NEXT) | instid1(VALU_DEP_1)
	v_fmac_f32_e32 v12, v140, v8
	v_fmac_f32_e32 v12, v141, v9
	s_delay_alu instid0(VALU_DEP_1) | instskip(SKIP_1) | instid1(VALU_DEP_1)
	v_fmac_f32_e32 v12, v142, v10
	s_waitcnt vmcnt(0)
	v_fmac_f32_e32 v12, v151, v11
	s_waitcnt lgkmcnt(0)
	s_delay_alu instid0(VALU_DEP_1) | instskip(NEXT) | instid1(VALU_DEP_1)
	v_fmac_f32_e32 v12, v152, v4
	v_sub_f32_e32 v3, v3, v12
	scratch_store_b32 off, v3, off offset:28
	v_cmpx_lt_u32_e32 6, v0
	s_cbranch_execz .LBB112_289
; %bb.288:
	scratch_load_b32 v3, off, off offset:24
	scratch_store_b32 off, v2, off offset:24
	s_waitcnt vmcnt(0)
	ds_store_b32 v1, v3
.LBB112_289:
	s_or_b32 exec_lo, exec_lo, s0
	s_waitcnt lgkmcnt(0)
	s_waitcnt_vscnt null, 0x0
	s_barrier
	buffer_gl0_inv
	s_clause 0xa
	scratch_load_b128 v[3:6], off, off offset:24
	scratch_load_b128 v[7:10], off, off offset:40
	;; [unrolled: 1-line block ×10, first 2 shown]
	scratch_load_b96 v[143:145], off, off offset:184
	ds_load_2addr_b32 v[11:12], v2 offset0:59 offset1:60
	ds_load_2addr_b32 v[146:147], v2 offset0:61 offset1:62
	;; [unrolled: 1-line block ×4, first 2 shown]
	s_mov_b32 s0, exec_lo
	s_waitcnt vmcnt(10) lgkmcnt(3)
	v_fma_f32 v152, v4, v11, 0
	s_delay_alu instid0(VALU_DEP_1) | instskip(SKIP_4) | instid1(VALU_DEP_1)
	v_fmac_f32_e32 v152, v5, v12
	ds_load_2addr_b32 v[4:5], v2 offset0:67 offset1:68
	s_waitcnt lgkmcnt(3)
	v_fmac_f32_e32 v152, v6, v146
	s_waitcnt vmcnt(9)
	v_fmac_f32_e32 v152, v7, v147
	ds_load_2addr_b32 v[6:7], v2 offset0:69 offset1:70
	s_waitcnt lgkmcnt(3)
	v_fmac_f32_e32 v152, v8, v148
	s_delay_alu instid0(VALU_DEP_1) | instskip(SKIP_1) | instid1(VALU_DEP_1)
	v_fmac_f32_e32 v152, v9, v149
	s_waitcnt lgkmcnt(2)
	v_fmac_f32_e32 v152, v10, v150
	ds_load_2addr_b32 v[8:9], v2 offset0:71 offset1:72
	ds_load_2addr_b32 v[10:11], v2 offset0:73 offset1:74
	s_waitcnt vmcnt(8)
	v_fmac_f32_e32 v152, v111, v151
	s_waitcnt lgkmcnt(3)
	s_delay_alu instid0(VALU_DEP_1) | instskip(NEXT) | instid1(VALU_DEP_1)
	v_fmac_f32_e32 v152, v112, v4
	v_fmac_f32_e32 v152, v113, v5
	ds_load_2addr_b32 v[4:5], v2 offset0:75 offset1:76
	s_waitcnt lgkmcnt(3)
	v_fmac_f32_e32 v152, v114, v6
	s_waitcnt vmcnt(7)
	s_delay_alu instid0(VALU_DEP_1) | instskip(SKIP_3) | instid1(VALU_DEP_1)
	v_fmac_f32_e32 v152, v115, v7
	ds_load_2addr_b32 v[6:7], v2 offset0:77 offset1:78
	s_waitcnt lgkmcnt(3)
	v_fmac_f32_e32 v152, v116, v8
	v_fmac_f32_e32 v152, v117, v9
	s_waitcnt lgkmcnt(2)
	s_delay_alu instid0(VALU_DEP_1) | instskip(SKIP_1) | instid1(VALU_DEP_1)
	v_fmac_f32_e32 v152, v118, v10
	s_waitcnt vmcnt(6)
	v_fmac_f32_e32 v152, v119, v11
	ds_load_2addr_b32 v[8:9], v2 offset0:79 offset1:80
	ds_load_2addr_b32 v[10:11], v2 offset0:81 offset1:82
	s_waitcnt lgkmcnt(3)
	v_fmac_f32_e32 v152, v120, v4
	s_delay_alu instid0(VALU_DEP_1) | instskip(SKIP_4) | instid1(VALU_DEP_1)
	v_fmac_f32_e32 v152, v121, v5
	ds_load_2addr_b32 v[4:5], v2 offset0:83 offset1:84
	s_waitcnt lgkmcnt(3)
	v_fmac_f32_e32 v152, v122, v6
	s_waitcnt vmcnt(5)
	v_fmac_f32_e32 v152, v123, v7
	ds_load_2addr_b32 v[6:7], v2 offset0:85 offset1:86
	s_waitcnt lgkmcnt(3)
	v_fmac_f32_e32 v152, v124, v8
	s_delay_alu instid0(VALU_DEP_1) | instskip(SKIP_1) | instid1(VALU_DEP_1)
	v_fmac_f32_e32 v152, v125, v9
	s_waitcnt lgkmcnt(2)
	v_fmac_f32_e32 v152, v126, v10
	s_waitcnt vmcnt(4)
	s_delay_alu instid0(VALU_DEP_1) | instskip(SKIP_4) | instid1(VALU_DEP_1)
	v_fmac_f32_e32 v152, v127, v11
	ds_load_2addr_b32 v[8:9], v2 offset0:87 offset1:88
	ds_load_2addr_b32 v[10:11], v2 offset0:89 offset1:90
	s_waitcnt lgkmcnt(3)
	v_fmac_f32_e32 v152, v128, v4
	v_fmac_f32_e32 v152, v129, v5
	ds_load_2addr_b32 v[4:5], v2 offset0:91 offset1:92
	s_waitcnt lgkmcnt(3)
	v_fmac_f32_e32 v152, v130, v6
	s_waitcnt vmcnt(3)
	s_delay_alu instid0(VALU_DEP_1) | instskip(SKIP_3) | instid1(VALU_DEP_1)
	v_fmac_f32_e32 v152, v131, v7
	ds_load_2addr_b32 v[6:7], v2 offset0:93 offset1:94
	s_waitcnt lgkmcnt(3)
	v_fmac_f32_e32 v152, v132, v8
	v_fmac_f32_e32 v152, v133, v9
	s_waitcnt lgkmcnt(2)
	s_delay_alu instid0(VALU_DEP_1) | instskip(SKIP_1) | instid1(VALU_DEP_1)
	v_fmac_f32_e32 v152, v134, v10
	s_waitcnt vmcnt(2)
	v_fmac_f32_e32 v152, v135, v11
	ds_load_2addr_b32 v[8:9], v2 offset0:95 offset1:96
	ds_load_2addr_b32 v[10:11], v2 offset0:97 offset1:98
	s_waitcnt lgkmcnt(3)
	v_fmac_f32_e32 v152, v136, v4
	s_delay_alu instid0(VALU_DEP_1) | instskip(SKIP_4) | instid1(VALU_DEP_1)
	v_fmac_f32_e32 v152, v137, v5
	ds_load_2addr_b32 v[4:5], v2 offset0:99 offset1:100
	s_waitcnt lgkmcnt(3)
	v_fmac_f32_e32 v152, v138, v6
	s_waitcnt vmcnt(1)
	v_fmac_f32_e32 v152, v139, v7
	s_waitcnt lgkmcnt(2)
	s_delay_alu instid0(VALU_DEP_1) | instskip(NEXT) | instid1(VALU_DEP_1)
	v_fmac_f32_e32 v152, v140, v8
	v_fmac_f32_e32 v152, v141, v9
	s_waitcnt lgkmcnt(1)
	s_delay_alu instid0(VALU_DEP_1) | instskip(SKIP_1) | instid1(VALU_DEP_1)
	v_fmac_f32_e32 v152, v142, v10
	s_waitcnt vmcnt(0)
	v_fmac_f32_e32 v152, v143, v11
	s_waitcnt lgkmcnt(0)
	s_delay_alu instid0(VALU_DEP_1) | instskip(NEXT) | instid1(VALU_DEP_1)
	v_fmac_f32_e32 v152, v144, v4
	v_fmac_f32_e32 v152, v145, v5
	s_delay_alu instid0(VALU_DEP_1)
	v_sub_f32_e32 v2, v3, v152
	scratch_store_b32 off, v2, off offset:24
	v_cmpx_lt_u32_e32 5, v0
	s_cbranch_execz .LBB112_291
; %bb.290:
	scratch_load_b32 v2, off, off offset:20
	v_mov_b32_e32 v3, 0
	scratch_store_b32 off, v3, off offset:20
	s_waitcnt vmcnt(0)
	ds_store_b32 v1, v2
.LBB112_291:
	s_or_b32 exec_lo, exec_lo, s0
	s_waitcnt lgkmcnt(0)
	s_waitcnt_vscnt null, 0x0
	s_barrier
	buffer_gl0_inv
	s_clause 0xa
	scratch_load_b128 v[3:6], off, off offset:20
	scratch_load_b128 v[7:10], off, off offset:36
	;; [unrolled: 1-line block ×11, first 2 shown]
	v_mov_b32_e32 v2, 0
	ds_load_2addr_b64 v[147:150], v2 offset0:29 offset1:30
	ds_load_2addr_b64 v[151:154], v2 offset0:31 offset1:32
	s_mov_b32 s0, exec_lo
	s_waitcnt vmcnt(10) lgkmcnt(1)
	v_fma_f32 v12, v4, v147, 0
	s_delay_alu instid0(VALU_DEP_1) | instskip(NEXT) | instid1(VALU_DEP_1)
	v_fmac_f32_e32 v12, v5, v148
	v_fmac_f32_e32 v12, v6, v149
	s_waitcnt vmcnt(9)
	s_delay_alu instid0(VALU_DEP_1) | instskip(SKIP_3) | instid1(VALU_DEP_1)
	v_fmac_f32_e32 v12, v7, v150
	ds_load_2addr_b64 v[4:7], v2 offset0:33 offset1:34
	s_waitcnt lgkmcnt(1)
	v_fmac_f32_e32 v12, v8, v151
	v_fmac_f32_e32 v12, v9, v152
	s_delay_alu instid0(VALU_DEP_1) | instskip(SKIP_4) | instid1(VALU_DEP_1)
	v_fmac_f32_e32 v12, v10, v153
	ds_load_2addr_b64 v[8:11], v2 offset0:35 offset1:36
	s_waitcnt vmcnt(8)
	v_fmac_f32_e32 v12, v111, v154
	s_waitcnt lgkmcnt(1)
	v_fmac_f32_e32 v12, v112, v4
	s_delay_alu instid0(VALU_DEP_1) | instskip(NEXT) | instid1(VALU_DEP_1)
	v_fmac_f32_e32 v12, v113, v5
	v_fmac_f32_e32 v12, v114, v6
	s_waitcnt vmcnt(7)
	s_delay_alu instid0(VALU_DEP_1) | instskip(SKIP_3) | instid1(VALU_DEP_1)
	v_fmac_f32_e32 v12, v115, v7
	ds_load_2addr_b64 v[4:7], v2 offset0:37 offset1:38
	s_waitcnt lgkmcnt(1)
	v_fmac_f32_e32 v12, v116, v8
	v_fmac_f32_e32 v12, v117, v9
	s_delay_alu instid0(VALU_DEP_1) | instskip(SKIP_1) | instid1(VALU_DEP_1)
	v_fmac_f32_e32 v12, v118, v10
	s_waitcnt vmcnt(6)
	v_fmac_f32_e32 v12, v119, v11
	ds_load_2addr_b64 v[8:11], v2 offset0:39 offset1:40
	s_waitcnt lgkmcnt(1)
	v_fmac_f32_e32 v12, v120, v4
	s_delay_alu instid0(VALU_DEP_1) | instskip(NEXT) | instid1(VALU_DEP_1)
	v_fmac_f32_e32 v12, v121, v5
	v_fmac_f32_e32 v12, v122, v6
	s_waitcnt vmcnt(5)
	s_delay_alu instid0(VALU_DEP_1) | instskip(SKIP_3) | instid1(VALU_DEP_1)
	v_fmac_f32_e32 v12, v123, v7
	ds_load_2addr_b64 v[4:7], v2 offset0:41 offset1:42
	s_waitcnt lgkmcnt(1)
	v_fmac_f32_e32 v12, v124, v8
	v_fmac_f32_e32 v12, v125, v9
	s_delay_alu instid0(VALU_DEP_1) | instskip(SKIP_1) | instid1(VALU_DEP_1)
	v_fmac_f32_e32 v12, v126, v10
	s_waitcnt vmcnt(4)
	v_fmac_f32_e32 v12, v127, v11
	ds_load_2addr_b64 v[8:11], v2 offset0:43 offset1:44
	;; [unrolled: 17-line block ×3, first 2 shown]
	s_waitcnt lgkmcnt(1)
	v_fmac_f32_e32 v12, v136, v4
	s_delay_alu instid0(VALU_DEP_1)
	v_fmac_f32_e32 v12, v137, v5
	ds_load_b64 v[4:5], v2 offset:392
	v_fmac_f32_e32 v12, v138, v6
	ds_load_b32 v6, v2 offset:400
	s_waitcnt vmcnt(1)
	v_fmac_f32_e32 v12, v139, v7
	s_waitcnt lgkmcnt(2)
	s_delay_alu instid0(VALU_DEP_1) | instskip(NEXT) | instid1(VALU_DEP_1)
	v_fmac_f32_e32 v12, v140, v8
	v_fmac_f32_e32 v12, v141, v9
	s_delay_alu instid0(VALU_DEP_1) | instskip(SKIP_1) | instid1(VALU_DEP_1)
	v_fmac_f32_e32 v12, v142, v10
	s_waitcnt vmcnt(0)
	v_fmac_f32_e32 v12, v143, v11
	s_waitcnt lgkmcnt(1)
	s_delay_alu instid0(VALU_DEP_1) | instskip(NEXT) | instid1(VALU_DEP_1)
	v_fmac_f32_e32 v12, v144, v4
	v_fmac_f32_e32 v12, v145, v5
	s_waitcnt lgkmcnt(0)
	s_delay_alu instid0(VALU_DEP_1) | instskip(NEXT) | instid1(VALU_DEP_1)
	v_fmac_f32_e32 v12, v146, v6
	v_sub_f32_e32 v3, v3, v12
	scratch_store_b32 off, v3, off offset:20
	v_cmpx_lt_u32_e32 4, v0
	s_cbranch_execz .LBB112_293
; %bb.292:
	scratch_load_b32 v3, off, off offset:16
	scratch_store_b32 off, v2, off offset:16
	s_waitcnt vmcnt(0)
	ds_store_b32 v1, v3
.LBB112_293:
	s_or_b32 exec_lo, exec_lo, s0
	s_waitcnt lgkmcnt(0)
	s_waitcnt_vscnt null, 0x0
	s_barrier
	buffer_gl0_inv
	s_clause 0xb
	scratch_load_b128 v[3:6], off, off offset:16
	scratch_load_b128 v[7:10], off, off offset:32
	;; [unrolled: 1-line block ×11, first 2 shown]
	scratch_load_b32 v153, off, off offset:192
	ds_load_2addr_b32 v[11:12], v2 offset0:57 offset1:58
	ds_load_2addr_b32 v[147:148], v2 offset0:59 offset1:60
	;; [unrolled: 1-line block ×4, first 2 shown]
	s_mov_b32 s0, exec_lo
	s_waitcnt vmcnt(11) lgkmcnt(3)
	v_fma_f32 v154, v4, v11, 0
	s_delay_alu instid0(VALU_DEP_1) | instskip(SKIP_4) | instid1(VALU_DEP_1)
	v_fmac_f32_e32 v154, v5, v12
	ds_load_2addr_b32 v[4:5], v2 offset0:65 offset1:66
	s_waitcnt lgkmcnt(3)
	v_fmac_f32_e32 v154, v6, v147
	s_waitcnt vmcnt(10)
	v_fmac_f32_e32 v154, v7, v148
	ds_load_2addr_b32 v[6:7], v2 offset0:67 offset1:68
	s_waitcnt lgkmcnt(3)
	v_fmac_f32_e32 v154, v8, v149
	s_delay_alu instid0(VALU_DEP_1) | instskip(SKIP_1) | instid1(VALU_DEP_1)
	v_fmac_f32_e32 v154, v9, v150
	s_waitcnt lgkmcnt(2)
	v_fmac_f32_e32 v154, v10, v151
	ds_load_2addr_b32 v[8:9], v2 offset0:69 offset1:70
	ds_load_2addr_b32 v[10:11], v2 offset0:71 offset1:72
	s_waitcnt vmcnt(9)
	v_fmac_f32_e32 v154, v111, v152
	s_waitcnt lgkmcnt(3)
	s_delay_alu instid0(VALU_DEP_1) | instskip(NEXT) | instid1(VALU_DEP_1)
	v_fmac_f32_e32 v154, v112, v4
	v_fmac_f32_e32 v154, v113, v5
	ds_load_2addr_b32 v[4:5], v2 offset0:73 offset1:74
	s_waitcnt lgkmcnt(3)
	v_fmac_f32_e32 v154, v114, v6
	s_waitcnt vmcnt(8)
	s_delay_alu instid0(VALU_DEP_1) | instskip(SKIP_3) | instid1(VALU_DEP_1)
	v_fmac_f32_e32 v154, v115, v7
	ds_load_2addr_b32 v[6:7], v2 offset0:75 offset1:76
	s_waitcnt lgkmcnt(3)
	v_fmac_f32_e32 v154, v116, v8
	v_fmac_f32_e32 v154, v117, v9
	s_waitcnt lgkmcnt(2)
	s_delay_alu instid0(VALU_DEP_1) | instskip(SKIP_1) | instid1(VALU_DEP_1)
	v_fmac_f32_e32 v154, v118, v10
	s_waitcnt vmcnt(7)
	v_fmac_f32_e32 v154, v119, v11
	ds_load_2addr_b32 v[8:9], v2 offset0:77 offset1:78
	ds_load_2addr_b32 v[10:11], v2 offset0:79 offset1:80
	s_waitcnt lgkmcnt(3)
	v_fmac_f32_e32 v154, v120, v4
	s_delay_alu instid0(VALU_DEP_1) | instskip(SKIP_4) | instid1(VALU_DEP_1)
	v_fmac_f32_e32 v154, v121, v5
	ds_load_2addr_b32 v[4:5], v2 offset0:81 offset1:82
	s_waitcnt lgkmcnt(3)
	v_fmac_f32_e32 v154, v122, v6
	s_waitcnt vmcnt(6)
	v_fmac_f32_e32 v154, v123, v7
	ds_load_2addr_b32 v[6:7], v2 offset0:83 offset1:84
	s_waitcnt lgkmcnt(3)
	v_fmac_f32_e32 v154, v124, v8
	s_delay_alu instid0(VALU_DEP_1) | instskip(SKIP_1) | instid1(VALU_DEP_1)
	v_fmac_f32_e32 v154, v125, v9
	s_waitcnt lgkmcnt(2)
	v_fmac_f32_e32 v154, v126, v10
	s_waitcnt vmcnt(5)
	s_delay_alu instid0(VALU_DEP_1) | instskip(SKIP_4) | instid1(VALU_DEP_1)
	v_fmac_f32_e32 v154, v127, v11
	ds_load_2addr_b32 v[8:9], v2 offset0:85 offset1:86
	ds_load_2addr_b32 v[10:11], v2 offset0:87 offset1:88
	s_waitcnt lgkmcnt(3)
	v_fmac_f32_e32 v154, v128, v4
	v_fmac_f32_e32 v154, v129, v5
	ds_load_2addr_b32 v[4:5], v2 offset0:89 offset1:90
	s_waitcnt lgkmcnt(3)
	v_fmac_f32_e32 v154, v130, v6
	s_waitcnt vmcnt(4)
	s_delay_alu instid0(VALU_DEP_1) | instskip(SKIP_3) | instid1(VALU_DEP_1)
	v_fmac_f32_e32 v154, v131, v7
	ds_load_2addr_b32 v[6:7], v2 offset0:91 offset1:92
	s_waitcnt lgkmcnt(3)
	v_fmac_f32_e32 v154, v132, v8
	v_fmac_f32_e32 v154, v133, v9
	s_waitcnt lgkmcnt(2)
	s_delay_alu instid0(VALU_DEP_1) | instskip(SKIP_1) | instid1(VALU_DEP_1)
	v_fmac_f32_e32 v154, v134, v10
	s_waitcnt vmcnt(3)
	v_fmac_f32_e32 v154, v135, v11
	ds_load_2addr_b32 v[8:9], v2 offset0:93 offset1:94
	ds_load_2addr_b32 v[10:11], v2 offset0:95 offset1:96
	s_waitcnt lgkmcnt(3)
	v_fmac_f32_e32 v154, v136, v4
	s_delay_alu instid0(VALU_DEP_1) | instskip(SKIP_4) | instid1(VALU_DEP_1)
	v_fmac_f32_e32 v154, v137, v5
	ds_load_2addr_b32 v[4:5], v2 offset0:97 offset1:98
	s_waitcnt lgkmcnt(3)
	v_fmac_f32_e32 v154, v138, v6
	s_waitcnt vmcnt(2)
	v_fmac_f32_e32 v154, v139, v7
	ds_load_2addr_b32 v[6:7], v2 offset0:99 offset1:100
	s_waitcnt lgkmcnt(3)
	v_fmac_f32_e32 v154, v140, v8
	s_delay_alu instid0(VALU_DEP_1) | instskip(SKIP_1) | instid1(VALU_DEP_1)
	v_fmac_f32_e32 v154, v141, v9
	s_waitcnt lgkmcnt(2)
	v_fmac_f32_e32 v154, v142, v10
	s_waitcnt vmcnt(1)
	s_delay_alu instid0(VALU_DEP_1) | instskip(SKIP_1) | instid1(VALU_DEP_1)
	v_fmac_f32_e32 v154, v143, v11
	s_waitcnt lgkmcnt(1)
	v_fmac_f32_e32 v154, v144, v4
	s_delay_alu instid0(VALU_DEP_1) | instskip(SKIP_1) | instid1(VALU_DEP_1)
	v_fmac_f32_e32 v154, v145, v5
	s_waitcnt lgkmcnt(0)
	v_fmac_f32_e32 v154, v146, v6
	s_waitcnt vmcnt(0)
	s_delay_alu instid0(VALU_DEP_1) | instskip(NEXT) | instid1(VALU_DEP_1)
	v_fmac_f32_e32 v154, v153, v7
	v_sub_f32_e32 v2, v3, v154
	scratch_store_b32 off, v2, off offset:16
	v_cmpx_lt_u32_e32 3, v0
	s_cbranch_execz .LBB112_295
; %bb.294:
	scratch_load_b32 v2, off, off offset:12
	v_mov_b32_e32 v3, 0
	scratch_store_b32 off, v3, off offset:12
	s_waitcnt vmcnt(0)
	ds_store_b32 v1, v2
.LBB112_295:
	s_or_b32 exec_lo, exec_lo, s0
	s_waitcnt lgkmcnt(0)
	s_waitcnt_vscnt null, 0x0
	s_barrier
	buffer_gl0_inv
	s_clause 0xb
	scratch_load_b128 v[3:6], off, off offset:12
	scratch_load_b128 v[7:10], off, off offset:28
	;; [unrolled: 1-line block ×11, first 2 shown]
	scratch_load_b64 v[155:156], off, off offset:188
	v_mov_b32_e32 v2, 0
	ds_load_b128 v[147:150], v2 offset:224
	ds_load_b128 v[151:154], v2 offset:240
	s_mov_b32 s0, exec_lo
	s_waitcnt vmcnt(11) lgkmcnt(1)
	v_fma_f32 v12, v4, v147, 0
	s_delay_alu instid0(VALU_DEP_1) | instskip(NEXT) | instid1(VALU_DEP_1)
	v_fmac_f32_e32 v12, v5, v148
	v_fmac_f32_e32 v12, v6, v149
	s_waitcnt vmcnt(10)
	s_delay_alu instid0(VALU_DEP_1) | instskip(SKIP_3) | instid1(VALU_DEP_1)
	v_fmac_f32_e32 v12, v7, v150
	ds_load_b128 v[4:7], v2 offset:256
	s_waitcnt lgkmcnt(1)
	v_fmac_f32_e32 v12, v8, v151
	v_fmac_f32_e32 v12, v9, v152
	s_delay_alu instid0(VALU_DEP_1) | instskip(SKIP_4) | instid1(VALU_DEP_1)
	v_fmac_f32_e32 v12, v10, v153
	ds_load_b128 v[8:11], v2 offset:272
	s_waitcnt vmcnt(9)
	v_fmac_f32_e32 v12, v111, v154
	s_waitcnt lgkmcnt(1)
	v_fmac_f32_e32 v12, v112, v4
	s_delay_alu instid0(VALU_DEP_1) | instskip(NEXT) | instid1(VALU_DEP_1)
	v_fmac_f32_e32 v12, v113, v5
	v_fmac_f32_e32 v12, v114, v6
	s_waitcnt vmcnt(8)
	s_delay_alu instid0(VALU_DEP_1) | instskip(SKIP_3) | instid1(VALU_DEP_1)
	v_fmac_f32_e32 v12, v115, v7
	ds_load_b128 v[4:7], v2 offset:288
	s_waitcnt lgkmcnt(1)
	v_fmac_f32_e32 v12, v116, v8
	v_fmac_f32_e32 v12, v117, v9
	s_delay_alu instid0(VALU_DEP_1) | instskip(SKIP_1) | instid1(VALU_DEP_1)
	v_fmac_f32_e32 v12, v118, v10
	s_waitcnt vmcnt(7)
	v_fmac_f32_e32 v12, v119, v11
	ds_load_b128 v[8:11], v2 offset:304
	s_waitcnt lgkmcnt(1)
	v_fmac_f32_e32 v12, v120, v4
	s_delay_alu instid0(VALU_DEP_1) | instskip(NEXT) | instid1(VALU_DEP_1)
	v_fmac_f32_e32 v12, v121, v5
	v_fmac_f32_e32 v12, v122, v6
	s_waitcnt vmcnt(6)
	s_delay_alu instid0(VALU_DEP_1) | instskip(SKIP_3) | instid1(VALU_DEP_1)
	v_fmac_f32_e32 v12, v123, v7
	ds_load_b128 v[4:7], v2 offset:320
	s_waitcnt lgkmcnt(1)
	v_fmac_f32_e32 v12, v124, v8
	v_fmac_f32_e32 v12, v125, v9
	s_delay_alu instid0(VALU_DEP_1) | instskip(SKIP_1) | instid1(VALU_DEP_1)
	v_fmac_f32_e32 v12, v126, v10
	s_waitcnt vmcnt(5)
	v_fmac_f32_e32 v12, v127, v11
	ds_load_b128 v[8:11], v2 offset:336
	;; [unrolled: 17-line block ×3, first 2 shown]
	s_waitcnt lgkmcnt(1)
	v_fmac_f32_e32 v12, v136, v4
	s_delay_alu instid0(VALU_DEP_1) | instskip(NEXT) | instid1(VALU_DEP_1)
	v_fmac_f32_e32 v12, v137, v5
	v_fmac_f32_e32 v12, v138, v6
	s_waitcnt vmcnt(2)
	s_delay_alu instid0(VALU_DEP_1)
	v_fmac_f32_e32 v12, v139, v7
	ds_load_b128 v[4:7], v2 offset:384
	s_waitcnt lgkmcnt(1)
	v_fmac_f32_e32 v12, v140, v8
	ds_load_b32 v8, v2 offset:400
	v_fmac_f32_e32 v12, v141, v9
	s_delay_alu instid0(VALU_DEP_1) | instskip(SKIP_1) | instid1(VALU_DEP_1)
	v_fmac_f32_e32 v12, v142, v10
	s_waitcnt vmcnt(1)
	v_fmac_f32_e32 v12, v143, v11
	s_waitcnt lgkmcnt(1)
	s_delay_alu instid0(VALU_DEP_1) | instskip(NEXT) | instid1(VALU_DEP_1)
	v_fmac_f32_e32 v12, v144, v4
	v_fmac_f32_e32 v12, v145, v5
	s_delay_alu instid0(VALU_DEP_1) | instskip(SKIP_1) | instid1(VALU_DEP_1)
	v_fmac_f32_e32 v12, v146, v6
	s_waitcnt vmcnt(0)
	v_fmac_f32_e32 v12, v155, v7
	s_waitcnt lgkmcnt(0)
	s_delay_alu instid0(VALU_DEP_1) | instskip(NEXT) | instid1(VALU_DEP_1)
	v_fmac_f32_e32 v12, v156, v8
	v_sub_f32_e32 v3, v3, v12
	scratch_store_b32 off, v3, off offset:12
	v_cmpx_lt_u32_e32 2, v0
	s_cbranch_execz .LBB112_297
; %bb.296:
	scratch_load_b32 v3, off, off offset:8
	scratch_store_b32 off, v2, off offset:8
	s_waitcnt vmcnt(0)
	ds_store_b32 v1, v3
.LBB112_297:
	s_or_b32 exec_lo, exec_lo, s0
	s_waitcnt lgkmcnt(0)
	s_waitcnt_vscnt null, 0x0
	s_barrier
	buffer_gl0_inv
	s_clause 0xb
	scratch_load_b128 v[3:6], off, off offset:8
	scratch_load_b128 v[7:10], off, off offset:24
	;; [unrolled: 1-line block ×11, first 2 shown]
	scratch_load_b96 v[147:149], off, off offset:184
	ds_load_2addr_b32 v[11:12], v2 offset0:55 offset1:56
	ds_load_2addr_b32 v[150:151], v2 offset0:57 offset1:58
	;; [unrolled: 1-line block ×4, first 2 shown]
	s_mov_b32 s0, exec_lo
	s_waitcnt vmcnt(11) lgkmcnt(3)
	v_fma_f32 v156, v4, v11, 0
	s_delay_alu instid0(VALU_DEP_1) | instskip(SKIP_4) | instid1(VALU_DEP_1)
	v_fmac_f32_e32 v156, v5, v12
	ds_load_2addr_b32 v[4:5], v2 offset0:63 offset1:64
	s_waitcnt lgkmcnt(3)
	v_fmac_f32_e32 v156, v6, v150
	s_waitcnt vmcnt(10)
	v_fmac_f32_e32 v156, v7, v151
	ds_load_2addr_b32 v[6:7], v2 offset0:65 offset1:66
	s_waitcnt lgkmcnt(3)
	v_fmac_f32_e32 v156, v8, v152
	s_delay_alu instid0(VALU_DEP_1) | instskip(SKIP_1) | instid1(VALU_DEP_1)
	v_fmac_f32_e32 v156, v9, v153
	s_waitcnt lgkmcnt(2)
	v_fmac_f32_e32 v156, v10, v154
	ds_load_2addr_b32 v[8:9], v2 offset0:67 offset1:68
	ds_load_2addr_b32 v[10:11], v2 offset0:69 offset1:70
	s_waitcnt vmcnt(9)
	v_fmac_f32_e32 v156, v111, v155
	s_waitcnt lgkmcnt(3)
	s_delay_alu instid0(VALU_DEP_1) | instskip(NEXT) | instid1(VALU_DEP_1)
	v_fmac_f32_e32 v156, v112, v4
	v_fmac_f32_e32 v156, v113, v5
	ds_load_2addr_b32 v[4:5], v2 offset0:71 offset1:72
	s_waitcnt lgkmcnt(3)
	v_fmac_f32_e32 v156, v114, v6
	s_waitcnt vmcnt(8)
	s_delay_alu instid0(VALU_DEP_1) | instskip(SKIP_3) | instid1(VALU_DEP_1)
	v_fmac_f32_e32 v156, v115, v7
	ds_load_2addr_b32 v[6:7], v2 offset0:73 offset1:74
	s_waitcnt lgkmcnt(3)
	v_fmac_f32_e32 v156, v116, v8
	v_fmac_f32_e32 v156, v117, v9
	s_waitcnt lgkmcnt(2)
	s_delay_alu instid0(VALU_DEP_1) | instskip(SKIP_1) | instid1(VALU_DEP_1)
	v_fmac_f32_e32 v156, v118, v10
	s_waitcnt vmcnt(7)
	v_fmac_f32_e32 v156, v119, v11
	ds_load_2addr_b32 v[8:9], v2 offset0:75 offset1:76
	ds_load_2addr_b32 v[10:11], v2 offset0:77 offset1:78
	s_waitcnt lgkmcnt(3)
	v_fmac_f32_e32 v156, v120, v4
	s_delay_alu instid0(VALU_DEP_1) | instskip(SKIP_4) | instid1(VALU_DEP_1)
	v_fmac_f32_e32 v156, v121, v5
	ds_load_2addr_b32 v[4:5], v2 offset0:79 offset1:80
	s_waitcnt lgkmcnt(3)
	v_fmac_f32_e32 v156, v122, v6
	s_waitcnt vmcnt(6)
	v_fmac_f32_e32 v156, v123, v7
	ds_load_2addr_b32 v[6:7], v2 offset0:81 offset1:82
	s_waitcnt lgkmcnt(3)
	v_fmac_f32_e32 v156, v124, v8
	s_delay_alu instid0(VALU_DEP_1) | instskip(SKIP_1) | instid1(VALU_DEP_1)
	v_fmac_f32_e32 v156, v125, v9
	s_waitcnt lgkmcnt(2)
	v_fmac_f32_e32 v156, v126, v10
	s_waitcnt vmcnt(5)
	s_delay_alu instid0(VALU_DEP_1) | instskip(SKIP_4) | instid1(VALU_DEP_1)
	v_fmac_f32_e32 v156, v127, v11
	ds_load_2addr_b32 v[8:9], v2 offset0:83 offset1:84
	ds_load_2addr_b32 v[10:11], v2 offset0:85 offset1:86
	s_waitcnt lgkmcnt(3)
	v_fmac_f32_e32 v156, v128, v4
	v_fmac_f32_e32 v156, v129, v5
	ds_load_2addr_b32 v[4:5], v2 offset0:87 offset1:88
	s_waitcnt lgkmcnt(3)
	v_fmac_f32_e32 v156, v130, v6
	s_waitcnt vmcnt(4)
	s_delay_alu instid0(VALU_DEP_1) | instskip(SKIP_3) | instid1(VALU_DEP_1)
	v_fmac_f32_e32 v156, v131, v7
	ds_load_2addr_b32 v[6:7], v2 offset0:89 offset1:90
	s_waitcnt lgkmcnt(3)
	v_fmac_f32_e32 v156, v132, v8
	v_fmac_f32_e32 v156, v133, v9
	s_waitcnt lgkmcnt(2)
	s_delay_alu instid0(VALU_DEP_1) | instskip(SKIP_1) | instid1(VALU_DEP_1)
	v_fmac_f32_e32 v156, v134, v10
	s_waitcnt vmcnt(3)
	v_fmac_f32_e32 v156, v135, v11
	ds_load_2addr_b32 v[8:9], v2 offset0:91 offset1:92
	ds_load_2addr_b32 v[10:11], v2 offset0:93 offset1:94
	s_waitcnt lgkmcnt(3)
	v_fmac_f32_e32 v156, v136, v4
	s_delay_alu instid0(VALU_DEP_1) | instskip(SKIP_4) | instid1(VALU_DEP_1)
	v_fmac_f32_e32 v156, v137, v5
	ds_load_2addr_b32 v[4:5], v2 offset0:95 offset1:96
	s_waitcnt lgkmcnt(3)
	v_fmac_f32_e32 v156, v138, v6
	s_waitcnt vmcnt(2)
	v_fmac_f32_e32 v156, v139, v7
	ds_load_2addr_b32 v[6:7], v2 offset0:97 offset1:98
	s_waitcnt lgkmcnt(3)
	v_fmac_f32_e32 v156, v140, v8
	s_delay_alu instid0(VALU_DEP_1) | instskip(SKIP_4) | instid1(VALU_DEP_1)
	v_fmac_f32_e32 v156, v141, v9
	ds_load_2addr_b32 v[8:9], v2 offset0:99 offset1:100
	s_waitcnt lgkmcnt(3)
	v_fmac_f32_e32 v156, v142, v10
	s_waitcnt vmcnt(1)
	v_fmac_f32_e32 v156, v143, v11
	s_waitcnt lgkmcnt(2)
	s_delay_alu instid0(VALU_DEP_1) | instskip(NEXT) | instid1(VALU_DEP_1)
	v_fmac_f32_e32 v156, v144, v4
	v_fmac_f32_e32 v156, v145, v5
	s_waitcnt lgkmcnt(1)
	s_delay_alu instid0(VALU_DEP_1) | instskip(SKIP_1) | instid1(VALU_DEP_1)
	v_fmac_f32_e32 v156, v146, v6
	s_waitcnt vmcnt(0)
	v_fmac_f32_e32 v156, v147, v7
	s_waitcnt lgkmcnt(0)
	s_delay_alu instid0(VALU_DEP_1) | instskip(NEXT) | instid1(VALU_DEP_1)
	v_fmac_f32_e32 v156, v148, v8
	v_fmac_f32_e32 v156, v149, v9
	s_delay_alu instid0(VALU_DEP_1)
	v_sub_f32_e32 v2, v3, v156
	scratch_store_b32 off, v2, off offset:8
	v_cmpx_lt_u32_e32 1, v0
	s_cbranch_execz .LBB112_299
; %bb.298:
	scratch_load_b32 v2, off, off offset:4
	v_mov_b32_e32 v3, 0
	scratch_store_b32 off, v3, off offset:4
	s_waitcnt vmcnt(0)
	ds_store_b32 v1, v2
.LBB112_299:
	s_or_b32 exec_lo, exec_lo, s0
	s_waitcnt lgkmcnt(0)
	s_waitcnt_vscnt null, 0x0
	s_barrier
	buffer_gl0_inv
	s_clause 0xb
	scratch_load_b128 v[5:8], off, off offset:4
	scratch_load_b128 v[9:12], off, off offset:20
	;; [unrolled: 1-line block ×12, first 2 shown]
	v_mov_b32_e32 v4, 0
	ds_load_2addr_b64 v[151:154], v4 offset0:27 offset1:28
	ds_load_2addr_b64 v[155:158], v4 offset0:29 offset1:30
	s_mov_b32 s0, exec_lo
	s_waitcnt vmcnt(11) lgkmcnt(1)
	v_fma_f32 v159, v6, v151, 0
	s_delay_alu instid0(VALU_DEP_1) | instskip(SKIP_3) | instid1(VALU_DEP_1)
	v_fmac_f32_e32 v159, v7, v152
	ds_load_b64 v[2:3], v4 offset:392
	v_fmac_f32_e32 v159, v8, v153
	s_waitcnt vmcnt(10)
	v_fmac_f32_e32 v159, v9, v154
	ds_load_2addr_b64 v[6:9], v4 offset0:31 offset1:32
	ds_load_2addr_b64 v[151:154], v4 offset0:33 offset1:34
	s_waitcnt lgkmcnt(3)
	v_fmac_f32_e32 v159, v10, v155
	s_delay_alu instid0(VALU_DEP_1) | instskip(NEXT) | instid1(VALU_DEP_1)
	v_fmac_f32_e32 v159, v11, v156
	v_fmac_f32_e32 v159, v12, v157
	s_waitcnt vmcnt(9)
	s_delay_alu instid0(VALU_DEP_1) | instskip(SKIP_1) | instid1(VALU_DEP_1)
	v_fmac_f32_e32 v159, v111, v158
	s_waitcnt lgkmcnt(1)
	v_fmac_f32_e32 v159, v112, v6
	s_delay_alu instid0(VALU_DEP_1) | instskip(NEXT) | instid1(VALU_DEP_1)
	v_fmac_f32_e32 v159, v113, v7
	v_fmac_f32_e32 v159, v114, v8
	ds_load_2addr_b64 v[111:114], v4 offset0:37 offset1:38
	s_waitcnt vmcnt(8)
	v_fmac_f32_e32 v159, v115, v9
	ds_load_2addr_b64 v[6:9], v4 offset0:35 offset1:36
	s_waitcnt lgkmcnt(2)
	v_fmac_f32_e32 v159, v116, v151
	s_delay_alu instid0(VALU_DEP_1) | instskip(NEXT) | instid1(VALU_DEP_1)
	v_fmac_f32_e32 v159, v117, v152
	v_fmac_f32_e32 v159, v118, v153
	s_waitcnt vmcnt(7)
	s_delay_alu instid0(VALU_DEP_1) | instskip(SKIP_1) | instid1(VALU_DEP_1)
	v_fmac_f32_e32 v159, v119, v154
	s_waitcnt lgkmcnt(0)
	v_fmac_f32_e32 v159, v120, v6
	s_delay_alu instid0(VALU_DEP_1) | instskip(NEXT) | instid1(VALU_DEP_1)
	v_fmac_f32_e32 v159, v121, v7
	v_fmac_f32_e32 v159, v122, v8
	s_waitcnt vmcnt(6)
	s_delay_alu instid0(VALU_DEP_1) | instskip(SKIP_2) | instid1(VALU_DEP_1)
	v_fmac_f32_e32 v159, v123, v9
	ds_load_2addr_b64 v[6:9], v4 offset0:39 offset1:40
	v_fmac_f32_e32 v159, v124, v111
	v_fmac_f32_e32 v159, v125, v112
	s_delay_alu instid0(VALU_DEP_1) | instskip(SKIP_1) | instid1(VALU_DEP_1)
	v_fmac_f32_e32 v159, v126, v113
	s_waitcnt vmcnt(5)
	v_fmac_f32_e32 v159, v127, v114
	ds_load_2addr_b64 v[111:114], v4 offset0:41 offset1:42
	s_waitcnt lgkmcnt(1)
	v_fmac_f32_e32 v159, v128, v6
	s_delay_alu instid0(VALU_DEP_1) | instskip(NEXT) | instid1(VALU_DEP_1)
	v_fmac_f32_e32 v159, v129, v7
	v_fmac_f32_e32 v159, v130, v8
	s_waitcnt vmcnt(4)
	s_delay_alu instid0(VALU_DEP_1) | instskip(SKIP_3) | instid1(VALU_DEP_1)
	v_fmac_f32_e32 v159, v131, v9
	ds_load_2addr_b64 v[6:9], v4 offset0:43 offset1:44
	s_waitcnt lgkmcnt(1)
	v_fmac_f32_e32 v159, v132, v111
	v_fmac_f32_e32 v159, v133, v112
	s_delay_alu instid0(VALU_DEP_1) | instskip(SKIP_1) | instid1(VALU_DEP_1)
	v_fmac_f32_e32 v159, v134, v113
	s_waitcnt vmcnt(3)
	v_fmac_f32_e32 v159, v135, v114
	ds_load_2addr_b64 v[111:114], v4 offset0:45 offset1:46
	s_waitcnt lgkmcnt(1)
	v_fmac_f32_e32 v159, v136, v6
	s_delay_alu instid0(VALU_DEP_1) | instskip(NEXT) | instid1(VALU_DEP_1)
	v_fmac_f32_e32 v159, v137, v7
	v_fmac_f32_e32 v159, v138, v8
	s_waitcnt vmcnt(2)
	s_delay_alu instid0(VALU_DEP_1) | instskip(SKIP_3) | instid1(VALU_DEP_1)
	v_fmac_f32_e32 v159, v139, v9
	ds_load_2addr_b64 v[6:9], v4 offset0:47 offset1:48
	s_waitcnt lgkmcnt(1)
	v_fmac_f32_e32 v159, v140, v111
	v_fmac_f32_e32 v159, v141, v112
	s_delay_alu instid0(VALU_DEP_1) | instskip(SKIP_1) | instid1(VALU_DEP_1)
	v_fmac_f32_e32 v159, v142, v113
	s_waitcnt vmcnt(1)
	v_fmac_f32_e32 v159, v143, v114
	s_waitcnt lgkmcnt(0)
	s_delay_alu instid0(VALU_DEP_1) | instskip(SKIP_2) | instid1(VALU_DEP_1)
	v_fmac_f32_e32 v159, v144, v6
	ds_load_b32 v6, v4 offset:400
	v_fmac_f32_e32 v159, v145, v7
	v_fmac_f32_e32 v159, v146, v8
	s_waitcnt vmcnt(0)
	s_delay_alu instid0(VALU_DEP_1) | instskip(NEXT) | instid1(VALU_DEP_1)
	v_fmac_f32_e32 v159, v147, v9
	v_fmac_f32_e32 v159, v148, v2
	s_delay_alu instid0(VALU_DEP_1) | instskip(SKIP_1) | instid1(VALU_DEP_1)
	v_fmac_f32_e32 v159, v149, v3
	s_waitcnt lgkmcnt(0)
	v_fmac_f32_e32 v159, v150, v6
	s_delay_alu instid0(VALU_DEP_1)
	v_sub_f32_e32 v2, v5, v159
	scratch_store_b32 off, v2, off offset:4
	v_cmpx_ne_u32_e32 0, v0
	s_cbranch_execz .LBB112_301
; %bb.300:
	scratch_load_b32 v0, off, off
	scratch_store_b32 off, v4, off
	s_waitcnt vmcnt(0)
	ds_store_b32 v1, v0
.LBB112_301:
	s_or_b32 exec_lo, exec_lo, s0
	s_waitcnt lgkmcnt(0)
	s_waitcnt_vscnt null, 0x0
	s_barrier
	buffer_gl0_inv
	s_clause 0xc
	scratch_load_b128 v[5:8], off, off
	scratch_load_b128 v[9:12], off, off offset:16
	scratch_load_b128 v[111:114], off, off offset:32
	;; [unrolled: 1-line block ×11, first 2 shown]
	scratch_load_b32 v155, off, off offset:192
	ds_load_2addr_b32 v[147:148], v4 offset0:53 offset1:54
	ds_load_2addr_b32 v[149:150], v4 offset0:55 offset1:56
	;; [unrolled: 1-line block ×4, first 2 shown]
	s_and_b32 vcc_lo, exec_lo, s12
	s_waitcnt vmcnt(12) lgkmcnt(3)
	v_fma_f32 v156, v6, v147, 0
	s_delay_alu instid0(VALU_DEP_1) | instskip(SKIP_4) | instid1(VALU_DEP_1)
	v_fmac_f32_e32 v156, v7, v148
	ds_load_2addr_b32 v[6:7], v4 offset0:61 offset1:62
	s_waitcnt lgkmcnt(3)
	v_fmac_f32_e32 v156, v8, v149
	s_waitcnt vmcnt(11)
	v_fmac_f32_e32 v156, v9, v150
	ds_load_2addr_b32 v[8:9], v4 offset0:63 offset1:64
	s_waitcnt lgkmcnt(3)
	v_fmac_f32_e32 v156, v10, v151
	s_delay_alu instid0(VALU_DEP_1)
	v_fmac_f32_e32 v156, v11, v152
	ds_load_2addr_b32 v[10:11], v4 offset0:65 offset1:66
	ds_load_2addr_b32 v[147:148], v4 offset0:67 offset1:68
	s_waitcnt lgkmcnt(4)
	v_fmac_f32_e32 v156, v12, v153
	s_waitcnt vmcnt(10)
	s_delay_alu instid0(VALU_DEP_1) | instskip(SKIP_1) | instid1(VALU_DEP_1)
	v_fmac_f32_e32 v156, v111, v154
	s_waitcnt lgkmcnt(3)
	v_fmac_f32_e32 v156, v112, v6
	s_delay_alu instid0(VALU_DEP_1) | instskip(SKIP_4) | instid1(VALU_DEP_1)
	v_fmac_f32_e32 v156, v113, v7
	ds_load_2addr_b32 v[6:7], v4 offset0:69 offset1:70
	s_waitcnt lgkmcnt(3)
	v_fmac_f32_e32 v156, v114, v8
	s_waitcnt vmcnt(9)
	v_fmac_f32_e32 v156, v115, v9
	ds_load_2addr_b32 v[8:9], v4 offset0:71 offset1:72
	s_waitcnt lgkmcnt(3)
	v_fmac_f32_e32 v156, v116, v10
	s_delay_alu instid0(VALU_DEP_1)
	v_fmac_f32_e32 v156, v117, v11
	ds_load_2addr_b32 v[10:11], v4 offset0:73 offset1:74
	ds_load_2addr_b32 v[111:112], v4 offset0:75 offset1:76
	s_waitcnt lgkmcnt(4)
	v_fmac_f32_e32 v156, v118, v147
	s_waitcnt vmcnt(8)
	s_delay_alu instid0(VALU_DEP_1) | instskip(SKIP_1) | instid1(VALU_DEP_1)
	v_fmac_f32_e32 v156, v119, v148
	s_waitcnt lgkmcnt(3)
	v_fmac_f32_e32 v156, v120, v6
	s_delay_alu instid0(VALU_DEP_1) | instskip(SKIP_4) | instid1(VALU_DEP_1)
	v_fmac_f32_e32 v156, v121, v7
	ds_load_2addr_b32 v[6:7], v4 offset0:77 offset1:78
	s_waitcnt lgkmcnt(3)
	v_fmac_f32_e32 v156, v122, v8
	s_waitcnt vmcnt(7)
	v_fmac_f32_e32 v156, v123, v9
	ds_load_2addr_b32 v[8:9], v4 offset0:79 offset1:80
	s_waitcnt lgkmcnt(3)
	v_fmac_f32_e32 v156, v124, v10
	s_delay_alu instid0(VALU_DEP_1) | instskip(SKIP_1) | instid1(VALU_DEP_1)
	v_fmac_f32_e32 v156, v125, v11
	s_waitcnt lgkmcnt(2)
	v_fmac_f32_e32 v156, v126, v111
	s_waitcnt vmcnt(6)
	s_delay_alu instid0(VALU_DEP_1) | instskip(SKIP_4) | instid1(VALU_DEP_1)
	v_fmac_f32_e32 v156, v127, v112
	ds_load_2addr_b32 v[10:11], v4 offset0:81 offset1:82
	ds_load_2addr_b32 v[111:112], v4 offset0:83 offset1:84
	s_waitcnt lgkmcnt(3)
	v_fmac_f32_e32 v156, v128, v6
	v_fmac_f32_e32 v156, v129, v7
	ds_load_2addr_b32 v[6:7], v4 offset0:85 offset1:86
	s_waitcnt lgkmcnt(3)
	v_fmac_f32_e32 v156, v130, v8
	s_waitcnt vmcnt(5)
	s_delay_alu instid0(VALU_DEP_1) | instskip(SKIP_3) | instid1(VALU_DEP_1)
	v_fmac_f32_e32 v156, v131, v9
	ds_load_2addr_b32 v[8:9], v4 offset0:87 offset1:88
	s_waitcnt lgkmcnt(3)
	v_fmac_f32_e32 v156, v132, v10
	v_fmac_f32_e32 v156, v133, v11
	s_waitcnt lgkmcnt(2)
	s_delay_alu instid0(VALU_DEP_1) | instskip(SKIP_1) | instid1(VALU_DEP_1)
	v_fmac_f32_e32 v156, v134, v111
	s_waitcnt vmcnt(4)
	v_fmac_f32_e32 v156, v135, v112
	ds_load_2addr_b32 v[10:11], v4 offset0:89 offset1:90
	ds_load_2addr_b32 v[111:112], v4 offset0:91 offset1:92
	s_waitcnt lgkmcnt(3)
	v_fmac_f32_e32 v156, v136, v6
	s_delay_alu instid0(VALU_DEP_1) | instskip(SKIP_4) | instid1(VALU_DEP_1)
	v_fmac_f32_e32 v156, v137, v7
	ds_load_2addr_b32 v[6:7], v4 offset0:93 offset1:94
	s_waitcnt lgkmcnt(3)
	v_fmac_f32_e32 v156, v138, v8
	s_waitcnt vmcnt(3)
	v_fmac_f32_e32 v156, v139, v9
	ds_load_2addr_b32 v[8:9], v4 offset0:95 offset1:96
	s_waitcnt lgkmcnt(3)
	v_fmac_f32_e32 v156, v140, v10
	s_delay_alu instid0(VALU_DEP_1) | instskip(SKIP_1) | instid1(VALU_DEP_1)
	v_fmac_f32_e32 v156, v141, v11
	s_waitcnt lgkmcnt(2)
	v_fmac_f32_e32 v156, v142, v111
	s_waitcnt vmcnt(2)
	s_delay_alu instid0(VALU_DEP_1) | instskip(SKIP_4) | instid1(VALU_DEP_1)
	v_fmac_f32_e32 v156, v143, v112
	ds_load_2addr_b32 v[10:11], v4 offset0:97 offset1:98
	ds_load_2addr_b32 v[111:112], v4 offset0:99 offset1:100
	s_waitcnt lgkmcnt(3)
	v_fmac_f32_e32 v156, v144, v6
	v_fmac_f32_e32 v156, v145, v7
	s_waitcnt lgkmcnt(2)
	s_delay_alu instid0(VALU_DEP_1) | instskip(SKIP_1) | instid1(VALU_DEP_1)
	v_fmac_f32_e32 v156, v146, v8
	s_waitcnt vmcnt(1)
	v_fmac_f32_e32 v156, v0, v9
	s_waitcnt lgkmcnt(1)
	s_delay_alu instid0(VALU_DEP_1) | instskip(NEXT) | instid1(VALU_DEP_1)
	v_fmac_f32_e32 v156, v1, v10
	v_fmac_f32_e32 v156, v2, v11
	s_waitcnt lgkmcnt(0)
	s_delay_alu instid0(VALU_DEP_1) | instskip(SKIP_1) | instid1(VALU_DEP_1)
	v_fmac_f32_e32 v156, v3, v111
	s_waitcnt vmcnt(0)
	v_fmac_f32_e32 v156, v155, v112
	s_delay_alu instid0(VALU_DEP_1)
	v_sub_f32_e32 v0, v5, v156
	scratch_store_b32 off, v0, off
	s_cbranch_vccz .LBB112_399
; %bb.302:
	v_dual_mov_b32 v0, s2 :: v_dual_mov_b32 v1, s3
	s_mov_b32 s0, exec_lo
	flat_load_b32 v0, v[0:1] offset:188
	s_waitcnt vmcnt(0) lgkmcnt(0)
	v_cmpx_ne_u32_e32 48, v0
	s_cbranch_execz .LBB112_304
; %bb.303:
	v_lshl_add_u32 v0, v0, 2, 0
	scratch_load_b32 v1, v0, off offset:-4
	s_waitcnt vmcnt(0)
	scratch_store_b32 off, v1, off offset:188
	scratch_store_b32 v0, v3, off offset:-4
.LBB112_304:
	s_or_b32 exec_lo, exec_lo, s0
	v_dual_mov_b32 v0, s2 :: v_dual_mov_b32 v1, s3
	s_mov_b32 s0, exec_lo
	flat_load_b32 v0, v[0:1] offset:184
	s_waitcnt vmcnt(0) lgkmcnt(0)
	v_cmpx_ne_u32_e32 47, v0
	s_cbranch_execz .LBB112_306
; %bb.305:
	v_lshl_add_u32 v0, v0, 2, 0
	scratch_load_b32 v1, v0, off offset:-4
	scratch_load_b32 v2, off, off offset:184
	s_waitcnt vmcnt(1)
	scratch_store_b32 off, v1, off offset:184
	s_waitcnt vmcnt(0)
	scratch_store_b32 v0, v2, off offset:-4
.LBB112_306:
	s_or_b32 exec_lo, exec_lo, s0
	v_dual_mov_b32 v0, s2 :: v_dual_mov_b32 v1, s3
	s_mov_b32 s0, exec_lo
	flat_load_b32 v0, v[0:1] offset:180
	s_waitcnt vmcnt(0) lgkmcnt(0)
	v_cmpx_ne_u32_e32 46, v0
	s_cbranch_execz .LBB112_308
; %bb.307:
	v_lshl_add_u32 v0, v0, 2, 0
	scratch_load_b32 v1, v0, off offset:-4
	scratch_load_b32 v2, off, off offset:180
	s_waitcnt vmcnt(1)
	scratch_store_b32 off, v1, off offset:180
	s_waitcnt vmcnt(0)
	scratch_store_b32 v0, v2, off offset:-4
.LBB112_308:
	;; [unrolled: 16-line block ×46, first 2 shown]
	s_or_b32 exec_lo, exec_lo, s0
	v_dual_mov_b32 v0, s2 :: v_dual_mov_b32 v1, s3
	s_mov_b32 s0, exec_lo
	flat_load_b32 v1, v[0:1]
	scratch_load_b32 v0, off, off
	s_waitcnt vmcnt(1) lgkmcnt(0)
	v_cmpx_ne_u32_e32 1, v1
	s_cbranch_execz .LBB112_398
; %bb.397:
	v_lshl_add_u32 v1, v1, 2, 0
	scratch_load_b32 v2, v1, off offset:-4
	s_waitcnt vmcnt(0)
	scratch_store_b32 off, v2, off
	scratch_store_b32 v1, v0, off offset:-4
	scratch_load_b32 v0, off, off
.LBB112_398:
	s_or_b32 exec_lo, exec_lo, s0
.LBB112_399:
	s_clause 0xb
	scratch_load_b128 v[1:4], off, off offset:4
	scratch_load_b128 v[5:8], off, off offset:20
	;; [unrolled: 1-line block ×12, first 2 shown]
	s_waitcnt vmcnt(12)
	global_store_b32 v[13:14], v0, off
	s_waitcnt vmcnt(11)
	s_clause 0x3
	global_store_b32 v[15:16], v1, off
	global_store_b32 v[17:18], v2, off
	global_store_b32 v[19:20], v3, off
	global_store_b32 v[21:22], v4, off
	s_waitcnt vmcnt(10)
	s_clause 0x3
	global_store_b32 v[23:24], v5, off
	global_store_b32 v[25:26], v6, off
	global_store_b32 v[27:28], v7, off
	;; [unrolled: 6-line block ×12, first 2 shown]
	global_store_b32 v[109:110], v146, off
	s_endpgm
	.section	.rodata,"a",@progbits
	.p2align	6, 0x0
	.amdhsa_kernel _ZN9rocsolver6v33100L18getri_kernel_smallILi49EfPKPfEEvT1_iilPiilS6_bb
		.amdhsa_group_segment_fixed_size 404
		.amdhsa_private_segment_fixed_size 208
		.amdhsa_kernarg_size 60
		.amdhsa_user_sgpr_count 15
		.amdhsa_user_sgpr_dispatch_ptr 0
		.amdhsa_user_sgpr_queue_ptr 0
		.amdhsa_user_sgpr_kernarg_segment_ptr 1
		.amdhsa_user_sgpr_dispatch_id 0
		.amdhsa_user_sgpr_private_segment_size 0
		.amdhsa_wavefront_size32 1
		.amdhsa_uses_dynamic_stack 0
		.amdhsa_enable_private_segment 1
		.amdhsa_system_sgpr_workgroup_id_x 1
		.amdhsa_system_sgpr_workgroup_id_y 0
		.amdhsa_system_sgpr_workgroup_id_z 0
		.amdhsa_system_sgpr_workgroup_info 0
		.amdhsa_system_vgpr_workitem_id 0
		.amdhsa_next_free_vgpr 160
		.amdhsa_next_free_sgpr 17
		.amdhsa_reserve_vcc 1
		.amdhsa_float_round_mode_32 0
		.amdhsa_float_round_mode_16_64 0
		.amdhsa_float_denorm_mode_32 3
		.amdhsa_float_denorm_mode_16_64 3
		.amdhsa_dx10_clamp 1
		.amdhsa_ieee_mode 1
		.amdhsa_fp16_overflow 0
		.amdhsa_workgroup_processor_mode 1
		.amdhsa_memory_ordered 1
		.amdhsa_forward_progress 0
		.amdhsa_shared_vgpr_count 0
		.amdhsa_exception_fp_ieee_invalid_op 0
		.amdhsa_exception_fp_denorm_src 0
		.amdhsa_exception_fp_ieee_div_zero 0
		.amdhsa_exception_fp_ieee_overflow 0
		.amdhsa_exception_fp_ieee_underflow 0
		.amdhsa_exception_fp_ieee_inexact 0
		.amdhsa_exception_int_div_zero 0
	.end_amdhsa_kernel
	.section	.text._ZN9rocsolver6v33100L18getri_kernel_smallILi49EfPKPfEEvT1_iilPiilS6_bb,"axG",@progbits,_ZN9rocsolver6v33100L18getri_kernel_smallILi49EfPKPfEEvT1_iilPiilS6_bb,comdat
.Lfunc_end112:
	.size	_ZN9rocsolver6v33100L18getri_kernel_smallILi49EfPKPfEEvT1_iilPiilS6_bb, .Lfunc_end112-_ZN9rocsolver6v33100L18getri_kernel_smallILi49EfPKPfEEvT1_iilPiilS6_bb
                                        ; -- End function
	.section	.AMDGPU.csdata,"",@progbits
; Kernel info:
; codeLenInByte = 35932
; NumSgprs: 19
; NumVgprs: 160
; ScratchSize: 208
; MemoryBound: 0
; FloatMode: 240
; IeeeMode: 1
; LDSByteSize: 404 bytes/workgroup (compile time only)
; SGPRBlocks: 2
; VGPRBlocks: 19
; NumSGPRsForWavesPerEU: 19
; NumVGPRsForWavesPerEU: 160
; Occupancy: 9
; WaveLimiterHint : 1
; COMPUTE_PGM_RSRC2:SCRATCH_EN: 1
; COMPUTE_PGM_RSRC2:USER_SGPR: 15
; COMPUTE_PGM_RSRC2:TRAP_HANDLER: 0
; COMPUTE_PGM_RSRC2:TGID_X_EN: 1
; COMPUTE_PGM_RSRC2:TGID_Y_EN: 0
; COMPUTE_PGM_RSRC2:TGID_Z_EN: 0
; COMPUTE_PGM_RSRC2:TIDIG_COMP_CNT: 0
	.section	.text._ZN9rocsolver6v33100L18getri_kernel_smallILi50EfPKPfEEvT1_iilPiilS6_bb,"axG",@progbits,_ZN9rocsolver6v33100L18getri_kernel_smallILi50EfPKPfEEvT1_iilPiilS6_bb,comdat
	.globl	_ZN9rocsolver6v33100L18getri_kernel_smallILi50EfPKPfEEvT1_iilPiilS6_bb ; -- Begin function _ZN9rocsolver6v33100L18getri_kernel_smallILi50EfPKPfEEvT1_iilPiilS6_bb
	.p2align	8
	.type	_ZN9rocsolver6v33100L18getri_kernel_smallILi50EfPKPfEEvT1_iilPiilS6_bb,@function
_ZN9rocsolver6v33100L18getri_kernel_smallILi50EfPKPfEEvT1_iilPiilS6_bb: ; @_ZN9rocsolver6v33100L18getri_kernel_smallILi50EfPKPfEEvT1_iilPiilS6_bb
; %bb.0:
	s_mov_b32 s2, exec_lo
	v_cmpx_gt_u32_e32 50, v0
	s_cbranch_execz .LBB113_208
; %bb.1:
	s_clause 0x1
	s_load_b32 s13, s[0:1], 0x38
	s_load_b64 s[2:3], s[0:1], 0x0
	s_mov_b32 s8, s15
	s_load_b128 s[4:7], s[0:1], 0x28
	s_waitcnt lgkmcnt(0)
	s_bitcmp1_b32 s13, 8
	s_cselect_b32 s12, -1, 0
	s_ashr_i32 s9, s15, 31
	s_delay_alu instid0(SALU_CYCLE_1) | instskip(NEXT) | instid1(SALU_CYCLE_1)
	s_lshl_b64 s[10:11], s[8:9], 3
	s_add_u32 s2, s2, s10
	s_addc_u32 s3, s3, s11
	s_load_b64 s[10:11], s[2:3], 0x0
	s_bfe_u32 s2, s13, 0x10008
	s_delay_alu instid0(SALU_CYCLE_1)
	s_cmp_eq_u32 s2, 0
                                        ; implicit-def: $sgpr2_sgpr3
	s_cbranch_scc1 .LBB113_3
; %bb.2:
	s_clause 0x1
	s_load_b32 s2, s[0:1], 0x20
	s_load_b64 s[14:15], s[0:1], 0x18
	s_mul_i32 s3, s8, s5
	s_mul_hi_u32 s5, s8, s4
	s_mul_i32 s16, s9, s4
	s_add_i32 s3, s5, s3
	s_mul_i32 s4, s8, s4
	s_add_i32 s5, s3, s16
	s_delay_alu instid0(SALU_CYCLE_1)
	s_lshl_b64 s[4:5], s[4:5], 2
	s_waitcnt lgkmcnt(0)
	s_ashr_i32 s3, s2, 31
	s_add_u32 s4, s14, s4
	s_addc_u32 s5, s15, s5
	s_lshl_b64 s[2:3], s[2:3], 2
	s_delay_alu instid0(SALU_CYCLE_1)
	s_add_u32 s2, s4, s2
	s_addc_u32 s3, s5, s3
.LBB113_3:
	s_load_b64 s[0:1], s[0:1], 0x8
	v_lshlrev_b32_e32 v101, 2, v0
	s_waitcnt lgkmcnt(0)
	v_add3_u32 v3, s1, s1, v0
	s_ashr_i32 s5, s0, 31
	s_mov_b32 s4, s0
	s_mov_b32 s14, s1
	s_lshl_b64 s[4:5], s[4:5], 2
	v_add_nc_u32_e32 v5, s1, v3
	v_ashrrev_i32_e32 v4, 31, v3
	s_add_u32 s4, s10, s4
	s_addc_u32 s5, s11, s5
	v_add_co_u32 v1, s0, s4, v101
	v_add_nc_u32_e32 v7, s1, v5
	v_ashrrev_i32_e32 v6, 31, v5
	s_ashr_i32 s15, s1, 31
	v_add_co_ci_u32_e64 v2, null, s5, 0, s0
	s_delay_alu instid0(VALU_DEP_3)
	v_add_nc_u32_e32 v9, s1, v7
	v_lshlrev_b64 v[38:39], 2, v[3:4]
	s_lshl_b64 s[10:11], s[14:15], 2
	v_lshlrev_b64 v[41:42], 2, v[5:6]
	v_add_co_u32 v3, vcc_lo, v1, s10
	v_add_nc_u32_e32 v11, s1, v9
	v_ashrrev_i32_e32 v8, 31, v7
	v_add_co_ci_u32_e32 v4, vcc_lo, s11, v2, vcc_lo
	v_add_co_u32 v5, vcc_lo, s4, v38
	s_delay_alu instid0(VALU_DEP_4) | instskip(SKIP_3) | instid1(VALU_DEP_4)
	v_add_nc_u32_e32 v13, s1, v11
	v_ashrrev_i32_e32 v10, 31, v9
	v_add_co_ci_u32_e32 v6, vcc_lo, s5, v39, vcc_lo
	v_lshlrev_b64 v[38:39], 2, v[7:8]
	v_add_nc_u32_e32 v15, s1, v13
	v_add_co_u32 v7, vcc_lo, s4, v41
	v_add_co_ci_u32_e32 v8, vcc_lo, s5, v42, vcc_lo
	s_delay_alu instid0(VALU_DEP_3) | instskip(SKIP_3) | instid1(VALU_DEP_4)
	v_add_nc_u32_e32 v17, s1, v15
	v_lshlrev_b64 v[41:42], 2, v[9:10]
	v_ashrrev_i32_e32 v12, 31, v11
	v_add_co_u32 v9, vcc_lo, s4, v38
	v_add_nc_u32_e32 v19, s1, v17
	v_ashrrev_i32_e32 v14, 31, v13
	v_add_co_ci_u32_e32 v10, vcc_lo, s5, v39, vcc_lo
	v_lshlrev_b64 v[38:39], 2, v[11:12]
	s_delay_alu instid0(VALU_DEP_4) | instskip(SKIP_2) | instid1(VALU_DEP_3)
	v_add_nc_u32_e32 v21, s1, v19
	v_add_co_u32 v11, vcc_lo, s4, v41
	v_add_co_ci_u32_e32 v12, vcc_lo, s5, v42, vcc_lo
	v_add_nc_u32_e32 v23, s1, v21
	v_lshlrev_b64 v[41:42], 2, v[13:14]
	v_ashrrev_i32_e32 v16, 31, v15
	v_add_co_u32 v13, vcc_lo, s4, v38
	s_delay_alu instid0(VALU_DEP_4) | instskip(SKIP_3) | instid1(VALU_DEP_4)
	v_add_nc_u32_e32 v25, s1, v23
	v_ashrrev_i32_e32 v18, 31, v17
	v_add_co_ci_u32_e32 v14, vcc_lo, s5, v39, vcc_lo
	v_lshlrev_b64 v[38:39], 2, v[15:16]
	v_add_nc_u32_e32 v27, s1, v25
	v_add_co_u32 v15, vcc_lo, s4, v41
	v_add_co_ci_u32_e32 v16, vcc_lo, s5, v42, vcc_lo
	s_delay_alu instid0(VALU_DEP_3) | instskip(SKIP_3) | instid1(VALU_DEP_4)
	v_add_nc_u32_e32 v29, s1, v27
	v_lshlrev_b64 v[41:42], 2, v[17:18]
	v_ashrrev_i32_e32 v20, 31, v19
	v_add_co_u32 v17, vcc_lo, s4, v38
	v_add_nc_u32_e32 v31, s1, v29
	v_ashrrev_i32_e32 v22, 31, v21
	v_add_co_ci_u32_e32 v18, vcc_lo, s5, v39, vcc_lo
	v_lshlrev_b64 v[38:39], 2, v[19:20]
	s_delay_alu instid0(VALU_DEP_4) | instskip(SKIP_2) | instid1(VALU_DEP_3)
	v_add_nc_u32_e32 v33, s1, v31
	v_add_co_u32 v19, vcc_lo, s4, v41
	v_add_co_ci_u32_e32 v20, vcc_lo, s5, v42, vcc_lo
	v_add_nc_u32_e32 v35, s1, v33
	v_lshlrev_b64 v[41:42], 2, v[21:22]
	v_ashrrev_i32_e32 v24, 31, v23
	;; [unrolled: 25-line block ×3, first 2 shown]
	v_add_co_u32 v29, vcc_lo, s4, v38
	s_delay_alu instid0(VALU_DEP_4) | instskip(SKIP_3) | instid1(VALU_DEP_4)
	v_add_nc_u32_e32 v51, s1, v49
	v_ashrrev_i32_e32 v34, 31, v33
	v_add_co_ci_u32_e32 v30, vcc_lo, s5, v39, vcc_lo
	v_lshlrev_b64 v[38:39], 2, v[31:32]
	v_add_nc_u32_e32 v53, s1, v51
	v_add_co_u32 v31, vcc_lo, s4, v41
	v_add_co_ci_u32_e32 v32, vcc_lo, s5, v42, vcc_lo
	s_delay_alu instid0(VALU_DEP_3) | instskip(SKIP_3) | instid1(VALU_DEP_4)
	v_add_nc_u32_e32 v55, s1, v53
	v_lshlrev_b64 v[41:42], 2, v[33:34]
	v_ashrrev_i32_e32 v36, 31, v35
	v_add_co_u32 v33, vcc_lo, s4, v38
	v_add_nc_u32_e32 v57, s1, v55
	v_ashrrev_i32_e32 v38, 31, v37
	v_add_co_ci_u32_e32 v34, vcc_lo, s5, v39, vcc_lo
	v_lshlrev_b64 v[66:67], 2, v[35:36]
	s_delay_alu instid0(VALU_DEP_4) | instskip(SKIP_3) | instid1(VALU_DEP_4)
	v_add_nc_u32_e32 v59, s1, v57
	v_add_co_u32 v35, vcc_lo, s4, v41
	v_ashrrev_i32_e32 v41, 31, v40
	v_lshlrev_b64 v[80:81], 2, v[37:38]
	v_add_nc_u32_e32 v61, s1, v59
	v_ashrrev_i32_e32 v44, 31, v43
	v_add_co_ci_u32_e32 v36, vcc_lo, s5, v42, vcc_lo
	v_add_co_u32 v37, vcc_lo, s4, v66
	s_delay_alu instid0(VALU_DEP_4) | instskip(SKIP_3) | instid1(VALU_DEP_4)
	v_add_nc_u32_e32 v63, s1, v61
	v_lshlrev_b64 v[41:42], 2, v[40:41]
	v_ashrrev_i32_e32 v46, 31, v45
	v_add_co_ci_u32_e32 v38, vcc_lo, s5, v67, vcc_lo
	v_add_nc_u32_e32 v65, s1, v63
	v_add_co_u32 v39, vcc_lo, s4, v80
	v_lshlrev_b64 v[43:44], 2, v[43:44]
	v_ashrrev_i32_e32 v48, 31, v47
	s_delay_alu instid0(VALU_DEP_4) | instskip(SKIP_2) | instid1(VALU_DEP_3)
	v_add_nc_u32_e32 v69, s1, v65
	v_add_co_ci_u32_e32 v40, vcc_lo, s5, v81, vcc_lo
	v_add_co_u32 v41, vcc_lo, s4, v41
	v_add_nc_u32_e32 v71, s1, v69
	v_lshlrev_b64 v[45:46], 2, v[45:46]
	v_ashrrev_i32_e32 v50, 31, v49
	v_add_co_ci_u32_e32 v42, vcc_lo, s5, v42, vcc_lo
	s_delay_alu instid0(VALU_DEP_4) | instskip(SKIP_3) | instid1(VALU_DEP_4)
	v_add_nc_u32_e32 v73, s1, v71
	v_add_co_u32 v43, vcc_lo, s4, v43
	v_lshlrev_b64 v[47:48], 2, v[47:48]
	v_ashrrev_i32_e32 v52, 31, v51
	v_add_nc_u32_e32 v75, s1, v73
	v_add_co_ci_u32_e32 v44, vcc_lo, s5, v44, vcc_lo
	v_add_co_u32 v45, vcc_lo, s4, v45
	s_delay_alu instid0(VALU_DEP_3) | instskip(SKIP_3) | instid1(VALU_DEP_4)
	v_add_nc_u32_e32 v77, s1, v75
	v_lshlrev_b64 v[49:50], 2, v[49:50]
	v_ashrrev_i32_e32 v54, 31, v53
	v_add_co_ci_u32_e32 v46, vcc_lo, s5, v46, vcc_lo
	v_add_nc_u32_e32 v79, s1, v77
	v_add_co_u32 v47, vcc_lo, s4, v47
	v_lshlrev_b64 v[51:52], 2, v[51:52]
	v_ashrrev_i32_e32 v56, 31, v55
	s_delay_alu instid0(VALU_DEP_4) | instskip(SKIP_2) | instid1(VALU_DEP_3)
	v_add_nc_u32_e32 v82, s1, v79
	v_add_co_ci_u32_e32 v48, vcc_lo, s5, v48, vcc_lo
	v_add_co_u32 v49, vcc_lo, s4, v49
	v_add_nc_u32_e32 v84, s1, v82
	v_lshlrev_b64 v[53:54], 2, v[53:54]
	v_add_co_ci_u32_e32 v50, vcc_lo, s5, v50, vcc_lo
	v_add_co_u32 v51, vcc_lo, s4, v51
	s_delay_alu instid0(VALU_DEP_4) | instskip(SKIP_3) | instid1(VALU_DEP_4)
	v_add_nc_u32_e32 v86, s1, v84
	v_lshlrev_b64 v[55:56], 2, v[55:56]
	v_ashrrev_i32_e32 v58, 31, v57
	v_add_co_ci_u32_e32 v52, vcc_lo, s5, v52, vcc_lo
	v_add_nc_u32_e32 v88, s1, v86
	v_add_co_u32 v53, vcc_lo, s4, v53
	v_ashrrev_i32_e32 v60, 31, v59
	v_add_co_ci_u32_e32 v54, vcc_lo, s5, v54, vcc_lo
	s_delay_alu instid0(VALU_DEP_4) | instskip(SKIP_3) | instid1(VALU_DEP_4)
	v_add_nc_u32_e32 v90, s1, v88
	v_lshlrev_b64 v[66:67], 2, v[57:58]
	v_add_co_u32 v57, vcc_lo, s4, v55
	v_add_co_ci_u32_e32 v58, vcc_lo, s5, v56, vcc_lo
	v_add_nc_u32_e32 v92, s1, v90
	v_lshlrev_b64 v[55:56], 2, v[59:60]
	v_ashrrev_i32_e32 v62, 31, v61
	v_add_co_u32 v59, vcc_lo, s4, v66
	s_delay_alu instid0(VALU_DEP_4) | instskip(SKIP_1) | instid1(VALU_DEP_4)
	v_add_nc_u32_e32 v94, s1, v92
	v_add_co_ci_u32_e32 v60, vcc_lo, s5, v67, vcc_lo
	v_lshlrev_b64 v[67:68], 2, v[61:62]
	v_ashrrev_i32_e32 v64, 31, v63
	s_delay_alu instid0(VALU_DEP_4) | instskip(SKIP_2) | instid1(VALU_DEP_3)
	v_add_nc_u32_e32 v96, s1, v94
	v_add_co_u32 v61, vcc_lo, s4, v55
	v_add_co_ci_u32_e32 v62, vcc_lo, s5, v56, vcc_lo
	v_add_nc_u32_e32 v98, s1, v96
	v_ashrrev_i32_e32 v66, 31, v65
	v_lshlrev_b64 v[99:100], 2, v[63:64]
	v_ashrrev_i32_e32 v70, 31, v69
	v_ashrrev_i32_e32 v72, 31, v71
	v_add_nc_u32_e32 v143, s1, v98
	v_ashrrev_i32_e32 v74, 31, v73
	v_ashrrev_i32_e32 v76, 31, v75
	v_lshlrev_b64 v[69:70], 2, v[69:70]
	v_lshlrev_b64 v[71:72], 2, v[71:72]
	v_add_nc_u32_e32 v80, s1, v143
	v_lshlrev_b64 v[73:74], 2, v[73:74]
	v_ashrrev_i32_e32 v78, 31, v77
	v_lshlrev_b64 v[75:76], 2, v[75:76]
	v_ashrrev_i32_e32 v83, 31, v82
	v_ashrrev_i32_e32 v81, 31, v80
	;; [unrolled: 1-line block ×3, first 2 shown]
	v_lshlrev_b64 v[77:78], 2, v[77:78]
	v_ashrrev_i32_e32 v87, 31, v86
	v_ashrrev_i32_e32 v89, 31, v88
	v_lshlrev_b64 v[80:81], 2, v[80:81]
	v_ashrrev_i32_e32 v91, 31, v90
	v_ashrrev_i32_e32 v93, 31, v92
	v_ashrrev_i32_e32 v95, 31, v94
	v_ashrrev_i32_e32 v97, 31, v96
	v_ashrrev_i32_e32 v144, 31, v143
	v_add_co_u32 v55, vcc_lo, s4, v80
	v_add_co_ci_u32_e32 v56, vcc_lo, s5, v81, vcc_lo
	v_add_co_u32 v63, vcc_lo, s4, v67
	v_add_co_ci_u32_e32 v64, vcc_lo, s5, v68, vcc_lo
	v_lshlrev_b64 v[67:68], 2, v[65:66]
	v_add_co_u32 v65, vcc_lo, s4, v99
	v_add_co_ci_u32_e32 v66, vcc_lo, s5, v100, vcc_lo
	v_ashrrev_i32_e32 v80, 31, v79
	s_delay_alu instid0(VALU_DEP_4)
	v_add_co_u32 v67, vcc_lo, s4, v67
	v_add_co_ci_u32_e32 v68, vcc_lo, s5, v68, vcc_lo
	v_add_co_u32 v69, vcc_lo, s4, v69
	v_add_co_ci_u32_e32 v70, vcc_lo, s5, v70, vcc_lo
	;; [unrolled: 2-line block ×4, first 2 shown]
	v_add_co_u32 v75, vcc_lo, s4, v75
	v_lshlrev_b64 v[79:80], 2, v[79:80]
	v_add_co_ci_u32_e32 v76, vcc_lo, s5, v76, vcc_lo
	v_add_co_u32 v77, vcc_lo, s4, v77
	v_lshlrev_b64 v[81:82], 2, v[82:83]
	v_add_co_ci_u32_e32 v78, vcc_lo, s5, v78, vcc_lo
	;; [unrolled: 3-line block ×7, first 2 shown]
	v_add_co_u32 v89, vcc_lo, s4, v89
	v_lshlrev_b64 v[93:94], 2, v[94:95]
	v_ashrrev_i32_e32 v99, 31, v98
	v_add_co_ci_u32_e32 v90, vcc_lo, s5, v90, vcc_lo
	v_add_co_u32 v91, vcc_lo, s4, v91
	v_lshlrev_b64 v[95:96], 2, v[96:97]
	v_add_co_ci_u32_e32 v92, vcc_lo, s5, v92, vcc_lo
	v_add_co_u32 v93, vcc_lo, s4, v93
	v_lshlrev_b64 v[97:98], 2, v[98:99]
	v_add_co_ci_u32_e32 v94, vcc_lo, s5, v94, vcc_lo
	v_add_co_u32 v95, vcc_lo, s4, v95
	v_lshlrev_b64 v[99:100], 2, v[143:144]
	v_add_co_ci_u32_e32 v96, vcc_lo, s5, v96, vcc_lo
	v_add_co_u32 v97, vcc_lo, s4, v97
	v_add_co_ci_u32_e32 v98, vcc_lo, s5, v98, vcc_lo
	s_delay_alu instid0(VALU_DEP_4)
	v_add_co_u32 v99, vcc_lo, s4, v99
	s_clause 0x1f
	global_load_b32 v102, v101, s[4:5]
	global_load_b32 v103, v[3:4], off
	global_load_b32 v104, v[5:6], off
	;; [unrolled: 1-line block ×31, first 2 shown]
	s_clause 0x8
	global_load_b32 v134, v[67:68], off
	global_load_b32 v135, v[69:70], off
	;; [unrolled: 1-line block ×9, first 2 shown]
	v_add_co_ci_u32_e32 v100, vcc_lo, s5, v100, vcc_lo
	s_clause 0x8
	global_load_b32 v143, v[85:86], off
	global_load_b32 v144, v[87:88], off
	;; [unrolled: 1-line block ×9, first 2 shown]
	s_bitcmp0_b32 s13, 0
	s_mov_b32 s1, -1
	s_waitcnt vmcnt(46)
	scratch_store_b128 off, v[102:105], off
	s_waitcnt vmcnt(42)
	scratch_store_b128 off, v[106:109], off offset:16
	s_waitcnt vmcnt(38)
	scratch_store_b128 off, v[110:113], off offset:32
	;; [unrolled: 2-line block ×11, first 2 shown]
	s_waitcnt vmcnt(0)
	scratch_store_b64 off, v[150:151], off offset:192
	s_cbranch_scc1 .LBB113_206
; %bb.4:
	v_cmp_eq_u32_e64 s0, 0, v0
	s_delay_alu instid0(VALU_DEP_1)
	s_and_saveexec_b32 s1, s0
	s_cbranch_execz .LBB113_6
; %bb.5:
	v_mov_b32_e32 v102, 0
	ds_store_b32 v102, v102 offset:200
.LBB113_6:
	s_or_b32 exec_lo, exec_lo, s1
	s_waitcnt lgkmcnt(0)
	s_waitcnt_vscnt null, 0x0
	s_barrier
	buffer_gl0_inv
	scratch_load_b32 v102, v101, off
	s_mov_b32 s4, exec_lo
	s_waitcnt vmcnt(0)
	v_cmpx_eq_f32_e32 0, v102
	s_cbranch_execz .LBB113_10
; %bb.7:
	v_mov_b32_e32 v102, 0
	s_mov_b32 s5, 0
	ds_load_b32 v103, v102 offset:200
	s_waitcnt lgkmcnt(0)
	v_readfirstlane_b32 s1, v103
	v_add_nc_u32_e32 v103, 1, v0
	s_delay_alu instid0(VALU_DEP_2) | instskip(NEXT) | instid1(VALU_DEP_1)
	s_cmp_eq_u32 s1, 0
	v_cmp_gt_i32_e32 vcc_lo, s1, v103
	s_cselect_b32 s10, -1, 0
	s_delay_alu instid0(SALU_CYCLE_1) | instskip(NEXT) | instid1(SALU_CYCLE_1)
	s_or_b32 s10, s10, vcc_lo
	s_and_b32 exec_lo, exec_lo, s10
	s_cbranch_execz .LBB113_10
; %bb.8:
	v_mov_b32_e32 v104, s1
.LBB113_9:                              ; =>This Inner Loop Header: Depth=1
	ds_cmpstore_rtn_b32 v104, v102, v103, v104 offset:200
	s_waitcnt lgkmcnt(0)
	v_cmp_ne_u32_e32 vcc_lo, 0, v104
	v_cmp_le_i32_e64 s1, v104, v103
	s_delay_alu instid0(VALU_DEP_1) | instskip(NEXT) | instid1(SALU_CYCLE_1)
	s_and_b32 s1, vcc_lo, s1
	s_and_b32 s1, exec_lo, s1
	s_delay_alu instid0(SALU_CYCLE_1) | instskip(NEXT) | instid1(SALU_CYCLE_1)
	s_or_b32 s5, s1, s5
	s_and_not1_b32 exec_lo, exec_lo, s5
	s_cbranch_execnz .LBB113_9
.LBB113_10:
	s_or_b32 exec_lo, exec_lo, s4
	v_mov_b32_e32 v102, 0
	s_barrier
	buffer_gl0_inv
	ds_load_b32 v103, v102 offset:200
	s_and_saveexec_b32 s1, s0
	s_cbranch_execz .LBB113_12
; %bb.11:
	s_lshl_b64 s[4:5], s[8:9], 2
	s_delay_alu instid0(SALU_CYCLE_1)
	s_add_u32 s4, s6, s4
	s_addc_u32 s5, s7, s5
	s_waitcnt lgkmcnt(0)
	global_store_b32 v102, v103, s[4:5]
.LBB113_12:
	s_or_b32 exec_lo, exec_lo, s1
	s_waitcnt lgkmcnt(0)
	v_cmp_ne_u32_e32 vcc_lo, 0, v103
	s_mov_b32 s1, 0
	s_cbranch_vccnz .LBB113_206
; %bb.13:
	v_add_nc_u32_e32 v102, 0, v101
	scratch_load_b32 v103, v102, off
	s_waitcnt vmcnt(0)
	v_div_scale_f32 v104, null, v103, v103, 1.0
	v_div_scale_f32 v107, vcc_lo, 1.0, v103, 1.0
	s_delay_alu instid0(VALU_DEP_2) | instskip(SKIP_2) | instid1(VALU_DEP_1)
	v_rcp_f32_e32 v105, v104
	s_waitcnt_depctr 0xfff
	v_fma_f32 v106, -v104, v105, 1.0
	v_fmac_f32_e32 v105, v106, v105
	s_delay_alu instid0(VALU_DEP_1) | instskip(NEXT) | instid1(VALU_DEP_1)
	v_mul_f32_e32 v106, v107, v105
	v_fma_f32 v108, -v104, v106, v107
	s_delay_alu instid0(VALU_DEP_1) | instskip(NEXT) | instid1(VALU_DEP_1)
	v_fmac_f32_e32 v106, v108, v105
	v_fma_f32 v104, -v104, v106, v107
	s_delay_alu instid0(VALU_DEP_1) | instskip(NEXT) | instid1(VALU_DEP_1)
	v_div_fmas_f32 v104, v104, v105, v106
	v_div_fixup_f32 v103, v104, v103, 1.0
	scratch_store_b32 v102, v103, off
	scratch_load_b32 v104, off, off offset:4
	v_xor_b32_e32 v105, 0x80000000, v103
	v_add_nc_u32_e32 v103, 0xd0, v101
	s_waitcnt vmcnt(0)
	ds_store_2addr_b32 v101, v105, v104 offset1:52
	s_waitcnt lgkmcnt(0)
	s_waitcnt_vscnt null, 0x0
	s_barrier
	buffer_gl0_inv
	s_and_saveexec_b32 s1, s0
	s_cbranch_execz .LBB113_15
; %bb.14:
	scratch_load_b32 v104, v102, off
	ds_load_b32 v105, v103
	v_mov_b32_e32 v106, 0
	ds_load_b32 v106, v106 offset:4
	s_waitcnt vmcnt(0) lgkmcnt(1)
	v_fma_f32 v104, v104, v105, 0
	s_waitcnt lgkmcnt(0)
	s_delay_alu instid0(VALU_DEP_1)
	v_mul_f32_e32 v104, v104, v106
	scratch_store_b32 off, v104, off offset:4
.LBB113_15:
	s_or_b32 exec_lo, exec_lo, s1
	s_waitcnt_vscnt null, 0x0
	s_barrier
	buffer_gl0_inv
	scratch_load_b32 v104, off, off offset:8
	s_mov_b32 s1, exec_lo
	s_waitcnt vmcnt(0)
	ds_store_b32 v103, v104
	s_waitcnt lgkmcnt(0)
	s_barrier
	buffer_gl0_inv
	v_cmpx_gt_u32_e32 2, v0
	s_cbranch_execz .LBB113_17
; %bb.16:
	scratch_load_b32 v106, v102, off
	scratch_load_b32 v107, off, off offset:4
	ds_load_b32 v108, v103
	v_mov_b32_e32 v104, 0
	ds_load_2addr_b32 v[104:105], v104 offset0:2 offset1:53
	s_waitcnt vmcnt(1) lgkmcnt(1)
	v_fma_f32 v106, v106, v108, 0
	s_waitcnt vmcnt(0) lgkmcnt(0)
	s_delay_alu instid0(VALU_DEP_1) | instskip(NEXT) | instid1(VALU_DEP_1)
	v_fma_f32 v105, v107, v105, v106
	v_cndmask_b32_e64 v105, v106, v105, s0
	s_delay_alu instid0(VALU_DEP_1)
	v_mul_f32_e32 v104, v105, v104
	scratch_store_b32 off, v104, off offset:8
.LBB113_17:
	s_or_b32 exec_lo, exec_lo, s1
	s_waitcnt_vscnt null, 0x0
	s_barrier
	buffer_gl0_inv
	scratch_load_b32 v105, off, off offset:12
	v_add_nc_u32_e32 v104, -1, v0
	s_mov_b32 s0, exec_lo
	s_waitcnt vmcnt(0)
	ds_store_b32 v103, v105
	s_waitcnt lgkmcnt(0)
	s_barrier
	buffer_gl0_inv
	v_cmpx_gt_u32_e32 3, v0
	s_cbranch_execz .LBB113_21
; %bb.18:
	v_dual_mov_b32 v105, 0 :: v_dual_add_nc_u32 v106, -1, v0
	v_add_nc_u32_e32 v107, 0xd0, v101
	v_add_nc_u32_e32 v108, 0, v101
	s_mov_b32 s1, 0
.LBB113_19:                             ; =>This Inner Loop Header: Depth=1
	scratch_load_b32 v109, v108, off
	ds_load_b32 v110, v107
	v_add_nc_u32_e32 v106, 1, v106
	v_add_nc_u32_e32 v107, 4, v107
	v_add_nc_u32_e32 v108, 4, v108
	s_delay_alu instid0(VALU_DEP_3)
	v_cmp_lt_u32_e32 vcc_lo, 1, v106
	s_or_b32 s1, vcc_lo, s1
	s_waitcnt vmcnt(0) lgkmcnt(0)
	v_fmac_f32_e32 v105, v109, v110
	s_and_not1_b32 exec_lo, exec_lo, s1
	s_cbranch_execnz .LBB113_19
; %bb.20:
	s_or_b32 exec_lo, exec_lo, s1
	v_mov_b32_e32 v106, 0
	ds_load_b32 v106, v106 offset:12
	s_waitcnt lgkmcnt(0)
	v_mul_f32_e32 v105, v105, v106
	scratch_store_b32 off, v105, off offset:12
.LBB113_21:
	s_or_b32 exec_lo, exec_lo, s0
	s_waitcnt_vscnt null, 0x0
	s_barrier
	buffer_gl0_inv
	scratch_load_b32 v105, off, off offset:16
	s_mov_b32 s0, exec_lo
	s_waitcnt vmcnt(0)
	ds_store_b32 v103, v105
	s_waitcnt lgkmcnt(0)
	s_barrier
	buffer_gl0_inv
	v_cmpx_gt_u32_e32 4, v0
	s_cbranch_execz .LBB113_25
; %bb.22:
	v_dual_mov_b32 v105, 0 :: v_dual_add_nc_u32 v106, -1, v0
	v_add_nc_u32_e32 v107, 0xd0, v101
	v_add_nc_u32_e32 v108, 0, v101
	s_mov_b32 s1, 0
.LBB113_23:                             ; =>This Inner Loop Header: Depth=1
	scratch_load_b32 v109, v108, off
	ds_load_b32 v110, v107
	v_add_nc_u32_e32 v106, 1, v106
	v_add_nc_u32_e32 v107, 4, v107
	v_add_nc_u32_e32 v108, 4, v108
	s_delay_alu instid0(VALU_DEP_3)
	v_cmp_lt_u32_e32 vcc_lo, 2, v106
	s_or_b32 s1, vcc_lo, s1
	s_waitcnt vmcnt(0) lgkmcnt(0)
	v_fmac_f32_e32 v105, v109, v110
	s_and_not1_b32 exec_lo, exec_lo, s1
	s_cbranch_execnz .LBB113_23
; %bb.24:
	s_or_b32 exec_lo, exec_lo, s1
	v_mov_b32_e32 v106, 0
	ds_load_b32 v106, v106 offset:16
	s_waitcnt lgkmcnt(0)
	v_mul_f32_e32 v105, v105, v106
	scratch_store_b32 off, v105, off offset:16
.LBB113_25:
	s_or_b32 exec_lo, exec_lo, s0
	s_waitcnt_vscnt null, 0x0
	s_barrier
	buffer_gl0_inv
	scratch_load_b32 v105, off, off offset:20
	;; [unrolled: 39-line block ×21, first 2 shown]
	s_mov_b32 s0, exec_lo
	s_waitcnt vmcnt(0)
	ds_store_b32 v103, v105
	s_waitcnt lgkmcnt(0)
	s_barrier
	buffer_gl0_inv
	v_cmpx_gt_u32_e32 24, v0
	s_cbranch_execz .LBB113_105
; %bb.102:
	v_dual_mov_b32 v105, 0 :: v_dual_add_nc_u32 v106, -1, v0
	v_add_nc_u32_e32 v107, 0xd0, v101
	v_add_nc_u32_e32 v108, 0, v101
	s_mov_b32 s1, 0
.LBB113_103:                            ; =>This Inner Loop Header: Depth=1
	scratch_load_b32 v109, v108, off
	ds_load_b32 v110, v107
	v_add_nc_u32_e32 v106, 1, v106
	v_add_nc_u32_e32 v107, 4, v107
	v_add_nc_u32_e32 v108, 4, v108
	s_delay_alu instid0(VALU_DEP_3)
	v_cmp_lt_u32_e32 vcc_lo, 22, v106
	s_or_b32 s1, vcc_lo, s1
	s_waitcnt vmcnt(0) lgkmcnt(0)
	v_fmac_f32_e32 v105, v109, v110
	s_and_not1_b32 exec_lo, exec_lo, s1
	s_cbranch_execnz .LBB113_103
; %bb.104:
	s_or_b32 exec_lo, exec_lo, s1
	v_mov_b32_e32 v106, 0
	ds_load_b32 v106, v106 offset:96
	s_waitcnt lgkmcnt(0)
	v_mul_f32_e32 v105, v105, v106
	scratch_store_b32 off, v105, off offset:96
.LBB113_105:
	s_or_b32 exec_lo, exec_lo, s0
	s_waitcnt_vscnt null, 0x0
	s_barrier
	buffer_gl0_inv
	scratch_load_b32 v105, off, off offset:100
	s_mov_b32 s0, exec_lo
	s_waitcnt vmcnt(0)
	ds_store_b32 v103, v105
	s_waitcnt lgkmcnt(0)
	s_barrier
	buffer_gl0_inv
	v_cmpx_gt_u32_e32 25, v0
	s_cbranch_execz .LBB113_109
; %bb.106:
	v_dual_mov_b32 v105, 0 :: v_dual_add_nc_u32 v106, -1, v0
	v_add_nc_u32_e32 v107, 0xd0, v101
	v_add_nc_u32_e32 v108, 0, v101
	s_mov_b32 s1, 0
.LBB113_107:                            ; =>This Inner Loop Header: Depth=1
	scratch_load_b32 v109, v108, off
	ds_load_b32 v110, v107
	v_add_nc_u32_e32 v106, 1, v106
	v_add_nc_u32_e32 v107, 4, v107
	v_add_nc_u32_e32 v108, 4, v108
	s_delay_alu instid0(VALU_DEP_3)
	v_cmp_lt_u32_e32 vcc_lo, 23, v106
	s_or_b32 s1, vcc_lo, s1
	s_waitcnt vmcnt(0) lgkmcnt(0)
	v_fmac_f32_e32 v105, v109, v110
	s_and_not1_b32 exec_lo, exec_lo, s1
	s_cbranch_execnz .LBB113_107
; %bb.108:
	s_or_b32 exec_lo, exec_lo, s1
	v_mov_b32_e32 v106, 0
	ds_load_b32 v106, v106 offset:100
	s_waitcnt lgkmcnt(0)
	v_mul_f32_e32 v105, v105, v106
	scratch_store_b32 off, v105, off offset:100
.LBB113_109:
	s_or_b32 exec_lo, exec_lo, s0
	s_waitcnt_vscnt null, 0x0
	s_barrier
	buffer_gl0_inv
	scratch_load_b32 v105, off, off offset:104
	;; [unrolled: 39-line block ×24, first 2 shown]
	s_mov_b32 s0, exec_lo
	s_waitcnt vmcnt(0)
	ds_store_b32 v103, v105
	s_waitcnt lgkmcnt(0)
	s_barrier
	buffer_gl0_inv
	v_cmpx_gt_u32_e32 48, v0
	s_cbranch_execz .LBB113_201
; %bb.198:
	v_add_nc_u32_e32 v105, -1, v0
	v_add_nc_u32_e32 v106, 0xd0, v101
	v_add_nc_u32_e32 v107, 0, v101
	v_mov_b32_e32 v101, 0
	s_mov_b32 s1, 0
.LBB113_199:                            ; =>This Inner Loop Header: Depth=1
	scratch_load_b32 v108, v107, off
	ds_load_b32 v109, v106
	v_add_nc_u32_e32 v105, 1, v105
	v_add_nc_u32_e32 v106, 4, v106
	;; [unrolled: 1-line block ×3, first 2 shown]
	s_delay_alu instid0(VALU_DEP_3)
	v_cmp_lt_u32_e32 vcc_lo, 46, v105
	s_or_b32 s1, vcc_lo, s1
	s_waitcnt vmcnt(0) lgkmcnt(0)
	v_fmac_f32_e32 v101, v108, v109
	s_and_not1_b32 exec_lo, exec_lo, s1
	s_cbranch_execnz .LBB113_199
; %bb.200:
	s_or_b32 exec_lo, exec_lo, s1
	v_mov_b32_e32 v105, 0
	ds_load_b32 v105, v105 offset:192
	s_waitcnt lgkmcnt(0)
	v_mul_f32_e32 v101, v101, v105
	scratch_store_b32 off, v101, off offset:192
.LBB113_201:
	s_or_b32 exec_lo, exec_lo, s0
	s_waitcnt_vscnt null, 0x0
	s_barrier
	buffer_gl0_inv
	scratch_load_b32 v101, off, off offset:196
	s_mov_b32 s0, exec_lo
	s_waitcnt vmcnt(0)
	ds_store_b32 v103, v101
	s_waitcnt lgkmcnt(0)
	s_barrier
	buffer_gl0_inv
	v_cmpx_ne_u32_e32 49, v0
	s_cbranch_execz .LBB113_205
; %bb.202:
	v_mov_b32_e32 v101, 0
	s_mov_b32 s1, 0
.LBB113_203:                            ; =>This Inner Loop Header: Depth=1
	scratch_load_b32 v105, v102, off
	ds_load_b32 v106, v103
	v_add_nc_u32_e32 v104, 1, v104
	v_add_nc_u32_e32 v103, 4, v103
	;; [unrolled: 1-line block ×3, first 2 shown]
	s_waitcnt vmcnt(0) lgkmcnt(0)
	v_fmac_f32_e32 v101, v105, v106
	v_cmp_lt_u32_e32 vcc_lo, 47, v104
	s_or_b32 s1, vcc_lo, s1
	s_delay_alu instid0(SALU_CYCLE_1)
	s_and_not1_b32 exec_lo, exec_lo, s1
	s_cbranch_execnz .LBB113_203
; %bb.204:
	s_or_b32 exec_lo, exec_lo, s1
	v_mov_b32_e32 v102, 0
	ds_load_b32 v102, v102 offset:196
	s_waitcnt lgkmcnt(0)
	v_mul_f32_e32 v101, v101, v102
	scratch_store_b32 off, v101, off offset:196
.LBB113_205:
	s_or_b32 exec_lo, exec_lo, s0
	s_mov_b32 s1, -1
	s_waitcnt_vscnt null, 0x0
	s_barrier
	buffer_gl0_inv
.LBB113_206:
	s_and_b32 vcc_lo, exec_lo, s1
	s_cbranch_vccz .LBB113_208
; %bb.207:
	s_lshl_b64 s[0:1], s[8:9], 2
	v_mov_b32_e32 v101, 0
	s_add_u32 s0, s6, s0
	s_addc_u32 s1, s7, s1
	global_load_b32 v101, v101, s[0:1]
	s_waitcnt vmcnt(0)
	v_cmp_ne_u32_e32 vcc_lo, 0, v101
	s_cbranch_vccz .LBB113_209
.LBB113_208:
	s_endpgm
.LBB113_209:
	v_lshl_add_u32 v101, v0, 2, 0xd0
	s_mov_b32 s0, exec_lo
	v_cmpx_eq_u32_e32 49, v0
	s_cbranch_execz .LBB113_211
; %bb.210:
	scratch_load_b32 v102, off, off offset:192
	v_mov_b32_e32 v103, 0
	scratch_store_b32 off, v103, off offset:192
	s_waitcnt vmcnt(0)
	ds_store_b32 v101, v102
.LBB113_211:
	s_or_b32 exec_lo, exec_lo, s0
	s_waitcnt lgkmcnt(0)
	s_waitcnt_vscnt null, 0x0
	s_barrier
	buffer_gl0_inv
	scratch_load_b64 v[103:104], off, off offset:192
	v_mov_b32_e32 v102, 0
	s_mov_b32 s0, exec_lo
	ds_load_b32 v105, v102 offset:404
	s_waitcnt vmcnt(0) lgkmcnt(0)
	v_fma_f32 v104, v104, v105, 0
	s_delay_alu instid0(VALU_DEP_1)
	v_sub_f32_e32 v103, v103, v104
	scratch_store_b32 off, v103, off offset:192
	v_cmpx_lt_u32_e32 47, v0
	s_cbranch_execz .LBB113_213
; %bb.212:
	scratch_load_b32 v103, off, off offset:188
	scratch_store_b32 off, v102, off offset:188
	s_waitcnt vmcnt(0)
	ds_store_b32 v101, v103
.LBB113_213:
	s_or_b32 exec_lo, exec_lo, s0
	s_waitcnt lgkmcnt(0)
	s_waitcnt_vscnt null, 0x0
	s_barrier
	buffer_gl0_inv
	scratch_load_b96 v[103:105], off, off offset:188
	ds_load_b64 v[106:107], v102 offset:400
	s_mov_b32 s0, exec_lo
	s_waitcnt vmcnt(0) lgkmcnt(0)
	v_fma_f32 v102, v104, v106, 0
	s_delay_alu instid0(VALU_DEP_1) | instskip(NEXT) | instid1(VALU_DEP_1)
	v_fmac_f32_e32 v102, v105, v107
	v_sub_f32_e32 v102, v103, v102
	scratch_store_b32 off, v102, off offset:188
	v_cmpx_lt_u32_e32 46, v0
	s_cbranch_execz .LBB113_215
; %bb.214:
	scratch_load_b32 v102, off, off offset:184
	v_mov_b32_e32 v103, 0
	scratch_store_b32 off, v103, off offset:184
	s_waitcnt vmcnt(0)
	ds_store_b32 v101, v102
.LBB113_215:
	s_or_b32 exec_lo, exec_lo, s0
	s_waitcnt lgkmcnt(0)
	s_waitcnt_vscnt null, 0x0
	s_barrier
	buffer_gl0_inv
	scratch_load_b128 v[103:106], off, off offset:184
	v_mov_b32_e32 v102, 0
	ds_load_2addr_b32 v[107:108], v102 offset0:99 offset1:100
	ds_load_b32 v109, v102 offset:404
	s_mov_b32 s0, exec_lo
	s_waitcnt vmcnt(0) lgkmcnt(1)
	v_fma_f32 v104, v104, v107, 0
	s_delay_alu instid0(VALU_DEP_1) | instskip(SKIP_1) | instid1(VALU_DEP_1)
	v_fmac_f32_e32 v104, v105, v108
	s_waitcnt lgkmcnt(0)
	v_fmac_f32_e32 v104, v106, v109
	s_delay_alu instid0(VALU_DEP_1)
	v_sub_f32_e32 v103, v103, v104
	scratch_store_b32 off, v103, off offset:184
	v_cmpx_lt_u32_e32 45, v0
	s_cbranch_execz .LBB113_217
; %bb.216:
	scratch_load_b32 v103, off, off offset:180
	scratch_store_b32 off, v102, off offset:180
	s_waitcnt vmcnt(0)
	ds_store_b32 v101, v103
.LBB113_217:
	s_or_b32 exec_lo, exec_lo, s0
	s_waitcnt lgkmcnt(0)
	s_waitcnt_vscnt null, 0x0
	s_barrier
	buffer_gl0_inv
	s_clause 0x1
	scratch_load_b128 v[103:106], off, off offset:180
	scratch_load_b32 v111, off, off offset:196
	ds_load_2addr_b64 v[107:110], v102 offset0:49 offset1:50
	s_mov_b32 s0, exec_lo
	s_waitcnt vmcnt(1) lgkmcnt(0)
	v_fma_f32 v102, v104, v107, 0
	s_delay_alu instid0(VALU_DEP_1) | instskip(NEXT) | instid1(VALU_DEP_1)
	v_fmac_f32_e32 v102, v105, v108
	v_fmac_f32_e32 v102, v106, v109
	s_waitcnt vmcnt(0)
	s_delay_alu instid0(VALU_DEP_1) | instskip(NEXT) | instid1(VALU_DEP_1)
	v_fmac_f32_e32 v102, v111, v110
	v_sub_f32_e32 v102, v103, v102
	scratch_store_b32 off, v102, off offset:180
	v_cmpx_lt_u32_e32 44, v0
	s_cbranch_execz .LBB113_219
; %bb.218:
	scratch_load_b32 v102, off, off offset:176
	v_mov_b32_e32 v103, 0
	scratch_store_b32 off, v103, off offset:176
	s_waitcnt vmcnt(0)
	ds_store_b32 v101, v102
.LBB113_219:
	s_or_b32 exec_lo, exec_lo, s0
	s_waitcnt lgkmcnt(0)
	s_waitcnt_vscnt null, 0x0
	s_barrier
	buffer_gl0_inv
	s_clause 0x1
	scratch_load_b128 v[103:106], off, off offset:176
	scratch_load_b64 v[107:108], off, off offset:192
	v_mov_b32_e32 v102, 0
	ds_load_2addr_b32 v[109:110], v102 offset0:97 offset1:98
	ds_load_2addr_b32 v[111:112], v102 offset0:99 offset1:100
	ds_load_b32 v113, v102 offset:404
	s_mov_b32 s0, exec_lo
	s_waitcnt vmcnt(1) lgkmcnt(2)
	v_fma_f32 v104, v104, v109, 0
	s_delay_alu instid0(VALU_DEP_1) | instskip(SKIP_1) | instid1(VALU_DEP_1)
	v_fmac_f32_e32 v104, v105, v110
	s_waitcnt lgkmcnt(1)
	v_fmac_f32_e32 v104, v106, v111
	s_waitcnt vmcnt(0)
	s_delay_alu instid0(VALU_DEP_1) | instskip(SKIP_1) | instid1(VALU_DEP_1)
	v_fmac_f32_e32 v104, v107, v112
	s_waitcnt lgkmcnt(0)
	v_fmac_f32_e32 v104, v108, v113
	s_delay_alu instid0(VALU_DEP_1)
	v_sub_f32_e32 v103, v103, v104
	scratch_store_b32 off, v103, off offset:176
	v_cmpx_lt_u32_e32 43, v0
	s_cbranch_execz .LBB113_221
; %bb.220:
	scratch_load_b32 v103, off, off offset:172
	scratch_store_b32 off, v102, off offset:172
	s_waitcnt vmcnt(0)
	ds_store_b32 v101, v103
.LBB113_221:
	s_or_b32 exec_lo, exec_lo, s0
	s_waitcnt lgkmcnt(0)
	s_waitcnt_vscnt null, 0x0
	s_barrier
	buffer_gl0_inv
	s_clause 0x1
	scratch_load_b128 v[103:106], off, off offset:172
	scratch_load_b96 v[111:113], off, off offset:188
	ds_load_b128 v[107:110], v102 offset:384
	ds_load_b64 v[114:115], v102 offset:400
	s_mov_b32 s0, exec_lo
	s_waitcnt vmcnt(1) lgkmcnt(1)
	v_fma_f32 v102, v104, v107, 0
	s_delay_alu instid0(VALU_DEP_1) | instskip(NEXT) | instid1(VALU_DEP_1)
	v_fmac_f32_e32 v102, v105, v108
	v_fmac_f32_e32 v102, v106, v109
	s_waitcnt vmcnt(0)
	s_delay_alu instid0(VALU_DEP_1) | instskip(SKIP_1) | instid1(VALU_DEP_1)
	v_fmac_f32_e32 v102, v111, v110
	s_waitcnt lgkmcnt(0)
	v_fmac_f32_e32 v102, v112, v114
	s_delay_alu instid0(VALU_DEP_1) | instskip(NEXT) | instid1(VALU_DEP_1)
	v_fmac_f32_e32 v102, v113, v115
	v_sub_f32_e32 v102, v103, v102
	scratch_store_b32 off, v102, off offset:172
	v_cmpx_lt_u32_e32 42, v0
	s_cbranch_execz .LBB113_223
; %bb.222:
	scratch_load_b32 v102, off, off offset:168
	v_mov_b32_e32 v103, 0
	scratch_store_b32 off, v103, off offset:168
	s_waitcnt vmcnt(0)
	ds_store_b32 v101, v102
.LBB113_223:
	s_or_b32 exec_lo, exec_lo, s0
	s_waitcnt lgkmcnt(0)
	s_waitcnt_vscnt null, 0x0
	s_barrier
	buffer_gl0_inv
	s_clause 0x1
	scratch_load_b128 v[103:106], off, off offset:168
	scratch_load_b128 v[107:110], off, off offset:184
	v_mov_b32_e32 v102, 0
	ds_load_2addr_b32 v[111:112], v102 offset0:95 offset1:96
	ds_load_2addr_b32 v[113:114], v102 offset0:97 offset1:98
	;; [unrolled: 1-line block ×3, first 2 shown]
	ds_load_b32 v117, v102 offset:404
	s_mov_b32 s0, exec_lo
	s_waitcnt vmcnt(1) lgkmcnt(3)
	v_fma_f32 v104, v104, v111, 0
	s_delay_alu instid0(VALU_DEP_1) | instskip(SKIP_1) | instid1(VALU_DEP_1)
	v_fmac_f32_e32 v104, v105, v112
	s_waitcnt lgkmcnt(2)
	v_fmac_f32_e32 v104, v106, v113
	s_waitcnt vmcnt(0)
	s_delay_alu instid0(VALU_DEP_1) | instskip(SKIP_1) | instid1(VALU_DEP_1)
	v_fmac_f32_e32 v104, v107, v114
	s_waitcnt lgkmcnt(1)
	v_fmac_f32_e32 v104, v108, v115
	s_delay_alu instid0(VALU_DEP_1) | instskip(SKIP_1) | instid1(VALU_DEP_1)
	v_fmac_f32_e32 v104, v109, v116
	s_waitcnt lgkmcnt(0)
	v_fmac_f32_e32 v104, v110, v117
	s_delay_alu instid0(VALU_DEP_1)
	v_sub_f32_e32 v103, v103, v104
	scratch_store_b32 off, v103, off offset:168
	v_cmpx_lt_u32_e32 41, v0
	s_cbranch_execz .LBB113_225
; %bb.224:
	scratch_load_b32 v103, off, off offset:164
	scratch_store_b32 off, v102, off offset:164
	s_waitcnt vmcnt(0)
	ds_store_b32 v101, v103
.LBB113_225:
	s_or_b32 exec_lo, exec_lo, s0
	s_waitcnt lgkmcnt(0)
	s_waitcnt_vscnt null, 0x0
	s_barrier
	buffer_gl0_inv
	s_clause 0x2
	scratch_load_b128 v[103:106], off, off offset:164
	scratch_load_b128 v[107:110], off, off offset:180
	scratch_load_b32 v119, off, off offset:196
	ds_load_2addr_b64 v[111:114], v102 offset0:47 offset1:48
	ds_load_2addr_b64 v[115:118], v102 offset0:49 offset1:50
	s_mov_b32 s0, exec_lo
	s_waitcnt vmcnt(2) lgkmcnt(1)
	v_fma_f32 v102, v104, v111, 0
	s_delay_alu instid0(VALU_DEP_1) | instskip(NEXT) | instid1(VALU_DEP_1)
	v_fmac_f32_e32 v102, v105, v112
	v_fmac_f32_e32 v102, v106, v113
	s_waitcnt vmcnt(1)
	s_delay_alu instid0(VALU_DEP_1) | instskip(SKIP_1) | instid1(VALU_DEP_1)
	v_fmac_f32_e32 v102, v107, v114
	s_waitcnt lgkmcnt(0)
	v_fmac_f32_e32 v102, v108, v115
	s_delay_alu instid0(VALU_DEP_1) | instskip(NEXT) | instid1(VALU_DEP_1)
	v_fmac_f32_e32 v102, v109, v116
	v_fmac_f32_e32 v102, v110, v117
	s_waitcnt vmcnt(0)
	s_delay_alu instid0(VALU_DEP_1) | instskip(NEXT) | instid1(VALU_DEP_1)
	v_fmac_f32_e32 v102, v119, v118
	v_sub_f32_e32 v102, v103, v102
	scratch_store_b32 off, v102, off offset:164
	v_cmpx_lt_u32_e32 40, v0
	s_cbranch_execz .LBB113_227
; %bb.226:
	scratch_load_b32 v102, off, off offset:160
	v_mov_b32_e32 v103, 0
	scratch_store_b32 off, v103, off offset:160
	s_waitcnt vmcnt(0)
	ds_store_b32 v101, v102
.LBB113_227:
	s_or_b32 exec_lo, exec_lo, s0
	s_waitcnt lgkmcnt(0)
	s_waitcnt_vscnt null, 0x0
	s_barrier
	buffer_gl0_inv
	s_clause 0x2
	scratch_load_b128 v[103:106], off, off offset:160
	scratch_load_b128 v[107:110], off, off offset:176
	scratch_load_b64 v[111:112], off, off offset:192
	v_mov_b32_e32 v102, 0
	ds_load_2addr_b32 v[113:114], v102 offset0:93 offset1:94
	ds_load_2addr_b32 v[115:116], v102 offset0:95 offset1:96
	;; [unrolled: 1-line block ×4, first 2 shown]
	s_mov_b32 s0, exec_lo
	s_waitcnt vmcnt(2) lgkmcnt(3)
	v_fma_f32 v104, v104, v113, 0
	s_delay_alu instid0(VALU_DEP_1) | instskip(SKIP_4) | instid1(VALU_DEP_1)
	v_fmac_f32_e32 v104, v105, v114
	ds_load_b32 v105, v102 offset:404
	s_waitcnt lgkmcnt(3)
	v_fmac_f32_e32 v104, v106, v115
	s_waitcnt vmcnt(1)
	v_fmac_f32_e32 v104, v107, v116
	s_waitcnt lgkmcnt(2)
	s_delay_alu instid0(VALU_DEP_1) | instskip(NEXT) | instid1(VALU_DEP_1)
	v_fmac_f32_e32 v104, v108, v117
	v_fmac_f32_e32 v104, v109, v118
	s_waitcnt lgkmcnt(1)
	s_delay_alu instid0(VALU_DEP_1) | instskip(SKIP_1) | instid1(VALU_DEP_1)
	v_fmac_f32_e32 v104, v110, v119
	s_waitcnt vmcnt(0)
	v_fmac_f32_e32 v104, v111, v120
	s_waitcnt lgkmcnt(0)
	s_delay_alu instid0(VALU_DEP_1) | instskip(NEXT) | instid1(VALU_DEP_1)
	v_fmac_f32_e32 v104, v112, v105
	v_sub_f32_e32 v103, v103, v104
	scratch_store_b32 off, v103, off offset:160
	v_cmpx_lt_u32_e32 39, v0
	s_cbranch_execz .LBB113_229
; %bb.228:
	scratch_load_b32 v103, off, off offset:156
	scratch_store_b32 off, v102, off offset:156
	s_waitcnt vmcnt(0)
	ds_store_b32 v101, v103
.LBB113_229:
	s_or_b32 exec_lo, exec_lo, s0
	s_waitcnt lgkmcnt(0)
	s_waitcnt_vscnt null, 0x0
	s_barrier
	buffer_gl0_inv
	s_clause 0x2
	scratch_load_b128 v[103:106], off, off offset:156
	scratch_load_b128 v[107:110], off, off offset:172
	scratch_load_b96 v[119:121], off, off offset:188
	ds_load_b128 v[111:114], v102 offset:368
	ds_load_b128 v[115:118], v102 offset:384
	s_mov_b32 s0, exec_lo
	s_waitcnt vmcnt(2) lgkmcnt(1)
	v_fma_f32 v111, v104, v111, 0
	s_delay_alu instid0(VALU_DEP_1) | instskip(SKIP_3) | instid1(VALU_DEP_1)
	v_fmac_f32_e32 v111, v105, v112
	ds_load_b64 v[104:105], v102 offset:400
	v_fmac_f32_e32 v111, v106, v113
	s_waitcnt vmcnt(1)
	v_fmac_f32_e32 v111, v107, v114
	s_waitcnt lgkmcnt(1)
	s_delay_alu instid0(VALU_DEP_1) | instskip(NEXT) | instid1(VALU_DEP_1)
	v_fmac_f32_e32 v111, v108, v115
	v_fmac_f32_e32 v111, v109, v116
	s_delay_alu instid0(VALU_DEP_1) | instskip(SKIP_1) | instid1(VALU_DEP_1)
	v_fmac_f32_e32 v111, v110, v117
	s_waitcnt vmcnt(0)
	v_fmac_f32_e32 v111, v119, v118
	s_waitcnt lgkmcnt(0)
	s_delay_alu instid0(VALU_DEP_1) | instskip(NEXT) | instid1(VALU_DEP_1)
	v_fmac_f32_e32 v111, v120, v104
	v_fmac_f32_e32 v111, v121, v105
	s_delay_alu instid0(VALU_DEP_1)
	v_sub_f32_e32 v102, v103, v111
	scratch_store_b32 off, v102, off offset:156
	v_cmpx_lt_u32_e32 38, v0
	s_cbranch_execz .LBB113_231
; %bb.230:
	scratch_load_b32 v102, off, off offset:152
	v_mov_b32_e32 v103, 0
	scratch_store_b32 off, v103, off offset:152
	s_waitcnt vmcnt(0)
	ds_store_b32 v101, v102
.LBB113_231:
	s_or_b32 exec_lo, exec_lo, s0
	s_waitcnt lgkmcnt(0)
	s_waitcnt_vscnt null, 0x0
	s_barrier
	buffer_gl0_inv
	s_clause 0x2
	scratch_load_b128 v[103:106], off, off offset:152
	scratch_load_b128 v[107:110], off, off offset:168
	;; [unrolled: 1-line block ×3, first 2 shown]
	v_mov_b32_e32 v102, 0
	ds_load_2addr_b32 v[115:116], v102 offset0:91 offset1:92
	ds_load_2addr_b32 v[117:118], v102 offset0:93 offset1:94
	;; [unrolled: 1-line block ×4, first 2 shown]
	s_mov_b32 s0, exec_lo
	s_waitcnt vmcnt(2) lgkmcnt(3)
	v_fma_f32 v115, v104, v115, 0
	s_delay_alu instid0(VALU_DEP_1)
	v_fmac_f32_e32 v115, v105, v116
	ds_load_2addr_b32 v[104:105], v102 offset0:99 offset1:100
	s_waitcnt lgkmcnt(3)
	v_fmac_f32_e32 v115, v106, v117
	ds_load_b32 v106, v102 offset:404
	s_waitcnt vmcnt(1)
	v_fmac_f32_e32 v115, v107, v118
	s_waitcnt lgkmcnt(3)
	s_delay_alu instid0(VALU_DEP_1) | instskip(NEXT) | instid1(VALU_DEP_1)
	v_fmac_f32_e32 v115, v108, v119
	v_fmac_f32_e32 v115, v109, v120
	s_waitcnt lgkmcnt(2)
	s_delay_alu instid0(VALU_DEP_1) | instskip(SKIP_1) | instid1(VALU_DEP_1)
	v_fmac_f32_e32 v115, v110, v121
	s_waitcnt vmcnt(0)
	v_fmac_f32_e32 v115, v111, v122
	s_waitcnt lgkmcnt(1)
	s_delay_alu instid0(VALU_DEP_1) | instskip(NEXT) | instid1(VALU_DEP_1)
	v_fmac_f32_e32 v115, v112, v104
	v_fmac_f32_e32 v115, v113, v105
	s_waitcnt lgkmcnt(0)
	s_delay_alu instid0(VALU_DEP_1) | instskip(NEXT) | instid1(VALU_DEP_1)
	v_fmac_f32_e32 v115, v114, v106
	v_sub_f32_e32 v103, v103, v115
	scratch_store_b32 off, v103, off offset:152
	v_cmpx_lt_u32_e32 37, v0
	s_cbranch_execz .LBB113_233
; %bb.232:
	scratch_load_b32 v103, off, off offset:148
	scratch_store_b32 off, v102, off offset:148
	s_waitcnt vmcnt(0)
	ds_store_b32 v101, v103
.LBB113_233:
	s_or_b32 exec_lo, exec_lo, s0
	s_waitcnt lgkmcnt(0)
	s_waitcnt_vscnt null, 0x0
	s_barrier
	buffer_gl0_inv
	s_clause 0x3
	scratch_load_b128 v[103:106], off, off offset:148
	scratch_load_b128 v[107:110], off, off offset:164
	;; [unrolled: 1-line block ×3, first 2 shown]
	scratch_load_b32 v123, off, off offset:196
	ds_load_2addr_b64 v[115:118], v102 offset0:45 offset1:46
	ds_load_2addr_b64 v[119:122], v102 offset0:47 offset1:48
	s_mov_b32 s0, exec_lo
	s_waitcnt vmcnt(3) lgkmcnt(1)
	v_fma_f32 v115, v104, v115, 0
	s_delay_alu instid0(VALU_DEP_1) | instskip(NEXT) | instid1(VALU_DEP_1)
	v_fmac_f32_e32 v115, v105, v116
	v_fmac_f32_e32 v115, v106, v117
	s_waitcnt vmcnt(2)
	s_delay_alu instid0(VALU_DEP_1) | instskip(SKIP_3) | instid1(VALU_DEP_1)
	v_fmac_f32_e32 v115, v107, v118
	ds_load_2addr_b64 v[104:107], v102 offset0:49 offset1:50
	s_waitcnt lgkmcnt(1)
	v_fmac_f32_e32 v115, v108, v119
	v_fmac_f32_e32 v115, v109, v120
	s_delay_alu instid0(VALU_DEP_1) | instskip(SKIP_1) | instid1(VALU_DEP_1)
	v_fmac_f32_e32 v115, v110, v121
	s_waitcnt vmcnt(1)
	v_fmac_f32_e32 v115, v111, v122
	s_waitcnt lgkmcnt(0)
	s_delay_alu instid0(VALU_DEP_1) | instskip(NEXT) | instid1(VALU_DEP_1)
	v_fmac_f32_e32 v115, v112, v104
	v_fmac_f32_e32 v115, v113, v105
	s_delay_alu instid0(VALU_DEP_1) | instskip(SKIP_1) | instid1(VALU_DEP_1)
	v_fmac_f32_e32 v115, v114, v106
	s_waitcnt vmcnt(0)
	v_fmac_f32_e32 v115, v123, v107
	s_delay_alu instid0(VALU_DEP_1)
	v_sub_f32_e32 v102, v103, v115
	scratch_store_b32 off, v102, off offset:148
	v_cmpx_lt_u32_e32 36, v0
	s_cbranch_execz .LBB113_235
; %bb.234:
	scratch_load_b32 v102, off, off offset:144
	v_mov_b32_e32 v103, 0
	scratch_store_b32 off, v103, off offset:144
	s_waitcnt vmcnt(0)
	ds_store_b32 v101, v102
.LBB113_235:
	s_or_b32 exec_lo, exec_lo, s0
	s_waitcnt lgkmcnt(0)
	s_waitcnt_vscnt null, 0x0
	s_barrier
	buffer_gl0_inv
	s_clause 0x3
	scratch_load_b128 v[103:106], off, off offset:144
	scratch_load_b128 v[107:110], off, off offset:160
	;; [unrolled: 1-line block ×3, first 2 shown]
	scratch_load_b64 v[115:116], off, off offset:192
	v_mov_b32_e32 v102, 0
	ds_load_2addr_b32 v[117:118], v102 offset0:89 offset1:90
	ds_load_2addr_b32 v[119:120], v102 offset0:91 offset1:92
	;; [unrolled: 1-line block ×4, first 2 shown]
	s_mov_b32 s0, exec_lo
	s_waitcnt vmcnt(3) lgkmcnt(3)
	v_fma_f32 v117, v104, v117, 0
	s_delay_alu instid0(VALU_DEP_1) | instskip(SKIP_4) | instid1(VALU_DEP_1)
	v_fmac_f32_e32 v117, v105, v118
	ds_load_2addr_b32 v[104:105], v102 offset0:97 offset1:98
	s_waitcnt lgkmcnt(3)
	v_fmac_f32_e32 v117, v106, v119
	s_waitcnt vmcnt(2)
	v_fmac_f32_e32 v117, v107, v120
	ds_load_2addr_b32 v[106:107], v102 offset0:99 offset1:100
	s_waitcnt lgkmcnt(3)
	v_fmac_f32_e32 v117, v108, v121
	ds_load_b32 v108, v102 offset:404
	v_fmac_f32_e32 v117, v109, v122
	s_waitcnt lgkmcnt(3)
	s_delay_alu instid0(VALU_DEP_1) | instskip(SKIP_1) | instid1(VALU_DEP_1)
	v_fmac_f32_e32 v117, v110, v123
	s_waitcnt vmcnt(1)
	v_fmac_f32_e32 v117, v111, v124
	s_waitcnt lgkmcnt(2)
	s_delay_alu instid0(VALU_DEP_1) | instskip(NEXT) | instid1(VALU_DEP_1)
	v_fmac_f32_e32 v117, v112, v104
	v_fmac_f32_e32 v117, v113, v105
	s_waitcnt lgkmcnt(1)
	s_delay_alu instid0(VALU_DEP_1) | instskip(SKIP_1) | instid1(VALU_DEP_1)
	v_fmac_f32_e32 v117, v114, v106
	s_waitcnt vmcnt(0)
	v_fmac_f32_e32 v117, v115, v107
	s_waitcnt lgkmcnt(0)
	s_delay_alu instid0(VALU_DEP_1) | instskip(NEXT) | instid1(VALU_DEP_1)
	v_fmac_f32_e32 v117, v116, v108
	v_sub_f32_e32 v103, v103, v117
	scratch_store_b32 off, v103, off offset:144
	v_cmpx_lt_u32_e32 35, v0
	s_cbranch_execz .LBB113_237
; %bb.236:
	scratch_load_b32 v103, off, off offset:140
	scratch_store_b32 off, v102, off offset:140
	s_waitcnt vmcnt(0)
	ds_store_b32 v101, v103
.LBB113_237:
	s_or_b32 exec_lo, exec_lo, s0
	s_waitcnt lgkmcnt(0)
	s_waitcnt_vscnt null, 0x0
	s_barrier
	buffer_gl0_inv
	s_clause 0x3
	scratch_load_b128 v[103:106], off, off offset:140
	scratch_load_b128 v[107:110], off, off offset:156
	;; [unrolled: 1-line block ×3, first 2 shown]
	scratch_load_b96 v[123:125], off, off offset:188
	ds_load_b128 v[115:118], v102 offset:352
	ds_load_b128 v[119:122], v102 offset:368
	s_mov_b32 s0, exec_lo
	s_waitcnt vmcnt(3) lgkmcnt(1)
	v_fma_f32 v115, v104, v115, 0
	s_delay_alu instid0(VALU_DEP_1) | instskip(NEXT) | instid1(VALU_DEP_1)
	v_fmac_f32_e32 v115, v105, v116
	v_fmac_f32_e32 v115, v106, v117
	s_waitcnt vmcnt(2)
	s_delay_alu instid0(VALU_DEP_1) | instskip(SKIP_3) | instid1(VALU_DEP_1)
	v_fmac_f32_e32 v115, v107, v118
	ds_load_b128 v[104:107], v102 offset:384
	s_waitcnt lgkmcnt(1)
	v_fmac_f32_e32 v115, v108, v119
	v_fmac_f32_e32 v115, v109, v120
	ds_load_b64 v[108:109], v102 offset:400
	v_fmac_f32_e32 v115, v110, v121
	s_waitcnt vmcnt(1)
	s_delay_alu instid0(VALU_DEP_1) | instskip(SKIP_1) | instid1(VALU_DEP_1)
	v_fmac_f32_e32 v115, v111, v122
	s_waitcnt lgkmcnt(1)
	v_fmac_f32_e32 v115, v112, v104
	s_delay_alu instid0(VALU_DEP_1) | instskip(NEXT) | instid1(VALU_DEP_1)
	v_fmac_f32_e32 v115, v113, v105
	v_fmac_f32_e32 v115, v114, v106
	s_waitcnt vmcnt(0)
	s_delay_alu instid0(VALU_DEP_1) | instskip(SKIP_1) | instid1(VALU_DEP_1)
	v_fmac_f32_e32 v115, v123, v107
	s_waitcnt lgkmcnt(0)
	v_fmac_f32_e32 v115, v124, v108
	s_delay_alu instid0(VALU_DEP_1) | instskip(NEXT) | instid1(VALU_DEP_1)
	v_fmac_f32_e32 v115, v125, v109
	v_sub_f32_e32 v102, v103, v115
	scratch_store_b32 off, v102, off offset:140
	v_cmpx_lt_u32_e32 34, v0
	s_cbranch_execz .LBB113_239
; %bb.238:
	scratch_load_b32 v102, off, off offset:136
	v_mov_b32_e32 v103, 0
	scratch_store_b32 off, v103, off offset:136
	s_waitcnt vmcnt(0)
	ds_store_b32 v101, v102
.LBB113_239:
	s_or_b32 exec_lo, exec_lo, s0
	s_waitcnt lgkmcnt(0)
	s_waitcnt_vscnt null, 0x0
	s_barrier
	buffer_gl0_inv
	s_clause 0x3
	scratch_load_b128 v[103:106], off, off offset:136
	scratch_load_b128 v[107:110], off, off offset:152
	;; [unrolled: 1-line block ×4, first 2 shown]
	v_mov_b32_e32 v102, 0
	ds_load_2addr_b32 v[119:120], v102 offset0:87 offset1:88
	ds_load_2addr_b32 v[121:122], v102 offset0:89 offset1:90
	;; [unrolled: 1-line block ×4, first 2 shown]
	s_mov_b32 s0, exec_lo
	s_waitcnt vmcnt(3) lgkmcnt(3)
	v_fma_f32 v119, v104, v119, 0
	s_delay_alu instid0(VALU_DEP_1) | instskip(SKIP_4) | instid1(VALU_DEP_1)
	v_fmac_f32_e32 v119, v105, v120
	ds_load_2addr_b32 v[104:105], v102 offset0:95 offset1:96
	s_waitcnt lgkmcnt(3)
	v_fmac_f32_e32 v119, v106, v121
	s_waitcnt vmcnt(2)
	v_fmac_f32_e32 v119, v107, v122
	ds_load_2addr_b32 v[106:107], v102 offset0:97 offset1:98
	s_waitcnt lgkmcnt(3)
	v_fmac_f32_e32 v119, v108, v123
	s_delay_alu instid0(VALU_DEP_1) | instskip(SKIP_1) | instid1(VALU_DEP_1)
	v_fmac_f32_e32 v119, v109, v124
	s_waitcnt lgkmcnt(2)
	v_fmac_f32_e32 v119, v110, v125
	ds_load_2addr_b32 v[108:109], v102 offset0:99 offset1:100
	ds_load_b32 v110, v102 offset:404
	s_waitcnt vmcnt(1)
	v_fmac_f32_e32 v119, v111, v126
	s_waitcnt lgkmcnt(3)
	s_delay_alu instid0(VALU_DEP_1) | instskip(NEXT) | instid1(VALU_DEP_1)
	v_fmac_f32_e32 v119, v112, v104
	v_fmac_f32_e32 v119, v113, v105
	s_waitcnt lgkmcnt(2)
	s_delay_alu instid0(VALU_DEP_1) | instskip(SKIP_1) | instid1(VALU_DEP_1)
	v_fmac_f32_e32 v119, v114, v106
	s_waitcnt vmcnt(0)
	v_fmac_f32_e32 v119, v115, v107
	s_waitcnt lgkmcnt(1)
	s_delay_alu instid0(VALU_DEP_1) | instskip(NEXT) | instid1(VALU_DEP_1)
	v_fmac_f32_e32 v119, v116, v108
	v_fmac_f32_e32 v119, v117, v109
	s_waitcnt lgkmcnt(0)
	s_delay_alu instid0(VALU_DEP_1) | instskip(NEXT) | instid1(VALU_DEP_1)
	v_fmac_f32_e32 v119, v118, v110
	v_sub_f32_e32 v103, v103, v119
	scratch_store_b32 off, v103, off offset:136
	v_cmpx_lt_u32_e32 33, v0
	s_cbranch_execz .LBB113_241
; %bb.240:
	scratch_load_b32 v103, off, off offset:132
	scratch_store_b32 off, v102, off offset:132
	s_waitcnt vmcnt(0)
	ds_store_b32 v101, v103
.LBB113_241:
	s_or_b32 exec_lo, exec_lo, s0
	s_waitcnt lgkmcnt(0)
	s_waitcnt_vscnt null, 0x0
	s_barrier
	buffer_gl0_inv
	s_clause 0x4
	scratch_load_b128 v[103:106], off, off offset:132
	scratch_load_b128 v[107:110], off, off offset:148
	;; [unrolled: 1-line block ×4, first 2 shown]
	scratch_load_b32 v127, off, off offset:196
	ds_load_2addr_b64 v[119:122], v102 offset0:43 offset1:44
	ds_load_2addr_b64 v[123:126], v102 offset0:45 offset1:46
	s_mov_b32 s0, exec_lo
	s_waitcnt vmcnt(4) lgkmcnt(1)
	v_fma_f32 v119, v104, v119, 0
	s_delay_alu instid0(VALU_DEP_1) | instskip(NEXT) | instid1(VALU_DEP_1)
	v_fmac_f32_e32 v119, v105, v120
	v_fmac_f32_e32 v119, v106, v121
	s_waitcnt vmcnt(3)
	s_delay_alu instid0(VALU_DEP_1) | instskip(SKIP_3) | instid1(VALU_DEP_1)
	v_fmac_f32_e32 v119, v107, v122
	ds_load_2addr_b64 v[104:107], v102 offset0:47 offset1:48
	s_waitcnt lgkmcnt(1)
	v_fmac_f32_e32 v119, v108, v123
	v_fmac_f32_e32 v119, v109, v124
	s_delay_alu instid0(VALU_DEP_1) | instskip(SKIP_1) | instid1(VALU_DEP_1)
	v_fmac_f32_e32 v119, v110, v125
	s_waitcnt vmcnt(2)
	v_fmac_f32_e32 v119, v111, v126
	ds_load_2addr_b64 v[108:111], v102 offset0:49 offset1:50
	s_waitcnt lgkmcnt(1)
	v_fmac_f32_e32 v119, v112, v104
	s_delay_alu instid0(VALU_DEP_1) | instskip(NEXT) | instid1(VALU_DEP_1)
	v_fmac_f32_e32 v119, v113, v105
	v_fmac_f32_e32 v119, v114, v106
	s_waitcnt vmcnt(1)
	s_delay_alu instid0(VALU_DEP_1) | instskip(SKIP_1) | instid1(VALU_DEP_1)
	v_fmac_f32_e32 v119, v115, v107
	s_waitcnt lgkmcnt(0)
	v_fmac_f32_e32 v119, v116, v108
	s_delay_alu instid0(VALU_DEP_1) | instskip(NEXT) | instid1(VALU_DEP_1)
	v_fmac_f32_e32 v119, v117, v109
	v_fmac_f32_e32 v119, v118, v110
	s_waitcnt vmcnt(0)
	s_delay_alu instid0(VALU_DEP_1) | instskip(NEXT) | instid1(VALU_DEP_1)
	v_fmac_f32_e32 v119, v127, v111
	v_sub_f32_e32 v102, v103, v119
	scratch_store_b32 off, v102, off offset:132
	v_cmpx_lt_u32_e32 32, v0
	s_cbranch_execz .LBB113_243
; %bb.242:
	scratch_load_b32 v102, off, off offset:128
	v_mov_b32_e32 v103, 0
	scratch_store_b32 off, v103, off offset:128
	s_waitcnt vmcnt(0)
	ds_store_b32 v101, v102
.LBB113_243:
	s_or_b32 exec_lo, exec_lo, s0
	s_waitcnt lgkmcnt(0)
	s_waitcnt_vscnt null, 0x0
	s_barrier
	buffer_gl0_inv
	s_clause 0x4
	scratch_load_b128 v[103:106], off, off offset:128
	scratch_load_b128 v[107:110], off, off offset:144
	;; [unrolled: 1-line block ×4, first 2 shown]
	scratch_load_b64 v[119:120], off, off offset:192
	v_mov_b32_e32 v102, 0
	ds_load_2addr_b32 v[121:122], v102 offset0:85 offset1:86
	ds_load_2addr_b32 v[123:124], v102 offset0:87 offset1:88
	;; [unrolled: 1-line block ×4, first 2 shown]
	s_mov_b32 s0, exec_lo
	s_waitcnt vmcnt(4) lgkmcnt(3)
	v_fma_f32 v121, v104, v121, 0
	s_delay_alu instid0(VALU_DEP_1) | instskip(SKIP_4) | instid1(VALU_DEP_1)
	v_fmac_f32_e32 v121, v105, v122
	ds_load_2addr_b32 v[104:105], v102 offset0:93 offset1:94
	s_waitcnt lgkmcnt(3)
	v_fmac_f32_e32 v121, v106, v123
	s_waitcnt vmcnt(3)
	v_fmac_f32_e32 v121, v107, v124
	ds_load_2addr_b32 v[106:107], v102 offset0:95 offset1:96
	s_waitcnt lgkmcnt(3)
	v_fmac_f32_e32 v121, v108, v125
	s_delay_alu instid0(VALU_DEP_1) | instskip(SKIP_1) | instid1(VALU_DEP_1)
	v_fmac_f32_e32 v121, v109, v126
	s_waitcnt lgkmcnt(2)
	v_fmac_f32_e32 v121, v110, v127
	s_waitcnt vmcnt(2)
	s_delay_alu instid0(VALU_DEP_1)
	v_fmac_f32_e32 v121, v111, v128
	ds_load_2addr_b32 v[108:109], v102 offset0:97 offset1:98
	ds_load_2addr_b32 v[110:111], v102 offset0:99 offset1:100
	s_waitcnt lgkmcnt(3)
	v_fmac_f32_e32 v121, v112, v104
	ds_load_b32 v104, v102 offset:404
	v_fmac_f32_e32 v121, v113, v105
	s_waitcnt lgkmcnt(3)
	s_delay_alu instid0(VALU_DEP_1) | instskip(SKIP_1) | instid1(VALU_DEP_1)
	v_fmac_f32_e32 v121, v114, v106
	s_waitcnt vmcnt(1)
	v_fmac_f32_e32 v121, v115, v107
	s_waitcnt lgkmcnt(2)
	s_delay_alu instid0(VALU_DEP_1) | instskip(NEXT) | instid1(VALU_DEP_1)
	v_fmac_f32_e32 v121, v116, v108
	v_fmac_f32_e32 v121, v117, v109
	s_waitcnt lgkmcnt(1)
	s_delay_alu instid0(VALU_DEP_1) | instskip(SKIP_1) | instid1(VALU_DEP_1)
	v_fmac_f32_e32 v121, v118, v110
	s_waitcnt vmcnt(0)
	v_fmac_f32_e32 v121, v119, v111
	s_waitcnt lgkmcnt(0)
	s_delay_alu instid0(VALU_DEP_1) | instskip(NEXT) | instid1(VALU_DEP_1)
	v_fmac_f32_e32 v121, v120, v104
	v_sub_f32_e32 v103, v103, v121
	scratch_store_b32 off, v103, off offset:128
	v_cmpx_lt_u32_e32 31, v0
	s_cbranch_execz .LBB113_245
; %bb.244:
	scratch_load_b32 v103, off, off offset:124
	scratch_store_b32 off, v102, off offset:124
	s_waitcnt vmcnt(0)
	ds_store_b32 v101, v103
.LBB113_245:
	s_or_b32 exec_lo, exec_lo, s0
	s_waitcnt lgkmcnt(0)
	s_waitcnt_vscnt null, 0x0
	s_barrier
	buffer_gl0_inv
	s_clause 0x4
	scratch_load_b128 v[103:106], off, off offset:124
	scratch_load_b128 v[107:110], off, off offset:140
	scratch_load_b128 v[111:114], off, off offset:156
	scratch_load_b128 v[115:118], off, off offset:172
	scratch_load_b96 v[127:129], off, off offset:188
	ds_load_b128 v[119:122], v102 offset:336
	ds_load_b128 v[123:126], v102 offset:352
	s_mov_b32 s0, exec_lo
	s_waitcnt vmcnt(4) lgkmcnt(1)
	v_fma_f32 v119, v104, v119, 0
	s_delay_alu instid0(VALU_DEP_1) | instskip(NEXT) | instid1(VALU_DEP_1)
	v_fmac_f32_e32 v119, v105, v120
	v_fmac_f32_e32 v119, v106, v121
	s_waitcnt vmcnt(3)
	s_delay_alu instid0(VALU_DEP_1) | instskip(SKIP_3) | instid1(VALU_DEP_1)
	v_fmac_f32_e32 v119, v107, v122
	ds_load_b128 v[104:107], v102 offset:368
	s_waitcnt lgkmcnt(1)
	v_fmac_f32_e32 v119, v108, v123
	v_fmac_f32_e32 v119, v109, v124
	s_delay_alu instid0(VALU_DEP_1) | instskip(SKIP_1) | instid1(VALU_DEP_1)
	v_fmac_f32_e32 v119, v110, v125
	s_waitcnt vmcnt(2)
	v_fmac_f32_e32 v119, v111, v126
	ds_load_b128 v[108:111], v102 offset:384
	s_waitcnt lgkmcnt(1)
	v_fmac_f32_e32 v119, v112, v104
	s_delay_alu instid0(VALU_DEP_1) | instskip(SKIP_3) | instid1(VALU_DEP_1)
	v_fmac_f32_e32 v119, v113, v105
	ds_load_b64 v[104:105], v102 offset:400
	v_fmac_f32_e32 v119, v114, v106
	s_waitcnt vmcnt(1)
	v_fmac_f32_e32 v119, v115, v107
	s_waitcnt lgkmcnt(1)
	s_delay_alu instid0(VALU_DEP_1) | instskip(NEXT) | instid1(VALU_DEP_1)
	v_fmac_f32_e32 v119, v116, v108
	v_fmac_f32_e32 v119, v117, v109
	s_delay_alu instid0(VALU_DEP_1) | instskip(SKIP_1) | instid1(VALU_DEP_1)
	v_fmac_f32_e32 v119, v118, v110
	s_waitcnt vmcnt(0)
	v_fmac_f32_e32 v119, v127, v111
	s_waitcnt lgkmcnt(0)
	s_delay_alu instid0(VALU_DEP_1) | instskip(NEXT) | instid1(VALU_DEP_1)
	v_fmac_f32_e32 v119, v128, v104
	v_fmac_f32_e32 v119, v129, v105
	s_delay_alu instid0(VALU_DEP_1)
	v_sub_f32_e32 v102, v103, v119
	scratch_store_b32 off, v102, off offset:124
	v_cmpx_lt_u32_e32 30, v0
	s_cbranch_execz .LBB113_247
; %bb.246:
	scratch_load_b32 v102, off, off offset:120
	v_mov_b32_e32 v103, 0
	scratch_store_b32 off, v103, off offset:120
	s_waitcnt vmcnt(0)
	ds_store_b32 v101, v102
.LBB113_247:
	s_or_b32 exec_lo, exec_lo, s0
	s_waitcnt lgkmcnt(0)
	s_waitcnt_vscnt null, 0x0
	s_barrier
	buffer_gl0_inv
	s_clause 0x4
	scratch_load_b128 v[103:106], off, off offset:120
	scratch_load_b128 v[107:110], off, off offset:136
	;; [unrolled: 1-line block ×5, first 2 shown]
	v_mov_b32_e32 v102, 0
	ds_load_2addr_b32 v[123:124], v102 offset0:83 offset1:84
	ds_load_2addr_b32 v[125:126], v102 offset0:85 offset1:86
	;; [unrolled: 1-line block ×4, first 2 shown]
	s_mov_b32 s0, exec_lo
	s_waitcnt vmcnt(4) lgkmcnt(3)
	v_fma_f32 v123, v104, v123, 0
	s_delay_alu instid0(VALU_DEP_1) | instskip(SKIP_4) | instid1(VALU_DEP_1)
	v_fmac_f32_e32 v123, v105, v124
	ds_load_2addr_b32 v[104:105], v102 offset0:91 offset1:92
	s_waitcnt lgkmcnt(3)
	v_fmac_f32_e32 v123, v106, v125
	s_waitcnt vmcnt(3)
	v_fmac_f32_e32 v123, v107, v126
	ds_load_2addr_b32 v[106:107], v102 offset0:93 offset1:94
	s_waitcnt lgkmcnt(3)
	v_fmac_f32_e32 v123, v108, v127
	s_delay_alu instid0(VALU_DEP_1) | instskip(SKIP_1) | instid1(VALU_DEP_1)
	v_fmac_f32_e32 v123, v109, v128
	s_waitcnt lgkmcnt(2)
	v_fmac_f32_e32 v123, v110, v129
	s_waitcnt vmcnt(2)
	s_delay_alu instid0(VALU_DEP_1) | instskip(SKIP_4) | instid1(VALU_DEP_1)
	v_fmac_f32_e32 v123, v111, v130
	ds_load_2addr_b32 v[108:109], v102 offset0:95 offset1:96
	ds_load_2addr_b32 v[110:111], v102 offset0:97 offset1:98
	s_waitcnt lgkmcnt(3)
	v_fmac_f32_e32 v123, v112, v104
	v_fmac_f32_e32 v123, v113, v105
	ds_load_2addr_b32 v[104:105], v102 offset0:99 offset1:100
	s_waitcnt lgkmcnt(3)
	v_fmac_f32_e32 v123, v114, v106
	ds_load_b32 v106, v102 offset:404
	s_waitcnt vmcnt(1)
	v_fmac_f32_e32 v123, v115, v107
	s_waitcnt lgkmcnt(3)
	s_delay_alu instid0(VALU_DEP_1) | instskip(NEXT) | instid1(VALU_DEP_1)
	v_fmac_f32_e32 v123, v116, v108
	v_fmac_f32_e32 v123, v117, v109
	s_waitcnt lgkmcnt(2)
	s_delay_alu instid0(VALU_DEP_1) | instskip(SKIP_1) | instid1(VALU_DEP_1)
	v_fmac_f32_e32 v123, v118, v110
	s_waitcnt vmcnt(0)
	v_fmac_f32_e32 v123, v119, v111
	s_waitcnt lgkmcnt(1)
	s_delay_alu instid0(VALU_DEP_1) | instskip(NEXT) | instid1(VALU_DEP_1)
	v_fmac_f32_e32 v123, v120, v104
	v_fmac_f32_e32 v123, v121, v105
	s_waitcnt lgkmcnt(0)
	s_delay_alu instid0(VALU_DEP_1) | instskip(NEXT) | instid1(VALU_DEP_1)
	v_fmac_f32_e32 v123, v122, v106
	v_sub_f32_e32 v103, v103, v123
	scratch_store_b32 off, v103, off offset:120
	v_cmpx_lt_u32_e32 29, v0
	s_cbranch_execz .LBB113_249
; %bb.248:
	scratch_load_b32 v103, off, off offset:116
	scratch_store_b32 off, v102, off offset:116
	s_waitcnt vmcnt(0)
	ds_store_b32 v101, v103
.LBB113_249:
	s_or_b32 exec_lo, exec_lo, s0
	s_waitcnt lgkmcnt(0)
	s_waitcnt_vscnt null, 0x0
	s_barrier
	buffer_gl0_inv
	s_clause 0x5
	scratch_load_b128 v[103:106], off, off offset:116
	scratch_load_b128 v[107:110], off, off offset:132
	;; [unrolled: 1-line block ×5, first 2 shown]
	scratch_load_b32 v131, off, off offset:196
	ds_load_2addr_b64 v[123:126], v102 offset0:41 offset1:42
	ds_load_2addr_b64 v[127:130], v102 offset0:43 offset1:44
	s_mov_b32 s0, exec_lo
	s_waitcnt vmcnt(5) lgkmcnt(1)
	v_fma_f32 v123, v104, v123, 0
	s_delay_alu instid0(VALU_DEP_1) | instskip(NEXT) | instid1(VALU_DEP_1)
	v_fmac_f32_e32 v123, v105, v124
	v_fmac_f32_e32 v123, v106, v125
	s_waitcnt vmcnt(4)
	s_delay_alu instid0(VALU_DEP_1) | instskip(SKIP_3) | instid1(VALU_DEP_1)
	v_fmac_f32_e32 v123, v107, v126
	ds_load_2addr_b64 v[104:107], v102 offset0:45 offset1:46
	s_waitcnt lgkmcnt(1)
	v_fmac_f32_e32 v123, v108, v127
	v_fmac_f32_e32 v123, v109, v128
	s_delay_alu instid0(VALU_DEP_1) | instskip(SKIP_1) | instid1(VALU_DEP_1)
	v_fmac_f32_e32 v123, v110, v129
	s_waitcnt vmcnt(3)
	v_fmac_f32_e32 v123, v111, v130
	ds_load_2addr_b64 v[108:111], v102 offset0:47 offset1:48
	s_waitcnt lgkmcnt(1)
	v_fmac_f32_e32 v123, v112, v104
	s_delay_alu instid0(VALU_DEP_1) | instskip(NEXT) | instid1(VALU_DEP_1)
	v_fmac_f32_e32 v123, v113, v105
	v_fmac_f32_e32 v123, v114, v106
	s_waitcnt vmcnt(2)
	s_delay_alu instid0(VALU_DEP_1) | instskip(SKIP_3) | instid1(VALU_DEP_1)
	v_fmac_f32_e32 v123, v115, v107
	ds_load_2addr_b64 v[104:107], v102 offset0:49 offset1:50
	s_waitcnt lgkmcnt(1)
	v_fmac_f32_e32 v123, v116, v108
	v_fmac_f32_e32 v123, v117, v109
	s_delay_alu instid0(VALU_DEP_1) | instskip(SKIP_1) | instid1(VALU_DEP_1)
	v_fmac_f32_e32 v123, v118, v110
	s_waitcnt vmcnt(1)
	v_fmac_f32_e32 v123, v119, v111
	s_waitcnt lgkmcnt(0)
	s_delay_alu instid0(VALU_DEP_1) | instskip(NEXT) | instid1(VALU_DEP_1)
	v_fmac_f32_e32 v123, v120, v104
	v_fmac_f32_e32 v123, v121, v105
	s_delay_alu instid0(VALU_DEP_1) | instskip(SKIP_1) | instid1(VALU_DEP_1)
	v_fmac_f32_e32 v123, v122, v106
	s_waitcnt vmcnt(0)
	v_fmac_f32_e32 v123, v131, v107
	s_delay_alu instid0(VALU_DEP_1)
	v_sub_f32_e32 v102, v103, v123
	scratch_store_b32 off, v102, off offset:116
	v_cmpx_lt_u32_e32 28, v0
	s_cbranch_execz .LBB113_251
; %bb.250:
	scratch_load_b32 v102, off, off offset:112
	v_mov_b32_e32 v103, 0
	scratch_store_b32 off, v103, off offset:112
	s_waitcnt vmcnt(0)
	ds_store_b32 v101, v102
.LBB113_251:
	s_or_b32 exec_lo, exec_lo, s0
	s_waitcnt lgkmcnt(0)
	s_waitcnt_vscnt null, 0x0
	s_barrier
	buffer_gl0_inv
	s_clause 0x5
	scratch_load_b128 v[103:106], off, off offset:112
	scratch_load_b128 v[107:110], off, off offset:128
	;; [unrolled: 1-line block ×5, first 2 shown]
	scratch_load_b64 v[123:124], off, off offset:192
	v_mov_b32_e32 v102, 0
	ds_load_2addr_b32 v[125:126], v102 offset0:81 offset1:82
	ds_load_2addr_b32 v[127:128], v102 offset0:83 offset1:84
	;; [unrolled: 1-line block ×4, first 2 shown]
	s_mov_b32 s0, exec_lo
	s_waitcnt vmcnt(5) lgkmcnt(3)
	v_fma_f32 v125, v104, v125, 0
	s_delay_alu instid0(VALU_DEP_1) | instskip(SKIP_4) | instid1(VALU_DEP_1)
	v_fmac_f32_e32 v125, v105, v126
	ds_load_2addr_b32 v[104:105], v102 offset0:89 offset1:90
	s_waitcnt lgkmcnt(3)
	v_fmac_f32_e32 v125, v106, v127
	s_waitcnt vmcnt(4)
	v_fmac_f32_e32 v125, v107, v128
	ds_load_2addr_b32 v[106:107], v102 offset0:91 offset1:92
	s_waitcnt lgkmcnt(3)
	v_fmac_f32_e32 v125, v108, v129
	s_delay_alu instid0(VALU_DEP_1) | instskip(SKIP_1) | instid1(VALU_DEP_1)
	v_fmac_f32_e32 v125, v109, v130
	s_waitcnt lgkmcnt(2)
	v_fmac_f32_e32 v125, v110, v131
	s_waitcnt vmcnt(3)
	s_delay_alu instid0(VALU_DEP_1) | instskip(SKIP_4) | instid1(VALU_DEP_1)
	v_fmac_f32_e32 v125, v111, v132
	ds_load_2addr_b32 v[108:109], v102 offset0:93 offset1:94
	ds_load_2addr_b32 v[110:111], v102 offset0:95 offset1:96
	s_waitcnt lgkmcnt(3)
	v_fmac_f32_e32 v125, v112, v104
	v_fmac_f32_e32 v125, v113, v105
	ds_load_2addr_b32 v[104:105], v102 offset0:97 offset1:98
	s_waitcnt lgkmcnt(3)
	v_fmac_f32_e32 v125, v114, v106
	s_waitcnt vmcnt(2)
	s_delay_alu instid0(VALU_DEP_1)
	v_fmac_f32_e32 v125, v115, v107
	ds_load_2addr_b32 v[106:107], v102 offset0:99 offset1:100
	s_waitcnt lgkmcnt(3)
	v_fmac_f32_e32 v125, v116, v108
	ds_load_b32 v108, v102 offset:404
	v_fmac_f32_e32 v125, v117, v109
	s_waitcnt lgkmcnt(3)
	s_delay_alu instid0(VALU_DEP_1) | instskip(SKIP_1) | instid1(VALU_DEP_1)
	v_fmac_f32_e32 v125, v118, v110
	s_waitcnt vmcnt(1)
	v_fmac_f32_e32 v125, v119, v111
	s_waitcnt lgkmcnt(2)
	s_delay_alu instid0(VALU_DEP_1) | instskip(NEXT) | instid1(VALU_DEP_1)
	v_fmac_f32_e32 v125, v120, v104
	v_fmac_f32_e32 v125, v121, v105
	s_waitcnt lgkmcnt(1)
	s_delay_alu instid0(VALU_DEP_1) | instskip(SKIP_1) | instid1(VALU_DEP_1)
	v_fmac_f32_e32 v125, v122, v106
	s_waitcnt vmcnt(0)
	v_fmac_f32_e32 v125, v123, v107
	s_waitcnt lgkmcnt(0)
	s_delay_alu instid0(VALU_DEP_1) | instskip(NEXT) | instid1(VALU_DEP_1)
	v_fmac_f32_e32 v125, v124, v108
	v_sub_f32_e32 v103, v103, v125
	scratch_store_b32 off, v103, off offset:112
	v_cmpx_lt_u32_e32 27, v0
	s_cbranch_execz .LBB113_253
; %bb.252:
	scratch_load_b32 v103, off, off offset:108
	scratch_store_b32 off, v102, off offset:108
	s_waitcnt vmcnt(0)
	ds_store_b32 v101, v103
.LBB113_253:
	s_or_b32 exec_lo, exec_lo, s0
	s_waitcnt lgkmcnt(0)
	s_waitcnt_vscnt null, 0x0
	s_barrier
	buffer_gl0_inv
	s_clause 0x5
	scratch_load_b128 v[103:106], off, off offset:108
	scratch_load_b128 v[107:110], off, off offset:124
	;; [unrolled: 1-line block ×5, first 2 shown]
	scratch_load_b96 v[131:133], off, off offset:188
	ds_load_b128 v[123:126], v102 offset:320
	ds_load_b128 v[127:130], v102 offset:336
	s_mov_b32 s0, exec_lo
	s_waitcnt vmcnt(5) lgkmcnt(1)
	v_fma_f32 v123, v104, v123, 0
	s_delay_alu instid0(VALU_DEP_1) | instskip(NEXT) | instid1(VALU_DEP_1)
	v_fmac_f32_e32 v123, v105, v124
	v_fmac_f32_e32 v123, v106, v125
	s_waitcnt vmcnt(4)
	s_delay_alu instid0(VALU_DEP_1) | instskip(SKIP_3) | instid1(VALU_DEP_1)
	v_fmac_f32_e32 v123, v107, v126
	ds_load_b128 v[104:107], v102 offset:352
	s_waitcnt lgkmcnt(1)
	v_fmac_f32_e32 v123, v108, v127
	v_fmac_f32_e32 v123, v109, v128
	s_delay_alu instid0(VALU_DEP_1) | instskip(SKIP_1) | instid1(VALU_DEP_1)
	v_fmac_f32_e32 v123, v110, v129
	s_waitcnt vmcnt(3)
	v_fmac_f32_e32 v123, v111, v130
	ds_load_b128 v[108:111], v102 offset:368
	s_waitcnt lgkmcnt(1)
	v_fmac_f32_e32 v123, v112, v104
	s_delay_alu instid0(VALU_DEP_1) | instskip(NEXT) | instid1(VALU_DEP_1)
	v_fmac_f32_e32 v123, v113, v105
	v_fmac_f32_e32 v123, v114, v106
	s_waitcnt vmcnt(2)
	s_delay_alu instid0(VALU_DEP_1) | instskip(SKIP_3) | instid1(VALU_DEP_1)
	v_fmac_f32_e32 v123, v115, v107
	ds_load_b128 v[104:107], v102 offset:384
	s_waitcnt lgkmcnt(1)
	v_fmac_f32_e32 v123, v116, v108
	v_fmac_f32_e32 v123, v117, v109
	ds_load_b64 v[108:109], v102 offset:400
	v_fmac_f32_e32 v123, v118, v110
	s_waitcnt vmcnt(1)
	s_delay_alu instid0(VALU_DEP_1) | instskip(SKIP_1) | instid1(VALU_DEP_1)
	v_fmac_f32_e32 v123, v119, v111
	s_waitcnt lgkmcnt(1)
	v_fmac_f32_e32 v123, v120, v104
	s_delay_alu instid0(VALU_DEP_1) | instskip(NEXT) | instid1(VALU_DEP_1)
	v_fmac_f32_e32 v123, v121, v105
	v_fmac_f32_e32 v123, v122, v106
	s_waitcnt vmcnt(0)
	s_delay_alu instid0(VALU_DEP_1) | instskip(SKIP_1) | instid1(VALU_DEP_1)
	v_fmac_f32_e32 v123, v131, v107
	s_waitcnt lgkmcnt(0)
	v_fmac_f32_e32 v123, v132, v108
	s_delay_alu instid0(VALU_DEP_1) | instskip(NEXT) | instid1(VALU_DEP_1)
	v_fmac_f32_e32 v123, v133, v109
	v_sub_f32_e32 v102, v103, v123
	scratch_store_b32 off, v102, off offset:108
	v_cmpx_lt_u32_e32 26, v0
	s_cbranch_execz .LBB113_255
; %bb.254:
	scratch_load_b32 v102, off, off offset:104
	v_mov_b32_e32 v103, 0
	scratch_store_b32 off, v103, off offset:104
	s_waitcnt vmcnt(0)
	ds_store_b32 v101, v102
.LBB113_255:
	s_or_b32 exec_lo, exec_lo, s0
	s_waitcnt lgkmcnt(0)
	s_waitcnt_vscnt null, 0x0
	s_barrier
	buffer_gl0_inv
	s_clause 0x5
	scratch_load_b128 v[103:106], off, off offset:104
	scratch_load_b128 v[107:110], off, off offset:120
	;; [unrolled: 1-line block ×6, first 2 shown]
	v_mov_b32_e32 v102, 0
	ds_load_2addr_b32 v[127:128], v102 offset0:79 offset1:80
	ds_load_2addr_b32 v[129:130], v102 offset0:81 offset1:82
	;; [unrolled: 1-line block ×4, first 2 shown]
	s_mov_b32 s0, exec_lo
	s_waitcnt vmcnt(5) lgkmcnt(3)
	v_fma_f32 v127, v104, v127, 0
	s_delay_alu instid0(VALU_DEP_1) | instskip(SKIP_4) | instid1(VALU_DEP_1)
	v_fmac_f32_e32 v127, v105, v128
	ds_load_2addr_b32 v[104:105], v102 offset0:87 offset1:88
	s_waitcnt lgkmcnt(3)
	v_fmac_f32_e32 v127, v106, v129
	s_waitcnt vmcnt(4)
	v_fmac_f32_e32 v127, v107, v130
	ds_load_2addr_b32 v[106:107], v102 offset0:89 offset1:90
	s_waitcnt lgkmcnt(3)
	v_fmac_f32_e32 v127, v108, v131
	s_delay_alu instid0(VALU_DEP_1) | instskip(SKIP_1) | instid1(VALU_DEP_1)
	v_fmac_f32_e32 v127, v109, v132
	s_waitcnt lgkmcnt(2)
	v_fmac_f32_e32 v127, v110, v133
	s_waitcnt vmcnt(3)
	s_delay_alu instid0(VALU_DEP_1) | instskip(SKIP_4) | instid1(VALU_DEP_1)
	v_fmac_f32_e32 v127, v111, v134
	ds_load_2addr_b32 v[108:109], v102 offset0:91 offset1:92
	ds_load_2addr_b32 v[110:111], v102 offset0:93 offset1:94
	s_waitcnt lgkmcnt(3)
	v_fmac_f32_e32 v127, v112, v104
	v_fmac_f32_e32 v127, v113, v105
	ds_load_2addr_b32 v[104:105], v102 offset0:95 offset1:96
	s_waitcnt lgkmcnt(3)
	v_fmac_f32_e32 v127, v114, v106
	s_waitcnt vmcnt(2)
	s_delay_alu instid0(VALU_DEP_1) | instskip(SKIP_3) | instid1(VALU_DEP_1)
	v_fmac_f32_e32 v127, v115, v107
	ds_load_2addr_b32 v[106:107], v102 offset0:97 offset1:98
	s_waitcnt lgkmcnt(3)
	v_fmac_f32_e32 v127, v116, v108
	v_fmac_f32_e32 v127, v117, v109
	s_waitcnt lgkmcnt(2)
	s_delay_alu instid0(VALU_DEP_1)
	v_fmac_f32_e32 v127, v118, v110
	ds_load_2addr_b32 v[108:109], v102 offset0:99 offset1:100
	ds_load_b32 v110, v102 offset:404
	s_waitcnt vmcnt(1)
	v_fmac_f32_e32 v127, v119, v111
	s_waitcnt lgkmcnt(3)
	s_delay_alu instid0(VALU_DEP_1) | instskip(NEXT) | instid1(VALU_DEP_1)
	v_fmac_f32_e32 v127, v120, v104
	v_fmac_f32_e32 v127, v121, v105
	s_waitcnt lgkmcnt(2)
	s_delay_alu instid0(VALU_DEP_1) | instskip(SKIP_1) | instid1(VALU_DEP_1)
	v_fmac_f32_e32 v127, v122, v106
	s_waitcnt vmcnt(0)
	v_fmac_f32_e32 v127, v123, v107
	s_waitcnt lgkmcnt(1)
	s_delay_alu instid0(VALU_DEP_1) | instskip(NEXT) | instid1(VALU_DEP_1)
	v_fmac_f32_e32 v127, v124, v108
	v_fmac_f32_e32 v127, v125, v109
	s_waitcnt lgkmcnt(0)
	s_delay_alu instid0(VALU_DEP_1) | instskip(NEXT) | instid1(VALU_DEP_1)
	v_fmac_f32_e32 v127, v126, v110
	v_sub_f32_e32 v103, v103, v127
	scratch_store_b32 off, v103, off offset:104
	v_cmpx_lt_u32_e32 25, v0
	s_cbranch_execz .LBB113_257
; %bb.256:
	scratch_load_b32 v103, off, off offset:100
	scratch_store_b32 off, v102, off offset:100
	s_waitcnt vmcnt(0)
	ds_store_b32 v101, v103
.LBB113_257:
	s_or_b32 exec_lo, exec_lo, s0
	s_waitcnt lgkmcnt(0)
	s_waitcnt_vscnt null, 0x0
	s_barrier
	buffer_gl0_inv
	s_clause 0x6
	scratch_load_b128 v[103:106], off, off offset:100
	scratch_load_b128 v[107:110], off, off offset:116
	scratch_load_b128 v[111:114], off, off offset:132
	scratch_load_b128 v[115:118], off, off offset:148
	scratch_load_b128 v[119:122], off, off offset:164
	scratch_load_b128 v[123:126], off, off offset:180
	scratch_load_b32 v135, off, off offset:196
	ds_load_2addr_b64 v[127:130], v102 offset0:39 offset1:40
	ds_load_2addr_b64 v[131:134], v102 offset0:41 offset1:42
	s_mov_b32 s0, exec_lo
	s_waitcnt vmcnt(6) lgkmcnt(1)
	v_fma_f32 v127, v104, v127, 0
	s_delay_alu instid0(VALU_DEP_1) | instskip(NEXT) | instid1(VALU_DEP_1)
	v_fmac_f32_e32 v127, v105, v128
	v_fmac_f32_e32 v127, v106, v129
	s_waitcnt vmcnt(5)
	s_delay_alu instid0(VALU_DEP_1) | instskip(SKIP_3) | instid1(VALU_DEP_1)
	v_fmac_f32_e32 v127, v107, v130
	ds_load_2addr_b64 v[104:107], v102 offset0:43 offset1:44
	s_waitcnt lgkmcnt(1)
	v_fmac_f32_e32 v127, v108, v131
	v_fmac_f32_e32 v127, v109, v132
	s_delay_alu instid0(VALU_DEP_1) | instskip(SKIP_1) | instid1(VALU_DEP_1)
	v_fmac_f32_e32 v127, v110, v133
	s_waitcnt vmcnt(4)
	v_fmac_f32_e32 v127, v111, v134
	ds_load_2addr_b64 v[108:111], v102 offset0:45 offset1:46
	s_waitcnt lgkmcnt(1)
	v_fmac_f32_e32 v127, v112, v104
	s_delay_alu instid0(VALU_DEP_1) | instskip(NEXT) | instid1(VALU_DEP_1)
	v_fmac_f32_e32 v127, v113, v105
	v_fmac_f32_e32 v127, v114, v106
	s_waitcnt vmcnt(3)
	s_delay_alu instid0(VALU_DEP_1) | instskip(SKIP_3) | instid1(VALU_DEP_1)
	v_fmac_f32_e32 v127, v115, v107
	ds_load_2addr_b64 v[104:107], v102 offset0:47 offset1:48
	s_waitcnt lgkmcnt(1)
	v_fmac_f32_e32 v127, v116, v108
	v_fmac_f32_e32 v127, v117, v109
	s_delay_alu instid0(VALU_DEP_1) | instskip(SKIP_1) | instid1(VALU_DEP_1)
	v_fmac_f32_e32 v127, v118, v110
	s_waitcnt vmcnt(2)
	v_fmac_f32_e32 v127, v119, v111
	ds_load_2addr_b64 v[108:111], v102 offset0:49 offset1:50
	s_waitcnt lgkmcnt(1)
	v_fmac_f32_e32 v127, v120, v104
	s_delay_alu instid0(VALU_DEP_1) | instskip(NEXT) | instid1(VALU_DEP_1)
	v_fmac_f32_e32 v127, v121, v105
	v_fmac_f32_e32 v127, v122, v106
	s_waitcnt vmcnt(1)
	s_delay_alu instid0(VALU_DEP_1) | instskip(SKIP_1) | instid1(VALU_DEP_1)
	v_fmac_f32_e32 v127, v123, v107
	s_waitcnt lgkmcnt(0)
	v_fmac_f32_e32 v127, v124, v108
	s_delay_alu instid0(VALU_DEP_1) | instskip(NEXT) | instid1(VALU_DEP_1)
	v_fmac_f32_e32 v127, v125, v109
	v_fmac_f32_e32 v127, v126, v110
	s_waitcnt vmcnt(0)
	s_delay_alu instid0(VALU_DEP_1) | instskip(NEXT) | instid1(VALU_DEP_1)
	v_fmac_f32_e32 v127, v135, v111
	v_sub_f32_e32 v102, v103, v127
	scratch_store_b32 off, v102, off offset:100
	v_cmpx_lt_u32_e32 24, v0
	s_cbranch_execz .LBB113_259
; %bb.258:
	scratch_load_b32 v102, off, off offset:96
	v_mov_b32_e32 v103, 0
	scratch_store_b32 off, v103, off offset:96
	s_waitcnt vmcnt(0)
	ds_store_b32 v101, v102
.LBB113_259:
	s_or_b32 exec_lo, exec_lo, s0
	s_waitcnt lgkmcnt(0)
	s_waitcnt_vscnt null, 0x0
	s_barrier
	buffer_gl0_inv
	s_clause 0x6
	scratch_load_b128 v[103:106], off, off offset:96
	scratch_load_b128 v[107:110], off, off offset:112
	;; [unrolled: 1-line block ×6, first 2 shown]
	scratch_load_b64 v[127:128], off, off offset:192
	v_mov_b32_e32 v102, 0
	ds_load_2addr_b32 v[129:130], v102 offset0:77 offset1:78
	ds_load_2addr_b32 v[131:132], v102 offset0:79 offset1:80
	;; [unrolled: 1-line block ×4, first 2 shown]
	s_mov_b32 s0, exec_lo
	s_waitcnt vmcnt(6) lgkmcnt(3)
	v_fma_f32 v129, v104, v129, 0
	s_delay_alu instid0(VALU_DEP_1) | instskip(SKIP_4) | instid1(VALU_DEP_1)
	v_fmac_f32_e32 v129, v105, v130
	ds_load_2addr_b32 v[104:105], v102 offset0:85 offset1:86
	s_waitcnt lgkmcnt(3)
	v_fmac_f32_e32 v129, v106, v131
	s_waitcnt vmcnt(5)
	v_fmac_f32_e32 v129, v107, v132
	ds_load_2addr_b32 v[106:107], v102 offset0:87 offset1:88
	s_waitcnt lgkmcnt(3)
	v_fmac_f32_e32 v129, v108, v133
	s_delay_alu instid0(VALU_DEP_1) | instskip(SKIP_1) | instid1(VALU_DEP_1)
	v_fmac_f32_e32 v129, v109, v134
	s_waitcnt lgkmcnt(2)
	v_fmac_f32_e32 v129, v110, v135
	s_waitcnt vmcnt(4)
	s_delay_alu instid0(VALU_DEP_1) | instskip(SKIP_4) | instid1(VALU_DEP_1)
	v_fmac_f32_e32 v129, v111, v136
	ds_load_2addr_b32 v[108:109], v102 offset0:89 offset1:90
	ds_load_2addr_b32 v[110:111], v102 offset0:91 offset1:92
	s_waitcnt lgkmcnt(3)
	v_fmac_f32_e32 v129, v112, v104
	v_fmac_f32_e32 v129, v113, v105
	ds_load_2addr_b32 v[104:105], v102 offset0:93 offset1:94
	s_waitcnt lgkmcnt(3)
	v_fmac_f32_e32 v129, v114, v106
	s_waitcnt vmcnt(3)
	s_delay_alu instid0(VALU_DEP_1) | instskip(SKIP_3) | instid1(VALU_DEP_1)
	v_fmac_f32_e32 v129, v115, v107
	ds_load_2addr_b32 v[106:107], v102 offset0:95 offset1:96
	s_waitcnt lgkmcnt(3)
	v_fmac_f32_e32 v129, v116, v108
	v_fmac_f32_e32 v129, v117, v109
	s_waitcnt lgkmcnt(2)
	s_delay_alu instid0(VALU_DEP_1) | instskip(SKIP_1) | instid1(VALU_DEP_1)
	v_fmac_f32_e32 v129, v118, v110
	s_waitcnt vmcnt(2)
	v_fmac_f32_e32 v129, v119, v111
	ds_load_2addr_b32 v[108:109], v102 offset0:97 offset1:98
	ds_load_2addr_b32 v[110:111], v102 offset0:99 offset1:100
	s_waitcnt lgkmcnt(3)
	v_fmac_f32_e32 v129, v120, v104
	ds_load_b32 v104, v102 offset:404
	v_fmac_f32_e32 v129, v121, v105
	s_waitcnt lgkmcnt(3)
	s_delay_alu instid0(VALU_DEP_1) | instskip(SKIP_1) | instid1(VALU_DEP_1)
	v_fmac_f32_e32 v129, v122, v106
	s_waitcnt vmcnt(1)
	v_fmac_f32_e32 v129, v123, v107
	s_waitcnt lgkmcnt(2)
	s_delay_alu instid0(VALU_DEP_1) | instskip(NEXT) | instid1(VALU_DEP_1)
	v_fmac_f32_e32 v129, v124, v108
	v_fmac_f32_e32 v129, v125, v109
	s_waitcnt lgkmcnt(1)
	s_delay_alu instid0(VALU_DEP_1) | instskip(SKIP_1) | instid1(VALU_DEP_1)
	v_fmac_f32_e32 v129, v126, v110
	s_waitcnt vmcnt(0)
	v_fmac_f32_e32 v129, v127, v111
	s_waitcnt lgkmcnt(0)
	s_delay_alu instid0(VALU_DEP_1) | instskip(NEXT) | instid1(VALU_DEP_1)
	v_fmac_f32_e32 v129, v128, v104
	v_sub_f32_e32 v103, v103, v129
	scratch_store_b32 off, v103, off offset:96
	v_cmpx_lt_u32_e32 23, v0
	s_cbranch_execz .LBB113_261
; %bb.260:
	scratch_load_b32 v103, off, off offset:92
	scratch_store_b32 off, v102, off offset:92
	s_waitcnt vmcnt(0)
	ds_store_b32 v101, v103
.LBB113_261:
	s_or_b32 exec_lo, exec_lo, s0
	s_waitcnt lgkmcnt(0)
	s_waitcnt_vscnt null, 0x0
	s_barrier
	buffer_gl0_inv
	s_clause 0x6
	scratch_load_b128 v[103:106], off, off offset:92
	scratch_load_b128 v[107:110], off, off offset:108
	;; [unrolled: 1-line block ×6, first 2 shown]
	scratch_load_b96 v[135:137], off, off offset:188
	ds_load_b128 v[127:130], v102 offset:304
	ds_load_b128 v[131:134], v102 offset:320
	s_mov_b32 s0, exec_lo
	s_waitcnt vmcnt(6) lgkmcnt(1)
	v_fma_f32 v127, v104, v127, 0
	s_delay_alu instid0(VALU_DEP_1) | instskip(NEXT) | instid1(VALU_DEP_1)
	v_fmac_f32_e32 v127, v105, v128
	v_fmac_f32_e32 v127, v106, v129
	s_waitcnt vmcnt(5)
	s_delay_alu instid0(VALU_DEP_1) | instskip(SKIP_3) | instid1(VALU_DEP_1)
	v_fmac_f32_e32 v127, v107, v130
	ds_load_b128 v[104:107], v102 offset:336
	s_waitcnt lgkmcnt(1)
	v_fmac_f32_e32 v127, v108, v131
	v_fmac_f32_e32 v127, v109, v132
	s_delay_alu instid0(VALU_DEP_1) | instskip(SKIP_1) | instid1(VALU_DEP_1)
	v_fmac_f32_e32 v127, v110, v133
	s_waitcnt vmcnt(4)
	v_fmac_f32_e32 v127, v111, v134
	ds_load_b128 v[108:111], v102 offset:352
	s_waitcnt lgkmcnt(1)
	v_fmac_f32_e32 v127, v112, v104
	s_delay_alu instid0(VALU_DEP_1) | instskip(NEXT) | instid1(VALU_DEP_1)
	v_fmac_f32_e32 v127, v113, v105
	v_fmac_f32_e32 v127, v114, v106
	s_waitcnt vmcnt(3)
	s_delay_alu instid0(VALU_DEP_1) | instskip(SKIP_3) | instid1(VALU_DEP_1)
	v_fmac_f32_e32 v127, v115, v107
	ds_load_b128 v[104:107], v102 offset:368
	s_waitcnt lgkmcnt(1)
	v_fmac_f32_e32 v127, v116, v108
	v_fmac_f32_e32 v127, v117, v109
	s_delay_alu instid0(VALU_DEP_1) | instskip(SKIP_1) | instid1(VALU_DEP_1)
	v_fmac_f32_e32 v127, v118, v110
	s_waitcnt vmcnt(2)
	v_fmac_f32_e32 v127, v119, v111
	ds_load_b128 v[108:111], v102 offset:384
	s_waitcnt lgkmcnt(1)
	v_fmac_f32_e32 v127, v120, v104
	s_delay_alu instid0(VALU_DEP_1) | instskip(SKIP_3) | instid1(VALU_DEP_1)
	v_fmac_f32_e32 v127, v121, v105
	ds_load_b64 v[104:105], v102 offset:400
	v_fmac_f32_e32 v127, v122, v106
	s_waitcnt vmcnt(1)
	v_fmac_f32_e32 v127, v123, v107
	s_waitcnt lgkmcnt(1)
	s_delay_alu instid0(VALU_DEP_1) | instskip(NEXT) | instid1(VALU_DEP_1)
	v_fmac_f32_e32 v127, v124, v108
	v_fmac_f32_e32 v127, v125, v109
	s_delay_alu instid0(VALU_DEP_1) | instskip(SKIP_1) | instid1(VALU_DEP_1)
	v_fmac_f32_e32 v127, v126, v110
	s_waitcnt vmcnt(0)
	v_fmac_f32_e32 v127, v135, v111
	s_waitcnt lgkmcnt(0)
	s_delay_alu instid0(VALU_DEP_1) | instskip(NEXT) | instid1(VALU_DEP_1)
	v_fmac_f32_e32 v127, v136, v104
	v_fmac_f32_e32 v127, v137, v105
	s_delay_alu instid0(VALU_DEP_1)
	v_sub_f32_e32 v102, v103, v127
	scratch_store_b32 off, v102, off offset:92
	v_cmpx_lt_u32_e32 22, v0
	s_cbranch_execz .LBB113_263
; %bb.262:
	scratch_load_b32 v102, off, off offset:88
	v_mov_b32_e32 v103, 0
	scratch_store_b32 off, v103, off offset:88
	s_waitcnt vmcnt(0)
	ds_store_b32 v101, v102
.LBB113_263:
	s_or_b32 exec_lo, exec_lo, s0
	s_waitcnt lgkmcnt(0)
	s_waitcnt_vscnt null, 0x0
	s_barrier
	buffer_gl0_inv
	s_clause 0x6
	scratch_load_b128 v[103:106], off, off offset:88
	scratch_load_b128 v[107:110], off, off offset:104
	;; [unrolled: 1-line block ×7, first 2 shown]
	v_mov_b32_e32 v102, 0
	ds_load_2addr_b32 v[131:132], v102 offset0:75 offset1:76
	ds_load_2addr_b32 v[133:134], v102 offset0:77 offset1:78
	;; [unrolled: 1-line block ×4, first 2 shown]
	s_mov_b32 s0, exec_lo
	s_waitcnt vmcnt(6) lgkmcnt(3)
	v_fma_f32 v131, v104, v131, 0
	s_delay_alu instid0(VALU_DEP_1) | instskip(SKIP_4) | instid1(VALU_DEP_1)
	v_fmac_f32_e32 v131, v105, v132
	ds_load_2addr_b32 v[104:105], v102 offset0:83 offset1:84
	s_waitcnt lgkmcnt(3)
	v_fmac_f32_e32 v131, v106, v133
	s_waitcnt vmcnt(5)
	v_fmac_f32_e32 v131, v107, v134
	ds_load_2addr_b32 v[106:107], v102 offset0:85 offset1:86
	s_waitcnt lgkmcnt(3)
	v_fmac_f32_e32 v131, v108, v135
	s_delay_alu instid0(VALU_DEP_1) | instskip(SKIP_1) | instid1(VALU_DEP_1)
	v_fmac_f32_e32 v131, v109, v136
	s_waitcnt lgkmcnt(2)
	v_fmac_f32_e32 v131, v110, v137
	s_waitcnt vmcnt(4)
	s_delay_alu instid0(VALU_DEP_1) | instskip(SKIP_4) | instid1(VALU_DEP_1)
	v_fmac_f32_e32 v131, v111, v138
	ds_load_2addr_b32 v[108:109], v102 offset0:87 offset1:88
	ds_load_2addr_b32 v[110:111], v102 offset0:89 offset1:90
	s_waitcnt lgkmcnt(3)
	v_fmac_f32_e32 v131, v112, v104
	v_fmac_f32_e32 v131, v113, v105
	ds_load_2addr_b32 v[104:105], v102 offset0:91 offset1:92
	s_waitcnt lgkmcnt(3)
	v_fmac_f32_e32 v131, v114, v106
	s_waitcnt vmcnt(3)
	s_delay_alu instid0(VALU_DEP_1) | instskip(SKIP_3) | instid1(VALU_DEP_1)
	v_fmac_f32_e32 v131, v115, v107
	ds_load_2addr_b32 v[106:107], v102 offset0:93 offset1:94
	s_waitcnt lgkmcnt(3)
	v_fmac_f32_e32 v131, v116, v108
	v_fmac_f32_e32 v131, v117, v109
	s_waitcnt lgkmcnt(2)
	s_delay_alu instid0(VALU_DEP_1) | instskip(SKIP_1) | instid1(VALU_DEP_1)
	v_fmac_f32_e32 v131, v118, v110
	s_waitcnt vmcnt(2)
	v_fmac_f32_e32 v131, v119, v111
	ds_load_2addr_b32 v[108:109], v102 offset0:95 offset1:96
	ds_load_2addr_b32 v[110:111], v102 offset0:97 offset1:98
	s_waitcnt lgkmcnt(3)
	v_fmac_f32_e32 v131, v120, v104
	s_delay_alu instid0(VALU_DEP_1)
	v_fmac_f32_e32 v131, v121, v105
	ds_load_2addr_b32 v[104:105], v102 offset0:99 offset1:100
	s_waitcnt lgkmcnt(3)
	v_fmac_f32_e32 v131, v122, v106
	ds_load_b32 v106, v102 offset:404
	s_waitcnt vmcnt(1)
	v_fmac_f32_e32 v131, v123, v107
	s_waitcnt lgkmcnt(3)
	s_delay_alu instid0(VALU_DEP_1) | instskip(NEXT) | instid1(VALU_DEP_1)
	v_fmac_f32_e32 v131, v124, v108
	v_fmac_f32_e32 v131, v125, v109
	s_waitcnt lgkmcnt(2)
	s_delay_alu instid0(VALU_DEP_1) | instskip(SKIP_1) | instid1(VALU_DEP_1)
	v_fmac_f32_e32 v131, v126, v110
	s_waitcnt vmcnt(0)
	v_fmac_f32_e32 v131, v127, v111
	s_waitcnt lgkmcnt(1)
	s_delay_alu instid0(VALU_DEP_1) | instskip(NEXT) | instid1(VALU_DEP_1)
	v_fmac_f32_e32 v131, v128, v104
	v_fmac_f32_e32 v131, v129, v105
	s_waitcnt lgkmcnt(0)
	s_delay_alu instid0(VALU_DEP_1) | instskip(NEXT) | instid1(VALU_DEP_1)
	v_fmac_f32_e32 v131, v130, v106
	v_sub_f32_e32 v103, v103, v131
	scratch_store_b32 off, v103, off offset:88
	v_cmpx_lt_u32_e32 21, v0
	s_cbranch_execz .LBB113_265
; %bb.264:
	scratch_load_b32 v103, off, off offset:84
	scratch_store_b32 off, v102, off offset:84
	s_waitcnt vmcnt(0)
	ds_store_b32 v101, v103
.LBB113_265:
	s_or_b32 exec_lo, exec_lo, s0
	s_waitcnt lgkmcnt(0)
	s_waitcnt_vscnt null, 0x0
	s_barrier
	buffer_gl0_inv
	s_clause 0x7
	scratch_load_b128 v[103:106], off, off offset:84
	scratch_load_b128 v[107:110], off, off offset:100
	;; [unrolled: 1-line block ×7, first 2 shown]
	scratch_load_b32 v139, off, off offset:196
	ds_load_2addr_b64 v[131:134], v102 offset0:37 offset1:38
	ds_load_2addr_b64 v[135:138], v102 offset0:39 offset1:40
	s_mov_b32 s0, exec_lo
	s_waitcnt vmcnt(7) lgkmcnt(1)
	v_fma_f32 v131, v104, v131, 0
	s_delay_alu instid0(VALU_DEP_1) | instskip(NEXT) | instid1(VALU_DEP_1)
	v_fmac_f32_e32 v131, v105, v132
	v_fmac_f32_e32 v131, v106, v133
	s_waitcnt vmcnt(6)
	s_delay_alu instid0(VALU_DEP_1) | instskip(SKIP_3) | instid1(VALU_DEP_1)
	v_fmac_f32_e32 v131, v107, v134
	ds_load_2addr_b64 v[104:107], v102 offset0:41 offset1:42
	s_waitcnt lgkmcnt(1)
	v_fmac_f32_e32 v131, v108, v135
	v_fmac_f32_e32 v131, v109, v136
	s_delay_alu instid0(VALU_DEP_1) | instskip(SKIP_1) | instid1(VALU_DEP_1)
	v_fmac_f32_e32 v131, v110, v137
	s_waitcnt vmcnt(5)
	v_fmac_f32_e32 v131, v111, v138
	ds_load_2addr_b64 v[108:111], v102 offset0:43 offset1:44
	s_waitcnt lgkmcnt(1)
	v_fmac_f32_e32 v131, v112, v104
	s_delay_alu instid0(VALU_DEP_1) | instskip(NEXT) | instid1(VALU_DEP_1)
	v_fmac_f32_e32 v131, v113, v105
	v_fmac_f32_e32 v131, v114, v106
	s_waitcnt vmcnt(4)
	s_delay_alu instid0(VALU_DEP_1) | instskip(SKIP_3) | instid1(VALU_DEP_1)
	v_fmac_f32_e32 v131, v115, v107
	ds_load_2addr_b64 v[104:107], v102 offset0:45 offset1:46
	s_waitcnt lgkmcnt(1)
	v_fmac_f32_e32 v131, v116, v108
	v_fmac_f32_e32 v131, v117, v109
	s_delay_alu instid0(VALU_DEP_1) | instskip(SKIP_1) | instid1(VALU_DEP_1)
	v_fmac_f32_e32 v131, v118, v110
	s_waitcnt vmcnt(3)
	v_fmac_f32_e32 v131, v119, v111
	ds_load_2addr_b64 v[108:111], v102 offset0:47 offset1:48
	s_waitcnt lgkmcnt(1)
	v_fmac_f32_e32 v131, v120, v104
	s_delay_alu instid0(VALU_DEP_1) | instskip(NEXT) | instid1(VALU_DEP_1)
	v_fmac_f32_e32 v131, v121, v105
	v_fmac_f32_e32 v131, v122, v106
	s_waitcnt vmcnt(2)
	s_delay_alu instid0(VALU_DEP_1) | instskip(SKIP_3) | instid1(VALU_DEP_1)
	v_fmac_f32_e32 v131, v123, v107
	ds_load_2addr_b64 v[104:107], v102 offset0:49 offset1:50
	s_waitcnt lgkmcnt(1)
	v_fmac_f32_e32 v131, v124, v108
	v_fmac_f32_e32 v131, v125, v109
	s_delay_alu instid0(VALU_DEP_1) | instskip(SKIP_1) | instid1(VALU_DEP_1)
	v_fmac_f32_e32 v131, v126, v110
	s_waitcnt vmcnt(1)
	v_fmac_f32_e32 v131, v127, v111
	s_waitcnt lgkmcnt(0)
	s_delay_alu instid0(VALU_DEP_1) | instskip(NEXT) | instid1(VALU_DEP_1)
	v_fmac_f32_e32 v131, v128, v104
	v_fmac_f32_e32 v131, v129, v105
	s_delay_alu instid0(VALU_DEP_1) | instskip(SKIP_1) | instid1(VALU_DEP_1)
	v_fmac_f32_e32 v131, v130, v106
	s_waitcnt vmcnt(0)
	v_fmac_f32_e32 v131, v139, v107
	s_delay_alu instid0(VALU_DEP_1)
	v_sub_f32_e32 v102, v103, v131
	scratch_store_b32 off, v102, off offset:84
	v_cmpx_lt_u32_e32 20, v0
	s_cbranch_execz .LBB113_267
; %bb.266:
	scratch_load_b32 v102, off, off offset:80
	v_mov_b32_e32 v103, 0
	scratch_store_b32 off, v103, off offset:80
	s_waitcnt vmcnt(0)
	ds_store_b32 v101, v102
.LBB113_267:
	s_or_b32 exec_lo, exec_lo, s0
	s_waitcnt lgkmcnt(0)
	s_waitcnt_vscnt null, 0x0
	s_barrier
	buffer_gl0_inv
	s_clause 0x7
	scratch_load_b128 v[103:106], off, off offset:80
	scratch_load_b128 v[107:110], off, off offset:96
	;; [unrolled: 1-line block ×7, first 2 shown]
	scratch_load_b64 v[131:132], off, off offset:192
	v_mov_b32_e32 v102, 0
	ds_load_2addr_b32 v[133:134], v102 offset0:73 offset1:74
	ds_load_2addr_b32 v[135:136], v102 offset0:75 offset1:76
	;; [unrolled: 1-line block ×4, first 2 shown]
	s_mov_b32 s0, exec_lo
	s_waitcnt vmcnt(7) lgkmcnt(3)
	v_fma_f32 v133, v104, v133, 0
	s_delay_alu instid0(VALU_DEP_1) | instskip(SKIP_4) | instid1(VALU_DEP_1)
	v_fmac_f32_e32 v133, v105, v134
	ds_load_2addr_b32 v[104:105], v102 offset0:81 offset1:82
	s_waitcnt lgkmcnt(3)
	v_fmac_f32_e32 v133, v106, v135
	s_waitcnt vmcnt(6)
	v_fmac_f32_e32 v133, v107, v136
	ds_load_2addr_b32 v[106:107], v102 offset0:83 offset1:84
	s_waitcnt lgkmcnt(3)
	v_fmac_f32_e32 v133, v108, v137
	s_delay_alu instid0(VALU_DEP_1) | instskip(SKIP_1) | instid1(VALU_DEP_1)
	v_fmac_f32_e32 v133, v109, v138
	s_waitcnt lgkmcnt(2)
	v_fmac_f32_e32 v133, v110, v139
	s_waitcnt vmcnt(5)
	s_delay_alu instid0(VALU_DEP_1) | instskip(SKIP_4) | instid1(VALU_DEP_1)
	v_fmac_f32_e32 v133, v111, v140
	ds_load_2addr_b32 v[108:109], v102 offset0:85 offset1:86
	ds_load_2addr_b32 v[110:111], v102 offset0:87 offset1:88
	s_waitcnt lgkmcnt(3)
	v_fmac_f32_e32 v133, v112, v104
	v_fmac_f32_e32 v133, v113, v105
	ds_load_2addr_b32 v[104:105], v102 offset0:89 offset1:90
	s_waitcnt lgkmcnt(3)
	v_fmac_f32_e32 v133, v114, v106
	s_waitcnt vmcnt(4)
	s_delay_alu instid0(VALU_DEP_1) | instskip(SKIP_3) | instid1(VALU_DEP_1)
	v_fmac_f32_e32 v133, v115, v107
	ds_load_2addr_b32 v[106:107], v102 offset0:91 offset1:92
	s_waitcnt lgkmcnt(3)
	v_fmac_f32_e32 v133, v116, v108
	v_fmac_f32_e32 v133, v117, v109
	s_waitcnt lgkmcnt(2)
	s_delay_alu instid0(VALU_DEP_1) | instskip(SKIP_1) | instid1(VALU_DEP_1)
	v_fmac_f32_e32 v133, v118, v110
	s_waitcnt vmcnt(3)
	v_fmac_f32_e32 v133, v119, v111
	ds_load_2addr_b32 v[108:109], v102 offset0:93 offset1:94
	ds_load_2addr_b32 v[110:111], v102 offset0:95 offset1:96
	s_waitcnt lgkmcnt(3)
	v_fmac_f32_e32 v133, v120, v104
	s_delay_alu instid0(VALU_DEP_1) | instskip(SKIP_4) | instid1(VALU_DEP_1)
	v_fmac_f32_e32 v133, v121, v105
	ds_load_2addr_b32 v[104:105], v102 offset0:97 offset1:98
	s_waitcnt lgkmcnt(3)
	v_fmac_f32_e32 v133, v122, v106
	s_waitcnt vmcnt(2)
	v_fmac_f32_e32 v133, v123, v107
	ds_load_2addr_b32 v[106:107], v102 offset0:99 offset1:100
	s_waitcnt lgkmcnt(3)
	v_fmac_f32_e32 v133, v124, v108
	ds_load_b32 v108, v102 offset:404
	v_fmac_f32_e32 v133, v125, v109
	s_waitcnt lgkmcnt(3)
	s_delay_alu instid0(VALU_DEP_1) | instskip(SKIP_1) | instid1(VALU_DEP_1)
	v_fmac_f32_e32 v133, v126, v110
	s_waitcnt vmcnt(1)
	v_fmac_f32_e32 v133, v127, v111
	s_waitcnt lgkmcnt(2)
	s_delay_alu instid0(VALU_DEP_1) | instskip(NEXT) | instid1(VALU_DEP_1)
	v_fmac_f32_e32 v133, v128, v104
	v_fmac_f32_e32 v133, v129, v105
	s_waitcnt lgkmcnt(1)
	s_delay_alu instid0(VALU_DEP_1) | instskip(SKIP_1) | instid1(VALU_DEP_1)
	v_fmac_f32_e32 v133, v130, v106
	s_waitcnt vmcnt(0)
	v_fmac_f32_e32 v133, v131, v107
	s_waitcnt lgkmcnt(0)
	s_delay_alu instid0(VALU_DEP_1) | instskip(NEXT) | instid1(VALU_DEP_1)
	v_fmac_f32_e32 v133, v132, v108
	v_sub_f32_e32 v103, v103, v133
	scratch_store_b32 off, v103, off offset:80
	v_cmpx_lt_u32_e32 19, v0
	s_cbranch_execz .LBB113_269
; %bb.268:
	scratch_load_b32 v103, off, off offset:76
	scratch_store_b32 off, v102, off offset:76
	s_waitcnt vmcnt(0)
	ds_store_b32 v101, v103
.LBB113_269:
	s_or_b32 exec_lo, exec_lo, s0
	s_waitcnt lgkmcnt(0)
	s_waitcnt_vscnt null, 0x0
	s_barrier
	buffer_gl0_inv
	s_clause 0x7
	scratch_load_b128 v[103:106], off, off offset:76
	scratch_load_b128 v[107:110], off, off offset:92
	;; [unrolled: 1-line block ×7, first 2 shown]
	scratch_load_b96 v[139:141], off, off offset:188
	ds_load_b128 v[131:134], v102 offset:288
	ds_load_b128 v[135:138], v102 offset:304
	s_mov_b32 s0, exec_lo
	s_waitcnt vmcnt(7) lgkmcnt(1)
	v_fma_f32 v131, v104, v131, 0
	s_delay_alu instid0(VALU_DEP_1) | instskip(NEXT) | instid1(VALU_DEP_1)
	v_fmac_f32_e32 v131, v105, v132
	v_fmac_f32_e32 v131, v106, v133
	s_waitcnt vmcnt(6)
	s_delay_alu instid0(VALU_DEP_1) | instskip(SKIP_3) | instid1(VALU_DEP_1)
	v_fmac_f32_e32 v131, v107, v134
	ds_load_b128 v[104:107], v102 offset:320
	s_waitcnt lgkmcnt(1)
	v_fmac_f32_e32 v131, v108, v135
	v_fmac_f32_e32 v131, v109, v136
	s_delay_alu instid0(VALU_DEP_1) | instskip(SKIP_1) | instid1(VALU_DEP_1)
	v_fmac_f32_e32 v131, v110, v137
	s_waitcnt vmcnt(5)
	v_fmac_f32_e32 v131, v111, v138
	ds_load_b128 v[108:111], v102 offset:336
	s_waitcnt lgkmcnt(1)
	v_fmac_f32_e32 v131, v112, v104
	s_delay_alu instid0(VALU_DEP_1) | instskip(NEXT) | instid1(VALU_DEP_1)
	v_fmac_f32_e32 v131, v113, v105
	v_fmac_f32_e32 v131, v114, v106
	s_waitcnt vmcnt(4)
	s_delay_alu instid0(VALU_DEP_1) | instskip(SKIP_3) | instid1(VALU_DEP_1)
	v_fmac_f32_e32 v131, v115, v107
	ds_load_b128 v[104:107], v102 offset:352
	s_waitcnt lgkmcnt(1)
	v_fmac_f32_e32 v131, v116, v108
	v_fmac_f32_e32 v131, v117, v109
	s_delay_alu instid0(VALU_DEP_1) | instskip(SKIP_1) | instid1(VALU_DEP_1)
	v_fmac_f32_e32 v131, v118, v110
	s_waitcnt vmcnt(3)
	v_fmac_f32_e32 v131, v119, v111
	ds_load_b128 v[108:111], v102 offset:368
	s_waitcnt lgkmcnt(1)
	v_fmac_f32_e32 v131, v120, v104
	s_delay_alu instid0(VALU_DEP_1) | instskip(NEXT) | instid1(VALU_DEP_1)
	v_fmac_f32_e32 v131, v121, v105
	v_fmac_f32_e32 v131, v122, v106
	s_waitcnt vmcnt(2)
	s_delay_alu instid0(VALU_DEP_1) | instskip(SKIP_3) | instid1(VALU_DEP_1)
	v_fmac_f32_e32 v131, v123, v107
	ds_load_b128 v[104:107], v102 offset:384
	s_waitcnt lgkmcnt(1)
	v_fmac_f32_e32 v131, v124, v108
	v_fmac_f32_e32 v131, v125, v109
	ds_load_b64 v[108:109], v102 offset:400
	v_fmac_f32_e32 v131, v126, v110
	s_waitcnt vmcnt(1)
	s_delay_alu instid0(VALU_DEP_1) | instskip(SKIP_1) | instid1(VALU_DEP_1)
	v_fmac_f32_e32 v131, v127, v111
	s_waitcnt lgkmcnt(1)
	v_fmac_f32_e32 v131, v128, v104
	s_delay_alu instid0(VALU_DEP_1) | instskip(NEXT) | instid1(VALU_DEP_1)
	v_fmac_f32_e32 v131, v129, v105
	v_fmac_f32_e32 v131, v130, v106
	s_waitcnt vmcnt(0)
	s_delay_alu instid0(VALU_DEP_1) | instskip(SKIP_1) | instid1(VALU_DEP_1)
	v_fmac_f32_e32 v131, v139, v107
	s_waitcnt lgkmcnt(0)
	v_fmac_f32_e32 v131, v140, v108
	s_delay_alu instid0(VALU_DEP_1) | instskip(NEXT) | instid1(VALU_DEP_1)
	v_fmac_f32_e32 v131, v141, v109
	v_sub_f32_e32 v102, v103, v131
	scratch_store_b32 off, v102, off offset:76
	v_cmpx_lt_u32_e32 18, v0
	s_cbranch_execz .LBB113_271
; %bb.270:
	scratch_load_b32 v102, off, off offset:72
	v_mov_b32_e32 v103, 0
	scratch_store_b32 off, v103, off offset:72
	s_waitcnt vmcnt(0)
	ds_store_b32 v101, v102
.LBB113_271:
	s_or_b32 exec_lo, exec_lo, s0
	s_waitcnt lgkmcnt(0)
	s_waitcnt_vscnt null, 0x0
	s_barrier
	buffer_gl0_inv
	s_clause 0x7
	scratch_load_b128 v[103:106], off, off offset:72
	scratch_load_b128 v[107:110], off, off offset:88
	;; [unrolled: 1-line block ×8, first 2 shown]
	v_mov_b32_e32 v102, 0
	ds_load_2addr_b32 v[135:136], v102 offset0:71 offset1:72
	ds_load_2addr_b32 v[137:138], v102 offset0:73 offset1:74
	;; [unrolled: 1-line block ×4, first 2 shown]
	s_mov_b32 s0, exec_lo
	s_waitcnt vmcnt(7) lgkmcnt(3)
	v_fma_f32 v135, v104, v135, 0
	s_delay_alu instid0(VALU_DEP_1) | instskip(SKIP_4) | instid1(VALU_DEP_1)
	v_fmac_f32_e32 v135, v105, v136
	ds_load_2addr_b32 v[104:105], v102 offset0:79 offset1:80
	s_waitcnt lgkmcnt(3)
	v_fmac_f32_e32 v135, v106, v137
	s_waitcnt vmcnt(6)
	v_fmac_f32_e32 v135, v107, v138
	ds_load_2addr_b32 v[106:107], v102 offset0:81 offset1:82
	s_waitcnt lgkmcnt(3)
	v_fmac_f32_e32 v135, v108, v139
	s_delay_alu instid0(VALU_DEP_1) | instskip(SKIP_1) | instid1(VALU_DEP_1)
	v_fmac_f32_e32 v135, v109, v140
	s_waitcnt lgkmcnt(2)
	v_fmac_f32_e32 v135, v110, v141
	s_waitcnt vmcnt(5)
	s_delay_alu instid0(VALU_DEP_1) | instskip(SKIP_4) | instid1(VALU_DEP_1)
	v_fmac_f32_e32 v135, v111, v142
	ds_load_2addr_b32 v[108:109], v102 offset0:83 offset1:84
	ds_load_2addr_b32 v[110:111], v102 offset0:85 offset1:86
	s_waitcnt lgkmcnt(3)
	v_fmac_f32_e32 v135, v112, v104
	v_fmac_f32_e32 v135, v113, v105
	ds_load_2addr_b32 v[104:105], v102 offset0:87 offset1:88
	s_waitcnt lgkmcnt(3)
	v_fmac_f32_e32 v135, v114, v106
	s_waitcnt vmcnt(4)
	s_delay_alu instid0(VALU_DEP_1) | instskip(SKIP_3) | instid1(VALU_DEP_1)
	v_fmac_f32_e32 v135, v115, v107
	ds_load_2addr_b32 v[106:107], v102 offset0:89 offset1:90
	s_waitcnt lgkmcnt(3)
	v_fmac_f32_e32 v135, v116, v108
	v_fmac_f32_e32 v135, v117, v109
	s_waitcnt lgkmcnt(2)
	s_delay_alu instid0(VALU_DEP_1) | instskip(SKIP_1) | instid1(VALU_DEP_1)
	v_fmac_f32_e32 v135, v118, v110
	s_waitcnt vmcnt(3)
	v_fmac_f32_e32 v135, v119, v111
	ds_load_2addr_b32 v[108:109], v102 offset0:91 offset1:92
	ds_load_2addr_b32 v[110:111], v102 offset0:93 offset1:94
	s_waitcnt lgkmcnt(3)
	v_fmac_f32_e32 v135, v120, v104
	s_delay_alu instid0(VALU_DEP_1) | instskip(SKIP_4) | instid1(VALU_DEP_1)
	v_fmac_f32_e32 v135, v121, v105
	ds_load_2addr_b32 v[104:105], v102 offset0:95 offset1:96
	s_waitcnt lgkmcnt(3)
	v_fmac_f32_e32 v135, v122, v106
	s_waitcnt vmcnt(2)
	v_fmac_f32_e32 v135, v123, v107
	ds_load_2addr_b32 v[106:107], v102 offset0:97 offset1:98
	s_waitcnt lgkmcnt(3)
	v_fmac_f32_e32 v135, v124, v108
	s_delay_alu instid0(VALU_DEP_1) | instskip(SKIP_1) | instid1(VALU_DEP_1)
	v_fmac_f32_e32 v135, v125, v109
	s_waitcnt lgkmcnt(2)
	v_fmac_f32_e32 v135, v126, v110
	ds_load_2addr_b32 v[108:109], v102 offset0:99 offset1:100
	ds_load_b32 v110, v102 offset:404
	s_waitcnt vmcnt(1)
	v_fmac_f32_e32 v135, v127, v111
	s_waitcnt lgkmcnt(3)
	s_delay_alu instid0(VALU_DEP_1) | instskip(NEXT) | instid1(VALU_DEP_1)
	v_fmac_f32_e32 v135, v128, v104
	v_fmac_f32_e32 v135, v129, v105
	s_waitcnt lgkmcnt(2)
	s_delay_alu instid0(VALU_DEP_1) | instskip(SKIP_1) | instid1(VALU_DEP_1)
	v_fmac_f32_e32 v135, v130, v106
	s_waitcnt vmcnt(0)
	v_fmac_f32_e32 v135, v131, v107
	s_waitcnt lgkmcnt(1)
	s_delay_alu instid0(VALU_DEP_1) | instskip(NEXT) | instid1(VALU_DEP_1)
	v_fmac_f32_e32 v135, v132, v108
	v_fmac_f32_e32 v135, v133, v109
	s_waitcnt lgkmcnt(0)
	s_delay_alu instid0(VALU_DEP_1) | instskip(NEXT) | instid1(VALU_DEP_1)
	v_fmac_f32_e32 v135, v134, v110
	v_sub_f32_e32 v103, v103, v135
	scratch_store_b32 off, v103, off offset:72
	v_cmpx_lt_u32_e32 17, v0
	s_cbranch_execz .LBB113_273
; %bb.272:
	scratch_load_b32 v103, off, off offset:68
	scratch_store_b32 off, v102, off offset:68
	s_waitcnt vmcnt(0)
	ds_store_b32 v101, v103
.LBB113_273:
	s_or_b32 exec_lo, exec_lo, s0
	s_waitcnt lgkmcnt(0)
	s_waitcnt_vscnt null, 0x0
	s_barrier
	buffer_gl0_inv
	s_clause 0x8
	scratch_load_b128 v[103:106], off, off offset:68
	scratch_load_b128 v[107:110], off, off offset:84
	;; [unrolled: 1-line block ×8, first 2 shown]
	scratch_load_b32 v143, off, off offset:196
	ds_load_2addr_b64 v[135:138], v102 offset0:35 offset1:36
	ds_load_2addr_b64 v[139:142], v102 offset0:37 offset1:38
	s_mov_b32 s0, exec_lo
	s_waitcnt vmcnt(8) lgkmcnt(1)
	v_fma_f32 v135, v104, v135, 0
	s_delay_alu instid0(VALU_DEP_1) | instskip(NEXT) | instid1(VALU_DEP_1)
	v_fmac_f32_e32 v135, v105, v136
	v_fmac_f32_e32 v135, v106, v137
	s_waitcnt vmcnt(7)
	s_delay_alu instid0(VALU_DEP_1) | instskip(SKIP_3) | instid1(VALU_DEP_1)
	v_fmac_f32_e32 v135, v107, v138
	ds_load_2addr_b64 v[104:107], v102 offset0:39 offset1:40
	s_waitcnt lgkmcnt(1)
	v_fmac_f32_e32 v135, v108, v139
	v_fmac_f32_e32 v135, v109, v140
	s_delay_alu instid0(VALU_DEP_1) | instskip(SKIP_1) | instid1(VALU_DEP_1)
	v_fmac_f32_e32 v135, v110, v141
	s_waitcnt vmcnt(6)
	v_fmac_f32_e32 v135, v111, v142
	ds_load_2addr_b64 v[108:111], v102 offset0:41 offset1:42
	s_waitcnt lgkmcnt(1)
	v_fmac_f32_e32 v135, v112, v104
	s_delay_alu instid0(VALU_DEP_1) | instskip(NEXT) | instid1(VALU_DEP_1)
	v_fmac_f32_e32 v135, v113, v105
	v_fmac_f32_e32 v135, v114, v106
	s_waitcnt vmcnt(5)
	s_delay_alu instid0(VALU_DEP_1) | instskip(SKIP_3) | instid1(VALU_DEP_1)
	v_fmac_f32_e32 v135, v115, v107
	ds_load_2addr_b64 v[104:107], v102 offset0:43 offset1:44
	s_waitcnt lgkmcnt(1)
	v_fmac_f32_e32 v135, v116, v108
	v_fmac_f32_e32 v135, v117, v109
	s_delay_alu instid0(VALU_DEP_1) | instskip(SKIP_1) | instid1(VALU_DEP_1)
	v_fmac_f32_e32 v135, v118, v110
	s_waitcnt vmcnt(4)
	v_fmac_f32_e32 v135, v119, v111
	ds_load_2addr_b64 v[108:111], v102 offset0:45 offset1:46
	s_waitcnt lgkmcnt(1)
	v_fmac_f32_e32 v135, v120, v104
	;; [unrolled: 17-line block ×3, first 2 shown]
	s_delay_alu instid0(VALU_DEP_1) | instskip(NEXT) | instid1(VALU_DEP_1)
	v_fmac_f32_e32 v135, v129, v105
	v_fmac_f32_e32 v135, v130, v106
	s_waitcnt vmcnt(1)
	s_delay_alu instid0(VALU_DEP_1) | instskip(SKIP_1) | instid1(VALU_DEP_1)
	v_fmac_f32_e32 v135, v131, v107
	s_waitcnt lgkmcnt(0)
	v_fmac_f32_e32 v135, v132, v108
	s_delay_alu instid0(VALU_DEP_1) | instskip(NEXT) | instid1(VALU_DEP_1)
	v_fmac_f32_e32 v135, v133, v109
	v_fmac_f32_e32 v135, v134, v110
	s_waitcnt vmcnt(0)
	s_delay_alu instid0(VALU_DEP_1) | instskip(NEXT) | instid1(VALU_DEP_1)
	v_fmac_f32_e32 v135, v143, v111
	v_sub_f32_e32 v102, v103, v135
	scratch_store_b32 off, v102, off offset:68
	v_cmpx_lt_u32_e32 16, v0
	s_cbranch_execz .LBB113_275
; %bb.274:
	scratch_load_b32 v102, off, off offset:64
	v_mov_b32_e32 v103, 0
	scratch_store_b32 off, v103, off offset:64
	s_waitcnt vmcnt(0)
	ds_store_b32 v101, v102
.LBB113_275:
	s_or_b32 exec_lo, exec_lo, s0
	s_waitcnt lgkmcnt(0)
	s_waitcnt_vscnt null, 0x0
	s_barrier
	buffer_gl0_inv
	s_clause 0x8
	scratch_load_b128 v[103:106], off, off offset:64
	scratch_load_b128 v[107:110], off, off offset:80
	;; [unrolled: 1-line block ×8, first 2 shown]
	scratch_load_b64 v[135:136], off, off offset:192
	v_mov_b32_e32 v102, 0
	ds_load_2addr_b32 v[137:138], v102 offset0:69 offset1:70
	ds_load_2addr_b32 v[139:140], v102 offset0:71 offset1:72
	;; [unrolled: 1-line block ×4, first 2 shown]
	s_mov_b32 s0, exec_lo
	s_waitcnt vmcnt(8) lgkmcnt(3)
	v_fma_f32 v137, v104, v137, 0
	s_delay_alu instid0(VALU_DEP_1) | instskip(SKIP_4) | instid1(VALU_DEP_1)
	v_fmac_f32_e32 v137, v105, v138
	ds_load_2addr_b32 v[104:105], v102 offset0:77 offset1:78
	s_waitcnt lgkmcnt(3)
	v_fmac_f32_e32 v137, v106, v139
	s_waitcnt vmcnt(7)
	v_fmac_f32_e32 v137, v107, v140
	ds_load_2addr_b32 v[106:107], v102 offset0:79 offset1:80
	s_waitcnt lgkmcnt(3)
	v_fmac_f32_e32 v137, v108, v141
	s_delay_alu instid0(VALU_DEP_1) | instskip(SKIP_1) | instid1(VALU_DEP_1)
	v_fmac_f32_e32 v137, v109, v142
	s_waitcnt lgkmcnt(2)
	v_fmac_f32_e32 v137, v110, v143
	s_waitcnt vmcnt(6)
	s_delay_alu instid0(VALU_DEP_1) | instskip(SKIP_4) | instid1(VALU_DEP_1)
	v_fmac_f32_e32 v137, v111, v144
	ds_load_2addr_b32 v[108:109], v102 offset0:81 offset1:82
	ds_load_2addr_b32 v[110:111], v102 offset0:83 offset1:84
	s_waitcnt lgkmcnt(3)
	v_fmac_f32_e32 v137, v112, v104
	v_fmac_f32_e32 v137, v113, v105
	ds_load_2addr_b32 v[104:105], v102 offset0:85 offset1:86
	s_waitcnt lgkmcnt(3)
	v_fmac_f32_e32 v137, v114, v106
	s_waitcnt vmcnt(5)
	s_delay_alu instid0(VALU_DEP_1) | instskip(SKIP_3) | instid1(VALU_DEP_1)
	v_fmac_f32_e32 v137, v115, v107
	ds_load_2addr_b32 v[106:107], v102 offset0:87 offset1:88
	s_waitcnt lgkmcnt(3)
	v_fmac_f32_e32 v137, v116, v108
	v_fmac_f32_e32 v137, v117, v109
	s_waitcnt lgkmcnt(2)
	s_delay_alu instid0(VALU_DEP_1) | instskip(SKIP_1) | instid1(VALU_DEP_1)
	v_fmac_f32_e32 v137, v118, v110
	s_waitcnt vmcnt(4)
	v_fmac_f32_e32 v137, v119, v111
	ds_load_2addr_b32 v[108:109], v102 offset0:89 offset1:90
	ds_load_2addr_b32 v[110:111], v102 offset0:91 offset1:92
	s_waitcnt lgkmcnt(3)
	v_fmac_f32_e32 v137, v120, v104
	s_delay_alu instid0(VALU_DEP_1) | instskip(SKIP_4) | instid1(VALU_DEP_1)
	v_fmac_f32_e32 v137, v121, v105
	ds_load_2addr_b32 v[104:105], v102 offset0:93 offset1:94
	s_waitcnt lgkmcnt(3)
	v_fmac_f32_e32 v137, v122, v106
	s_waitcnt vmcnt(3)
	v_fmac_f32_e32 v137, v123, v107
	ds_load_2addr_b32 v[106:107], v102 offset0:95 offset1:96
	s_waitcnt lgkmcnt(3)
	v_fmac_f32_e32 v137, v124, v108
	s_delay_alu instid0(VALU_DEP_1) | instskip(SKIP_1) | instid1(VALU_DEP_1)
	v_fmac_f32_e32 v137, v125, v109
	s_waitcnt lgkmcnt(2)
	v_fmac_f32_e32 v137, v126, v110
	s_waitcnt vmcnt(2)
	s_delay_alu instid0(VALU_DEP_1)
	v_fmac_f32_e32 v137, v127, v111
	ds_load_2addr_b32 v[108:109], v102 offset0:97 offset1:98
	ds_load_2addr_b32 v[110:111], v102 offset0:99 offset1:100
	s_waitcnt lgkmcnt(3)
	v_fmac_f32_e32 v137, v128, v104
	ds_load_b32 v104, v102 offset:404
	v_fmac_f32_e32 v137, v129, v105
	s_waitcnt lgkmcnt(3)
	s_delay_alu instid0(VALU_DEP_1) | instskip(SKIP_1) | instid1(VALU_DEP_1)
	v_fmac_f32_e32 v137, v130, v106
	s_waitcnt vmcnt(1)
	v_fmac_f32_e32 v137, v131, v107
	s_waitcnt lgkmcnt(2)
	s_delay_alu instid0(VALU_DEP_1) | instskip(NEXT) | instid1(VALU_DEP_1)
	v_fmac_f32_e32 v137, v132, v108
	v_fmac_f32_e32 v137, v133, v109
	s_waitcnt lgkmcnt(1)
	s_delay_alu instid0(VALU_DEP_1) | instskip(SKIP_1) | instid1(VALU_DEP_1)
	v_fmac_f32_e32 v137, v134, v110
	s_waitcnt vmcnt(0)
	v_fmac_f32_e32 v137, v135, v111
	s_waitcnt lgkmcnt(0)
	s_delay_alu instid0(VALU_DEP_1) | instskip(NEXT) | instid1(VALU_DEP_1)
	v_fmac_f32_e32 v137, v136, v104
	v_sub_f32_e32 v103, v103, v137
	scratch_store_b32 off, v103, off offset:64
	v_cmpx_lt_u32_e32 15, v0
	s_cbranch_execz .LBB113_277
; %bb.276:
	scratch_load_b32 v103, off, off offset:60
	scratch_store_b32 off, v102, off offset:60
	s_waitcnt vmcnt(0)
	ds_store_b32 v101, v103
.LBB113_277:
	s_or_b32 exec_lo, exec_lo, s0
	s_waitcnt lgkmcnt(0)
	s_waitcnt_vscnt null, 0x0
	s_barrier
	buffer_gl0_inv
	s_clause 0x8
	scratch_load_b128 v[103:106], off, off offset:60
	scratch_load_b128 v[107:110], off, off offset:76
	;; [unrolled: 1-line block ×8, first 2 shown]
	scratch_load_b96 v[143:145], off, off offset:188
	ds_load_b128 v[135:138], v102 offset:272
	ds_load_b128 v[139:142], v102 offset:288
	s_mov_b32 s0, exec_lo
	s_waitcnt vmcnt(8) lgkmcnt(1)
	v_fma_f32 v135, v104, v135, 0
	s_delay_alu instid0(VALU_DEP_1) | instskip(NEXT) | instid1(VALU_DEP_1)
	v_fmac_f32_e32 v135, v105, v136
	v_fmac_f32_e32 v135, v106, v137
	s_waitcnt vmcnt(7)
	s_delay_alu instid0(VALU_DEP_1) | instskip(SKIP_3) | instid1(VALU_DEP_1)
	v_fmac_f32_e32 v135, v107, v138
	ds_load_b128 v[104:107], v102 offset:304
	s_waitcnt lgkmcnt(1)
	v_fmac_f32_e32 v135, v108, v139
	v_fmac_f32_e32 v135, v109, v140
	s_delay_alu instid0(VALU_DEP_1) | instskip(SKIP_1) | instid1(VALU_DEP_1)
	v_fmac_f32_e32 v135, v110, v141
	s_waitcnt vmcnt(6)
	v_fmac_f32_e32 v135, v111, v142
	ds_load_b128 v[108:111], v102 offset:320
	s_waitcnt lgkmcnt(1)
	v_fmac_f32_e32 v135, v112, v104
	s_delay_alu instid0(VALU_DEP_1) | instskip(NEXT) | instid1(VALU_DEP_1)
	v_fmac_f32_e32 v135, v113, v105
	v_fmac_f32_e32 v135, v114, v106
	s_waitcnt vmcnt(5)
	s_delay_alu instid0(VALU_DEP_1) | instskip(SKIP_3) | instid1(VALU_DEP_1)
	v_fmac_f32_e32 v135, v115, v107
	ds_load_b128 v[104:107], v102 offset:336
	s_waitcnt lgkmcnt(1)
	v_fmac_f32_e32 v135, v116, v108
	v_fmac_f32_e32 v135, v117, v109
	s_delay_alu instid0(VALU_DEP_1) | instskip(SKIP_1) | instid1(VALU_DEP_1)
	v_fmac_f32_e32 v135, v118, v110
	s_waitcnt vmcnt(4)
	v_fmac_f32_e32 v135, v119, v111
	ds_load_b128 v[108:111], v102 offset:352
	s_waitcnt lgkmcnt(1)
	v_fmac_f32_e32 v135, v120, v104
	;; [unrolled: 17-line block ×3, first 2 shown]
	s_delay_alu instid0(VALU_DEP_1) | instskip(SKIP_3) | instid1(VALU_DEP_1)
	v_fmac_f32_e32 v135, v129, v105
	ds_load_b64 v[104:105], v102 offset:400
	v_fmac_f32_e32 v135, v130, v106
	s_waitcnt vmcnt(1)
	v_fmac_f32_e32 v135, v131, v107
	s_waitcnt lgkmcnt(1)
	s_delay_alu instid0(VALU_DEP_1) | instskip(NEXT) | instid1(VALU_DEP_1)
	v_fmac_f32_e32 v135, v132, v108
	v_fmac_f32_e32 v135, v133, v109
	s_delay_alu instid0(VALU_DEP_1) | instskip(SKIP_1) | instid1(VALU_DEP_1)
	v_fmac_f32_e32 v135, v134, v110
	s_waitcnt vmcnt(0)
	v_fmac_f32_e32 v135, v143, v111
	s_waitcnt lgkmcnt(0)
	s_delay_alu instid0(VALU_DEP_1) | instskip(NEXT) | instid1(VALU_DEP_1)
	v_fmac_f32_e32 v135, v144, v104
	v_fmac_f32_e32 v135, v145, v105
	s_delay_alu instid0(VALU_DEP_1)
	v_sub_f32_e32 v102, v103, v135
	scratch_store_b32 off, v102, off offset:60
	v_cmpx_lt_u32_e32 14, v0
	s_cbranch_execz .LBB113_279
; %bb.278:
	scratch_load_b32 v102, off, off offset:56
	v_mov_b32_e32 v103, 0
	scratch_store_b32 off, v103, off offset:56
	s_waitcnt vmcnt(0)
	ds_store_b32 v101, v102
.LBB113_279:
	s_or_b32 exec_lo, exec_lo, s0
	s_waitcnt lgkmcnt(0)
	s_waitcnt_vscnt null, 0x0
	s_barrier
	buffer_gl0_inv
	s_clause 0x8
	scratch_load_b128 v[103:106], off, off offset:56
	scratch_load_b128 v[107:110], off, off offset:72
	;; [unrolled: 1-line block ×9, first 2 shown]
	v_mov_b32_e32 v102, 0
	ds_load_2addr_b32 v[139:140], v102 offset0:67 offset1:68
	ds_load_2addr_b32 v[141:142], v102 offset0:69 offset1:70
	;; [unrolled: 1-line block ×4, first 2 shown]
	s_mov_b32 s0, exec_lo
	s_waitcnt vmcnt(8) lgkmcnt(3)
	v_fma_f32 v139, v104, v139, 0
	s_delay_alu instid0(VALU_DEP_1) | instskip(SKIP_4) | instid1(VALU_DEP_1)
	v_fmac_f32_e32 v139, v105, v140
	ds_load_2addr_b32 v[104:105], v102 offset0:75 offset1:76
	s_waitcnt lgkmcnt(3)
	v_fmac_f32_e32 v139, v106, v141
	s_waitcnt vmcnt(7)
	v_fmac_f32_e32 v139, v107, v142
	ds_load_2addr_b32 v[106:107], v102 offset0:77 offset1:78
	s_waitcnt lgkmcnt(3)
	v_fmac_f32_e32 v139, v108, v143
	s_delay_alu instid0(VALU_DEP_1) | instskip(SKIP_1) | instid1(VALU_DEP_1)
	v_fmac_f32_e32 v139, v109, v144
	s_waitcnt lgkmcnt(2)
	v_fmac_f32_e32 v139, v110, v145
	s_waitcnt vmcnt(6)
	s_delay_alu instid0(VALU_DEP_1) | instskip(SKIP_4) | instid1(VALU_DEP_1)
	v_fmac_f32_e32 v139, v111, v146
	ds_load_2addr_b32 v[108:109], v102 offset0:79 offset1:80
	ds_load_2addr_b32 v[110:111], v102 offset0:81 offset1:82
	s_waitcnt lgkmcnt(3)
	v_fmac_f32_e32 v139, v112, v104
	v_fmac_f32_e32 v139, v113, v105
	ds_load_2addr_b32 v[104:105], v102 offset0:83 offset1:84
	s_waitcnt lgkmcnt(3)
	v_fmac_f32_e32 v139, v114, v106
	s_waitcnt vmcnt(5)
	s_delay_alu instid0(VALU_DEP_1) | instskip(SKIP_3) | instid1(VALU_DEP_1)
	v_fmac_f32_e32 v139, v115, v107
	ds_load_2addr_b32 v[106:107], v102 offset0:85 offset1:86
	s_waitcnt lgkmcnt(3)
	v_fmac_f32_e32 v139, v116, v108
	v_fmac_f32_e32 v139, v117, v109
	s_waitcnt lgkmcnt(2)
	s_delay_alu instid0(VALU_DEP_1) | instskip(SKIP_1) | instid1(VALU_DEP_1)
	v_fmac_f32_e32 v139, v118, v110
	s_waitcnt vmcnt(4)
	v_fmac_f32_e32 v139, v119, v111
	ds_load_2addr_b32 v[108:109], v102 offset0:87 offset1:88
	ds_load_2addr_b32 v[110:111], v102 offset0:89 offset1:90
	s_waitcnt lgkmcnt(3)
	v_fmac_f32_e32 v139, v120, v104
	s_delay_alu instid0(VALU_DEP_1) | instskip(SKIP_4) | instid1(VALU_DEP_1)
	v_fmac_f32_e32 v139, v121, v105
	ds_load_2addr_b32 v[104:105], v102 offset0:91 offset1:92
	s_waitcnt lgkmcnt(3)
	v_fmac_f32_e32 v139, v122, v106
	s_waitcnt vmcnt(3)
	v_fmac_f32_e32 v139, v123, v107
	ds_load_2addr_b32 v[106:107], v102 offset0:93 offset1:94
	s_waitcnt lgkmcnt(3)
	v_fmac_f32_e32 v139, v124, v108
	s_delay_alu instid0(VALU_DEP_1) | instskip(SKIP_1) | instid1(VALU_DEP_1)
	v_fmac_f32_e32 v139, v125, v109
	s_waitcnt lgkmcnt(2)
	v_fmac_f32_e32 v139, v126, v110
	s_waitcnt vmcnt(2)
	s_delay_alu instid0(VALU_DEP_1) | instskip(SKIP_4) | instid1(VALU_DEP_1)
	v_fmac_f32_e32 v139, v127, v111
	ds_load_2addr_b32 v[108:109], v102 offset0:95 offset1:96
	ds_load_2addr_b32 v[110:111], v102 offset0:97 offset1:98
	s_waitcnt lgkmcnt(3)
	v_fmac_f32_e32 v139, v128, v104
	v_fmac_f32_e32 v139, v129, v105
	ds_load_2addr_b32 v[104:105], v102 offset0:99 offset1:100
	s_waitcnt lgkmcnt(3)
	v_fmac_f32_e32 v139, v130, v106
	ds_load_b32 v106, v102 offset:404
	s_waitcnt vmcnt(1)
	v_fmac_f32_e32 v139, v131, v107
	s_waitcnt lgkmcnt(3)
	s_delay_alu instid0(VALU_DEP_1) | instskip(NEXT) | instid1(VALU_DEP_1)
	v_fmac_f32_e32 v139, v132, v108
	v_fmac_f32_e32 v139, v133, v109
	s_waitcnt lgkmcnt(2)
	s_delay_alu instid0(VALU_DEP_1) | instskip(SKIP_1) | instid1(VALU_DEP_1)
	v_fmac_f32_e32 v139, v134, v110
	s_waitcnt vmcnt(0)
	v_fmac_f32_e32 v139, v135, v111
	s_waitcnt lgkmcnt(1)
	s_delay_alu instid0(VALU_DEP_1) | instskip(NEXT) | instid1(VALU_DEP_1)
	v_fmac_f32_e32 v139, v136, v104
	v_fmac_f32_e32 v139, v137, v105
	s_waitcnt lgkmcnt(0)
	s_delay_alu instid0(VALU_DEP_1) | instskip(NEXT) | instid1(VALU_DEP_1)
	v_fmac_f32_e32 v139, v138, v106
	v_sub_f32_e32 v103, v103, v139
	scratch_store_b32 off, v103, off offset:56
	v_cmpx_lt_u32_e32 13, v0
	s_cbranch_execz .LBB113_281
; %bb.280:
	scratch_load_b32 v103, off, off offset:52
	scratch_store_b32 off, v102, off offset:52
	s_waitcnt vmcnt(0)
	ds_store_b32 v101, v103
.LBB113_281:
	s_or_b32 exec_lo, exec_lo, s0
	s_waitcnt lgkmcnt(0)
	s_waitcnt_vscnt null, 0x0
	s_barrier
	buffer_gl0_inv
	s_clause 0x9
	scratch_load_b128 v[103:106], off, off offset:52
	scratch_load_b128 v[107:110], off, off offset:68
	;; [unrolled: 1-line block ×9, first 2 shown]
	scratch_load_b32 v147, off, off offset:196
	ds_load_2addr_b64 v[139:142], v102 offset0:33 offset1:34
	ds_load_2addr_b64 v[143:146], v102 offset0:35 offset1:36
	s_mov_b32 s0, exec_lo
	s_waitcnt vmcnt(9) lgkmcnt(1)
	v_fma_f32 v139, v104, v139, 0
	s_delay_alu instid0(VALU_DEP_1) | instskip(NEXT) | instid1(VALU_DEP_1)
	v_fmac_f32_e32 v139, v105, v140
	v_fmac_f32_e32 v139, v106, v141
	s_waitcnt vmcnt(8)
	s_delay_alu instid0(VALU_DEP_1) | instskip(SKIP_3) | instid1(VALU_DEP_1)
	v_fmac_f32_e32 v139, v107, v142
	ds_load_2addr_b64 v[104:107], v102 offset0:37 offset1:38
	s_waitcnt lgkmcnt(1)
	v_fmac_f32_e32 v139, v108, v143
	v_fmac_f32_e32 v139, v109, v144
	s_delay_alu instid0(VALU_DEP_1) | instskip(SKIP_1) | instid1(VALU_DEP_1)
	v_fmac_f32_e32 v139, v110, v145
	s_waitcnt vmcnt(7)
	v_fmac_f32_e32 v139, v111, v146
	ds_load_2addr_b64 v[108:111], v102 offset0:39 offset1:40
	s_waitcnt lgkmcnt(1)
	v_fmac_f32_e32 v139, v112, v104
	s_delay_alu instid0(VALU_DEP_1) | instskip(NEXT) | instid1(VALU_DEP_1)
	v_fmac_f32_e32 v139, v113, v105
	v_fmac_f32_e32 v139, v114, v106
	s_waitcnt vmcnt(6)
	s_delay_alu instid0(VALU_DEP_1) | instskip(SKIP_3) | instid1(VALU_DEP_1)
	v_fmac_f32_e32 v139, v115, v107
	ds_load_2addr_b64 v[104:107], v102 offset0:41 offset1:42
	s_waitcnt lgkmcnt(1)
	v_fmac_f32_e32 v139, v116, v108
	v_fmac_f32_e32 v139, v117, v109
	s_delay_alu instid0(VALU_DEP_1) | instskip(SKIP_1) | instid1(VALU_DEP_1)
	v_fmac_f32_e32 v139, v118, v110
	s_waitcnt vmcnt(5)
	v_fmac_f32_e32 v139, v119, v111
	ds_load_2addr_b64 v[108:111], v102 offset0:43 offset1:44
	s_waitcnt lgkmcnt(1)
	v_fmac_f32_e32 v139, v120, v104
	;; [unrolled: 17-line block ×3, first 2 shown]
	s_delay_alu instid0(VALU_DEP_1) | instskip(NEXT) | instid1(VALU_DEP_1)
	v_fmac_f32_e32 v139, v129, v105
	v_fmac_f32_e32 v139, v130, v106
	s_waitcnt vmcnt(2)
	s_delay_alu instid0(VALU_DEP_1) | instskip(SKIP_3) | instid1(VALU_DEP_1)
	v_fmac_f32_e32 v139, v131, v107
	ds_load_2addr_b64 v[104:107], v102 offset0:49 offset1:50
	s_waitcnt lgkmcnt(1)
	v_fmac_f32_e32 v139, v132, v108
	v_fmac_f32_e32 v139, v133, v109
	s_delay_alu instid0(VALU_DEP_1) | instskip(SKIP_1) | instid1(VALU_DEP_1)
	v_fmac_f32_e32 v139, v134, v110
	s_waitcnt vmcnt(1)
	v_fmac_f32_e32 v139, v135, v111
	s_waitcnt lgkmcnt(0)
	s_delay_alu instid0(VALU_DEP_1) | instskip(NEXT) | instid1(VALU_DEP_1)
	v_fmac_f32_e32 v139, v136, v104
	v_fmac_f32_e32 v139, v137, v105
	s_delay_alu instid0(VALU_DEP_1) | instskip(SKIP_1) | instid1(VALU_DEP_1)
	v_fmac_f32_e32 v139, v138, v106
	s_waitcnt vmcnt(0)
	v_fmac_f32_e32 v139, v147, v107
	s_delay_alu instid0(VALU_DEP_1)
	v_sub_f32_e32 v102, v103, v139
	scratch_store_b32 off, v102, off offset:52
	v_cmpx_lt_u32_e32 12, v0
	s_cbranch_execz .LBB113_283
; %bb.282:
	scratch_load_b32 v102, off, off offset:48
	v_mov_b32_e32 v103, 0
	scratch_store_b32 off, v103, off offset:48
	s_waitcnt vmcnt(0)
	ds_store_b32 v101, v102
.LBB113_283:
	s_or_b32 exec_lo, exec_lo, s0
	s_waitcnt lgkmcnt(0)
	s_waitcnt_vscnt null, 0x0
	s_barrier
	buffer_gl0_inv
	s_clause 0x9
	scratch_load_b128 v[103:106], off, off offset:48
	scratch_load_b128 v[107:110], off, off offset:64
	scratch_load_b128 v[111:114], off, off offset:80
	scratch_load_b128 v[115:118], off, off offset:96
	scratch_load_b128 v[119:122], off, off offset:112
	scratch_load_b128 v[123:126], off, off offset:128
	scratch_load_b128 v[127:130], off, off offset:144
	scratch_load_b128 v[131:134], off, off offset:160
	scratch_load_b128 v[135:138], off, off offset:176
	scratch_load_b64 v[139:140], off, off offset:192
	v_mov_b32_e32 v102, 0
	ds_load_2addr_b32 v[141:142], v102 offset0:65 offset1:66
	ds_load_2addr_b32 v[143:144], v102 offset0:67 offset1:68
	;; [unrolled: 1-line block ×4, first 2 shown]
	s_mov_b32 s0, exec_lo
	s_waitcnt vmcnt(9) lgkmcnt(3)
	v_fma_f32 v141, v104, v141, 0
	s_delay_alu instid0(VALU_DEP_1) | instskip(SKIP_4) | instid1(VALU_DEP_1)
	v_fmac_f32_e32 v141, v105, v142
	ds_load_2addr_b32 v[104:105], v102 offset0:73 offset1:74
	s_waitcnt lgkmcnt(3)
	v_fmac_f32_e32 v141, v106, v143
	s_waitcnt vmcnt(8)
	v_fmac_f32_e32 v141, v107, v144
	ds_load_2addr_b32 v[106:107], v102 offset0:75 offset1:76
	s_waitcnt lgkmcnt(3)
	v_fmac_f32_e32 v141, v108, v145
	s_delay_alu instid0(VALU_DEP_1) | instskip(SKIP_1) | instid1(VALU_DEP_1)
	v_fmac_f32_e32 v141, v109, v146
	s_waitcnt lgkmcnt(2)
	v_fmac_f32_e32 v141, v110, v147
	s_waitcnt vmcnt(7)
	s_delay_alu instid0(VALU_DEP_1) | instskip(SKIP_4) | instid1(VALU_DEP_1)
	v_fmac_f32_e32 v141, v111, v148
	ds_load_2addr_b32 v[108:109], v102 offset0:77 offset1:78
	ds_load_2addr_b32 v[110:111], v102 offset0:79 offset1:80
	s_waitcnt lgkmcnt(3)
	v_fmac_f32_e32 v141, v112, v104
	v_fmac_f32_e32 v141, v113, v105
	ds_load_2addr_b32 v[104:105], v102 offset0:81 offset1:82
	s_waitcnt lgkmcnt(3)
	v_fmac_f32_e32 v141, v114, v106
	s_waitcnt vmcnt(6)
	s_delay_alu instid0(VALU_DEP_1) | instskip(SKIP_3) | instid1(VALU_DEP_1)
	v_fmac_f32_e32 v141, v115, v107
	ds_load_2addr_b32 v[106:107], v102 offset0:83 offset1:84
	s_waitcnt lgkmcnt(3)
	v_fmac_f32_e32 v141, v116, v108
	v_fmac_f32_e32 v141, v117, v109
	s_waitcnt lgkmcnt(2)
	s_delay_alu instid0(VALU_DEP_1) | instskip(SKIP_1) | instid1(VALU_DEP_1)
	v_fmac_f32_e32 v141, v118, v110
	s_waitcnt vmcnt(5)
	v_fmac_f32_e32 v141, v119, v111
	ds_load_2addr_b32 v[108:109], v102 offset0:85 offset1:86
	ds_load_2addr_b32 v[110:111], v102 offset0:87 offset1:88
	s_waitcnt lgkmcnt(3)
	v_fmac_f32_e32 v141, v120, v104
	s_delay_alu instid0(VALU_DEP_1) | instskip(SKIP_4) | instid1(VALU_DEP_1)
	v_fmac_f32_e32 v141, v121, v105
	ds_load_2addr_b32 v[104:105], v102 offset0:89 offset1:90
	s_waitcnt lgkmcnt(3)
	v_fmac_f32_e32 v141, v122, v106
	s_waitcnt vmcnt(4)
	v_fmac_f32_e32 v141, v123, v107
	ds_load_2addr_b32 v[106:107], v102 offset0:91 offset1:92
	s_waitcnt lgkmcnt(3)
	v_fmac_f32_e32 v141, v124, v108
	s_delay_alu instid0(VALU_DEP_1) | instskip(SKIP_1) | instid1(VALU_DEP_1)
	v_fmac_f32_e32 v141, v125, v109
	s_waitcnt lgkmcnt(2)
	v_fmac_f32_e32 v141, v126, v110
	s_waitcnt vmcnt(3)
	s_delay_alu instid0(VALU_DEP_1) | instskip(SKIP_4) | instid1(VALU_DEP_1)
	v_fmac_f32_e32 v141, v127, v111
	ds_load_2addr_b32 v[108:109], v102 offset0:93 offset1:94
	ds_load_2addr_b32 v[110:111], v102 offset0:95 offset1:96
	s_waitcnt lgkmcnt(3)
	v_fmac_f32_e32 v141, v128, v104
	v_fmac_f32_e32 v141, v129, v105
	ds_load_2addr_b32 v[104:105], v102 offset0:97 offset1:98
	s_waitcnt lgkmcnt(3)
	v_fmac_f32_e32 v141, v130, v106
	s_waitcnt vmcnt(2)
	s_delay_alu instid0(VALU_DEP_1)
	v_fmac_f32_e32 v141, v131, v107
	ds_load_2addr_b32 v[106:107], v102 offset0:99 offset1:100
	s_waitcnt lgkmcnt(3)
	v_fmac_f32_e32 v141, v132, v108
	ds_load_b32 v108, v102 offset:404
	v_fmac_f32_e32 v141, v133, v109
	s_waitcnt lgkmcnt(3)
	s_delay_alu instid0(VALU_DEP_1) | instskip(SKIP_1) | instid1(VALU_DEP_1)
	v_fmac_f32_e32 v141, v134, v110
	s_waitcnt vmcnt(1)
	v_fmac_f32_e32 v141, v135, v111
	s_waitcnt lgkmcnt(2)
	s_delay_alu instid0(VALU_DEP_1) | instskip(NEXT) | instid1(VALU_DEP_1)
	v_fmac_f32_e32 v141, v136, v104
	v_fmac_f32_e32 v141, v137, v105
	s_waitcnt lgkmcnt(1)
	s_delay_alu instid0(VALU_DEP_1) | instskip(SKIP_1) | instid1(VALU_DEP_1)
	v_fmac_f32_e32 v141, v138, v106
	s_waitcnt vmcnt(0)
	v_fmac_f32_e32 v141, v139, v107
	s_waitcnt lgkmcnt(0)
	s_delay_alu instid0(VALU_DEP_1) | instskip(NEXT) | instid1(VALU_DEP_1)
	v_fmac_f32_e32 v141, v140, v108
	v_sub_f32_e32 v103, v103, v141
	scratch_store_b32 off, v103, off offset:48
	v_cmpx_lt_u32_e32 11, v0
	s_cbranch_execz .LBB113_285
; %bb.284:
	scratch_load_b32 v103, off, off offset:44
	scratch_store_b32 off, v102, off offset:44
	s_waitcnt vmcnt(0)
	ds_store_b32 v101, v103
.LBB113_285:
	s_or_b32 exec_lo, exec_lo, s0
	s_waitcnt lgkmcnt(0)
	s_waitcnt_vscnt null, 0x0
	s_barrier
	buffer_gl0_inv
	s_clause 0x9
	scratch_load_b128 v[103:106], off, off offset:44
	scratch_load_b128 v[107:110], off, off offset:60
	;; [unrolled: 1-line block ×9, first 2 shown]
	scratch_load_b96 v[147:149], off, off offset:188
	ds_load_b128 v[139:142], v102 offset:256
	ds_load_b128 v[143:146], v102 offset:272
	s_mov_b32 s0, exec_lo
	s_waitcnt vmcnt(9) lgkmcnt(1)
	v_fma_f32 v139, v104, v139, 0
	s_delay_alu instid0(VALU_DEP_1) | instskip(NEXT) | instid1(VALU_DEP_1)
	v_fmac_f32_e32 v139, v105, v140
	v_fmac_f32_e32 v139, v106, v141
	s_waitcnt vmcnt(8)
	s_delay_alu instid0(VALU_DEP_1) | instskip(SKIP_3) | instid1(VALU_DEP_1)
	v_fmac_f32_e32 v139, v107, v142
	ds_load_b128 v[104:107], v102 offset:288
	s_waitcnt lgkmcnt(1)
	v_fmac_f32_e32 v139, v108, v143
	v_fmac_f32_e32 v139, v109, v144
	s_delay_alu instid0(VALU_DEP_1) | instskip(SKIP_1) | instid1(VALU_DEP_1)
	v_fmac_f32_e32 v139, v110, v145
	s_waitcnt vmcnt(7)
	v_fmac_f32_e32 v139, v111, v146
	ds_load_b128 v[108:111], v102 offset:304
	s_waitcnt lgkmcnt(1)
	v_fmac_f32_e32 v139, v112, v104
	s_delay_alu instid0(VALU_DEP_1) | instskip(NEXT) | instid1(VALU_DEP_1)
	v_fmac_f32_e32 v139, v113, v105
	v_fmac_f32_e32 v139, v114, v106
	s_waitcnt vmcnt(6)
	s_delay_alu instid0(VALU_DEP_1) | instskip(SKIP_3) | instid1(VALU_DEP_1)
	v_fmac_f32_e32 v139, v115, v107
	ds_load_b128 v[104:107], v102 offset:320
	s_waitcnt lgkmcnt(1)
	v_fmac_f32_e32 v139, v116, v108
	v_fmac_f32_e32 v139, v117, v109
	s_delay_alu instid0(VALU_DEP_1) | instskip(SKIP_1) | instid1(VALU_DEP_1)
	v_fmac_f32_e32 v139, v118, v110
	s_waitcnt vmcnt(5)
	v_fmac_f32_e32 v139, v119, v111
	ds_load_b128 v[108:111], v102 offset:336
	s_waitcnt lgkmcnt(1)
	v_fmac_f32_e32 v139, v120, v104
	;; [unrolled: 17-line block ×3, first 2 shown]
	s_delay_alu instid0(VALU_DEP_1) | instskip(NEXT) | instid1(VALU_DEP_1)
	v_fmac_f32_e32 v139, v129, v105
	v_fmac_f32_e32 v139, v130, v106
	s_waitcnt vmcnt(2)
	s_delay_alu instid0(VALU_DEP_1) | instskip(SKIP_3) | instid1(VALU_DEP_1)
	v_fmac_f32_e32 v139, v131, v107
	ds_load_b128 v[104:107], v102 offset:384
	s_waitcnt lgkmcnt(1)
	v_fmac_f32_e32 v139, v132, v108
	v_fmac_f32_e32 v139, v133, v109
	ds_load_b64 v[108:109], v102 offset:400
	v_fmac_f32_e32 v139, v134, v110
	s_waitcnt vmcnt(1)
	s_delay_alu instid0(VALU_DEP_1) | instskip(SKIP_1) | instid1(VALU_DEP_1)
	v_fmac_f32_e32 v139, v135, v111
	s_waitcnt lgkmcnt(1)
	v_fmac_f32_e32 v139, v136, v104
	s_delay_alu instid0(VALU_DEP_1) | instskip(NEXT) | instid1(VALU_DEP_1)
	v_fmac_f32_e32 v139, v137, v105
	v_fmac_f32_e32 v139, v138, v106
	s_waitcnt vmcnt(0)
	s_delay_alu instid0(VALU_DEP_1) | instskip(SKIP_1) | instid1(VALU_DEP_1)
	v_fmac_f32_e32 v139, v147, v107
	s_waitcnt lgkmcnt(0)
	v_fmac_f32_e32 v139, v148, v108
	s_delay_alu instid0(VALU_DEP_1) | instskip(NEXT) | instid1(VALU_DEP_1)
	v_fmac_f32_e32 v139, v149, v109
	v_sub_f32_e32 v102, v103, v139
	scratch_store_b32 off, v102, off offset:44
	v_cmpx_lt_u32_e32 10, v0
	s_cbranch_execz .LBB113_287
; %bb.286:
	scratch_load_b32 v102, off, off offset:40
	v_mov_b32_e32 v103, 0
	scratch_store_b32 off, v103, off offset:40
	s_waitcnt vmcnt(0)
	ds_store_b32 v101, v102
.LBB113_287:
	s_or_b32 exec_lo, exec_lo, s0
	s_waitcnt lgkmcnt(0)
	s_waitcnt_vscnt null, 0x0
	s_barrier
	buffer_gl0_inv
	s_clause 0x9
	scratch_load_b128 v[103:106], off, off offset:40
	scratch_load_b128 v[107:110], off, off offset:56
	;; [unrolled: 1-line block ×10, first 2 shown]
	v_mov_b32_e32 v102, 0
	ds_load_2addr_b32 v[143:144], v102 offset0:63 offset1:64
	ds_load_2addr_b32 v[145:146], v102 offset0:65 offset1:66
	;; [unrolled: 1-line block ×4, first 2 shown]
	s_mov_b32 s0, exec_lo
	s_waitcnt vmcnt(9) lgkmcnt(3)
	v_fma_f32 v143, v104, v143, 0
	s_delay_alu instid0(VALU_DEP_1) | instskip(SKIP_4) | instid1(VALU_DEP_1)
	v_fmac_f32_e32 v143, v105, v144
	ds_load_2addr_b32 v[104:105], v102 offset0:71 offset1:72
	s_waitcnt lgkmcnt(3)
	v_fmac_f32_e32 v143, v106, v145
	s_waitcnt vmcnt(8)
	v_fmac_f32_e32 v143, v107, v146
	ds_load_2addr_b32 v[106:107], v102 offset0:73 offset1:74
	s_waitcnt lgkmcnt(3)
	v_fmac_f32_e32 v143, v108, v147
	s_delay_alu instid0(VALU_DEP_1) | instskip(SKIP_1) | instid1(VALU_DEP_1)
	v_fmac_f32_e32 v143, v109, v148
	s_waitcnt lgkmcnt(2)
	v_fmac_f32_e32 v143, v110, v149
	s_waitcnt vmcnt(7)
	s_delay_alu instid0(VALU_DEP_1) | instskip(SKIP_4) | instid1(VALU_DEP_1)
	v_fmac_f32_e32 v143, v111, v150
	ds_load_2addr_b32 v[108:109], v102 offset0:75 offset1:76
	ds_load_2addr_b32 v[110:111], v102 offset0:77 offset1:78
	s_waitcnt lgkmcnt(3)
	v_fmac_f32_e32 v143, v112, v104
	v_fmac_f32_e32 v143, v113, v105
	ds_load_2addr_b32 v[104:105], v102 offset0:79 offset1:80
	s_waitcnt lgkmcnt(3)
	v_fmac_f32_e32 v143, v114, v106
	s_waitcnt vmcnt(6)
	s_delay_alu instid0(VALU_DEP_1) | instskip(SKIP_3) | instid1(VALU_DEP_1)
	v_fmac_f32_e32 v143, v115, v107
	ds_load_2addr_b32 v[106:107], v102 offset0:81 offset1:82
	s_waitcnt lgkmcnt(3)
	v_fmac_f32_e32 v143, v116, v108
	v_fmac_f32_e32 v143, v117, v109
	s_waitcnt lgkmcnt(2)
	s_delay_alu instid0(VALU_DEP_1) | instskip(SKIP_1) | instid1(VALU_DEP_1)
	v_fmac_f32_e32 v143, v118, v110
	s_waitcnt vmcnt(5)
	v_fmac_f32_e32 v143, v119, v111
	ds_load_2addr_b32 v[108:109], v102 offset0:83 offset1:84
	ds_load_2addr_b32 v[110:111], v102 offset0:85 offset1:86
	s_waitcnt lgkmcnt(3)
	v_fmac_f32_e32 v143, v120, v104
	s_delay_alu instid0(VALU_DEP_1) | instskip(SKIP_4) | instid1(VALU_DEP_1)
	v_fmac_f32_e32 v143, v121, v105
	ds_load_2addr_b32 v[104:105], v102 offset0:87 offset1:88
	s_waitcnt lgkmcnt(3)
	v_fmac_f32_e32 v143, v122, v106
	s_waitcnt vmcnt(4)
	v_fmac_f32_e32 v143, v123, v107
	ds_load_2addr_b32 v[106:107], v102 offset0:89 offset1:90
	s_waitcnt lgkmcnt(3)
	v_fmac_f32_e32 v143, v124, v108
	s_delay_alu instid0(VALU_DEP_1) | instskip(SKIP_1) | instid1(VALU_DEP_1)
	v_fmac_f32_e32 v143, v125, v109
	s_waitcnt lgkmcnt(2)
	v_fmac_f32_e32 v143, v126, v110
	s_waitcnt vmcnt(3)
	s_delay_alu instid0(VALU_DEP_1) | instskip(SKIP_4) | instid1(VALU_DEP_1)
	v_fmac_f32_e32 v143, v127, v111
	ds_load_2addr_b32 v[108:109], v102 offset0:91 offset1:92
	ds_load_2addr_b32 v[110:111], v102 offset0:93 offset1:94
	s_waitcnt lgkmcnt(3)
	v_fmac_f32_e32 v143, v128, v104
	v_fmac_f32_e32 v143, v129, v105
	ds_load_2addr_b32 v[104:105], v102 offset0:95 offset1:96
	s_waitcnt lgkmcnt(3)
	v_fmac_f32_e32 v143, v130, v106
	s_waitcnt vmcnt(2)
	s_delay_alu instid0(VALU_DEP_1) | instskip(SKIP_3) | instid1(VALU_DEP_1)
	v_fmac_f32_e32 v143, v131, v107
	ds_load_2addr_b32 v[106:107], v102 offset0:97 offset1:98
	s_waitcnt lgkmcnt(3)
	v_fmac_f32_e32 v143, v132, v108
	v_fmac_f32_e32 v143, v133, v109
	s_waitcnt lgkmcnt(2)
	s_delay_alu instid0(VALU_DEP_1)
	v_fmac_f32_e32 v143, v134, v110
	ds_load_2addr_b32 v[108:109], v102 offset0:99 offset1:100
	ds_load_b32 v110, v102 offset:404
	s_waitcnt vmcnt(1)
	v_fmac_f32_e32 v143, v135, v111
	s_waitcnt lgkmcnt(3)
	s_delay_alu instid0(VALU_DEP_1) | instskip(NEXT) | instid1(VALU_DEP_1)
	v_fmac_f32_e32 v143, v136, v104
	v_fmac_f32_e32 v143, v137, v105
	s_waitcnt lgkmcnt(2)
	s_delay_alu instid0(VALU_DEP_1) | instskip(SKIP_1) | instid1(VALU_DEP_1)
	v_fmac_f32_e32 v143, v138, v106
	s_waitcnt vmcnt(0)
	v_fmac_f32_e32 v143, v139, v107
	s_waitcnt lgkmcnt(1)
	s_delay_alu instid0(VALU_DEP_1) | instskip(NEXT) | instid1(VALU_DEP_1)
	v_fmac_f32_e32 v143, v140, v108
	v_fmac_f32_e32 v143, v141, v109
	s_waitcnt lgkmcnt(0)
	s_delay_alu instid0(VALU_DEP_1) | instskip(NEXT) | instid1(VALU_DEP_1)
	v_fmac_f32_e32 v143, v142, v110
	v_sub_f32_e32 v103, v103, v143
	scratch_store_b32 off, v103, off offset:40
	v_cmpx_lt_u32_e32 9, v0
	s_cbranch_execz .LBB113_289
; %bb.288:
	scratch_load_b32 v103, off, off offset:36
	scratch_store_b32 off, v102, off offset:36
	s_waitcnt vmcnt(0)
	ds_store_b32 v101, v103
.LBB113_289:
	s_or_b32 exec_lo, exec_lo, s0
	s_waitcnt lgkmcnt(0)
	s_waitcnt_vscnt null, 0x0
	s_barrier
	buffer_gl0_inv
	s_clause 0xa
	scratch_load_b128 v[103:106], off, off offset:36
	scratch_load_b128 v[107:110], off, off offset:52
	;; [unrolled: 1-line block ×10, first 2 shown]
	scratch_load_b32 v151, off, off offset:196
	ds_load_2addr_b64 v[143:146], v102 offset0:31 offset1:32
	ds_load_2addr_b64 v[147:150], v102 offset0:33 offset1:34
	s_mov_b32 s0, exec_lo
	s_waitcnt vmcnt(10) lgkmcnt(1)
	v_fma_f32 v143, v104, v143, 0
	s_delay_alu instid0(VALU_DEP_1) | instskip(NEXT) | instid1(VALU_DEP_1)
	v_fmac_f32_e32 v143, v105, v144
	v_fmac_f32_e32 v143, v106, v145
	s_waitcnt vmcnt(9)
	s_delay_alu instid0(VALU_DEP_1) | instskip(SKIP_3) | instid1(VALU_DEP_1)
	v_fmac_f32_e32 v143, v107, v146
	ds_load_2addr_b64 v[104:107], v102 offset0:35 offset1:36
	s_waitcnt lgkmcnt(1)
	v_fmac_f32_e32 v143, v108, v147
	v_fmac_f32_e32 v143, v109, v148
	s_delay_alu instid0(VALU_DEP_1) | instskip(SKIP_1) | instid1(VALU_DEP_1)
	v_fmac_f32_e32 v143, v110, v149
	s_waitcnt vmcnt(8)
	v_fmac_f32_e32 v143, v111, v150
	ds_load_2addr_b64 v[108:111], v102 offset0:37 offset1:38
	s_waitcnt lgkmcnt(1)
	v_fmac_f32_e32 v143, v112, v104
	s_delay_alu instid0(VALU_DEP_1) | instskip(NEXT) | instid1(VALU_DEP_1)
	v_fmac_f32_e32 v143, v113, v105
	v_fmac_f32_e32 v143, v114, v106
	s_waitcnt vmcnt(7)
	s_delay_alu instid0(VALU_DEP_1) | instskip(SKIP_3) | instid1(VALU_DEP_1)
	v_fmac_f32_e32 v143, v115, v107
	ds_load_2addr_b64 v[104:107], v102 offset0:39 offset1:40
	s_waitcnt lgkmcnt(1)
	v_fmac_f32_e32 v143, v116, v108
	v_fmac_f32_e32 v143, v117, v109
	s_delay_alu instid0(VALU_DEP_1) | instskip(SKIP_1) | instid1(VALU_DEP_1)
	v_fmac_f32_e32 v143, v118, v110
	s_waitcnt vmcnt(6)
	v_fmac_f32_e32 v143, v119, v111
	ds_load_2addr_b64 v[108:111], v102 offset0:41 offset1:42
	s_waitcnt lgkmcnt(1)
	v_fmac_f32_e32 v143, v120, v104
	;; [unrolled: 17-line block ×4, first 2 shown]
	s_delay_alu instid0(VALU_DEP_1) | instskip(NEXT) | instid1(VALU_DEP_1)
	v_fmac_f32_e32 v143, v137, v105
	v_fmac_f32_e32 v143, v138, v106
	s_waitcnt vmcnt(1)
	s_delay_alu instid0(VALU_DEP_1) | instskip(SKIP_1) | instid1(VALU_DEP_1)
	v_fmac_f32_e32 v143, v139, v107
	s_waitcnt lgkmcnt(0)
	v_fmac_f32_e32 v143, v140, v108
	s_delay_alu instid0(VALU_DEP_1) | instskip(NEXT) | instid1(VALU_DEP_1)
	v_fmac_f32_e32 v143, v141, v109
	v_fmac_f32_e32 v143, v142, v110
	s_waitcnt vmcnt(0)
	s_delay_alu instid0(VALU_DEP_1) | instskip(NEXT) | instid1(VALU_DEP_1)
	v_fmac_f32_e32 v143, v151, v111
	v_sub_f32_e32 v102, v103, v143
	scratch_store_b32 off, v102, off offset:36
	v_cmpx_lt_u32_e32 8, v0
	s_cbranch_execz .LBB113_291
; %bb.290:
	scratch_load_b32 v102, off, off offset:32
	v_mov_b32_e32 v103, 0
	scratch_store_b32 off, v103, off offset:32
	s_waitcnt vmcnt(0)
	ds_store_b32 v101, v102
.LBB113_291:
	s_or_b32 exec_lo, exec_lo, s0
	s_waitcnt lgkmcnt(0)
	s_waitcnt_vscnt null, 0x0
	s_barrier
	buffer_gl0_inv
	s_clause 0xa
	scratch_load_b128 v[103:106], off, off offset:32
	scratch_load_b128 v[107:110], off, off offset:48
	;; [unrolled: 1-line block ×10, first 2 shown]
	scratch_load_b64 v[143:144], off, off offset:192
	v_mov_b32_e32 v102, 0
	ds_load_2addr_b32 v[145:146], v102 offset0:61 offset1:62
	ds_load_2addr_b32 v[147:148], v102 offset0:63 offset1:64
	;; [unrolled: 1-line block ×4, first 2 shown]
	s_mov_b32 s0, exec_lo
	s_waitcnt vmcnt(10) lgkmcnt(3)
	v_fma_f32 v145, v104, v145, 0
	s_delay_alu instid0(VALU_DEP_1) | instskip(SKIP_4) | instid1(VALU_DEP_1)
	v_fmac_f32_e32 v145, v105, v146
	ds_load_2addr_b32 v[104:105], v102 offset0:69 offset1:70
	s_waitcnt lgkmcnt(3)
	v_fmac_f32_e32 v145, v106, v147
	s_waitcnt vmcnt(9)
	v_fmac_f32_e32 v145, v107, v148
	ds_load_2addr_b32 v[106:107], v102 offset0:71 offset1:72
	s_waitcnt lgkmcnt(3)
	v_fmac_f32_e32 v145, v108, v149
	s_delay_alu instid0(VALU_DEP_1) | instskip(SKIP_1) | instid1(VALU_DEP_1)
	v_fmac_f32_e32 v145, v109, v150
	s_waitcnt lgkmcnt(2)
	v_fmac_f32_e32 v145, v110, v151
	s_waitcnt vmcnt(8)
	s_delay_alu instid0(VALU_DEP_1) | instskip(SKIP_4) | instid1(VALU_DEP_1)
	v_fmac_f32_e32 v145, v111, v152
	ds_load_2addr_b32 v[108:109], v102 offset0:73 offset1:74
	ds_load_2addr_b32 v[110:111], v102 offset0:75 offset1:76
	s_waitcnt lgkmcnt(3)
	v_fmac_f32_e32 v145, v112, v104
	v_fmac_f32_e32 v145, v113, v105
	ds_load_2addr_b32 v[104:105], v102 offset0:77 offset1:78
	s_waitcnt lgkmcnt(3)
	v_fmac_f32_e32 v145, v114, v106
	s_waitcnt vmcnt(7)
	s_delay_alu instid0(VALU_DEP_1) | instskip(SKIP_3) | instid1(VALU_DEP_1)
	v_fmac_f32_e32 v145, v115, v107
	ds_load_2addr_b32 v[106:107], v102 offset0:79 offset1:80
	s_waitcnt lgkmcnt(3)
	v_fmac_f32_e32 v145, v116, v108
	v_fmac_f32_e32 v145, v117, v109
	s_waitcnt lgkmcnt(2)
	s_delay_alu instid0(VALU_DEP_1) | instskip(SKIP_1) | instid1(VALU_DEP_1)
	v_fmac_f32_e32 v145, v118, v110
	s_waitcnt vmcnt(6)
	v_fmac_f32_e32 v145, v119, v111
	ds_load_2addr_b32 v[108:109], v102 offset0:81 offset1:82
	ds_load_2addr_b32 v[110:111], v102 offset0:83 offset1:84
	s_waitcnt lgkmcnt(3)
	v_fmac_f32_e32 v145, v120, v104
	s_delay_alu instid0(VALU_DEP_1) | instskip(SKIP_4) | instid1(VALU_DEP_1)
	v_fmac_f32_e32 v145, v121, v105
	ds_load_2addr_b32 v[104:105], v102 offset0:85 offset1:86
	s_waitcnt lgkmcnt(3)
	v_fmac_f32_e32 v145, v122, v106
	s_waitcnt vmcnt(5)
	v_fmac_f32_e32 v145, v123, v107
	ds_load_2addr_b32 v[106:107], v102 offset0:87 offset1:88
	s_waitcnt lgkmcnt(3)
	v_fmac_f32_e32 v145, v124, v108
	s_delay_alu instid0(VALU_DEP_1) | instskip(SKIP_1) | instid1(VALU_DEP_1)
	v_fmac_f32_e32 v145, v125, v109
	s_waitcnt lgkmcnt(2)
	v_fmac_f32_e32 v145, v126, v110
	s_waitcnt vmcnt(4)
	s_delay_alu instid0(VALU_DEP_1) | instskip(SKIP_4) | instid1(VALU_DEP_1)
	v_fmac_f32_e32 v145, v127, v111
	ds_load_2addr_b32 v[108:109], v102 offset0:89 offset1:90
	ds_load_2addr_b32 v[110:111], v102 offset0:91 offset1:92
	s_waitcnt lgkmcnt(3)
	v_fmac_f32_e32 v145, v128, v104
	v_fmac_f32_e32 v145, v129, v105
	ds_load_2addr_b32 v[104:105], v102 offset0:93 offset1:94
	s_waitcnt lgkmcnt(3)
	v_fmac_f32_e32 v145, v130, v106
	s_waitcnt vmcnt(3)
	s_delay_alu instid0(VALU_DEP_1) | instskip(SKIP_3) | instid1(VALU_DEP_1)
	v_fmac_f32_e32 v145, v131, v107
	ds_load_2addr_b32 v[106:107], v102 offset0:95 offset1:96
	s_waitcnt lgkmcnt(3)
	v_fmac_f32_e32 v145, v132, v108
	v_fmac_f32_e32 v145, v133, v109
	s_waitcnt lgkmcnt(2)
	s_delay_alu instid0(VALU_DEP_1) | instskip(SKIP_1) | instid1(VALU_DEP_1)
	v_fmac_f32_e32 v145, v134, v110
	s_waitcnt vmcnt(2)
	v_fmac_f32_e32 v145, v135, v111
	ds_load_2addr_b32 v[108:109], v102 offset0:97 offset1:98
	ds_load_2addr_b32 v[110:111], v102 offset0:99 offset1:100
	s_waitcnt lgkmcnt(3)
	v_fmac_f32_e32 v145, v136, v104
	ds_load_b32 v104, v102 offset:404
	v_fmac_f32_e32 v145, v137, v105
	s_waitcnt lgkmcnt(3)
	s_delay_alu instid0(VALU_DEP_1) | instskip(SKIP_1) | instid1(VALU_DEP_1)
	v_fmac_f32_e32 v145, v138, v106
	s_waitcnt vmcnt(1)
	v_fmac_f32_e32 v145, v139, v107
	s_waitcnt lgkmcnt(2)
	s_delay_alu instid0(VALU_DEP_1) | instskip(NEXT) | instid1(VALU_DEP_1)
	v_fmac_f32_e32 v145, v140, v108
	v_fmac_f32_e32 v145, v141, v109
	s_waitcnt lgkmcnt(1)
	s_delay_alu instid0(VALU_DEP_1) | instskip(SKIP_1) | instid1(VALU_DEP_1)
	v_fmac_f32_e32 v145, v142, v110
	s_waitcnt vmcnt(0)
	v_fmac_f32_e32 v145, v143, v111
	s_waitcnt lgkmcnt(0)
	s_delay_alu instid0(VALU_DEP_1) | instskip(NEXT) | instid1(VALU_DEP_1)
	v_fmac_f32_e32 v145, v144, v104
	v_sub_f32_e32 v103, v103, v145
	scratch_store_b32 off, v103, off offset:32
	v_cmpx_lt_u32_e32 7, v0
	s_cbranch_execz .LBB113_293
; %bb.292:
	scratch_load_b32 v103, off, off offset:28
	scratch_store_b32 off, v102, off offset:28
	s_waitcnt vmcnt(0)
	ds_store_b32 v101, v103
.LBB113_293:
	s_or_b32 exec_lo, exec_lo, s0
	s_waitcnt lgkmcnt(0)
	s_waitcnt_vscnt null, 0x0
	s_barrier
	buffer_gl0_inv
	s_clause 0xa
	scratch_load_b128 v[103:106], off, off offset:28
	scratch_load_b128 v[107:110], off, off offset:44
	scratch_load_b128 v[111:114], off, off offset:60
	scratch_load_b128 v[115:118], off, off offset:76
	scratch_load_b128 v[119:122], off, off offset:92
	scratch_load_b128 v[123:126], off, off offset:108
	scratch_load_b128 v[127:130], off, off offset:124
	scratch_load_b128 v[131:134], off, off offset:140
	scratch_load_b128 v[135:138], off, off offset:156
	scratch_load_b128 v[139:142], off, off offset:172
	scratch_load_b96 v[151:153], off, off offset:188
	ds_load_b128 v[143:146], v102 offset:240
	ds_load_b128 v[147:150], v102 offset:256
	s_mov_b32 s0, exec_lo
	s_waitcnt vmcnt(10) lgkmcnt(1)
	v_fma_f32 v143, v104, v143, 0
	s_delay_alu instid0(VALU_DEP_1) | instskip(NEXT) | instid1(VALU_DEP_1)
	v_fmac_f32_e32 v143, v105, v144
	v_fmac_f32_e32 v143, v106, v145
	s_waitcnt vmcnt(9)
	s_delay_alu instid0(VALU_DEP_1) | instskip(SKIP_3) | instid1(VALU_DEP_1)
	v_fmac_f32_e32 v143, v107, v146
	ds_load_b128 v[104:107], v102 offset:272
	s_waitcnt lgkmcnt(1)
	v_fmac_f32_e32 v143, v108, v147
	v_fmac_f32_e32 v143, v109, v148
	s_delay_alu instid0(VALU_DEP_1) | instskip(SKIP_1) | instid1(VALU_DEP_1)
	v_fmac_f32_e32 v143, v110, v149
	s_waitcnt vmcnt(8)
	v_fmac_f32_e32 v143, v111, v150
	ds_load_b128 v[108:111], v102 offset:288
	s_waitcnt lgkmcnt(1)
	v_fmac_f32_e32 v143, v112, v104
	s_delay_alu instid0(VALU_DEP_1) | instskip(NEXT) | instid1(VALU_DEP_1)
	v_fmac_f32_e32 v143, v113, v105
	v_fmac_f32_e32 v143, v114, v106
	s_waitcnt vmcnt(7)
	s_delay_alu instid0(VALU_DEP_1) | instskip(SKIP_3) | instid1(VALU_DEP_1)
	v_fmac_f32_e32 v143, v115, v107
	ds_load_b128 v[104:107], v102 offset:304
	s_waitcnt lgkmcnt(1)
	v_fmac_f32_e32 v143, v116, v108
	v_fmac_f32_e32 v143, v117, v109
	s_delay_alu instid0(VALU_DEP_1) | instskip(SKIP_1) | instid1(VALU_DEP_1)
	v_fmac_f32_e32 v143, v118, v110
	s_waitcnt vmcnt(6)
	v_fmac_f32_e32 v143, v119, v111
	ds_load_b128 v[108:111], v102 offset:320
	s_waitcnt lgkmcnt(1)
	v_fmac_f32_e32 v143, v120, v104
	;; [unrolled: 17-line block ×4, first 2 shown]
	s_delay_alu instid0(VALU_DEP_1) | instskip(SKIP_3) | instid1(VALU_DEP_1)
	v_fmac_f32_e32 v143, v137, v105
	ds_load_b64 v[104:105], v102 offset:400
	v_fmac_f32_e32 v143, v138, v106
	s_waitcnt vmcnt(1)
	v_fmac_f32_e32 v143, v139, v107
	s_waitcnt lgkmcnt(1)
	s_delay_alu instid0(VALU_DEP_1) | instskip(NEXT) | instid1(VALU_DEP_1)
	v_fmac_f32_e32 v143, v140, v108
	v_fmac_f32_e32 v143, v141, v109
	s_delay_alu instid0(VALU_DEP_1) | instskip(SKIP_1) | instid1(VALU_DEP_1)
	v_fmac_f32_e32 v143, v142, v110
	s_waitcnt vmcnt(0)
	v_fmac_f32_e32 v143, v151, v111
	s_waitcnt lgkmcnt(0)
	s_delay_alu instid0(VALU_DEP_1) | instskip(NEXT) | instid1(VALU_DEP_1)
	v_fmac_f32_e32 v143, v152, v104
	v_fmac_f32_e32 v143, v153, v105
	s_delay_alu instid0(VALU_DEP_1)
	v_sub_f32_e32 v102, v103, v143
	scratch_store_b32 off, v102, off offset:28
	v_cmpx_lt_u32_e32 6, v0
	s_cbranch_execz .LBB113_295
; %bb.294:
	scratch_load_b32 v102, off, off offset:24
	v_mov_b32_e32 v103, 0
	scratch_store_b32 off, v103, off offset:24
	s_waitcnt vmcnt(0)
	ds_store_b32 v101, v102
.LBB113_295:
	s_or_b32 exec_lo, exec_lo, s0
	s_waitcnt lgkmcnt(0)
	s_waitcnt_vscnt null, 0x0
	s_barrier
	buffer_gl0_inv
	s_clause 0xa
	scratch_load_b128 v[103:106], off, off offset:24
	scratch_load_b128 v[107:110], off, off offset:40
	;; [unrolled: 1-line block ×11, first 2 shown]
	v_mov_b32_e32 v102, 0
	ds_load_2addr_b32 v[147:148], v102 offset0:59 offset1:60
	ds_load_2addr_b32 v[149:150], v102 offset0:61 offset1:62
	;; [unrolled: 1-line block ×4, first 2 shown]
	s_mov_b32 s0, exec_lo
	s_waitcnt vmcnt(10) lgkmcnt(3)
	v_fma_f32 v147, v104, v147, 0
	s_delay_alu instid0(VALU_DEP_1) | instskip(SKIP_4) | instid1(VALU_DEP_1)
	v_fmac_f32_e32 v147, v105, v148
	ds_load_2addr_b32 v[104:105], v102 offset0:67 offset1:68
	s_waitcnt lgkmcnt(3)
	v_fmac_f32_e32 v147, v106, v149
	s_waitcnt vmcnt(9)
	v_fmac_f32_e32 v147, v107, v150
	ds_load_2addr_b32 v[106:107], v102 offset0:69 offset1:70
	s_waitcnt lgkmcnt(3)
	v_fmac_f32_e32 v147, v108, v151
	s_delay_alu instid0(VALU_DEP_1) | instskip(SKIP_1) | instid1(VALU_DEP_1)
	v_fmac_f32_e32 v147, v109, v152
	s_waitcnt lgkmcnt(2)
	v_fmac_f32_e32 v147, v110, v153
	s_waitcnt vmcnt(8)
	s_delay_alu instid0(VALU_DEP_1) | instskip(SKIP_4) | instid1(VALU_DEP_1)
	v_fmac_f32_e32 v147, v111, v154
	ds_load_2addr_b32 v[108:109], v102 offset0:71 offset1:72
	ds_load_2addr_b32 v[110:111], v102 offset0:73 offset1:74
	s_waitcnt lgkmcnt(3)
	v_fmac_f32_e32 v147, v112, v104
	v_fmac_f32_e32 v147, v113, v105
	ds_load_2addr_b32 v[104:105], v102 offset0:75 offset1:76
	s_waitcnt lgkmcnt(3)
	v_fmac_f32_e32 v147, v114, v106
	s_waitcnt vmcnt(7)
	s_delay_alu instid0(VALU_DEP_1) | instskip(SKIP_3) | instid1(VALU_DEP_1)
	v_fmac_f32_e32 v147, v115, v107
	ds_load_2addr_b32 v[106:107], v102 offset0:77 offset1:78
	s_waitcnt lgkmcnt(3)
	v_fmac_f32_e32 v147, v116, v108
	v_fmac_f32_e32 v147, v117, v109
	s_waitcnt lgkmcnt(2)
	s_delay_alu instid0(VALU_DEP_1) | instskip(SKIP_1) | instid1(VALU_DEP_1)
	v_fmac_f32_e32 v147, v118, v110
	s_waitcnt vmcnt(6)
	v_fmac_f32_e32 v147, v119, v111
	ds_load_2addr_b32 v[108:109], v102 offset0:79 offset1:80
	ds_load_2addr_b32 v[110:111], v102 offset0:81 offset1:82
	s_waitcnt lgkmcnt(3)
	v_fmac_f32_e32 v147, v120, v104
	s_delay_alu instid0(VALU_DEP_1) | instskip(SKIP_4) | instid1(VALU_DEP_1)
	v_fmac_f32_e32 v147, v121, v105
	ds_load_2addr_b32 v[104:105], v102 offset0:83 offset1:84
	s_waitcnt lgkmcnt(3)
	v_fmac_f32_e32 v147, v122, v106
	s_waitcnt vmcnt(5)
	v_fmac_f32_e32 v147, v123, v107
	ds_load_2addr_b32 v[106:107], v102 offset0:85 offset1:86
	s_waitcnt lgkmcnt(3)
	v_fmac_f32_e32 v147, v124, v108
	s_delay_alu instid0(VALU_DEP_1) | instskip(SKIP_1) | instid1(VALU_DEP_1)
	v_fmac_f32_e32 v147, v125, v109
	s_waitcnt lgkmcnt(2)
	v_fmac_f32_e32 v147, v126, v110
	s_waitcnt vmcnt(4)
	s_delay_alu instid0(VALU_DEP_1) | instskip(SKIP_4) | instid1(VALU_DEP_1)
	v_fmac_f32_e32 v147, v127, v111
	ds_load_2addr_b32 v[108:109], v102 offset0:87 offset1:88
	ds_load_2addr_b32 v[110:111], v102 offset0:89 offset1:90
	s_waitcnt lgkmcnt(3)
	v_fmac_f32_e32 v147, v128, v104
	v_fmac_f32_e32 v147, v129, v105
	ds_load_2addr_b32 v[104:105], v102 offset0:91 offset1:92
	s_waitcnt lgkmcnt(3)
	v_fmac_f32_e32 v147, v130, v106
	s_waitcnt vmcnt(3)
	s_delay_alu instid0(VALU_DEP_1) | instskip(SKIP_3) | instid1(VALU_DEP_1)
	v_fmac_f32_e32 v147, v131, v107
	ds_load_2addr_b32 v[106:107], v102 offset0:93 offset1:94
	s_waitcnt lgkmcnt(3)
	v_fmac_f32_e32 v147, v132, v108
	v_fmac_f32_e32 v147, v133, v109
	s_waitcnt lgkmcnt(2)
	s_delay_alu instid0(VALU_DEP_1) | instskip(SKIP_1) | instid1(VALU_DEP_1)
	v_fmac_f32_e32 v147, v134, v110
	s_waitcnt vmcnt(2)
	v_fmac_f32_e32 v147, v135, v111
	ds_load_2addr_b32 v[108:109], v102 offset0:95 offset1:96
	ds_load_2addr_b32 v[110:111], v102 offset0:97 offset1:98
	s_waitcnt lgkmcnt(3)
	v_fmac_f32_e32 v147, v136, v104
	s_delay_alu instid0(VALU_DEP_1)
	v_fmac_f32_e32 v147, v137, v105
	ds_load_2addr_b32 v[104:105], v102 offset0:99 offset1:100
	s_waitcnt lgkmcnt(3)
	v_fmac_f32_e32 v147, v138, v106
	ds_load_b32 v106, v102 offset:404
	s_waitcnt vmcnt(1)
	v_fmac_f32_e32 v147, v139, v107
	s_waitcnt lgkmcnt(3)
	s_delay_alu instid0(VALU_DEP_1) | instskip(NEXT) | instid1(VALU_DEP_1)
	v_fmac_f32_e32 v147, v140, v108
	v_fmac_f32_e32 v147, v141, v109
	s_waitcnt lgkmcnt(2)
	s_delay_alu instid0(VALU_DEP_1) | instskip(SKIP_1) | instid1(VALU_DEP_1)
	v_fmac_f32_e32 v147, v142, v110
	s_waitcnt vmcnt(0)
	v_fmac_f32_e32 v147, v143, v111
	s_waitcnt lgkmcnt(1)
	s_delay_alu instid0(VALU_DEP_1) | instskip(NEXT) | instid1(VALU_DEP_1)
	v_fmac_f32_e32 v147, v144, v104
	v_fmac_f32_e32 v147, v145, v105
	s_waitcnt lgkmcnt(0)
	s_delay_alu instid0(VALU_DEP_1) | instskip(NEXT) | instid1(VALU_DEP_1)
	v_fmac_f32_e32 v147, v146, v106
	v_sub_f32_e32 v103, v103, v147
	scratch_store_b32 off, v103, off offset:24
	v_cmpx_lt_u32_e32 5, v0
	s_cbranch_execz .LBB113_297
; %bb.296:
	scratch_load_b32 v103, off, off offset:20
	scratch_store_b32 off, v102, off offset:20
	s_waitcnt vmcnt(0)
	ds_store_b32 v101, v103
.LBB113_297:
	s_or_b32 exec_lo, exec_lo, s0
	s_waitcnt lgkmcnt(0)
	s_waitcnt_vscnt null, 0x0
	s_barrier
	buffer_gl0_inv
	s_clause 0xb
	scratch_load_b128 v[103:106], off, off offset:20
	scratch_load_b128 v[107:110], off, off offset:36
	;; [unrolled: 1-line block ×11, first 2 shown]
	scratch_load_b32 v155, off, off offset:196
	ds_load_2addr_b64 v[147:150], v102 offset0:29 offset1:30
	ds_load_2addr_b64 v[151:154], v102 offset0:31 offset1:32
	s_mov_b32 s0, exec_lo
	s_waitcnt vmcnt(11) lgkmcnt(1)
	v_fma_f32 v147, v104, v147, 0
	s_delay_alu instid0(VALU_DEP_1) | instskip(NEXT) | instid1(VALU_DEP_1)
	v_fmac_f32_e32 v147, v105, v148
	v_fmac_f32_e32 v147, v106, v149
	s_waitcnt vmcnt(10)
	s_delay_alu instid0(VALU_DEP_1) | instskip(SKIP_3) | instid1(VALU_DEP_1)
	v_fmac_f32_e32 v147, v107, v150
	ds_load_2addr_b64 v[104:107], v102 offset0:33 offset1:34
	s_waitcnt lgkmcnt(1)
	v_fmac_f32_e32 v147, v108, v151
	v_fmac_f32_e32 v147, v109, v152
	s_delay_alu instid0(VALU_DEP_1) | instskip(SKIP_1) | instid1(VALU_DEP_1)
	v_fmac_f32_e32 v147, v110, v153
	s_waitcnt vmcnt(9)
	v_fmac_f32_e32 v147, v111, v154
	ds_load_2addr_b64 v[108:111], v102 offset0:35 offset1:36
	s_waitcnt lgkmcnt(1)
	v_fmac_f32_e32 v147, v112, v104
	s_delay_alu instid0(VALU_DEP_1) | instskip(NEXT) | instid1(VALU_DEP_1)
	v_fmac_f32_e32 v147, v113, v105
	v_fmac_f32_e32 v147, v114, v106
	s_waitcnt vmcnt(8)
	s_delay_alu instid0(VALU_DEP_1) | instskip(SKIP_3) | instid1(VALU_DEP_1)
	v_fmac_f32_e32 v147, v115, v107
	ds_load_2addr_b64 v[104:107], v102 offset0:37 offset1:38
	s_waitcnt lgkmcnt(1)
	v_fmac_f32_e32 v147, v116, v108
	v_fmac_f32_e32 v147, v117, v109
	s_delay_alu instid0(VALU_DEP_1) | instskip(SKIP_1) | instid1(VALU_DEP_1)
	v_fmac_f32_e32 v147, v118, v110
	s_waitcnt vmcnt(7)
	v_fmac_f32_e32 v147, v119, v111
	ds_load_2addr_b64 v[108:111], v102 offset0:39 offset1:40
	s_waitcnt lgkmcnt(1)
	v_fmac_f32_e32 v147, v120, v104
	;; [unrolled: 17-line block ×4, first 2 shown]
	s_delay_alu instid0(VALU_DEP_1) | instskip(NEXT) | instid1(VALU_DEP_1)
	v_fmac_f32_e32 v147, v137, v105
	v_fmac_f32_e32 v147, v138, v106
	s_waitcnt vmcnt(2)
	s_delay_alu instid0(VALU_DEP_1) | instskip(SKIP_3) | instid1(VALU_DEP_1)
	v_fmac_f32_e32 v147, v139, v107
	ds_load_2addr_b64 v[104:107], v102 offset0:49 offset1:50
	s_waitcnt lgkmcnt(1)
	v_fmac_f32_e32 v147, v140, v108
	v_fmac_f32_e32 v147, v141, v109
	s_delay_alu instid0(VALU_DEP_1) | instskip(SKIP_1) | instid1(VALU_DEP_1)
	v_fmac_f32_e32 v147, v142, v110
	s_waitcnt vmcnt(1)
	v_fmac_f32_e32 v147, v143, v111
	s_waitcnt lgkmcnt(0)
	s_delay_alu instid0(VALU_DEP_1) | instskip(NEXT) | instid1(VALU_DEP_1)
	v_fmac_f32_e32 v147, v144, v104
	v_fmac_f32_e32 v147, v145, v105
	s_delay_alu instid0(VALU_DEP_1) | instskip(SKIP_1) | instid1(VALU_DEP_1)
	v_fmac_f32_e32 v147, v146, v106
	s_waitcnt vmcnt(0)
	v_fmac_f32_e32 v147, v155, v107
	s_delay_alu instid0(VALU_DEP_1)
	v_sub_f32_e32 v102, v103, v147
	scratch_store_b32 off, v102, off offset:20
	v_cmpx_lt_u32_e32 4, v0
	s_cbranch_execz .LBB113_299
; %bb.298:
	scratch_load_b32 v102, off, off offset:16
	v_mov_b32_e32 v103, 0
	scratch_store_b32 off, v103, off offset:16
	s_waitcnt vmcnt(0)
	ds_store_b32 v101, v102
.LBB113_299:
	s_or_b32 exec_lo, exec_lo, s0
	s_waitcnt lgkmcnt(0)
	s_waitcnt_vscnt null, 0x0
	s_barrier
	buffer_gl0_inv
	s_clause 0xb
	scratch_load_b128 v[103:106], off, off offset:16
	scratch_load_b128 v[107:110], off, off offset:32
	;; [unrolled: 1-line block ×11, first 2 shown]
	scratch_load_b64 v[147:148], off, off offset:192
	v_mov_b32_e32 v102, 0
	ds_load_2addr_b32 v[149:150], v102 offset0:57 offset1:58
	ds_load_2addr_b32 v[151:152], v102 offset0:59 offset1:60
	;; [unrolled: 1-line block ×4, first 2 shown]
	s_mov_b32 s0, exec_lo
	s_waitcnt vmcnt(11) lgkmcnt(3)
	v_fma_f32 v149, v104, v149, 0
	s_delay_alu instid0(VALU_DEP_1) | instskip(SKIP_4) | instid1(VALU_DEP_1)
	v_fmac_f32_e32 v149, v105, v150
	ds_load_2addr_b32 v[104:105], v102 offset0:65 offset1:66
	s_waitcnt lgkmcnt(3)
	v_fmac_f32_e32 v149, v106, v151
	s_waitcnt vmcnt(10)
	v_fmac_f32_e32 v149, v107, v152
	ds_load_2addr_b32 v[106:107], v102 offset0:67 offset1:68
	s_waitcnt lgkmcnt(3)
	v_fmac_f32_e32 v149, v108, v153
	s_delay_alu instid0(VALU_DEP_1) | instskip(SKIP_1) | instid1(VALU_DEP_1)
	v_fmac_f32_e32 v149, v109, v154
	s_waitcnt lgkmcnt(2)
	v_fmac_f32_e32 v149, v110, v155
	s_waitcnt vmcnt(9)
	s_delay_alu instid0(VALU_DEP_1) | instskip(SKIP_4) | instid1(VALU_DEP_1)
	v_fmac_f32_e32 v149, v111, v156
	ds_load_2addr_b32 v[108:109], v102 offset0:69 offset1:70
	ds_load_2addr_b32 v[110:111], v102 offset0:71 offset1:72
	s_waitcnt lgkmcnt(3)
	v_fmac_f32_e32 v149, v112, v104
	v_fmac_f32_e32 v149, v113, v105
	ds_load_2addr_b32 v[104:105], v102 offset0:73 offset1:74
	s_waitcnt lgkmcnt(3)
	v_fmac_f32_e32 v149, v114, v106
	s_waitcnt vmcnt(8)
	s_delay_alu instid0(VALU_DEP_1) | instskip(SKIP_3) | instid1(VALU_DEP_1)
	v_fmac_f32_e32 v149, v115, v107
	ds_load_2addr_b32 v[106:107], v102 offset0:75 offset1:76
	s_waitcnt lgkmcnt(3)
	v_fmac_f32_e32 v149, v116, v108
	v_fmac_f32_e32 v149, v117, v109
	s_waitcnt lgkmcnt(2)
	s_delay_alu instid0(VALU_DEP_1) | instskip(SKIP_1) | instid1(VALU_DEP_1)
	v_fmac_f32_e32 v149, v118, v110
	s_waitcnt vmcnt(7)
	v_fmac_f32_e32 v149, v119, v111
	ds_load_2addr_b32 v[108:109], v102 offset0:77 offset1:78
	ds_load_2addr_b32 v[110:111], v102 offset0:79 offset1:80
	s_waitcnt lgkmcnt(3)
	v_fmac_f32_e32 v149, v120, v104
	s_delay_alu instid0(VALU_DEP_1) | instskip(SKIP_4) | instid1(VALU_DEP_1)
	v_fmac_f32_e32 v149, v121, v105
	ds_load_2addr_b32 v[104:105], v102 offset0:81 offset1:82
	s_waitcnt lgkmcnt(3)
	v_fmac_f32_e32 v149, v122, v106
	s_waitcnt vmcnt(6)
	v_fmac_f32_e32 v149, v123, v107
	ds_load_2addr_b32 v[106:107], v102 offset0:83 offset1:84
	s_waitcnt lgkmcnt(3)
	v_fmac_f32_e32 v149, v124, v108
	s_delay_alu instid0(VALU_DEP_1) | instskip(SKIP_1) | instid1(VALU_DEP_1)
	v_fmac_f32_e32 v149, v125, v109
	s_waitcnt lgkmcnt(2)
	v_fmac_f32_e32 v149, v126, v110
	s_waitcnt vmcnt(5)
	s_delay_alu instid0(VALU_DEP_1) | instskip(SKIP_4) | instid1(VALU_DEP_1)
	v_fmac_f32_e32 v149, v127, v111
	ds_load_2addr_b32 v[108:109], v102 offset0:85 offset1:86
	ds_load_2addr_b32 v[110:111], v102 offset0:87 offset1:88
	s_waitcnt lgkmcnt(3)
	v_fmac_f32_e32 v149, v128, v104
	v_fmac_f32_e32 v149, v129, v105
	ds_load_2addr_b32 v[104:105], v102 offset0:89 offset1:90
	s_waitcnt lgkmcnt(3)
	v_fmac_f32_e32 v149, v130, v106
	s_waitcnt vmcnt(4)
	s_delay_alu instid0(VALU_DEP_1) | instskip(SKIP_3) | instid1(VALU_DEP_1)
	v_fmac_f32_e32 v149, v131, v107
	ds_load_2addr_b32 v[106:107], v102 offset0:91 offset1:92
	s_waitcnt lgkmcnt(3)
	v_fmac_f32_e32 v149, v132, v108
	v_fmac_f32_e32 v149, v133, v109
	s_waitcnt lgkmcnt(2)
	s_delay_alu instid0(VALU_DEP_1) | instskip(SKIP_1) | instid1(VALU_DEP_1)
	v_fmac_f32_e32 v149, v134, v110
	s_waitcnt vmcnt(3)
	v_fmac_f32_e32 v149, v135, v111
	ds_load_2addr_b32 v[108:109], v102 offset0:93 offset1:94
	ds_load_2addr_b32 v[110:111], v102 offset0:95 offset1:96
	s_waitcnt lgkmcnt(3)
	v_fmac_f32_e32 v149, v136, v104
	s_delay_alu instid0(VALU_DEP_1) | instskip(SKIP_4) | instid1(VALU_DEP_1)
	v_fmac_f32_e32 v149, v137, v105
	ds_load_2addr_b32 v[104:105], v102 offset0:97 offset1:98
	s_waitcnt lgkmcnt(3)
	v_fmac_f32_e32 v149, v138, v106
	s_waitcnt vmcnt(2)
	v_fmac_f32_e32 v149, v139, v107
	ds_load_2addr_b32 v[106:107], v102 offset0:99 offset1:100
	s_waitcnt lgkmcnt(3)
	v_fmac_f32_e32 v149, v140, v108
	ds_load_b32 v108, v102 offset:404
	v_fmac_f32_e32 v149, v141, v109
	s_waitcnt lgkmcnt(3)
	s_delay_alu instid0(VALU_DEP_1) | instskip(SKIP_1) | instid1(VALU_DEP_1)
	v_fmac_f32_e32 v149, v142, v110
	s_waitcnt vmcnt(1)
	v_fmac_f32_e32 v149, v143, v111
	s_waitcnt lgkmcnt(2)
	s_delay_alu instid0(VALU_DEP_1) | instskip(NEXT) | instid1(VALU_DEP_1)
	v_fmac_f32_e32 v149, v144, v104
	v_fmac_f32_e32 v149, v145, v105
	s_waitcnt lgkmcnt(1)
	s_delay_alu instid0(VALU_DEP_1) | instskip(SKIP_1) | instid1(VALU_DEP_1)
	v_fmac_f32_e32 v149, v146, v106
	s_waitcnt vmcnt(0)
	v_fmac_f32_e32 v149, v147, v107
	s_waitcnt lgkmcnt(0)
	s_delay_alu instid0(VALU_DEP_1) | instskip(NEXT) | instid1(VALU_DEP_1)
	v_fmac_f32_e32 v149, v148, v108
	v_sub_f32_e32 v103, v103, v149
	scratch_store_b32 off, v103, off offset:16
	v_cmpx_lt_u32_e32 3, v0
	s_cbranch_execz .LBB113_301
; %bb.300:
	scratch_load_b32 v103, off, off offset:12
	scratch_store_b32 off, v102, off offset:12
	s_waitcnt vmcnt(0)
	ds_store_b32 v101, v103
.LBB113_301:
	s_or_b32 exec_lo, exec_lo, s0
	s_waitcnt lgkmcnt(0)
	s_waitcnt_vscnt null, 0x0
	s_barrier
	buffer_gl0_inv
	s_clause 0xb
	scratch_load_b128 v[103:106], off, off offset:12
	scratch_load_b128 v[107:110], off, off offset:28
	;; [unrolled: 1-line block ×11, first 2 shown]
	scratch_load_b96 v[155:157], off, off offset:188
	ds_load_b128 v[147:150], v102 offset:224
	ds_load_b128 v[151:154], v102 offset:240
	s_mov_b32 s0, exec_lo
	s_waitcnt vmcnt(11) lgkmcnt(1)
	v_fma_f32 v147, v104, v147, 0
	s_delay_alu instid0(VALU_DEP_1) | instskip(NEXT) | instid1(VALU_DEP_1)
	v_fmac_f32_e32 v147, v105, v148
	v_fmac_f32_e32 v147, v106, v149
	s_waitcnt vmcnt(10)
	s_delay_alu instid0(VALU_DEP_1) | instskip(SKIP_3) | instid1(VALU_DEP_1)
	v_fmac_f32_e32 v147, v107, v150
	ds_load_b128 v[104:107], v102 offset:256
	s_waitcnt lgkmcnt(1)
	v_fmac_f32_e32 v147, v108, v151
	v_fmac_f32_e32 v147, v109, v152
	s_delay_alu instid0(VALU_DEP_1) | instskip(SKIP_1) | instid1(VALU_DEP_1)
	v_fmac_f32_e32 v147, v110, v153
	s_waitcnt vmcnt(9)
	v_fmac_f32_e32 v147, v111, v154
	ds_load_b128 v[108:111], v102 offset:272
	s_waitcnt lgkmcnt(1)
	v_fmac_f32_e32 v147, v112, v104
	s_delay_alu instid0(VALU_DEP_1) | instskip(NEXT) | instid1(VALU_DEP_1)
	v_fmac_f32_e32 v147, v113, v105
	v_fmac_f32_e32 v147, v114, v106
	s_waitcnt vmcnt(8)
	s_delay_alu instid0(VALU_DEP_1) | instskip(SKIP_3) | instid1(VALU_DEP_1)
	v_fmac_f32_e32 v147, v115, v107
	ds_load_b128 v[104:107], v102 offset:288
	s_waitcnt lgkmcnt(1)
	v_fmac_f32_e32 v147, v116, v108
	v_fmac_f32_e32 v147, v117, v109
	s_delay_alu instid0(VALU_DEP_1) | instskip(SKIP_1) | instid1(VALU_DEP_1)
	v_fmac_f32_e32 v147, v118, v110
	s_waitcnt vmcnt(7)
	v_fmac_f32_e32 v147, v119, v111
	ds_load_b128 v[108:111], v102 offset:304
	s_waitcnt lgkmcnt(1)
	v_fmac_f32_e32 v147, v120, v104
	;; [unrolled: 17-line block ×4, first 2 shown]
	s_delay_alu instid0(VALU_DEP_1) | instskip(NEXT) | instid1(VALU_DEP_1)
	v_fmac_f32_e32 v147, v137, v105
	v_fmac_f32_e32 v147, v138, v106
	s_waitcnt vmcnt(2)
	s_delay_alu instid0(VALU_DEP_1) | instskip(SKIP_3) | instid1(VALU_DEP_1)
	v_fmac_f32_e32 v147, v139, v107
	ds_load_b128 v[104:107], v102 offset:384
	s_waitcnt lgkmcnt(1)
	v_fmac_f32_e32 v147, v140, v108
	v_fmac_f32_e32 v147, v141, v109
	ds_load_b64 v[108:109], v102 offset:400
	v_fmac_f32_e32 v147, v142, v110
	s_waitcnt vmcnt(1)
	s_delay_alu instid0(VALU_DEP_1) | instskip(SKIP_1) | instid1(VALU_DEP_1)
	v_fmac_f32_e32 v147, v143, v111
	s_waitcnt lgkmcnt(1)
	v_fmac_f32_e32 v147, v144, v104
	s_delay_alu instid0(VALU_DEP_1) | instskip(NEXT) | instid1(VALU_DEP_1)
	v_fmac_f32_e32 v147, v145, v105
	v_fmac_f32_e32 v147, v146, v106
	s_waitcnt vmcnt(0)
	s_delay_alu instid0(VALU_DEP_1) | instskip(SKIP_1) | instid1(VALU_DEP_1)
	v_fmac_f32_e32 v147, v155, v107
	s_waitcnt lgkmcnt(0)
	v_fmac_f32_e32 v147, v156, v108
	s_delay_alu instid0(VALU_DEP_1) | instskip(NEXT) | instid1(VALU_DEP_1)
	v_fmac_f32_e32 v147, v157, v109
	v_sub_f32_e32 v102, v103, v147
	scratch_store_b32 off, v102, off offset:12
	v_cmpx_lt_u32_e32 2, v0
	s_cbranch_execz .LBB113_303
; %bb.302:
	scratch_load_b32 v102, off, off offset:8
	v_mov_b32_e32 v103, 0
	scratch_store_b32 off, v103, off offset:8
	s_waitcnt vmcnt(0)
	ds_store_b32 v101, v102
.LBB113_303:
	s_or_b32 exec_lo, exec_lo, s0
	s_waitcnt lgkmcnt(0)
	s_waitcnt_vscnt null, 0x0
	s_barrier
	buffer_gl0_inv
	s_clause 0xb
	scratch_load_b128 v[103:106], off, off offset:8
	scratch_load_b128 v[107:110], off, off offset:24
	;; [unrolled: 1-line block ×12, first 2 shown]
	v_mov_b32_e32 v102, 0
	ds_load_2addr_b32 v[151:152], v102 offset0:55 offset1:56
	ds_load_2addr_b32 v[153:154], v102 offset0:57 offset1:58
	;; [unrolled: 1-line block ×4, first 2 shown]
	s_mov_b32 s0, exec_lo
	s_waitcnt vmcnt(11) lgkmcnt(3)
	v_fma_f32 v151, v104, v151, 0
	s_delay_alu instid0(VALU_DEP_1) | instskip(SKIP_4) | instid1(VALU_DEP_1)
	v_fmac_f32_e32 v151, v105, v152
	ds_load_2addr_b32 v[104:105], v102 offset0:63 offset1:64
	s_waitcnt lgkmcnt(3)
	v_fmac_f32_e32 v151, v106, v153
	s_waitcnt vmcnt(10)
	v_fmac_f32_e32 v151, v107, v154
	ds_load_2addr_b32 v[106:107], v102 offset0:65 offset1:66
	s_waitcnt lgkmcnt(3)
	v_fmac_f32_e32 v151, v108, v155
	s_delay_alu instid0(VALU_DEP_1) | instskip(SKIP_1) | instid1(VALU_DEP_1)
	v_fmac_f32_e32 v151, v109, v156
	s_waitcnt lgkmcnt(2)
	v_fmac_f32_e32 v151, v110, v157
	s_waitcnt vmcnt(9)
	s_delay_alu instid0(VALU_DEP_1) | instskip(SKIP_4) | instid1(VALU_DEP_1)
	v_fmac_f32_e32 v151, v111, v158
	ds_load_2addr_b32 v[108:109], v102 offset0:67 offset1:68
	ds_load_2addr_b32 v[110:111], v102 offset0:69 offset1:70
	s_waitcnt lgkmcnt(3)
	v_fmac_f32_e32 v151, v112, v104
	v_fmac_f32_e32 v151, v113, v105
	ds_load_2addr_b32 v[104:105], v102 offset0:71 offset1:72
	s_waitcnt lgkmcnt(3)
	v_fmac_f32_e32 v151, v114, v106
	s_waitcnt vmcnt(8)
	s_delay_alu instid0(VALU_DEP_1) | instskip(SKIP_3) | instid1(VALU_DEP_1)
	v_fmac_f32_e32 v151, v115, v107
	ds_load_2addr_b32 v[106:107], v102 offset0:73 offset1:74
	s_waitcnt lgkmcnt(3)
	v_fmac_f32_e32 v151, v116, v108
	v_fmac_f32_e32 v151, v117, v109
	s_waitcnt lgkmcnt(2)
	s_delay_alu instid0(VALU_DEP_1) | instskip(SKIP_1) | instid1(VALU_DEP_1)
	v_fmac_f32_e32 v151, v118, v110
	s_waitcnt vmcnt(7)
	v_fmac_f32_e32 v151, v119, v111
	ds_load_2addr_b32 v[108:109], v102 offset0:75 offset1:76
	ds_load_2addr_b32 v[110:111], v102 offset0:77 offset1:78
	s_waitcnt lgkmcnt(3)
	v_fmac_f32_e32 v151, v120, v104
	s_delay_alu instid0(VALU_DEP_1) | instskip(SKIP_4) | instid1(VALU_DEP_1)
	v_fmac_f32_e32 v151, v121, v105
	ds_load_2addr_b32 v[104:105], v102 offset0:79 offset1:80
	s_waitcnt lgkmcnt(3)
	v_fmac_f32_e32 v151, v122, v106
	s_waitcnt vmcnt(6)
	v_fmac_f32_e32 v151, v123, v107
	ds_load_2addr_b32 v[106:107], v102 offset0:81 offset1:82
	s_waitcnt lgkmcnt(3)
	v_fmac_f32_e32 v151, v124, v108
	s_delay_alu instid0(VALU_DEP_1) | instskip(SKIP_1) | instid1(VALU_DEP_1)
	v_fmac_f32_e32 v151, v125, v109
	s_waitcnt lgkmcnt(2)
	v_fmac_f32_e32 v151, v126, v110
	s_waitcnt vmcnt(5)
	s_delay_alu instid0(VALU_DEP_1) | instskip(SKIP_4) | instid1(VALU_DEP_1)
	v_fmac_f32_e32 v151, v127, v111
	ds_load_2addr_b32 v[108:109], v102 offset0:83 offset1:84
	ds_load_2addr_b32 v[110:111], v102 offset0:85 offset1:86
	s_waitcnt lgkmcnt(3)
	v_fmac_f32_e32 v151, v128, v104
	v_fmac_f32_e32 v151, v129, v105
	ds_load_2addr_b32 v[104:105], v102 offset0:87 offset1:88
	s_waitcnt lgkmcnt(3)
	v_fmac_f32_e32 v151, v130, v106
	s_waitcnt vmcnt(4)
	s_delay_alu instid0(VALU_DEP_1) | instskip(SKIP_3) | instid1(VALU_DEP_1)
	v_fmac_f32_e32 v151, v131, v107
	ds_load_2addr_b32 v[106:107], v102 offset0:89 offset1:90
	s_waitcnt lgkmcnt(3)
	v_fmac_f32_e32 v151, v132, v108
	v_fmac_f32_e32 v151, v133, v109
	s_waitcnt lgkmcnt(2)
	s_delay_alu instid0(VALU_DEP_1) | instskip(SKIP_1) | instid1(VALU_DEP_1)
	v_fmac_f32_e32 v151, v134, v110
	s_waitcnt vmcnt(3)
	v_fmac_f32_e32 v151, v135, v111
	ds_load_2addr_b32 v[108:109], v102 offset0:91 offset1:92
	ds_load_2addr_b32 v[110:111], v102 offset0:93 offset1:94
	s_waitcnt lgkmcnt(3)
	v_fmac_f32_e32 v151, v136, v104
	s_delay_alu instid0(VALU_DEP_1) | instskip(SKIP_4) | instid1(VALU_DEP_1)
	v_fmac_f32_e32 v151, v137, v105
	ds_load_2addr_b32 v[104:105], v102 offset0:95 offset1:96
	s_waitcnt lgkmcnt(3)
	v_fmac_f32_e32 v151, v138, v106
	s_waitcnt vmcnt(2)
	v_fmac_f32_e32 v151, v139, v107
	ds_load_2addr_b32 v[106:107], v102 offset0:97 offset1:98
	s_waitcnt lgkmcnt(3)
	v_fmac_f32_e32 v151, v140, v108
	s_delay_alu instid0(VALU_DEP_1) | instskip(SKIP_1) | instid1(VALU_DEP_1)
	v_fmac_f32_e32 v151, v141, v109
	s_waitcnt lgkmcnt(2)
	v_fmac_f32_e32 v151, v142, v110
	ds_load_2addr_b32 v[108:109], v102 offset0:99 offset1:100
	ds_load_b32 v110, v102 offset:404
	s_waitcnt vmcnt(1)
	v_fmac_f32_e32 v151, v143, v111
	s_waitcnt lgkmcnt(3)
	s_delay_alu instid0(VALU_DEP_1) | instskip(NEXT) | instid1(VALU_DEP_1)
	v_fmac_f32_e32 v151, v144, v104
	v_fmac_f32_e32 v151, v145, v105
	s_waitcnt lgkmcnt(2)
	s_delay_alu instid0(VALU_DEP_1) | instskip(SKIP_1) | instid1(VALU_DEP_1)
	v_fmac_f32_e32 v151, v146, v106
	s_waitcnt vmcnt(0)
	v_fmac_f32_e32 v151, v147, v107
	s_waitcnt lgkmcnt(1)
	s_delay_alu instid0(VALU_DEP_1) | instskip(NEXT) | instid1(VALU_DEP_1)
	v_fmac_f32_e32 v151, v148, v108
	v_fmac_f32_e32 v151, v149, v109
	s_waitcnt lgkmcnt(0)
	s_delay_alu instid0(VALU_DEP_1) | instskip(NEXT) | instid1(VALU_DEP_1)
	v_fmac_f32_e32 v151, v150, v110
	v_sub_f32_e32 v103, v103, v151
	scratch_store_b32 off, v103, off offset:8
	v_cmpx_lt_u32_e32 1, v0
	s_cbranch_execz .LBB113_305
; %bb.304:
	scratch_load_b32 v103, off, off offset:4
	scratch_store_b32 off, v102, off offset:4
	s_waitcnt vmcnt(0)
	ds_store_b32 v101, v103
.LBB113_305:
	s_or_b32 exec_lo, exec_lo, s0
	s_waitcnt lgkmcnt(0)
	s_waitcnt_vscnt null, 0x0
	s_barrier
	buffer_gl0_inv
	s_clause 0xc
	scratch_load_b128 v[103:106], off, off offset:4
	scratch_load_b128 v[107:110], off, off offset:20
	;; [unrolled: 1-line block ×12, first 2 shown]
	scratch_load_b32 v159, off, off offset:196
	ds_load_2addr_b64 v[151:154], v102 offset0:27 offset1:28
	ds_load_2addr_b64 v[155:158], v102 offset0:29 offset1:30
	s_mov_b32 s0, exec_lo
	s_waitcnt vmcnt(12) lgkmcnt(1)
	v_fma_f32 v151, v104, v151, 0
	s_delay_alu instid0(VALU_DEP_1) | instskip(NEXT) | instid1(VALU_DEP_1)
	v_fmac_f32_e32 v151, v105, v152
	v_fmac_f32_e32 v151, v106, v153
	s_waitcnt vmcnt(11)
	s_delay_alu instid0(VALU_DEP_1) | instskip(SKIP_3) | instid1(VALU_DEP_1)
	v_fmac_f32_e32 v151, v107, v154
	ds_load_2addr_b64 v[104:107], v102 offset0:31 offset1:32
	s_waitcnt lgkmcnt(1)
	v_fmac_f32_e32 v151, v108, v155
	v_fmac_f32_e32 v151, v109, v156
	s_delay_alu instid0(VALU_DEP_1) | instskip(SKIP_1) | instid1(VALU_DEP_1)
	v_fmac_f32_e32 v151, v110, v157
	s_waitcnt vmcnt(10)
	v_fmac_f32_e32 v151, v111, v158
	ds_load_2addr_b64 v[108:111], v102 offset0:33 offset1:34
	s_waitcnt lgkmcnt(1)
	v_fmac_f32_e32 v151, v112, v104
	s_delay_alu instid0(VALU_DEP_1) | instskip(NEXT) | instid1(VALU_DEP_1)
	v_fmac_f32_e32 v151, v113, v105
	v_fmac_f32_e32 v151, v114, v106
	s_waitcnt vmcnt(9)
	s_delay_alu instid0(VALU_DEP_1) | instskip(SKIP_3) | instid1(VALU_DEP_1)
	v_fmac_f32_e32 v151, v115, v107
	ds_load_2addr_b64 v[104:107], v102 offset0:35 offset1:36
	s_waitcnt lgkmcnt(1)
	v_fmac_f32_e32 v151, v116, v108
	v_fmac_f32_e32 v151, v117, v109
	s_delay_alu instid0(VALU_DEP_1) | instskip(SKIP_1) | instid1(VALU_DEP_1)
	v_fmac_f32_e32 v151, v118, v110
	s_waitcnt vmcnt(8)
	v_fmac_f32_e32 v151, v119, v111
	ds_load_2addr_b64 v[108:111], v102 offset0:37 offset1:38
	s_waitcnt lgkmcnt(1)
	v_fmac_f32_e32 v151, v120, v104
	s_delay_alu instid0(VALU_DEP_1) | instskip(NEXT) | instid1(VALU_DEP_1)
	v_fmac_f32_e32 v151, v121, v105
	v_fmac_f32_e32 v151, v122, v106
	s_waitcnt vmcnt(7)
	s_delay_alu instid0(VALU_DEP_1) | instskip(SKIP_3) | instid1(VALU_DEP_1)
	v_fmac_f32_e32 v151, v123, v107
	ds_load_2addr_b64 v[104:107], v102 offset0:39 offset1:40
	s_waitcnt lgkmcnt(1)
	v_fmac_f32_e32 v151, v124, v108
	v_fmac_f32_e32 v151, v125, v109
	s_delay_alu instid0(VALU_DEP_1) | instskip(SKIP_1) | instid1(VALU_DEP_1)
	v_fmac_f32_e32 v151, v126, v110
	s_waitcnt vmcnt(6)
	v_fmac_f32_e32 v151, v127, v111
	ds_load_2addr_b64 v[108:111], v102 offset0:41 offset1:42
	s_waitcnt lgkmcnt(1)
	v_fmac_f32_e32 v151, v128, v104
	s_delay_alu instid0(VALU_DEP_1) | instskip(NEXT) | instid1(VALU_DEP_1)
	v_fmac_f32_e32 v151, v129, v105
	v_fmac_f32_e32 v151, v130, v106
	s_waitcnt vmcnt(5)
	s_delay_alu instid0(VALU_DEP_1) | instskip(SKIP_3) | instid1(VALU_DEP_1)
	v_fmac_f32_e32 v151, v131, v107
	ds_load_2addr_b64 v[104:107], v102 offset0:43 offset1:44
	s_waitcnt lgkmcnt(1)
	v_fmac_f32_e32 v151, v132, v108
	v_fmac_f32_e32 v151, v133, v109
	s_delay_alu instid0(VALU_DEP_1) | instskip(SKIP_1) | instid1(VALU_DEP_1)
	v_fmac_f32_e32 v151, v134, v110
	s_waitcnt vmcnt(4)
	v_fmac_f32_e32 v151, v135, v111
	ds_load_2addr_b64 v[108:111], v102 offset0:45 offset1:46
	s_waitcnt lgkmcnt(1)
	v_fmac_f32_e32 v151, v136, v104
	s_delay_alu instid0(VALU_DEP_1) | instskip(NEXT) | instid1(VALU_DEP_1)
	v_fmac_f32_e32 v151, v137, v105
	v_fmac_f32_e32 v151, v138, v106
	s_waitcnt vmcnt(3)
	s_delay_alu instid0(VALU_DEP_1) | instskip(SKIP_3) | instid1(VALU_DEP_1)
	v_fmac_f32_e32 v151, v139, v107
	ds_load_2addr_b64 v[104:107], v102 offset0:47 offset1:48
	s_waitcnt lgkmcnt(1)
	v_fmac_f32_e32 v151, v140, v108
	v_fmac_f32_e32 v151, v141, v109
	s_delay_alu instid0(VALU_DEP_1) | instskip(SKIP_1) | instid1(VALU_DEP_1)
	v_fmac_f32_e32 v151, v142, v110
	s_waitcnt vmcnt(2)
	v_fmac_f32_e32 v151, v143, v111
	ds_load_2addr_b64 v[108:111], v102 offset0:49 offset1:50
	s_waitcnt lgkmcnt(1)
	v_fmac_f32_e32 v151, v144, v104
	s_delay_alu instid0(VALU_DEP_1) | instskip(NEXT) | instid1(VALU_DEP_1)
	v_fmac_f32_e32 v151, v145, v105
	v_fmac_f32_e32 v151, v146, v106
	s_waitcnt vmcnt(1)
	s_delay_alu instid0(VALU_DEP_1) | instskip(SKIP_1) | instid1(VALU_DEP_1)
	v_fmac_f32_e32 v151, v147, v107
	s_waitcnt lgkmcnt(0)
	v_fmac_f32_e32 v151, v148, v108
	s_delay_alu instid0(VALU_DEP_1) | instskip(NEXT) | instid1(VALU_DEP_1)
	v_fmac_f32_e32 v151, v149, v109
	v_fmac_f32_e32 v151, v150, v110
	s_waitcnt vmcnt(0)
	s_delay_alu instid0(VALU_DEP_1) | instskip(NEXT) | instid1(VALU_DEP_1)
	v_fmac_f32_e32 v151, v159, v111
	v_sub_f32_e32 v102, v103, v151
	scratch_store_b32 off, v102, off offset:4
	v_cmpx_ne_u32_e32 0, v0
	s_cbranch_execz .LBB113_307
; %bb.306:
	scratch_load_b32 v0, off, off
	v_mov_b32_e32 v102, 0
	scratch_store_b32 off, v102, off
	s_waitcnt vmcnt(0)
	ds_store_b32 v101, v0
.LBB113_307:
	s_or_b32 exec_lo, exec_lo, s0
	s_waitcnt lgkmcnt(0)
	s_waitcnt_vscnt null, 0x0
	s_barrier
	buffer_gl0_inv
	s_clause 0xc
	scratch_load_b128 v[103:106], off, off
	scratch_load_b128 v[107:110], off, off offset:16
	scratch_load_b128 v[111:114], off, off offset:32
	;; [unrolled: 1-line block ×11, first 2 shown]
	scratch_load_b64 v[101:102], off, off offset:192
	v_mov_b32_e32 v0, 0
	ds_load_2addr_b32 v[151:152], v0 offset0:53 offset1:54
	ds_load_2addr_b32 v[153:154], v0 offset0:55 offset1:56
	;; [unrolled: 1-line block ×4, first 2 shown]
	s_and_b32 vcc_lo, exec_lo, s12
	s_waitcnt vmcnt(12) lgkmcnt(3)
	v_fma_f32 v151, v104, v151, 0
	s_delay_alu instid0(VALU_DEP_1) | instskip(SKIP_4) | instid1(VALU_DEP_1)
	v_fmac_f32_e32 v151, v105, v152
	ds_load_2addr_b32 v[104:105], v0 offset0:61 offset1:62
	s_waitcnt lgkmcnt(3)
	v_fmac_f32_e32 v151, v106, v153
	s_waitcnt vmcnt(11)
	v_fmac_f32_e32 v151, v107, v154
	ds_load_2addr_b32 v[106:107], v0 offset0:63 offset1:64
	s_waitcnt lgkmcnt(3)
	v_fmac_f32_e32 v151, v108, v155
	s_delay_alu instid0(VALU_DEP_1) | instskip(SKIP_1) | instid1(VALU_DEP_1)
	v_fmac_f32_e32 v151, v109, v156
	s_waitcnt lgkmcnt(2)
	v_fmac_f32_e32 v151, v110, v157
	s_waitcnt vmcnt(10)
	s_delay_alu instid0(VALU_DEP_1) | instskip(SKIP_4) | instid1(VALU_DEP_1)
	v_fmac_f32_e32 v151, v111, v158
	ds_load_2addr_b32 v[108:109], v0 offset0:65 offset1:66
	ds_load_2addr_b32 v[110:111], v0 offset0:67 offset1:68
	s_waitcnt lgkmcnt(3)
	v_fmac_f32_e32 v151, v112, v104
	v_fmac_f32_e32 v151, v113, v105
	ds_load_2addr_b32 v[104:105], v0 offset0:69 offset1:70
	s_waitcnt lgkmcnt(3)
	v_fmac_f32_e32 v151, v114, v106
	s_waitcnt vmcnt(9)
	s_delay_alu instid0(VALU_DEP_1) | instskip(SKIP_3) | instid1(VALU_DEP_1)
	v_fmac_f32_e32 v151, v115, v107
	ds_load_2addr_b32 v[106:107], v0 offset0:71 offset1:72
	s_waitcnt lgkmcnt(3)
	v_fmac_f32_e32 v151, v116, v108
	v_fmac_f32_e32 v151, v117, v109
	s_waitcnt lgkmcnt(2)
	s_delay_alu instid0(VALU_DEP_1) | instskip(SKIP_1) | instid1(VALU_DEP_1)
	v_fmac_f32_e32 v151, v118, v110
	s_waitcnt vmcnt(8)
	v_fmac_f32_e32 v151, v119, v111
	ds_load_2addr_b32 v[108:109], v0 offset0:73 offset1:74
	ds_load_2addr_b32 v[110:111], v0 offset0:75 offset1:76
	s_waitcnt lgkmcnt(3)
	v_fmac_f32_e32 v151, v120, v104
	s_delay_alu instid0(VALU_DEP_1) | instskip(SKIP_4) | instid1(VALU_DEP_1)
	v_fmac_f32_e32 v151, v121, v105
	ds_load_2addr_b32 v[104:105], v0 offset0:77 offset1:78
	s_waitcnt lgkmcnt(3)
	v_fmac_f32_e32 v151, v122, v106
	s_waitcnt vmcnt(7)
	v_fmac_f32_e32 v151, v123, v107
	ds_load_2addr_b32 v[106:107], v0 offset0:79 offset1:80
	s_waitcnt lgkmcnt(3)
	v_fmac_f32_e32 v151, v124, v108
	s_delay_alu instid0(VALU_DEP_1) | instskip(SKIP_1) | instid1(VALU_DEP_1)
	v_fmac_f32_e32 v151, v125, v109
	s_waitcnt lgkmcnt(2)
	v_fmac_f32_e32 v151, v126, v110
	s_waitcnt vmcnt(6)
	s_delay_alu instid0(VALU_DEP_1) | instskip(SKIP_4) | instid1(VALU_DEP_1)
	v_fmac_f32_e32 v151, v127, v111
	ds_load_2addr_b32 v[108:109], v0 offset0:81 offset1:82
	ds_load_2addr_b32 v[110:111], v0 offset0:83 offset1:84
	s_waitcnt lgkmcnt(3)
	v_fmac_f32_e32 v151, v128, v104
	v_fmac_f32_e32 v151, v129, v105
	ds_load_2addr_b32 v[104:105], v0 offset0:85 offset1:86
	s_waitcnt lgkmcnt(3)
	v_fmac_f32_e32 v151, v130, v106
	s_waitcnt vmcnt(5)
	s_delay_alu instid0(VALU_DEP_1) | instskip(SKIP_3) | instid1(VALU_DEP_1)
	v_fmac_f32_e32 v151, v131, v107
	ds_load_2addr_b32 v[106:107], v0 offset0:87 offset1:88
	s_waitcnt lgkmcnt(3)
	v_fmac_f32_e32 v151, v132, v108
	v_fmac_f32_e32 v151, v133, v109
	s_waitcnt lgkmcnt(2)
	s_delay_alu instid0(VALU_DEP_1) | instskip(SKIP_1) | instid1(VALU_DEP_1)
	v_fmac_f32_e32 v151, v134, v110
	s_waitcnt vmcnt(4)
	v_fmac_f32_e32 v151, v135, v111
	ds_load_2addr_b32 v[108:109], v0 offset0:89 offset1:90
	ds_load_2addr_b32 v[110:111], v0 offset0:91 offset1:92
	s_waitcnt lgkmcnt(3)
	v_fmac_f32_e32 v151, v136, v104
	s_delay_alu instid0(VALU_DEP_1) | instskip(SKIP_4) | instid1(VALU_DEP_1)
	v_fmac_f32_e32 v151, v137, v105
	ds_load_2addr_b32 v[104:105], v0 offset0:93 offset1:94
	s_waitcnt lgkmcnt(3)
	v_fmac_f32_e32 v151, v138, v106
	s_waitcnt vmcnt(3)
	v_fmac_f32_e32 v151, v139, v107
	ds_load_2addr_b32 v[106:107], v0 offset0:95 offset1:96
	s_waitcnt lgkmcnt(3)
	v_fmac_f32_e32 v151, v140, v108
	s_delay_alu instid0(VALU_DEP_1) | instskip(SKIP_1) | instid1(VALU_DEP_1)
	v_fmac_f32_e32 v151, v141, v109
	s_waitcnt lgkmcnt(2)
	v_fmac_f32_e32 v151, v142, v110
	s_waitcnt vmcnt(2)
	s_delay_alu instid0(VALU_DEP_1)
	v_fmac_f32_e32 v151, v143, v111
	ds_load_2addr_b32 v[108:109], v0 offset0:97 offset1:98
	ds_load_2addr_b32 v[110:111], v0 offset0:99 offset1:100
	ds_load_b32 v0, v0 offset:404
	s_waitcnt lgkmcnt(4)
	v_fmac_f32_e32 v151, v144, v104
	s_delay_alu instid0(VALU_DEP_1) | instskip(SKIP_1) | instid1(VALU_DEP_1)
	v_fmac_f32_e32 v151, v145, v105
	s_waitcnt lgkmcnt(3)
	v_fmac_f32_e32 v151, v146, v106
	s_waitcnt vmcnt(1)
	s_delay_alu instid0(VALU_DEP_1) | instskip(SKIP_1) | instid1(VALU_DEP_1)
	v_fmac_f32_e32 v151, v147, v107
	s_waitcnt lgkmcnt(2)
	v_fmac_f32_e32 v151, v148, v108
	s_delay_alu instid0(VALU_DEP_1) | instskip(SKIP_1) | instid1(VALU_DEP_1)
	v_fmac_f32_e32 v151, v149, v109
	s_waitcnt lgkmcnt(1)
	v_fmac_f32_e32 v151, v150, v110
	s_waitcnt vmcnt(0)
	s_delay_alu instid0(VALU_DEP_1) | instskip(SKIP_1) | instid1(VALU_DEP_1)
	v_fmac_f32_e32 v151, v101, v111
	s_waitcnt lgkmcnt(0)
	v_fmac_f32_e32 v151, v102, v0
	s_delay_alu instid0(VALU_DEP_1)
	v_sub_f32_e32 v0, v103, v151
	scratch_store_b32 off, v0, off
	s_cbranch_vccz .LBB113_407
; %bb.308:
	v_dual_mov_b32 v103, s3 :: v_dual_mov_b32 v102, s2
	s_mov_b32 s0, exec_lo
	flat_load_b32 v0, v[102:103] offset:192
	s_waitcnt vmcnt(0) lgkmcnt(0)
	v_cmpx_ne_u32_e32 49, v0
	s_cbranch_execz .LBB113_310
; %bb.309:
	v_lshl_add_u32 v0, v0, 2, 0
	scratch_load_b32 v102, v0, off offset:-4
	s_waitcnt vmcnt(0)
	scratch_store_b32 off, v102, off offset:192
	scratch_store_b32 v0, v101, off offset:-4
.LBB113_310:
	s_or_b32 exec_lo, exec_lo, s0
	v_dual_mov_b32 v102, s3 :: v_dual_mov_b32 v101, s2
	s_mov_b32 s0, exec_lo
	flat_load_b32 v0, v[101:102] offset:188
	s_waitcnt vmcnt(0) lgkmcnt(0)
	v_cmpx_ne_u32_e32 48, v0
	s_cbranch_execz .LBB113_312
; %bb.311:
	v_lshl_add_u32 v0, v0, 2, 0
	scratch_load_b32 v101, v0, off offset:-4
	scratch_load_b32 v102, off, off offset:188
	s_waitcnt vmcnt(1)
	scratch_store_b32 off, v101, off offset:188
	s_waitcnt vmcnt(0)
	scratch_store_b32 v0, v102, off offset:-4
.LBB113_312:
	s_or_b32 exec_lo, exec_lo, s0
	v_dual_mov_b32 v102, s3 :: v_dual_mov_b32 v101, s2
	s_mov_b32 s0, exec_lo
	flat_load_b32 v0, v[101:102] offset:184
	s_waitcnt vmcnt(0) lgkmcnt(0)
	v_cmpx_ne_u32_e32 47, v0
	s_cbranch_execz .LBB113_314
; %bb.313:
	v_lshl_add_u32 v0, v0, 2, 0
	scratch_load_b32 v101, v0, off offset:-4
	scratch_load_b32 v102, off, off offset:184
	s_waitcnt vmcnt(1)
	scratch_store_b32 off, v101, off offset:184
	s_waitcnt vmcnt(0)
	scratch_store_b32 v0, v102, off offset:-4
.LBB113_314:
	;; [unrolled: 16-line block ×47, first 2 shown]
	s_or_b32 exec_lo, exec_lo, s0
	v_dual_mov_b32 v102, s3 :: v_dual_mov_b32 v101, s2
	s_mov_b32 s0, exec_lo
	flat_load_b32 v101, v[101:102]
	scratch_load_b32 v0, off, off
	s_waitcnt vmcnt(1) lgkmcnt(0)
	v_cmpx_ne_u32_e32 1, v101
	s_cbranch_execz .LBB113_406
; %bb.405:
	v_lshl_add_u32 v101, v101, 2, 0
	scratch_load_b32 v102, v101, off offset:-4
	s_waitcnt vmcnt(0)
	scratch_store_b32 off, v102, off
	scratch_store_b32 v101, v0, off offset:-4
	scratch_load_b32 v0, off, off
.LBB113_406:
	s_or_b32 exec_lo, exec_lo, s0
.LBB113_407:
	s_clause 0xc
	scratch_load_b128 v[101:104], off, off offset:4
	scratch_load_b128 v[105:108], off, off offset:20
	scratch_load_b128 v[109:112], off, off offset:36
	scratch_load_b128 v[113:116], off, off offset:52
	scratch_load_b128 v[117:120], off, off offset:68
	scratch_load_b128 v[121:124], off, off offset:84
	scratch_load_b128 v[125:128], off, off offset:100
	scratch_load_b128 v[129:132], off, off offset:116
	scratch_load_b128 v[133:136], off, off offset:132
	scratch_load_b128 v[137:140], off, off offset:148
	scratch_load_b128 v[141:144], off, off offset:164
	scratch_load_b128 v[145:148], off, off offset:180
	scratch_load_b32 v149, off, off offset:196
	s_waitcnt vmcnt(13)
	global_store_b32 v[1:2], v0, off
	s_waitcnt vmcnt(12)
	s_clause 0x3
	global_store_b32 v[3:4], v101, off
	global_store_b32 v[5:6], v102, off
	global_store_b32 v[7:8], v103, off
	global_store_b32 v[9:10], v104, off
	s_waitcnt vmcnt(11)
	s_clause 0x3
	global_store_b32 v[11:12], v105, off
	global_store_b32 v[13:14], v106, off
	global_store_b32 v[15:16], v107, off
	;; [unrolled: 6-line block ×12, first 2 shown]
	global_store_b32 v[99:100], v148, off
	s_waitcnt vmcnt(0)
	global_store_b32 v[55:56], v149, off
	s_endpgm
	.section	.rodata,"a",@progbits
	.p2align	6, 0x0
	.amdhsa_kernel _ZN9rocsolver6v33100L18getri_kernel_smallILi50EfPKPfEEvT1_iilPiilS6_bb
		.amdhsa_group_segment_fixed_size 408
		.amdhsa_private_segment_fixed_size 208
		.amdhsa_kernarg_size 60
		.amdhsa_user_sgpr_count 15
		.amdhsa_user_sgpr_dispatch_ptr 0
		.amdhsa_user_sgpr_queue_ptr 0
		.amdhsa_user_sgpr_kernarg_segment_ptr 1
		.amdhsa_user_sgpr_dispatch_id 0
		.amdhsa_user_sgpr_private_segment_size 0
		.amdhsa_wavefront_size32 1
		.amdhsa_uses_dynamic_stack 0
		.amdhsa_enable_private_segment 1
		.amdhsa_system_sgpr_workgroup_id_x 1
		.amdhsa_system_sgpr_workgroup_id_y 0
		.amdhsa_system_sgpr_workgroup_id_z 0
		.amdhsa_system_sgpr_workgroup_info 0
		.amdhsa_system_vgpr_workitem_id 0
		.amdhsa_next_free_vgpr 160
		.amdhsa_next_free_sgpr 17
		.amdhsa_reserve_vcc 1
		.amdhsa_float_round_mode_32 0
		.amdhsa_float_round_mode_16_64 0
		.amdhsa_float_denorm_mode_32 3
		.amdhsa_float_denorm_mode_16_64 3
		.amdhsa_dx10_clamp 1
		.amdhsa_ieee_mode 1
		.amdhsa_fp16_overflow 0
		.amdhsa_workgroup_processor_mode 1
		.amdhsa_memory_ordered 1
		.amdhsa_forward_progress 0
		.amdhsa_shared_vgpr_count 0
		.amdhsa_exception_fp_ieee_invalid_op 0
		.amdhsa_exception_fp_denorm_src 0
		.amdhsa_exception_fp_ieee_div_zero 0
		.amdhsa_exception_fp_ieee_overflow 0
		.amdhsa_exception_fp_ieee_underflow 0
		.amdhsa_exception_fp_ieee_inexact 0
		.amdhsa_exception_int_div_zero 0
	.end_amdhsa_kernel
	.section	.text._ZN9rocsolver6v33100L18getri_kernel_smallILi50EfPKPfEEvT1_iilPiilS6_bb,"axG",@progbits,_ZN9rocsolver6v33100L18getri_kernel_smallILi50EfPKPfEEvT1_iilPiilS6_bb,comdat
.Lfunc_end113:
	.size	_ZN9rocsolver6v33100L18getri_kernel_smallILi50EfPKPfEEvT1_iilPiilS6_bb, .Lfunc_end113-_ZN9rocsolver6v33100L18getri_kernel_smallILi50EfPKPfEEvT1_iilPiilS6_bb
                                        ; -- End function
	.section	.AMDGPU.csdata,"",@progbits
; Kernel info:
; codeLenInByte = 36972
; NumSgprs: 19
; NumVgprs: 160
; ScratchSize: 208
; MemoryBound: 0
; FloatMode: 240
; IeeeMode: 1
; LDSByteSize: 408 bytes/workgroup (compile time only)
; SGPRBlocks: 2
; VGPRBlocks: 19
; NumSGPRsForWavesPerEU: 19
; NumVGPRsForWavesPerEU: 160
; Occupancy: 9
; WaveLimiterHint : 1
; COMPUTE_PGM_RSRC2:SCRATCH_EN: 1
; COMPUTE_PGM_RSRC2:USER_SGPR: 15
; COMPUTE_PGM_RSRC2:TRAP_HANDLER: 0
; COMPUTE_PGM_RSRC2:TGID_X_EN: 1
; COMPUTE_PGM_RSRC2:TGID_Y_EN: 0
; COMPUTE_PGM_RSRC2:TGID_Z_EN: 0
; COMPUTE_PGM_RSRC2:TIDIG_COMP_CNT: 0
	.section	.text._ZN9rocsolver6v33100L18getri_kernel_smallILi51EfPKPfEEvT1_iilPiilS6_bb,"axG",@progbits,_ZN9rocsolver6v33100L18getri_kernel_smallILi51EfPKPfEEvT1_iilPiilS6_bb,comdat
	.globl	_ZN9rocsolver6v33100L18getri_kernel_smallILi51EfPKPfEEvT1_iilPiilS6_bb ; -- Begin function _ZN9rocsolver6v33100L18getri_kernel_smallILi51EfPKPfEEvT1_iilPiilS6_bb
	.p2align	8
	.type	_ZN9rocsolver6v33100L18getri_kernel_smallILi51EfPKPfEEvT1_iilPiilS6_bb,@function
_ZN9rocsolver6v33100L18getri_kernel_smallILi51EfPKPfEEvT1_iilPiilS6_bb: ; @_ZN9rocsolver6v33100L18getri_kernel_smallILi51EfPKPfEEvT1_iilPiilS6_bb
; %bb.0:
	s_mov_b32 s2, exec_lo
	v_cmpx_gt_u32_e32 51, v0
	s_cbranch_execz .LBB114_212
; %bb.1:
	s_clause 0x1
	s_load_b32 s13, s[0:1], 0x38
	s_load_b64 s[2:3], s[0:1], 0x0
	s_mov_b32 s8, s15
	s_load_b128 s[4:7], s[0:1], 0x28
	s_waitcnt lgkmcnt(0)
	s_bitcmp1_b32 s13, 8
	s_cselect_b32 s12, -1, 0
	s_ashr_i32 s9, s15, 31
	s_delay_alu instid0(SALU_CYCLE_1) | instskip(NEXT) | instid1(SALU_CYCLE_1)
	s_lshl_b64 s[10:11], s[8:9], 3
	s_add_u32 s2, s2, s10
	s_addc_u32 s3, s3, s11
	s_load_b64 s[10:11], s[2:3], 0x0
	s_bfe_u32 s2, s13, 0x10008
	s_delay_alu instid0(SALU_CYCLE_1)
	s_cmp_eq_u32 s2, 0
                                        ; implicit-def: $sgpr2_sgpr3
	s_cbranch_scc1 .LBB114_3
; %bb.2:
	s_clause 0x1
	s_load_b32 s2, s[0:1], 0x20
	s_load_b64 s[14:15], s[0:1], 0x18
	s_mul_i32 s3, s8, s5
	s_mul_hi_u32 s5, s8, s4
	s_mul_i32 s16, s9, s4
	s_add_i32 s3, s5, s3
	s_mul_i32 s4, s8, s4
	s_add_i32 s5, s3, s16
	s_delay_alu instid0(SALU_CYCLE_1)
	s_lshl_b64 s[4:5], s[4:5], 2
	s_waitcnt lgkmcnt(0)
	s_ashr_i32 s3, s2, 31
	s_add_u32 s4, s14, s4
	s_addc_u32 s5, s15, s5
	s_lshl_b64 s[2:3], s[2:3], 2
	s_delay_alu instid0(SALU_CYCLE_1)
	s_add_u32 s2, s4, s2
	s_addc_u32 s3, s5, s3
.LBB114_3:
	s_load_b64 s[0:1], s[0:1], 0x8
	v_lshlrev_b32_e32 v105, 2, v0
	s_waitcnt lgkmcnt(0)
	v_add3_u32 v1, s1, s1, v0
	s_ashr_i32 s5, s0, 31
	s_mov_b32 s4, s0
	s_mov_b32 s14, s1
	s_lshl_b64 s[4:5], s[4:5], 2
	v_add_nc_u32_e32 v7, s1, v1
	v_ashrrev_i32_e32 v2, 31, v1
	s_add_u32 s4, s10, s4
	s_addc_u32 s5, s11, s5
	v_add_co_u32 v3, s0, s4, v105
	v_add_nc_u32_e32 v9, s1, v7
	s_ashr_i32 s15, s1, 31
	v_add_co_ci_u32_e64 v4, null, s5, 0, s0
	v_ashrrev_i32_e32 v8, 31, v7
	s_delay_alu instid0(VALU_DEP_3)
	v_add_nc_u32_e32 v11, s1, v9
	v_lshlrev_b64 v[1:2], 2, v[1:2]
	s_lshl_b64 s[10:11], s[14:15], 2
	v_ashrrev_i32_e32 v10, 31, v9
	v_add_co_u32 v5, vcc_lo, v3, s10
	v_add_nc_u32_e32 v13, s1, v11
	v_add_co_ci_u32_e32 v6, vcc_lo, s11, v4, vcc_lo
	v_lshlrev_b64 v[42:43], 2, v[7:8]
	v_add_co_u32 v7, vcc_lo, s4, v1
	s_delay_alu instid0(VALU_DEP_4) | instskip(SKIP_3) | instid1(VALU_DEP_4)
	v_add_nc_u32_e32 v15, s1, v13
	v_add_co_ci_u32_e32 v8, vcc_lo, s5, v2, vcc_lo
	v_lshlrev_b64 v[1:2], 2, v[9:10]
	v_ashrrev_i32_e32 v12, 31, v11
	v_add_nc_u32_e32 v17, s1, v15
	v_add_co_u32 v9, vcc_lo, s4, v42
	v_ashrrev_i32_e32 v14, 31, v13
	v_add_co_ci_u32_e32 v10, vcc_lo, s5, v43, vcc_lo
	s_delay_alu instid0(VALU_DEP_4) | instskip(SKIP_3) | instid1(VALU_DEP_4)
	v_add_nc_u32_e32 v19, s1, v17
	v_lshlrev_b64 v[42:43], 2, v[11:12]
	v_add_co_u32 v11, vcc_lo, s4, v1
	v_add_co_ci_u32_e32 v12, vcc_lo, s5, v2, vcc_lo
	v_add_nc_u32_e32 v21, s1, v19
	v_lshlrev_b64 v[1:2], 2, v[13:14]
	v_ashrrev_i32_e32 v16, 31, v15
	v_add_co_u32 v13, vcc_lo, s4, v42
	s_delay_alu instid0(VALU_DEP_4) | instskip(SKIP_3) | instid1(VALU_DEP_4)
	v_add_nc_u32_e32 v23, s1, v21
	v_ashrrev_i32_e32 v18, 31, v17
	v_add_co_ci_u32_e32 v14, vcc_lo, s5, v43, vcc_lo
	v_lshlrev_b64 v[42:43], 2, v[15:16]
	v_add_nc_u32_e32 v25, s1, v23
	v_add_co_u32 v15, vcc_lo, s4, v1
	v_add_co_ci_u32_e32 v16, vcc_lo, s5, v2, vcc_lo
	s_delay_alu instid0(VALU_DEP_3) | instskip(SKIP_3) | instid1(VALU_DEP_4)
	v_add_nc_u32_e32 v27, s1, v25
	v_lshlrev_b64 v[1:2], 2, v[17:18]
	v_ashrrev_i32_e32 v20, 31, v19
	v_add_co_u32 v17, vcc_lo, s4, v42
	v_add_nc_u32_e32 v29, s1, v27
	v_ashrrev_i32_e32 v22, 31, v21
	v_add_co_ci_u32_e32 v18, vcc_lo, s5, v43, vcc_lo
	v_lshlrev_b64 v[42:43], 2, v[19:20]
	s_delay_alu instid0(VALU_DEP_4) | instskip(SKIP_2) | instid1(VALU_DEP_3)
	v_add_nc_u32_e32 v31, s1, v29
	v_add_co_u32 v19, vcc_lo, s4, v1
	v_add_co_ci_u32_e32 v20, vcc_lo, s5, v2, vcc_lo
	v_add_nc_u32_e32 v33, s1, v31
	v_lshlrev_b64 v[1:2], 2, v[21:22]
	v_ashrrev_i32_e32 v24, 31, v23
	v_add_co_u32 v21, vcc_lo, s4, v42
	s_delay_alu instid0(VALU_DEP_4) | instskip(SKIP_3) | instid1(VALU_DEP_4)
	v_add_nc_u32_e32 v35, s1, v33
	v_ashrrev_i32_e32 v26, 31, v25
	v_add_co_ci_u32_e32 v22, vcc_lo, s5, v43, vcc_lo
	v_lshlrev_b64 v[42:43], 2, v[23:24]
	v_add_nc_u32_e32 v37, s1, v35
	v_add_co_u32 v23, vcc_lo, s4, v1
	v_add_co_ci_u32_e32 v24, vcc_lo, s5, v2, vcc_lo
	s_delay_alu instid0(VALU_DEP_3) | instskip(SKIP_3) | instid1(VALU_DEP_4)
	v_add_nc_u32_e32 v39, s1, v37
	v_lshlrev_b64 v[1:2], 2, v[25:26]
	v_ashrrev_i32_e32 v28, 31, v27
	v_add_co_u32 v25, vcc_lo, s4, v42
	v_add_nc_u32_e32 v41, s1, v39
	v_ashrrev_i32_e32 v30, 31, v29
	v_add_co_ci_u32_e32 v26, vcc_lo, s5, v43, vcc_lo
	v_lshlrev_b64 v[42:43], 2, v[27:28]
	s_delay_alu instid0(VALU_DEP_4) | instskip(SKIP_2) | instid1(VALU_DEP_3)
	v_add_nc_u32_e32 v44, s1, v41
	;; [unrolled: 25-line block ×4, first 2 shown]
	v_add_co_u32 v43, vcc_lo, s4, v1
	v_add_co_ci_u32_e32 v44, vcc_lo, s5, v2, vcc_lo
	v_add_nc_u32_e32 v73, s1, v71
	v_lshlrev_b64 v[1:2], 2, v[46:47]
	v_ashrrev_i32_e32 v49, 31, v48
	v_add_co_u32 v45, vcc_lo, s4, v61
	s_delay_alu instid0(VALU_DEP_4) | instskip(SKIP_3) | instid1(VALU_DEP_4)
	v_add_nc_u32_e32 v75, s1, v73
	v_ashrrev_i32_e32 v51, 31, v50
	v_add_co_ci_u32_e32 v46, vcc_lo, s5, v62, vcc_lo
	v_lshlrev_b64 v[61:62], 2, v[48:49]
	v_add_nc_u32_e32 v77, s1, v75
	v_add_co_u32 v47, vcc_lo, s4, v1
	v_add_co_ci_u32_e32 v48, vcc_lo, s5, v2, vcc_lo
	s_delay_alu instid0(VALU_DEP_3) | instskip(SKIP_3) | instid1(VALU_DEP_4)
	v_add_nc_u32_e32 v79, s1, v77
	v_lshlrev_b64 v[1:2], 2, v[50:51]
	v_ashrrev_i32_e32 v53, 31, v52
	v_add_co_u32 v49, vcc_lo, s4, v61
	v_add_nc_u32_e32 v81, s1, v79
	v_ashrrev_i32_e32 v55, 31, v54
	v_add_co_ci_u32_e32 v50, vcc_lo, s5, v62, vcc_lo
	v_lshlrev_b64 v[61:62], 2, v[52:53]
	s_delay_alu instid0(VALU_DEP_4) | instskip(SKIP_3) | instid1(VALU_DEP_4)
	v_add_nc_u32_e32 v83, s1, v81
	v_add_co_u32 v51, vcc_lo, s4, v1
	v_ashrrev_i32_e32 v57, 31, v56
	v_add_co_ci_u32_e32 v52, vcc_lo, s5, v2, vcc_lo
	v_add_nc_u32_e32 v85, s1, v83
	v_lshlrev_b64 v[1:2], 2, v[54:55]
	v_add_co_u32 v53, vcc_lo, s4, v61
	v_lshlrev_b64 v[68:69], 2, v[56:57]
	s_delay_alu instid0(VALU_DEP_4) | instskip(SKIP_3) | instid1(VALU_DEP_4)
	v_add_nc_u32_e32 v87, s1, v85
	v_add_co_ci_u32_e32 v54, vcc_lo, s5, v62, vcc_lo
	v_ashrrev_i32_e32 v59, 31, v58
	v_add_co_u32 v55, vcc_lo, s4, v1
	v_add_nc_u32_e32 v89, s1, v87
	v_add_co_ci_u32_e32 v56, vcc_lo, s5, v2, vcc_lo
	v_ashrrev_i32_e32 v61, 31, v60
	v_add_co_u32 v57, vcc_lo, s4, v68
	s_delay_alu instid0(VALU_DEP_4) | instskip(SKIP_3) | instid1(VALU_DEP_4)
	v_add_nc_u32_e32 v91, s1, v89
	v_lshlrev_b64 v[1:2], 2, v[58:59]
	v_add_co_ci_u32_e32 v58, vcc_lo, s5, v69, vcc_lo
	v_lshlrev_b64 v[59:60], 2, v[60:61]
	v_add_nc_u32_e32 v93, s1, v91
	v_ashrrev_i32_e32 v64, 31, v63
	v_add_co_u32 v61, vcc_lo, s4, v1
	v_add_co_ci_u32_e32 v62, vcc_lo, s5, v2, vcc_lo
	s_delay_alu instid0(VALU_DEP_4) | instskip(NEXT) | instid1(VALU_DEP_4)
	v_add_nc_u32_e32 v95, s1, v93
	v_lshlrev_b64 v[1:2], 2, v[63:64]
	v_ashrrev_i32_e32 v66, 31, v65
	v_add_co_u32 v63, vcc_lo, s4, v59
	s_delay_alu instid0(VALU_DEP_4) | instskip(SKIP_3) | instid1(VALU_DEP_4)
	v_add_nc_u32_e32 v97, s1, v95
	v_add_co_ci_u32_e32 v64, vcc_lo, s5, v60, vcc_lo
	v_ashrrev_i32_e32 v68, 31, v67
	v_lshlrev_b64 v[131:132], 2, v[65:66]
	v_add_nc_u32_e32 v99, s1, v97
	v_add_co_u32 v65, vcc_lo, s4, v1
	v_add_co_ci_u32_e32 v66, vcc_lo, s5, v2, vcc_lo
	s_delay_alu instid0(VALU_DEP_3)
	v_add_nc_u32_e32 v101, s1, v99
	v_lshlrev_b64 v[1:2], 2, v[67:68]
	v_ashrrev_i32_e32 v72, 31, v71
	v_ashrrev_i32_e32 v74, 31, v73
	;; [unrolled: 1-line block ×3, first 2 shown]
	v_add_nc_u32_e32 v103, s1, v101
	v_ashrrev_i32_e32 v78, 31, v77
	v_ashrrev_i32_e32 v80, 31, v79
	v_lshlrev_b64 v[73:74], 2, v[73:74]
	v_ashrrev_i32_e32 v82, 31, v81
	v_add_nc_u32_e32 v69, s1, v103
	v_lshlrev_b64 v[77:78], 2, v[77:78]
	v_ashrrev_i32_e32 v84, 31, v83
	v_ashrrev_i32_e32 v86, 31, v85
	v_lshlrev_b64 v[81:82], 2, v[81:82]
	v_ashrrev_i32_e32 v70, 31, v69
	v_ashrrev_i32_e32 v88, 31, v87
	;; [unrolled: 1-line block ×3, first 2 shown]
	v_lshlrev_b64 v[85:86], 2, v[85:86]
	v_ashrrev_i32_e32 v92, 31, v91
	v_lshlrev_b64 v[59:60], 2, v[69:70]
	v_ashrrev_i32_e32 v94, 31, v93
	;; [unrolled: 2-line block ×3, first 2 shown]
	v_ashrrev_i32_e32 v98, 31, v97
	v_ashrrev_i32_e32 v100, 31, v99
	v_add_co_u32 v59, vcc_lo, s4, v59
	v_add_co_ci_u32_e32 v60, vcc_lo, s5, v60, vcc_lo
	v_add_co_u32 v67, vcc_lo, s4, v131
	v_add_co_ci_u32_e32 v68, vcc_lo, s5, v132, vcc_lo
	;; [unrolled: 2-line block ×3, first 2 shown]
	v_lshlrev_b64 v[1:2], 2, v[71:72]
	v_lshlrev_b64 v[93:94], 2, v[93:94]
	;; [unrolled: 1-line block ×3, first 2 shown]
	v_ashrrev_i32_e32 v102, 31, v101
	v_ashrrev_i32_e32 v104, 31, v103
	global_load_b32 v106, v105, s[4:5]
	v_add_co_u32 v71, vcc_lo, s4, v1
	v_add_co_ci_u32_e32 v72, vcc_lo, s5, v2, vcc_lo
	v_lshlrev_b64 v[1:2], 2, v[75:76]
	v_add_co_u32 v73, vcc_lo, s4, v73
	v_add_co_ci_u32_e32 v74, vcc_lo, s5, v74, vcc_lo
	v_lshlrev_b64 v[101:102], 2, v[101:102]
	s_delay_alu instid0(VALU_DEP_4)
	v_add_co_u32 v75, vcc_lo, s4, v1
	v_add_co_ci_u32_e32 v76, vcc_lo, s5, v2, vcc_lo
	v_lshlrev_b64 v[1:2], 2, v[79:80]
	v_add_co_u32 v77, vcc_lo, s4, v77
	v_add_co_ci_u32_e32 v78, vcc_lo, s5, v78, vcc_lo
	s_clause 0x7
	global_load_b32 v107, v[5:6], off
	global_load_b32 v108, v[7:8], off
	global_load_b32 v109, v[9:10], off
	global_load_b32 v110, v[11:12], off
	global_load_b32 v111, v[13:14], off
	global_load_b32 v112, v[15:16], off
	global_load_b32 v113, v[17:18], off
	global_load_b32 v114, v[19:20], off
	v_add_co_u32 v79, vcc_lo, s4, v1
	v_add_co_ci_u32_e32 v80, vcc_lo, s5, v2, vcc_lo
	v_lshlrev_b64 v[1:2], 2, v[83:84]
	v_add_co_u32 v81, vcc_lo, s4, v81
	v_add_co_ci_u32_e32 v82, vcc_lo, s5, v82, vcc_lo
	s_clause 0x7
	global_load_b32 v115, v[21:22], off
	global_load_b32 v116, v[23:24], off
	global_load_b32 v117, v[25:26], off
	global_load_b32 v118, v[27:28], off
	global_load_b32 v119, v[29:30], off
	global_load_b32 v120, v[31:32], off
	global_load_b32 v121, v[33:34], off
	global_load_b32 v122, v[35:36], off
	;; [unrolled: 14-line block ×5, first 2 shown]
	v_add_co_u32 v95, vcc_lo, s4, v1
	v_add_co_ci_u32_e32 v96, vcc_lo, s5, v2, vcc_lo
	v_lshlrev_b64 v[1:2], 2, v[99:100]
	v_add_co_u32 v97, vcc_lo, s4, v97
	v_add_co_ci_u32_e32 v98, vcc_lo, s5, v98, vcc_lo
	s_bitcmp0_b32 s13, 0
	s_delay_alu instid0(VALU_DEP_3) | instskip(NEXT) | instid1(VALU_DEP_4)
	v_add_co_u32 v99, vcc_lo, s4, v1
	v_add_co_ci_u32_e32 v100, vcc_lo, s5, v2, vcc_lo
	v_lshlrev_b64 v[1:2], 2, v[103:104]
	v_add_co_u32 v101, vcc_lo, s4, v101
	v_add_co_ci_u32_e32 v102, vcc_lo, s5, v102, vcc_lo
	s_mov_b32 s1, -1
	s_delay_alu instid0(VALU_DEP_3) | instskip(NEXT) | instid1(VALU_DEP_4)
	v_add_co_u32 v103, vcc_lo, s4, v1
	v_add_co_ci_u32_e32 v104, vcc_lo, s5, v2, vcc_lo
	s_clause 0x9
	global_load_b32 v147, v[87:88], off
	global_load_b32 v148, v[89:90], off
	;; [unrolled: 1-line block ×10, first 2 shown]
	s_waitcnt vmcnt(47)
	scratch_store_b128 off, v[106:109], off
	s_waitcnt vmcnt(43)
	scratch_store_b128 off, v[110:113], off offset:16
	s_waitcnt vmcnt(39)
	scratch_store_b128 off, v[114:117], off offset:32
	;; [unrolled: 2-line block ×11, first 2 shown]
	s_waitcnt vmcnt(0)
	scratch_store_b96 off, v[154:156], off offset:192
	s_cbranch_scc1 .LBB114_210
; %bb.4:
	v_cmp_eq_u32_e64 s0, 0, v0
	s_delay_alu instid0(VALU_DEP_1)
	s_and_saveexec_b32 s1, s0
	s_cbranch_execz .LBB114_6
; %bb.5:
	v_mov_b32_e32 v1, 0
	ds_store_b32 v1, v1 offset:204
.LBB114_6:
	s_or_b32 exec_lo, exec_lo, s1
	s_waitcnt lgkmcnt(0)
	s_waitcnt_vscnt null, 0x0
	s_barrier
	buffer_gl0_inv
	scratch_load_b32 v1, v105, off
	s_mov_b32 s4, exec_lo
	s_waitcnt vmcnt(0)
	v_cmpx_eq_f32_e32 0, v1
	s_cbranch_execz .LBB114_10
; %bb.7:
	v_mov_b32_e32 v1, 0
	s_mov_b32 s5, 0
	ds_load_b32 v2, v1 offset:204
	s_waitcnt lgkmcnt(0)
	v_readfirstlane_b32 s1, v2
	v_add_nc_u32_e32 v2, 1, v0
	s_delay_alu instid0(VALU_DEP_2) | instskip(NEXT) | instid1(VALU_DEP_1)
	s_cmp_eq_u32 s1, 0
	v_cmp_gt_i32_e32 vcc_lo, s1, v2
	s_cselect_b32 s10, -1, 0
	s_delay_alu instid0(SALU_CYCLE_1) | instskip(NEXT) | instid1(SALU_CYCLE_1)
	s_or_b32 s10, s10, vcc_lo
	s_and_b32 exec_lo, exec_lo, s10
	s_cbranch_execz .LBB114_10
; %bb.8:
	v_mov_b32_e32 v106, s1
.LBB114_9:                              ; =>This Inner Loop Header: Depth=1
	ds_cmpstore_rtn_b32 v106, v1, v2, v106 offset:204
	s_waitcnt lgkmcnt(0)
	v_cmp_ne_u32_e32 vcc_lo, 0, v106
	v_cmp_le_i32_e64 s1, v106, v2
	s_delay_alu instid0(VALU_DEP_1) | instskip(NEXT) | instid1(SALU_CYCLE_1)
	s_and_b32 s1, vcc_lo, s1
	s_and_b32 s1, exec_lo, s1
	s_delay_alu instid0(SALU_CYCLE_1) | instskip(NEXT) | instid1(SALU_CYCLE_1)
	s_or_b32 s5, s1, s5
	s_and_not1_b32 exec_lo, exec_lo, s5
	s_cbranch_execnz .LBB114_9
.LBB114_10:
	s_or_b32 exec_lo, exec_lo, s4
	v_mov_b32_e32 v1, 0
	s_barrier
	buffer_gl0_inv
	ds_load_b32 v2, v1 offset:204
	s_and_saveexec_b32 s1, s0
	s_cbranch_execz .LBB114_12
; %bb.11:
	s_lshl_b64 s[4:5], s[8:9], 2
	s_delay_alu instid0(SALU_CYCLE_1)
	s_add_u32 s4, s6, s4
	s_addc_u32 s5, s7, s5
	s_waitcnt lgkmcnt(0)
	global_store_b32 v1, v2, s[4:5]
.LBB114_12:
	s_or_b32 exec_lo, exec_lo, s1
	s_waitcnt lgkmcnt(0)
	v_cmp_ne_u32_e32 vcc_lo, 0, v2
	s_mov_b32 s1, 0
	s_cbranch_vccnz .LBB114_210
; %bb.13:
	v_add_nc_u32_e32 v1, 0, v105
	scratch_load_b32 v2, v1, off
	s_waitcnt vmcnt(0)
	v_div_scale_f32 v106, null, v2, v2, 1.0
	v_div_scale_f32 v109, vcc_lo, 1.0, v2, 1.0
	s_delay_alu instid0(VALU_DEP_2) | instskip(SKIP_2) | instid1(VALU_DEP_1)
	v_rcp_f32_e32 v107, v106
	s_waitcnt_depctr 0xfff
	v_fma_f32 v108, -v106, v107, 1.0
	v_fmac_f32_e32 v107, v108, v107
	s_delay_alu instid0(VALU_DEP_1) | instskip(NEXT) | instid1(VALU_DEP_1)
	v_mul_f32_e32 v108, v109, v107
	v_fma_f32 v110, -v106, v108, v109
	s_delay_alu instid0(VALU_DEP_1) | instskip(NEXT) | instid1(VALU_DEP_1)
	v_fmac_f32_e32 v108, v110, v107
	v_fma_f32 v106, -v106, v108, v109
	s_delay_alu instid0(VALU_DEP_1) | instskip(NEXT) | instid1(VALU_DEP_1)
	v_div_fmas_f32 v106, v106, v107, v108
	v_div_fixup_f32 v2, v106, v2, 1.0
	scratch_store_b32 v1, v2, off
	scratch_load_b32 v106, off, off offset:4
	v_xor_b32_e32 v107, 0x80000000, v2
	v_add_nc_u32_e32 v2, 0xd0, v105
	s_waitcnt vmcnt(0)
	ds_store_2addr_b32 v105, v107, v106 offset1:52
	s_waitcnt lgkmcnt(0)
	s_waitcnt_vscnt null, 0x0
	s_barrier
	buffer_gl0_inv
	s_and_saveexec_b32 s1, s0
	s_cbranch_execz .LBB114_15
; %bb.14:
	scratch_load_b32 v106, v1, off
	ds_load_b32 v107, v2
	v_mov_b32_e32 v108, 0
	ds_load_b32 v108, v108 offset:4
	s_waitcnt vmcnt(0) lgkmcnt(1)
	v_fma_f32 v106, v106, v107, 0
	s_waitcnt lgkmcnt(0)
	s_delay_alu instid0(VALU_DEP_1)
	v_mul_f32_e32 v106, v106, v108
	scratch_store_b32 off, v106, off offset:4
.LBB114_15:
	s_or_b32 exec_lo, exec_lo, s1
	s_waitcnt_vscnt null, 0x0
	s_barrier
	buffer_gl0_inv
	scratch_load_b32 v106, off, off offset:8
	s_mov_b32 s1, exec_lo
	s_waitcnt vmcnt(0)
	ds_store_b32 v2, v106
	s_waitcnt lgkmcnt(0)
	s_barrier
	buffer_gl0_inv
	v_cmpx_gt_u32_e32 2, v0
	s_cbranch_execz .LBB114_17
; %bb.16:
	scratch_load_b32 v108, v1, off
	scratch_load_b32 v109, off, off offset:4
	ds_load_b32 v110, v2
	v_mov_b32_e32 v106, 0
	ds_load_2addr_b32 v[106:107], v106 offset0:2 offset1:53
	s_waitcnt vmcnt(1) lgkmcnt(1)
	v_fma_f32 v108, v108, v110, 0
	s_waitcnt vmcnt(0) lgkmcnt(0)
	s_delay_alu instid0(VALU_DEP_1) | instskip(NEXT) | instid1(VALU_DEP_1)
	v_fma_f32 v107, v109, v107, v108
	v_cndmask_b32_e64 v107, v108, v107, s0
	s_delay_alu instid0(VALU_DEP_1)
	v_mul_f32_e32 v106, v107, v106
	scratch_store_b32 off, v106, off offset:8
.LBB114_17:
	s_or_b32 exec_lo, exec_lo, s1
	s_waitcnt_vscnt null, 0x0
	s_barrier
	buffer_gl0_inv
	scratch_load_b32 v107, off, off offset:12
	v_add_nc_u32_e32 v106, -1, v0
	s_mov_b32 s0, exec_lo
	s_waitcnt vmcnt(0)
	ds_store_b32 v2, v107
	s_waitcnt lgkmcnt(0)
	s_barrier
	buffer_gl0_inv
	v_cmpx_gt_u32_e32 3, v0
	s_cbranch_execz .LBB114_21
; %bb.18:
	v_dual_mov_b32 v107, 0 :: v_dual_add_nc_u32 v108, -1, v0
	v_add_nc_u32_e32 v109, 0xd0, v105
	v_add_nc_u32_e32 v110, 0, v105
	s_mov_b32 s1, 0
.LBB114_19:                             ; =>This Inner Loop Header: Depth=1
	scratch_load_b32 v111, v110, off
	ds_load_b32 v112, v109
	v_add_nc_u32_e32 v108, 1, v108
	v_add_nc_u32_e32 v109, 4, v109
	v_add_nc_u32_e32 v110, 4, v110
	s_delay_alu instid0(VALU_DEP_3)
	v_cmp_lt_u32_e32 vcc_lo, 1, v108
	s_or_b32 s1, vcc_lo, s1
	s_waitcnt vmcnt(0) lgkmcnt(0)
	v_fmac_f32_e32 v107, v111, v112
	s_and_not1_b32 exec_lo, exec_lo, s1
	s_cbranch_execnz .LBB114_19
; %bb.20:
	s_or_b32 exec_lo, exec_lo, s1
	v_mov_b32_e32 v108, 0
	ds_load_b32 v108, v108 offset:12
	s_waitcnt lgkmcnt(0)
	v_mul_f32_e32 v107, v107, v108
	scratch_store_b32 off, v107, off offset:12
.LBB114_21:
	s_or_b32 exec_lo, exec_lo, s0
	s_waitcnt_vscnt null, 0x0
	s_barrier
	buffer_gl0_inv
	scratch_load_b32 v107, off, off offset:16
	s_mov_b32 s0, exec_lo
	s_waitcnt vmcnt(0)
	ds_store_b32 v2, v107
	s_waitcnt lgkmcnt(0)
	s_barrier
	buffer_gl0_inv
	v_cmpx_gt_u32_e32 4, v0
	s_cbranch_execz .LBB114_25
; %bb.22:
	v_dual_mov_b32 v107, 0 :: v_dual_add_nc_u32 v108, -1, v0
	v_add_nc_u32_e32 v109, 0xd0, v105
	v_add_nc_u32_e32 v110, 0, v105
	s_mov_b32 s1, 0
.LBB114_23:                             ; =>This Inner Loop Header: Depth=1
	scratch_load_b32 v111, v110, off
	ds_load_b32 v112, v109
	v_add_nc_u32_e32 v108, 1, v108
	v_add_nc_u32_e32 v109, 4, v109
	v_add_nc_u32_e32 v110, 4, v110
	s_delay_alu instid0(VALU_DEP_3)
	v_cmp_lt_u32_e32 vcc_lo, 2, v108
	s_or_b32 s1, vcc_lo, s1
	s_waitcnt vmcnt(0) lgkmcnt(0)
	v_fmac_f32_e32 v107, v111, v112
	s_and_not1_b32 exec_lo, exec_lo, s1
	s_cbranch_execnz .LBB114_23
; %bb.24:
	s_or_b32 exec_lo, exec_lo, s1
	v_mov_b32_e32 v108, 0
	ds_load_b32 v108, v108 offset:16
	s_waitcnt lgkmcnt(0)
	v_mul_f32_e32 v107, v107, v108
	scratch_store_b32 off, v107, off offset:16
.LBB114_25:
	s_or_b32 exec_lo, exec_lo, s0
	s_waitcnt_vscnt null, 0x0
	s_barrier
	buffer_gl0_inv
	scratch_load_b32 v107, off, off offset:20
	;; [unrolled: 39-line block ×21, first 2 shown]
	s_mov_b32 s0, exec_lo
	s_waitcnt vmcnt(0)
	ds_store_b32 v2, v107
	s_waitcnt lgkmcnt(0)
	s_barrier
	buffer_gl0_inv
	v_cmpx_gt_u32_e32 24, v0
	s_cbranch_execz .LBB114_105
; %bb.102:
	v_dual_mov_b32 v107, 0 :: v_dual_add_nc_u32 v108, -1, v0
	v_add_nc_u32_e32 v109, 0xd0, v105
	v_add_nc_u32_e32 v110, 0, v105
	s_mov_b32 s1, 0
.LBB114_103:                            ; =>This Inner Loop Header: Depth=1
	scratch_load_b32 v111, v110, off
	ds_load_b32 v112, v109
	v_add_nc_u32_e32 v108, 1, v108
	v_add_nc_u32_e32 v109, 4, v109
	v_add_nc_u32_e32 v110, 4, v110
	s_delay_alu instid0(VALU_DEP_3)
	v_cmp_lt_u32_e32 vcc_lo, 22, v108
	s_or_b32 s1, vcc_lo, s1
	s_waitcnt vmcnt(0) lgkmcnt(0)
	v_fmac_f32_e32 v107, v111, v112
	s_and_not1_b32 exec_lo, exec_lo, s1
	s_cbranch_execnz .LBB114_103
; %bb.104:
	s_or_b32 exec_lo, exec_lo, s1
	v_mov_b32_e32 v108, 0
	ds_load_b32 v108, v108 offset:96
	s_waitcnt lgkmcnt(0)
	v_mul_f32_e32 v107, v107, v108
	scratch_store_b32 off, v107, off offset:96
.LBB114_105:
	s_or_b32 exec_lo, exec_lo, s0
	s_waitcnt_vscnt null, 0x0
	s_barrier
	buffer_gl0_inv
	scratch_load_b32 v107, off, off offset:100
	s_mov_b32 s0, exec_lo
	s_waitcnt vmcnt(0)
	ds_store_b32 v2, v107
	s_waitcnt lgkmcnt(0)
	s_barrier
	buffer_gl0_inv
	v_cmpx_gt_u32_e32 25, v0
	s_cbranch_execz .LBB114_109
; %bb.106:
	v_dual_mov_b32 v107, 0 :: v_dual_add_nc_u32 v108, -1, v0
	v_add_nc_u32_e32 v109, 0xd0, v105
	v_add_nc_u32_e32 v110, 0, v105
	s_mov_b32 s1, 0
.LBB114_107:                            ; =>This Inner Loop Header: Depth=1
	scratch_load_b32 v111, v110, off
	ds_load_b32 v112, v109
	v_add_nc_u32_e32 v108, 1, v108
	v_add_nc_u32_e32 v109, 4, v109
	v_add_nc_u32_e32 v110, 4, v110
	s_delay_alu instid0(VALU_DEP_3)
	v_cmp_lt_u32_e32 vcc_lo, 23, v108
	s_or_b32 s1, vcc_lo, s1
	s_waitcnt vmcnt(0) lgkmcnt(0)
	v_fmac_f32_e32 v107, v111, v112
	s_and_not1_b32 exec_lo, exec_lo, s1
	s_cbranch_execnz .LBB114_107
; %bb.108:
	s_or_b32 exec_lo, exec_lo, s1
	v_mov_b32_e32 v108, 0
	ds_load_b32 v108, v108 offset:100
	s_waitcnt lgkmcnt(0)
	v_mul_f32_e32 v107, v107, v108
	scratch_store_b32 off, v107, off offset:100
.LBB114_109:
	s_or_b32 exec_lo, exec_lo, s0
	s_waitcnt_vscnt null, 0x0
	s_barrier
	buffer_gl0_inv
	scratch_load_b32 v107, off, off offset:104
	;; [unrolled: 39-line block ×25, first 2 shown]
	s_mov_b32 s0, exec_lo
	s_waitcnt vmcnt(0)
	ds_store_b32 v2, v107
	s_waitcnt lgkmcnt(0)
	s_barrier
	buffer_gl0_inv
	v_cmpx_gt_u32_e32 49, v0
	s_cbranch_execz .LBB114_205
; %bb.202:
	v_add_nc_u32_e32 v107, -1, v0
	v_add_nc_u32_e32 v108, 0xd0, v105
	v_add_nc_u32_e32 v109, 0, v105
	v_mov_b32_e32 v105, 0
	s_mov_b32 s1, 0
.LBB114_203:                            ; =>This Inner Loop Header: Depth=1
	scratch_load_b32 v110, v109, off
	ds_load_b32 v111, v108
	v_add_nc_u32_e32 v107, 1, v107
	v_add_nc_u32_e32 v108, 4, v108
	;; [unrolled: 1-line block ×3, first 2 shown]
	s_delay_alu instid0(VALU_DEP_3)
	v_cmp_lt_u32_e32 vcc_lo, 47, v107
	s_or_b32 s1, vcc_lo, s1
	s_waitcnt vmcnt(0) lgkmcnt(0)
	v_fmac_f32_e32 v105, v110, v111
	s_and_not1_b32 exec_lo, exec_lo, s1
	s_cbranch_execnz .LBB114_203
; %bb.204:
	s_or_b32 exec_lo, exec_lo, s1
	v_mov_b32_e32 v107, 0
	ds_load_b32 v107, v107 offset:196
	s_waitcnt lgkmcnt(0)
	v_mul_f32_e32 v105, v105, v107
	scratch_store_b32 off, v105, off offset:196
.LBB114_205:
	s_or_b32 exec_lo, exec_lo, s0
	s_waitcnt_vscnt null, 0x0
	s_barrier
	buffer_gl0_inv
	scratch_load_b32 v105, off, off offset:200
	s_mov_b32 s0, exec_lo
	s_waitcnt vmcnt(0)
	ds_store_b32 v2, v105
	s_waitcnt lgkmcnt(0)
	s_barrier
	buffer_gl0_inv
	v_cmpx_ne_u32_e32 50, v0
	s_cbranch_execz .LBB114_209
; %bb.206:
	v_mov_b32_e32 v105, 0
	s_mov_b32 s1, 0
.LBB114_207:                            ; =>This Inner Loop Header: Depth=1
	scratch_load_b32 v107, v1, off
	ds_load_b32 v108, v2
	v_add_nc_u32_e32 v106, 1, v106
	v_add_nc_u32_e32 v2, 4, v2
	;; [unrolled: 1-line block ×3, first 2 shown]
	s_waitcnt vmcnt(0) lgkmcnt(0)
	v_fmac_f32_e32 v105, v107, v108
	v_cmp_lt_u32_e32 vcc_lo, 48, v106
	s_or_b32 s1, vcc_lo, s1
	s_delay_alu instid0(SALU_CYCLE_1)
	s_and_not1_b32 exec_lo, exec_lo, s1
	s_cbranch_execnz .LBB114_207
; %bb.208:
	s_or_b32 exec_lo, exec_lo, s1
	v_mov_b32_e32 v1, 0
	ds_load_b32 v1, v1 offset:200
	s_waitcnt lgkmcnt(0)
	v_mul_f32_e32 v1, v105, v1
	scratch_store_b32 off, v1, off offset:200
.LBB114_209:
	s_or_b32 exec_lo, exec_lo, s0
	s_mov_b32 s1, -1
	s_waitcnt_vscnt null, 0x0
	s_barrier
	buffer_gl0_inv
.LBB114_210:
	s_and_b32 vcc_lo, exec_lo, s1
	s_cbranch_vccz .LBB114_212
; %bb.211:
	s_lshl_b64 s[0:1], s[8:9], 2
	v_mov_b32_e32 v1, 0
	s_add_u32 s0, s6, s0
	s_addc_u32 s1, s7, s1
	global_load_b32 v1, v1, s[0:1]
	s_waitcnt vmcnt(0)
	v_cmp_ne_u32_e32 vcc_lo, 0, v1
	s_cbranch_vccz .LBB114_213
.LBB114_212:
	s_endpgm
.LBB114_213:
	v_lshl_add_u32 v1, v0, 2, 0xd0
	s_mov_b32 s0, exec_lo
	v_cmpx_eq_u32_e32 50, v0
	s_cbranch_execz .LBB114_215
; %bb.214:
	scratch_load_b32 v2, off, off offset:196
	v_mov_b32_e32 v105, 0
	scratch_store_b32 off, v105, off offset:196
	s_waitcnt vmcnt(0)
	ds_store_b32 v1, v2
.LBB114_215:
	s_or_b32 exec_lo, exec_lo, s0
	s_waitcnt lgkmcnt(0)
	s_waitcnt_vscnt null, 0x0
	s_barrier
	buffer_gl0_inv
	scratch_load_b64 v[105:106], off, off offset:196
	v_mov_b32_e32 v2, 0
	s_mov_b32 s0, exec_lo
	ds_load_b32 v107, v2 offset:408
	s_waitcnt vmcnt(0) lgkmcnt(0)
	v_fma_f32 v106, v106, v107, 0
	s_delay_alu instid0(VALU_DEP_1)
	v_sub_f32_e32 v105, v105, v106
	scratch_store_b32 off, v105, off offset:196
	v_cmpx_lt_u32_e32 48, v0
	s_cbranch_execz .LBB114_217
; %bb.216:
	scratch_load_b32 v105, off, off offset:192
	scratch_store_b32 off, v2, off offset:192
	s_waitcnt vmcnt(0)
	ds_store_b32 v1, v105
.LBB114_217:
	s_or_b32 exec_lo, exec_lo, s0
	s_waitcnt lgkmcnt(0)
	s_waitcnt_vscnt null, 0x0
	s_barrier
	buffer_gl0_inv
	scratch_load_b96 v[105:107], off, off offset:192
	ds_load_2addr_b32 v[108:109], v2 offset0:101 offset1:102
	s_mov_b32 s0, exec_lo
	s_waitcnt vmcnt(0) lgkmcnt(0)
	v_fma_f32 v2, v106, v108, 0
	s_delay_alu instid0(VALU_DEP_1) | instskip(NEXT) | instid1(VALU_DEP_1)
	v_fmac_f32_e32 v2, v107, v109
	v_sub_f32_e32 v2, v105, v2
	scratch_store_b32 off, v2, off offset:192
	v_cmpx_lt_u32_e32 47, v0
	s_cbranch_execz .LBB114_219
; %bb.218:
	scratch_load_b32 v2, off, off offset:188
	v_mov_b32_e32 v105, 0
	scratch_store_b32 off, v105, off offset:188
	s_waitcnt vmcnt(0)
	ds_store_b32 v1, v2
.LBB114_219:
	s_or_b32 exec_lo, exec_lo, s0
	s_waitcnt lgkmcnt(0)
	s_waitcnt_vscnt null, 0x0
	s_barrier
	buffer_gl0_inv
	scratch_load_b128 v[105:108], off, off offset:188
	v_mov_b32_e32 v2, 0
	s_mov_b32 s0, exec_lo
	ds_load_b96 v[109:111], v2 offset:400
	s_waitcnt vmcnt(0) lgkmcnt(0)
	v_fma_f32 v106, v106, v109, 0
	s_delay_alu instid0(VALU_DEP_1) | instskip(NEXT) | instid1(VALU_DEP_1)
	v_fmac_f32_e32 v106, v107, v110
	v_fmac_f32_e32 v106, v108, v111
	s_delay_alu instid0(VALU_DEP_1)
	v_sub_f32_e32 v105, v105, v106
	scratch_store_b32 off, v105, off offset:188
	v_cmpx_lt_u32_e32 46, v0
	s_cbranch_execz .LBB114_221
; %bb.220:
	scratch_load_b32 v105, off, off offset:184
	scratch_store_b32 off, v2, off offset:184
	s_waitcnt vmcnt(0)
	ds_store_b32 v1, v105
.LBB114_221:
	s_or_b32 exec_lo, exec_lo, s0
	s_waitcnt lgkmcnt(0)
	s_waitcnt_vscnt null, 0x0
	s_barrier
	buffer_gl0_inv
	s_clause 0x1
	scratch_load_b128 v[105:108], off, off offset:184
	scratch_load_b32 v113, off, off offset:200
	ds_load_2addr_b32 v[109:110], v2 offset0:99 offset1:100
	ds_load_2addr_b32 v[111:112], v2 offset0:101 offset1:102
	s_mov_b32 s0, exec_lo
	s_waitcnt vmcnt(1) lgkmcnt(1)
	v_fma_f32 v2, v106, v109, 0
	s_delay_alu instid0(VALU_DEP_1) | instskip(SKIP_1) | instid1(VALU_DEP_1)
	v_fmac_f32_e32 v2, v107, v110
	s_waitcnt lgkmcnt(0)
	v_fmac_f32_e32 v2, v108, v111
	s_waitcnt vmcnt(0)
	s_delay_alu instid0(VALU_DEP_1) | instskip(NEXT) | instid1(VALU_DEP_1)
	v_fmac_f32_e32 v2, v113, v112
	v_sub_f32_e32 v2, v105, v2
	scratch_store_b32 off, v2, off offset:184
	v_cmpx_lt_u32_e32 45, v0
	s_cbranch_execz .LBB114_223
; %bb.222:
	scratch_load_b32 v2, off, off offset:180
	v_mov_b32_e32 v105, 0
	scratch_store_b32 off, v105, off offset:180
	s_waitcnt vmcnt(0)
	ds_store_b32 v1, v2
.LBB114_223:
	s_or_b32 exec_lo, exec_lo, s0
	s_waitcnt lgkmcnt(0)
	s_waitcnt_vscnt null, 0x0
	s_barrier
	buffer_gl0_inv
	s_clause 0x1
	scratch_load_b128 v[105:108], off, off offset:180
	scratch_load_b64 v[113:114], off, off offset:196
	v_mov_b32_e32 v2, 0
	ds_load_2addr_b64 v[109:112], v2 offset0:49 offset1:50
	ds_load_b32 v115, v2 offset:408
	s_mov_b32 s0, exec_lo
	s_waitcnt vmcnt(1) lgkmcnt(1)
	v_fma_f32 v106, v106, v109, 0
	s_delay_alu instid0(VALU_DEP_1) | instskip(NEXT) | instid1(VALU_DEP_1)
	v_fmac_f32_e32 v106, v107, v110
	v_fmac_f32_e32 v106, v108, v111
	s_waitcnt vmcnt(0)
	s_delay_alu instid0(VALU_DEP_1) | instskip(SKIP_1) | instid1(VALU_DEP_1)
	v_fmac_f32_e32 v106, v113, v112
	s_waitcnt lgkmcnt(0)
	v_fmac_f32_e32 v106, v114, v115
	s_delay_alu instid0(VALU_DEP_1)
	v_sub_f32_e32 v105, v105, v106
	scratch_store_b32 off, v105, off offset:180
	v_cmpx_lt_u32_e32 44, v0
	s_cbranch_execz .LBB114_225
; %bb.224:
	scratch_load_b32 v105, off, off offset:176
	scratch_store_b32 off, v2, off offset:176
	s_waitcnt vmcnt(0)
	ds_store_b32 v1, v105
.LBB114_225:
	s_or_b32 exec_lo, exec_lo, s0
	s_waitcnt lgkmcnt(0)
	s_waitcnt_vscnt null, 0x0
	s_barrier
	buffer_gl0_inv
	s_clause 0x1
	scratch_load_b128 v[105:108], off, off offset:176
	scratch_load_b96 v[109:111], off, off offset:192
	ds_load_2addr_b32 v[112:113], v2 offset0:97 offset1:98
	ds_load_2addr_b32 v[114:115], v2 offset0:99 offset1:100
	;; [unrolled: 1-line block ×3, first 2 shown]
	s_mov_b32 s0, exec_lo
	s_waitcnt vmcnt(1) lgkmcnt(2)
	v_fma_f32 v2, v106, v112, 0
	s_delay_alu instid0(VALU_DEP_1) | instskip(SKIP_1) | instid1(VALU_DEP_1)
	v_fmac_f32_e32 v2, v107, v113
	s_waitcnt lgkmcnt(1)
	v_fmac_f32_e32 v2, v108, v114
	s_waitcnt vmcnt(0)
	s_delay_alu instid0(VALU_DEP_1) | instskip(SKIP_1) | instid1(VALU_DEP_1)
	v_fmac_f32_e32 v2, v109, v115
	s_waitcnt lgkmcnt(0)
	v_fmac_f32_e32 v2, v110, v116
	s_delay_alu instid0(VALU_DEP_1) | instskip(NEXT) | instid1(VALU_DEP_1)
	v_fmac_f32_e32 v2, v111, v117
	v_sub_f32_e32 v2, v105, v2
	scratch_store_b32 off, v2, off offset:176
	v_cmpx_lt_u32_e32 43, v0
	s_cbranch_execz .LBB114_227
; %bb.226:
	scratch_load_b32 v2, off, off offset:172
	v_mov_b32_e32 v105, 0
	scratch_store_b32 off, v105, off offset:172
	s_waitcnt vmcnt(0)
	ds_store_b32 v1, v2
.LBB114_227:
	s_or_b32 exec_lo, exec_lo, s0
	s_waitcnt lgkmcnt(0)
	s_waitcnt_vscnt null, 0x0
	s_barrier
	buffer_gl0_inv
	s_clause 0x1
	scratch_load_b128 v[105:108], off, off offset:172
	scratch_load_b128 v[109:112], off, off offset:188
	v_mov_b32_e32 v2, 0
	ds_load_b128 v[113:116], v2 offset:384
	ds_load_b96 v[117:119], v2 offset:400
	s_mov_b32 s0, exec_lo
	s_waitcnt vmcnt(1) lgkmcnt(1)
	v_fma_f32 v106, v106, v113, 0
	s_delay_alu instid0(VALU_DEP_1) | instskip(NEXT) | instid1(VALU_DEP_1)
	v_fmac_f32_e32 v106, v107, v114
	v_fmac_f32_e32 v106, v108, v115
	s_waitcnt vmcnt(0)
	s_delay_alu instid0(VALU_DEP_1) | instskip(SKIP_1) | instid1(VALU_DEP_1)
	v_fmac_f32_e32 v106, v109, v116
	s_waitcnt lgkmcnt(0)
	v_fmac_f32_e32 v106, v110, v117
	s_delay_alu instid0(VALU_DEP_1) | instskip(NEXT) | instid1(VALU_DEP_1)
	v_fmac_f32_e32 v106, v111, v118
	v_fmac_f32_e32 v106, v112, v119
	s_delay_alu instid0(VALU_DEP_1)
	v_sub_f32_e32 v105, v105, v106
	scratch_store_b32 off, v105, off offset:172
	v_cmpx_lt_u32_e32 42, v0
	s_cbranch_execz .LBB114_229
; %bb.228:
	scratch_load_b32 v105, off, off offset:168
	scratch_store_b32 off, v2, off offset:168
	s_waitcnt vmcnt(0)
	ds_store_b32 v1, v105
.LBB114_229:
	s_or_b32 exec_lo, exec_lo, s0
	s_waitcnt lgkmcnt(0)
	s_waitcnt_vscnt null, 0x0
	s_barrier
	buffer_gl0_inv
	s_clause 0x2
	scratch_load_b128 v[105:108], off, off offset:168
	scratch_load_b128 v[109:112], off, off offset:184
	scratch_load_b32 v121, off, off offset:200
	ds_load_2addr_b32 v[113:114], v2 offset0:95 offset1:96
	ds_load_2addr_b32 v[115:116], v2 offset0:97 offset1:98
	;; [unrolled: 1-line block ×4, first 2 shown]
	s_mov_b32 s0, exec_lo
	s_waitcnt vmcnt(2) lgkmcnt(3)
	v_fma_f32 v2, v106, v113, 0
	s_delay_alu instid0(VALU_DEP_1) | instskip(SKIP_1) | instid1(VALU_DEP_1)
	v_fmac_f32_e32 v2, v107, v114
	s_waitcnt lgkmcnt(2)
	v_fmac_f32_e32 v2, v108, v115
	s_waitcnt vmcnt(1)
	s_delay_alu instid0(VALU_DEP_1) | instskip(SKIP_1) | instid1(VALU_DEP_1)
	v_fmac_f32_e32 v2, v109, v116
	s_waitcnt lgkmcnt(1)
	v_fmac_f32_e32 v2, v110, v117
	s_delay_alu instid0(VALU_DEP_1) | instskip(SKIP_1) | instid1(VALU_DEP_1)
	v_fmac_f32_e32 v2, v111, v118
	s_waitcnt lgkmcnt(0)
	v_fmac_f32_e32 v2, v112, v119
	s_waitcnt vmcnt(0)
	s_delay_alu instid0(VALU_DEP_1) | instskip(NEXT) | instid1(VALU_DEP_1)
	v_fmac_f32_e32 v2, v121, v120
	v_sub_f32_e32 v2, v105, v2
	scratch_store_b32 off, v2, off offset:168
	v_cmpx_lt_u32_e32 41, v0
	s_cbranch_execz .LBB114_231
; %bb.230:
	scratch_load_b32 v2, off, off offset:164
	v_mov_b32_e32 v105, 0
	scratch_store_b32 off, v105, off offset:164
	s_waitcnt vmcnt(0)
	ds_store_b32 v1, v2
.LBB114_231:
	s_or_b32 exec_lo, exec_lo, s0
	s_waitcnt lgkmcnt(0)
	s_waitcnt_vscnt null, 0x0
	s_barrier
	buffer_gl0_inv
	s_clause 0x2
	scratch_load_b128 v[105:108], off, off offset:164
	scratch_load_b128 v[109:112], off, off offset:180
	scratch_load_b64 v[121:122], off, off offset:196
	v_mov_b32_e32 v2, 0
	ds_load_2addr_b64 v[113:116], v2 offset0:47 offset1:48
	ds_load_2addr_b64 v[117:120], v2 offset0:49 offset1:50
	s_mov_b32 s0, exec_lo
	s_waitcnt vmcnt(2) lgkmcnt(1)
	v_fma_f32 v106, v106, v113, 0
	s_delay_alu instid0(VALU_DEP_1) | instskip(SKIP_3) | instid1(VALU_DEP_1)
	v_fmac_f32_e32 v106, v107, v114
	ds_load_b32 v107, v2 offset:408
	v_fmac_f32_e32 v106, v108, v115
	s_waitcnt vmcnt(1)
	v_fmac_f32_e32 v106, v109, v116
	s_waitcnt lgkmcnt(1)
	s_delay_alu instid0(VALU_DEP_1) | instskip(NEXT) | instid1(VALU_DEP_1)
	v_fmac_f32_e32 v106, v110, v117
	v_fmac_f32_e32 v106, v111, v118
	s_delay_alu instid0(VALU_DEP_1) | instskip(SKIP_1) | instid1(VALU_DEP_1)
	v_fmac_f32_e32 v106, v112, v119
	s_waitcnt vmcnt(0)
	v_fmac_f32_e32 v106, v121, v120
	s_waitcnt lgkmcnt(0)
	s_delay_alu instid0(VALU_DEP_1) | instskip(NEXT) | instid1(VALU_DEP_1)
	v_fmac_f32_e32 v106, v122, v107
	v_sub_f32_e32 v105, v105, v106
	scratch_store_b32 off, v105, off offset:164
	v_cmpx_lt_u32_e32 40, v0
	s_cbranch_execz .LBB114_233
; %bb.232:
	scratch_load_b32 v105, off, off offset:160
	scratch_store_b32 off, v2, off offset:160
	s_waitcnt vmcnt(0)
	ds_store_b32 v1, v105
.LBB114_233:
	s_or_b32 exec_lo, exec_lo, s0
	s_waitcnt lgkmcnt(0)
	s_waitcnt_vscnt null, 0x0
	s_barrier
	buffer_gl0_inv
	s_clause 0x2
	scratch_load_b128 v[105:108], off, off offset:160
	scratch_load_b128 v[109:112], off, off offset:176
	scratch_load_b96 v[113:115], off, off offset:192
	ds_load_2addr_b32 v[116:117], v2 offset0:93 offset1:94
	ds_load_2addr_b32 v[118:119], v2 offset0:95 offset1:96
	;; [unrolled: 1-line block ×4, first 2 shown]
	s_mov_b32 s0, exec_lo
	s_waitcnt vmcnt(2) lgkmcnt(3)
	v_fma_f32 v116, v106, v116, 0
	s_delay_alu instid0(VALU_DEP_1) | instskip(SKIP_4) | instid1(VALU_DEP_1)
	v_fmac_f32_e32 v116, v107, v117
	ds_load_2addr_b32 v[106:107], v2 offset0:101 offset1:102
	s_waitcnt lgkmcnt(3)
	v_fmac_f32_e32 v116, v108, v118
	s_waitcnt vmcnt(1)
	v_fmac_f32_e32 v116, v109, v119
	s_waitcnt lgkmcnt(2)
	s_delay_alu instid0(VALU_DEP_1) | instskip(NEXT) | instid1(VALU_DEP_1)
	v_fmac_f32_e32 v116, v110, v120
	v_fmac_f32_e32 v116, v111, v121
	s_waitcnt lgkmcnt(1)
	s_delay_alu instid0(VALU_DEP_1) | instskip(SKIP_1) | instid1(VALU_DEP_1)
	v_fmac_f32_e32 v116, v112, v122
	s_waitcnt vmcnt(0)
	v_fmac_f32_e32 v116, v113, v123
	s_waitcnt lgkmcnt(0)
	s_delay_alu instid0(VALU_DEP_1) | instskip(NEXT) | instid1(VALU_DEP_1)
	v_fmac_f32_e32 v116, v114, v106
	v_fmac_f32_e32 v116, v115, v107
	s_delay_alu instid0(VALU_DEP_1)
	v_sub_f32_e32 v2, v105, v116
	scratch_store_b32 off, v2, off offset:160
	v_cmpx_lt_u32_e32 39, v0
	s_cbranch_execz .LBB114_235
; %bb.234:
	scratch_load_b32 v2, off, off offset:156
	v_mov_b32_e32 v105, 0
	scratch_store_b32 off, v105, off offset:156
	s_waitcnt vmcnt(0)
	ds_store_b32 v1, v2
.LBB114_235:
	s_or_b32 exec_lo, exec_lo, s0
	s_waitcnt lgkmcnt(0)
	s_waitcnt_vscnt null, 0x0
	s_barrier
	buffer_gl0_inv
	s_clause 0x2
	scratch_load_b128 v[105:108], off, off offset:156
	scratch_load_b128 v[109:112], off, off offset:172
	;; [unrolled: 1-line block ×3, first 2 shown]
	v_mov_b32_e32 v2, 0
	ds_load_b128 v[117:120], v2 offset:368
	ds_load_b128 v[121:124], v2 offset:384
	s_mov_b32 s0, exec_lo
	s_waitcnt vmcnt(2) lgkmcnt(1)
	v_fma_f32 v117, v106, v117, 0
	s_delay_alu instid0(VALU_DEP_1) | instskip(NEXT) | instid1(VALU_DEP_1)
	v_fmac_f32_e32 v117, v107, v118
	v_fmac_f32_e32 v117, v108, v119
	ds_load_b96 v[106:108], v2 offset:400
	s_waitcnt vmcnt(1)
	v_fmac_f32_e32 v117, v109, v120
	s_waitcnt lgkmcnt(1)
	s_delay_alu instid0(VALU_DEP_1) | instskip(NEXT) | instid1(VALU_DEP_1)
	v_fmac_f32_e32 v117, v110, v121
	v_fmac_f32_e32 v117, v111, v122
	s_delay_alu instid0(VALU_DEP_1) | instskip(SKIP_1) | instid1(VALU_DEP_1)
	v_fmac_f32_e32 v117, v112, v123
	s_waitcnt vmcnt(0)
	v_fmac_f32_e32 v117, v113, v124
	s_waitcnt lgkmcnt(0)
	s_delay_alu instid0(VALU_DEP_1) | instskip(NEXT) | instid1(VALU_DEP_1)
	v_fmac_f32_e32 v117, v114, v106
	v_fmac_f32_e32 v117, v115, v107
	s_delay_alu instid0(VALU_DEP_1) | instskip(NEXT) | instid1(VALU_DEP_1)
	v_fmac_f32_e32 v117, v116, v108
	v_sub_f32_e32 v105, v105, v117
	scratch_store_b32 off, v105, off offset:156
	v_cmpx_lt_u32_e32 38, v0
	s_cbranch_execz .LBB114_237
; %bb.236:
	scratch_load_b32 v105, off, off offset:152
	scratch_store_b32 off, v2, off offset:152
	s_waitcnt vmcnt(0)
	ds_store_b32 v1, v105
.LBB114_237:
	s_or_b32 exec_lo, exec_lo, s0
	s_waitcnt lgkmcnt(0)
	s_waitcnt_vscnt null, 0x0
	s_barrier
	buffer_gl0_inv
	s_clause 0x3
	scratch_load_b128 v[105:108], off, off offset:152
	scratch_load_b128 v[109:112], off, off offset:168
	;; [unrolled: 1-line block ×3, first 2 shown]
	scratch_load_b32 v125, off, off offset:200
	ds_load_2addr_b32 v[117:118], v2 offset0:91 offset1:92
	ds_load_2addr_b32 v[119:120], v2 offset0:93 offset1:94
	;; [unrolled: 1-line block ×4, first 2 shown]
	s_mov_b32 s0, exec_lo
	s_waitcnt vmcnt(3) lgkmcnt(3)
	v_fma_f32 v117, v106, v117, 0
	s_delay_alu instid0(VALU_DEP_1) | instskip(SKIP_4) | instid1(VALU_DEP_1)
	v_fmac_f32_e32 v117, v107, v118
	ds_load_2addr_b32 v[106:107], v2 offset0:99 offset1:100
	s_waitcnt lgkmcnt(3)
	v_fmac_f32_e32 v117, v108, v119
	s_waitcnt vmcnt(2)
	v_fmac_f32_e32 v117, v109, v120
	ds_load_2addr_b32 v[108:109], v2 offset0:101 offset1:102
	s_waitcnt lgkmcnt(3)
	v_fmac_f32_e32 v117, v110, v121
	s_delay_alu instid0(VALU_DEP_1) | instskip(SKIP_1) | instid1(VALU_DEP_1)
	v_fmac_f32_e32 v117, v111, v122
	s_waitcnt lgkmcnt(2)
	v_fmac_f32_e32 v117, v112, v123
	s_waitcnt vmcnt(1)
	s_delay_alu instid0(VALU_DEP_1) | instskip(SKIP_1) | instid1(VALU_DEP_1)
	v_fmac_f32_e32 v117, v113, v124
	s_waitcnt lgkmcnt(1)
	v_fmac_f32_e32 v117, v114, v106
	s_delay_alu instid0(VALU_DEP_1) | instskip(SKIP_1) | instid1(VALU_DEP_1)
	v_fmac_f32_e32 v117, v115, v107
	s_waitcnt lgkmcnt(0)
	v_fmac_f32_e32 v117, v116, v108
	s_waitcnt vmcnt(0)
	s_delay_alu instid0(VALU_DEP_1) | instskip(NEXT) | instid1(VALU_DEP_1)
	v_fmac_f32_e32 v117, v125, v109
	v_sub_f32_e32 v2, v105, v117
	scratch_store_b32 off, v2, off offset:152
	v_cmpx_lt_u32_e32 37, v0
	s_cbranch_execz .LBB114_239
; %bb.238:
	scratch_load_b32 v2, off, off offset:148
	v_mov_b32_e32 v105, 0
	scratch_store_b32 off, v105, off offset:148
	s_waitcnt vmcnt(0)
	ds_store_b32 v1, v2
.LBB114_239:
	s_or_b32 exec_lo, exec_lo, s0
	s_waitcnt lgkmcnt(0)
	s_waitcnt_vscnt null, 0x0
	s_barrier
	buffer_gl0_inv
	s_clause 0x3
	scratch_load_b128 v[105:108], off, off offset:148
	scratch_load_b128 v[109:112], off, off offset:164
	;; [unrolled: 1-line block ×3, first 2 shown]
	scratch_load_b64 v[125:126], off, off offset:196
	v_mov_b32_e32 v2, 0
	ds_load_2addr_b64 v[117:120], v2 offset0:45 offset1:46
	ds_load_2addr_b64 v[121:124], v2 offset0:47 offset1:48
	s_mov_b32 s0, exec_lo
	s_waitcnt vmcnt(3) lgkmcnt(1)
	v_fma_f32 v117, v106, v117, 0
	s_delay_alu instid0(VALU_DEP_1) | instskip(NEXT) | instid1(VALU_DEP_1)
	v_fmac_f32_e32 v117, v107, v118
	v_fmac_f32_e32 v117, v108, v119
	s_waitcnt vmcnt(2)
	s_delay_alu instid0(VALU_DEP_1)
	v_fmac_f32_e32 v117, v109, v120
	ds_load_2addr_b64 v[106:109], v2 offset0:49 offset1:50
	s_waitcnt lgkmcnt(1)
	v_fmac_f32_e32 v117, v110, v121
	ds_load_b32 v110, v2 offset:408
	v_fmac_f32_e32 v117, v111, v122
	s_delay_alu instid0(VALU_DEP_1) | instskip(SKIP_1) | instid1(VALU_DEP_1)
	v_fmac_f32_e32 v117, v112, v123
	s_waitcnt vmcnt(1)
	v_fmac_f32_e32 v117, v113, v124
	s_waitcnt lgkmcnt(1)
	s_delay_alu instid0(VALU_DEP_1) | instskip(NEXT) | instid1(VALU_DEP_1)
	v_fmac_f32_e32 v117, v114, v106
	v_fmac_f32_e32 v117, v115, v107
	s_delay_alu instid0(VALU_DEP_1) | instskip(SKIP_1) | instid1(VALU_DEP_1)
	v_fmac_f32_e32 v117, v116, v108
	s_waitcnt vmcnt(0)
	v_fmac_f32_e32 v117, v125, v109
	s_waitcnt lgkmcnt(0)
	s_delay_alu instid0(VALU_DEP_1) | instskip(NEXT) | instid1(VALU_DEP_1)
	v_fmac_f32_e32 v117, v126, v110
	v_sub_f32_e32 v105, v105, v117
	scratch_store_b32 off, v105, off offset:148
	v_cmpx_lt_u32_e32 36, v0
	s_cbranch_execz .LBB114_241
; %bb.240:
	scratch_load_b32 v105, off, off offset:144
	scratch_store_b32 off, v2, off offset:144
	s_waitcnt vmcnt(0)
	ds_store_b32 v1, v105
.LBB114_241:
	s_or_b32 exec_lo, exec_lo, s0
	s_waitcnt lgkmcnt(0)
	s_waitcnt_vscnt null, 0x0
	s_barrier
	buffer_gl0_inv
	s_clause 0x3
	scratch_load_b128 v[105:108], off, off offset:144
	scratch_load_b128 v[109:112], off, off offset:160
	;; [unrolled: 1-line block ×3, first 2 shown]
	scratch_load_b96 v[117:119], off, off offset:192
	ds_load_2addr_b32 v[120:121], v2 offset0:89 offset1:90
	ds_load_2addr_b32 v[122:123], v2 offset0:91 offset1:92
	;; [unrolled: 1-line block ×4, first 2 shown]
	s_mov_b32 s0, exec_lo
	s_waitcnt vmcnt(3) lgkmcnt(3)
	v_fma_f32 v120, v106, v120, 0
	s_delay_alu instid0(VALU_DEP_1) | instskip(SKIP_4) | instid1(VALU_DEP_1)
	v_fmac_f32_e32 v120, v107, v121
	ds_load_2addr_b32 v[106:107], v2 offset0:97 offset1:98
	s_waitcnt lgkmcnt(3)
	v_fmac_f32_e32 v120, v108, v122
	s_waitcnt vmcnt(2)
	v_fmac_f32_e32 v120, v109, v123
	ds_load_2addr_b32 v[108:109], v2 offset0:99 offset1:100
	s_waitcnt lgkmcnt(3)
	v_fmac_f32_e32 v120, v110, v124
	s_delay_alu instid0(VALU_DEP_1) | instskip(SKIP_4) | instid1(VALU_DEP_1)
	v_fmac_f32_e32 v120, v111, v125
	ds_load_2addr_b32 v[110:111], v2 offset0:101 offset1:102
	s_waitcnt lgkmcnt(3)
	v_fmac_f32_e32 v120, v112, v126
	s_waitcnt vmcnt(1)
	v_fmac_f32_e32 v120, v113, v127
	s_waitcnt lgkmcnt(2)
	s_delay_alu instid0(VALU_DEP_1) | instskip(NEXT) | instid1(VALU_DEP_1)
	v_fmac_f32_e32 v120, v114, v106
	v_fmac_f32_e32 v120, v115, v107
	s_waitcnt lgkmcnt(1)
	s_delay_alu instid0(VALU_DEP_1) | instskip(SKIP_1) | instid1(VALU_DEP_1)
	v_fmac_f32_e32 v120, v116, v108
	s_waitcnt vmcnt(0)
	v_fmac_f32_e32 v120, v117, v109
	s_waitcnt lgkmcnt(0)
	s_delay_alu instid0(VALU_DEP_1) | instskip(NEXT) | instid1(VALU_DEP_1)
	v_fmac_f32_e32 v120, v118, v110
	v_fmac_f32_e32 v120, v119, v111
	s_delay_alu instid0(VALU_DEP_1)
	v_sub_f32_e32 v2, v105, v120
	scratch_store_b32 off, v2, off offset:144
	v_cmpx_lt_u32_e32 35, v0
	s_cbranch_execz .LBB114_243
; %bb.242:
	scratch_load_b32 v2, off, off offset:140
	v_mov_b32_e32 v105, 0
	scratch_store_b32 off, v105, off offset:140
	s_waitcnt vmcnt(0)
	ds_store_b32 v1, v2
.LBB114_243:
	s_or_b32 exec_lo, exec_lo, s0
	s_waitcnt lgkmcnt(0)
	s_waitcnt_vscnt null, 0x0
	s_barrier
	buffer_gl0_inv
	s_clause 0x3
	scratch_load_b128 v[105:108], off, off offset:140
	scratch_load_b128 v[109:112], off, off offset:156
	;; [unrolled: 1-line block ×4, first 2 shown]
	v_mov_b32_e32 v2, 0
	ds_load_b128 v[121:124], v2 offset:352
	ds_load_b128 v[125:128], v2 offset:368
	s_mov_b32 s0, exec_lo
	s_waitcnt vmcnt(3) lgkmcnt(1)
	v_fma_f32 v121, v106, v121, 0
	s_delay_alu instid0(VALU_DEP_1) | instskip(NEXT) | instid1(VALU_DEP_1)
	v_fmac_f32_e32 v121, v107, v122
	v_fmac_f32_e32 v121, v108, v123
	s_waitcnt vmcnt(2)
	s_delay_alu instid0(VALU_DEP_1) | instskip(SKIP_3) | instid1(VALU_DEP_1)
	v_fmac_f32_e32 v121, v109, v124
	ds_load_b128 v[106:109], v2 offset:384
	s_waitcnt lgkmcnt(1)
	v_fmac_f32_e32 v121, v110, v125
	v_fmac_f32_e32 v121, v111, v126
	s_delay_alu instid0(VALU_DEP_1) | instskip(SKIP_4) | instid1(VALU_DEP_1)
	v_fmac_f32_e32 v121, v112, v127
	ds_load_b96 v[110:112], v2 offset:400
	s_waitcnt vmcnt(1)
	v_fmac_f32_e32 v121, v113, v128
	s_waitcnt lgkmcnt(1)
	v_fmac_f32_e32 v121, v114, v106
	s_delay_alu instid0(VALU_DEP_1) | instskip(NEXT) | instid1(VALU_DEP_1)
	v_fmac_f32_e32 v121, v115, v107
	v_fmac_f32_e32 v121, v116, v108
	s_waitcnt vmcnt(0)
	s_delay_alu instid0(VALU_DEP_1) | instskip(SKIP_1) | instid1(VALU_DEP_1)
	v_fmac_f32_e32 v121, v117, v109
	s_waitcnt lgkmcnt(0)
	v_fmac_f32_e32 v121, v118, v110
	s_delay_alu instid0(VALU_DEP_1) | instskip(NEXT) | instid1(VALU_DEP_1)
	v_fmac_f32_e32 v121, v119, v111
	v_fmac_f32_e32 v121, v120, v112
	s_delay_alu instid0(VALU_DEP_1)
	v_sub_f32_e32 v105, v105, v121
	scratch_store_b32 off, v105, off offset:140
	v_cmpx_lt_u32_e32 34, v0
	s_cbranch_execz .LBB114_245
; %bb.244:
	scratch_load_b32 v105, off, off offset:136
	scratch_store_b32 off, v2, off offset:136
	s_waitcnt vmcnt(0)
	ds_store_b32 v1, v105
.LBB114_245:
	s_or_b32 exec_lo, exec_lo, s0
	s_waitcnt lgkmcnt(0)
	s_waitcnt_vscnt null, 0x0
	s_barrier
	buffer_gl0_inv
	s_clause 0x4
	scratch_load_b128 v[105:108], off, off offset:136
	scratch_load_b128 v[109:112], off, off offset:152
	;; [unrolled: 1-line block ×4, first 2 shown]
	scratch_load_b32 v129, off, off offset:200
	ds_load_2addr_b32 v[121:122], v2 offset0:87 offset1:88
	ds_load_2addr_b32 v[123:124], v2 offset0:89 offset1:90
	;; [unrolled: 1-line block ×4, first 2 shown]
	s_mov_b32 s0, exec_lo
	s_waitcnt vmcnt(4) lgkmcnt(3)
	v_fma_f32 v121, v106, v121, 0
	s_delay_alu instid0(VALU_DEP_1) | instskip(SKIP_4) | instid1(VALU_DEP_1)
	v_fmac_f32_e32 v121, v107, v122
	ds_load_2addr_b32 v[106:107], v2 offset0:95 offset1:96
	s_waitcnt lgkmcnt(3)
	v_fmac_f32_e32 v121, v108, v123
	s_waitcnt vmcnt(3)
	v_fmac_f32_e32 v121, v109, v124
	ds_load_2addr_b32 v[108:109], v2 offset0:97 offset1:98
	s_waitcnt lgkmcnt(3)
	v_fmac_f32_e32 v121, v110, v125
	s_delay_alu instid0(VALU_DEP_1) | instskip(SKIP_1) | instid1(VALU_DEP_1)
	v_fmac_f32_e32 v121, v111, v126
	s_waitcnt lgkmcnt(2)
	v_fmac_f32_e32 v121, v112, v127
	s_waitcnt vmcnt(2)
	s_delay_alu instid0(VALU_DEP_1) | instskip(SKIP_4) | instid1(VALU_DEP_1)
	v_fmac_f32_e32 v121, v113, v128
	ds_load_2addr_b32 v[110:111], v2 offset0:99 offset1:100
	ds_load_2addr_b32 v[112:113], v2 offset0:101 offset1:102
	s_waitcnt lgkmcnt(3)
	v_fmac_f32_e32 v121, v114, v106
	v_fmac_f32_e32 v121, v115, v107
	s_waitcnt lgkmcnt(2)
	s_delay_alu instid0(VALU_DEP_1) | instskip(SKIP_1) | instid1(VALU_DEP_1)
	v_fmac_f32_e32 v121, v116, v108
	s_waitcnt vmcnt(1)
	v_fmac_f32_e32 v121, v117, v109
	s_waitcnt lgkmcnt(1)
	s_delay_alu instid0(VALU_DEP_1) | instskip(NEXT) | instid1(VALU_DEP_1)
	v_fmac_f32_e32 v121, v118, v110
	v_fmac_f32_e32 v121, v119, v111
	s_waitcnt lgkmcnt(0)
	s_delay_alu instid0(VALU_DEP_1) | instskip(SKIP_1) | instid1(VALU_DEP_1)
	v_fmac_f32_e32 v121, v120, v112
	s_waitcnt vmcnt(0)
	v_fmac_f32_e32 v121, v129, v113
	s_delay_alu instid0(VALU_DEP_1)
	v_sub_f32_e32 v2, v105, v121
	scratch_store_b32 off, v2, off offset:136
	v_cmpx_lt_u32_e32 33, v0
	s_cbranch_execz .LBB114_247
; %bb.246:
	scratch_load_b32 v2, off, off offset:132
	v_mov_b32_e32 v105, 0
	scratch_store_b32 off, v105, off offset:132
	s_waitcnt vmcnt(0)
	ds_store_b32 v1, v2
.LBB114_247:
	s_or_b32 exec_lo, exec_lo, s0
	s_waitcnt lgkmcnt(0)
	s_waitcnt_vscnt null, 0x0
	s_barrier
	buffer_gl0_inv
	s_clause 0x4
	scratch_load_b128 v[105:108], off, off offset:132
	scratch_load_b128 v[109:112], off, off offset:148
	;; [unrolled: 1-line block ×4, first 2 shown]
	scratch_load_b64 v[129:130], off, off offset:196
	v_mov_b32_e32 v2, 0
	ds_load_2addr_b64 v[121:124], v2 offset0:43 offset1:44
	ds_load_2addr_b64 v[125:128], v2 offset0:45 offset1:46
	s_mov_b32 s0, exec_lo
	s_waitcnt vmcnt(4) lgkmcnt(1)
	v_fma_f32 v121, v106, v121, 0
	s_delay_alu instid0(VALU_DEP_1) | instskip(NEXT) | instid1(VALU_DEP_1)
	v_fmac_f32_e32 v121, v107, v122
	v_fmac_f32_e32 v121, v108, v123
	s_waitcnt vmcnt(3)
	s_delay_alu instid0(VALU_DEP_1) | instskip(SKIP_3) | instid1(VALU_DEP_1)
	v_fmac_f32_e32 v121, v109, v124
	ds_load_2addr_b64 v[106:109], v2 offset0:47 offset1:48
	s_waitcnt lgkmcnt(1)
	v_fmac_f32_e32 v121, v110, v125
	v_fmac_f32_e32 v121, v111, v126
	s_delay_alu instid0(VALU_DEP_1) | instskip(SKIP_1) | instid1(VALU_DEP_1)
	v_fmac_f32_e32 v121, v112, v127
	s_waitcnt vmcnt(2)
	v_fmac_f32_e32 v121, v113, v128
	ds_load_2addr_b64 v[110:113], v2 offset0:49 offset1:50
	s_waitcnt lgkmcnt(1)
	v_fmac_f32_e32 v121, v114, v106
	ds_load_b32 v106, v2 offset:408
	v_fmac_f32_e32 v121, v115, v107
	s_delay_alu instid0(VALU_DEP_1) | instskip(SKIP_1) | instid1(VALU_DEP_1)
	v_fmac_f32_e32 v121, v116, v108
	s_waitcnt vmcnt(1)
	v_fmac_f32_e32 v121, v117, v109
	s_waitcnt lgkmcnt(1)
	s_delay_alu instid0(VALU_DEP_1) | instskip(NEXT) | instid1(VALU_DEP_1)
	v_fmac_f32_e32 v121, v118, v110
	v_fmac_f32_e32 v121, v119, v111
	s_delay_alu instid0(VALU_DEP_1) | instskip(SKIP_1) | instid1(VALU_DEP_1)
	v_fmac_f32_e32 v121, v120, v112
	s_waitcnt vmcnt(0)
	v_fmac_f32_e32 v121, v129, v113
	s_waitcnt lgkmcnt(0)
	s_delay_alu instid0(VALU_DEP_1) | instskip(NEXT) | instid1(VALU_DEP_1)
	v_fmac_f32_e32 v121, v130, v106
	v_sub_f32_e32 v105, v105, v121
	scratch_store_b32 off, v105, off offset:132
	v_cmpx_lt_u32_e32 32, v0
	s_cbranch_execz .LBB114_249
; %bb.248:
	scratch_load_b32 v105, off, off offset:128
	scratch_store_b32 off, v2, off offset:128
	s_waitcnt vmcnt(0)
	ds_store_b32 v1, v105
.LBB114_249:
	s_or_b32 exec_lo, exec_lo, s0
	s_waitcnt lgkmcnt(0)
	s_waitcnt_vscnt null, 0x0
	s_barrier
	buffer_gl0_inv
	s_clause 0x4
	scratch_load_b128 v[105:108], off, off offset:128
	scratch_load_b128 v[109:112], off, off offset:144
	;; [unrolled: 1-line block ×4, first 2 shown]
	scratch_load_b96 v[121:123], off, off offset:192
	ds_load_2addr_b32 v[124:125], v2 offset0:85 offset1:86
	ds_load_2addr_b32 v[126:127], v2 offset0:87 offset1:88
	;; [unrolled: 1-line block ×4, first 2 shown]
	s_mov_b32 s0, exec_lo
	s_waitcnt vmcnt(4) lgkmcnt(3)
	v_fma_f32 v124, v106, v124, 0
	s_delay_alu instid0(VALU_DEP_1) | instskip(SKIP_4) | instid1(VALU_DEP_1)
	v_fmac_f32_e32 v124, v107, v125
	ds_load_2addr_b32 v[106:107], v2 offset0:93 offset1:94
	s_waitcnt lgkmcnt(3)
	v_fmac_f32_e32 v124, v108, v126
	s_waitcnt vmcnt(3)
	v_fmac_f32_e32 v124, v109, v127
	ds_load_2addr_b32 v[108:109], v2 offset0:95 offset1:96
	s_waitcnt lgkmcnt(3)
	v_fmac_f32_e32 v124, v110, v128
	s_delay_alu instid0(VALU_DEP_1) | instskip(SKIP_1) | instid1(VALU_DEP_1)
	v_fmac_f32_e32 v124, v111, v129
	s_waitcnt lgkmcnt(2)
	v_fmac_f32_e32 v124, v112, v130
	s_waitcnt vmcnt(2)
	s_delay_alu instid0(VALU_DEP_1) | instskip(SKIP_4) | instid1(VALU_DEP_1)
	v_fmac_f32_e32 v124, v113, v131
	ds_load_2addr_b32 v[110:111], v2 offset0:97 offset1:98
	ds_load_2addr_b32 v[112:113], v2 offset0:99 offset1:100
	s_waitcnt lgkmcnt(3)
	v_fmac_f32_e32 v124, v114, v106
	v_fmac_f32_e32 v124, v115, v107
	ds_load_2addr_b32 v[106:107], v2 offset0:101 offset1:102
	s_waitcnt lgkmcnt(3)
	v_fmac_f32_e32 v124, v116, v108
	s_waitcnt vmcnt(1)
	s_delay_alu instid0(VALU_DEP_1) | instskip(SKIP_1) | instid1(VALU_DEP_1)
	v_fmac_f32_e32 v124, v117, v109
	s_waitcnt lgkmcnt(2)
	v_fmac_f32_e32 v124, v118, v110
	s_delay_alu instid0(VALU_DEP_1) | instskip(SKIP_1) | instid1(VALU_DEP_1)
	v_fmac_f32_e32 v124, v119, v111
	s_waitcnt lgkmcnt(1)
	v_fmac_f32_e32 v124, v120, v112
	s_waitcnt vmcnt(0)
	s_delay_alu instid0(VALU_DEP_1) | instskip(SKIP_1) | instid1(VALU_DEP_1)
	v_fmac_f32_e32 v124, v121, v113
	s_waitcnt lgkmcnt(0)
	v_fmac_f32_e32 v124, v122, v106
	s_delay_alu instid0(VALU_DEP_1) | instskip(NEXT) | instid1(VALU_DEP_1)
	v_fmac_f32_e32 v124, v123, v107
	v_sub_f32_e32 v2, v105, v124
	scratch_store_b32 off, v2, off offset:128
	v_cmpx_lt_u32_e32 31, v0
	s_cbranch_execz .LBB114_251
; %bb.250:
	scratch_load_b32 v2, off, off offset:124
	v_mov_b32_e32 v105, 0
	scratch_store_b32 off, v105, off offset:124
	s_waitcnt vmcnt(0)
	ds_store_b32 v1, v2
.LBB114_251:
	s_or_b32 exec_lo, exec_lo, s0
	s_waitcnt lgkmcnt(0)
	s_waitcnt_vscnt null, 0x0
	s_barrier
	buffer_gl0_inv
	s_clause 0x4
	scratch_load_b128 v[105:108], off, off offset:124
	scratch_load_b128 v[109:112], off, off offset:140
	;; [unrolled: 1-line block ×5, first 2 shown]
	v_mov_b32_e32 v2, 0
	ds_load_b128 v[125:128], v2 offset:336
	ds_load_b128 v[129:132], v2 offset:352
	s_mov_b32 s0, exec_lo
	s_waitcnt vmcnt(4) lgkmcnt(1)
	v_fma_f32 v125, v106, v125, 0
	s_delay_alu instid0(VALU_DEP_1) | instskip(NEXT) | instid1(VALU_DEP_1)
	v_fmac_f32_e32 v125, v107, v126
	v_fmac_f32_e32 v125, v108, v127
	s_waitcnt vmcnt(3)
	s_delay_alu instid0(VALU_DEP_1) | instskip(SKIP_3) | instid1(VALU_DEP_1)
	v_fmac_f32_e32 v125, v109, v128
	ds_load_b128 v[106:109], v2 offset:368
	s_waitcnt lgkmcnt(1)
	v_fmac_f32_e32 v125, v110, v129
	v_fmac_f32_e32 v125, v111, v130
	s_delay_alu instid0(VALU_DEP_1) | instskip(SKIP_1) | instid1(VALU_DEP_1)
	v_fmac_f32_e32 v125, v112, v131
	s_waitcnt vmcnt(2)
	v_fmac_f32_e32 v125, v113, v132
	ds_load_b128 v[110:113], v2 offset:384
	s_waitcnt lgkmcnt(1)
	v_fmac_f32_e32 v125, v114, v106
	s_delay_alu instid0(VALU_DEP_1) | instskip(NEXT) | instid1(VALU_DEP_1)
	v_fmac_f32_e32 v125, v115, v107
	v_fmac_f32_e32 v125, v116, v108
	ds_load_b96 v[106:108], v2 offset:400
	s_waitcnt vmcnt(1)
	v_fmac_f32_e32 v125, v117, v109
	s_waitcnt lgkmcnt(1)
	s_delay_alu instid0(VALU_DEP_1) | instskip(NEXT) | instid1(VALU_DEP_1)
	v_fmac_f32_e32 v125, v118, v110
	v_fmac_f32_e32 v125, v119, v111
	s_delay_alu instid0(VALU_DEP_1) | instskip(SKIP_1) | instid1(VALU_DEP_1)
	v_fmac_f32_e32 v125, v120, v112
	s_waitcnt vmcnt(0)
	v_fmac_f32_e32 v125, v121, v113
	s_waitcnt lgkmcnt(0)
	s_delay_alu instid0(VALU_DEP_1) | instskip(NEXT) | instid1(VALU_DEP_1)
	v_fmac_f32_e32 v125, v122, v106
	v_fmac_f32_e32 v125, v123, v107
	s_delay_alu instid0(VALU_DEP_1) | instskip(NEXT) | instid1(VALU_DEP_1)
	v_fmac_f32_e32 v125, v124, v108
	v_sub_f32_e32 v105, v105, v125
	scratch_store_b32 off, v105, off offset:124
	v_cmpx_lt_u32_e32 30, v0
	s_cbranch_execz .LBB114_253
; %bb.252:
	scratch_load_b32 v105, off, off offset:120
	scratch_store_b32 off, v2, off offset:120
	s_waitcnt vmcnt(0)
	ds_store_b32 v1, v105
.LBB114_253:
	s_or_b32 exec_lo, exec_lo, s0
	s_waitcnt lgkmcnt(0)
	s_waitcnt_vscnt null, 0x0
	s_barrier
	buffer_gl0_inv
	s_clause 0x5
	scratch_load_b128 v[105:108], off, off offset:120
	scratch_load_b128 v[109:112], off, off offset:136
	;; [unrolled: 1-line block ×5, first 2 shown]
	scratch_load_b32 v133, off, off offset:200
	ds_load_2addr_b32 v[125:126], v2 offset0:83 offset1:84
	ds_load_2addr_b32 v[127:128], v2 offset0:85 offset1:86
	;; [unrolled: 1-line block ×4, first 2 shown]
	s_mov_b32 s0, exec_lo
	s_waitcnt vmcnt(5) lgkmcnt(3)
	v_fma_f32 v125, v106, v125, 0
	s_delay_alu instid0(VALU_DEP_1) | instskip(SKIP_4) | instid1(VALU_DEP_1)
	v_fmac_f32_e32 v125, v107, v126
	ds_load_2addr_b32 v[106:107], v2 offset0:91 offset1:92
	s_waitcnt lgkmcnt(3)
	v_fmac_f32_e32 v125, v108, v127
	s_waitcnt vmcnt(4)
	v_fmac_f32_e32 v125, v109, v128
	ds_load_2addr_b32 v[108:109], v2 offset0:93 offset1:94
	s_waitcnt lgkmcnt(3)
	v_fmac_f32_e32 v125, v110, v129
	s_delay_alu instid0(VALU_DEP_1) | instskip(SKIP_1) | instid1(VALU_DEP_1)
	v_fmac_f32_e32 v125, v111, v130
	s_waitcnt lgkmcnt(2)
	v_fmac_f32_e32 v125, v112, v131
	s_waitcnt vmcnt(3)
	s_delay_alu instid0(VALU_DEP_1) | instskip(SKIP_4) | instid1(VALU_DEP_1)
	v_fmac_f32_e32 v125, v113, v132
	ds_load_2addr_b32 v[110:111], v2 offset0:95 offset1:96
	ds_load_2addr_b32 v[112:113], v2 offset0:97 offset1:98
	s_waitcnt lgkmcnt(3)
	v_fmac_f32_e32 v125, v114, v106
	v_fmac_f32_e32 v125, v115, v107
	ds_load_2addr_b32 v[106:107], v2 offset0:99 offset1:100
	s_waitcnt lgkmcnt(3)
	v_fmac_f32_e32 v125, v116, v108
	s_waitcnt vmcnt(2)
	s_delay_alu instid0(VALU_DEP_1) | instskip(SKIP_3) | instid1(VALU_DEP_1)
	v_fmac_f32_e32 v125, v117, v109
	ds_load_2addr_b32 v[108:109], v2 offset0:101 offset1:102
	s_waitcnt lgkmcnt(3)
	v_fmac_f32_e32 v125, v118, v110
	v_fmac_f32_e32 v125, v119, v111
	s_waitcnt lgkmcnt(2)
	s_delay_alu instid0(VALU_DEP_1) | instskip(SKIP_1) | instid1(VALU_DEP_1)
	v_fmac_f32_e32 v125, v120, v112
	s_waitcnt vmcnt(1)
	v_fmac_f32_e32 v125, v121, v113
	s_waitcnt lgkmcnt(1)
	s_delay_alu instid0(VALU_DEP_1) | instskip(NEXT) | instid1(VALU_DEP_1)
	v_fmac_f32_e32 v125, v122, v106
	v_fmac_f32_e32 v125, v123, v107
	s_waitcnt lgkmcnt(0)
	s_delay_alu instid0(VALU_DEP_1) | instskip(SKIP_1) | instid1(VALU_DEP_1)
	v_fmac_f32_e32 v125, v124, v108
	s_waitcnt vmcnt(0)
	v_fmac_f32_e32 v125, v133, v109
	s_delay_alu instid0(VALU_DEP_1)
	v_sub_f32_e32 v2, v105, v125
	scratch_store_b32 off, v2, off offset:120
	v_cmpx_lt_u32_e32 29, v0
	s_cbranch_execz .LBB114_255
; %bb.254:
	scratch_load_b32 v2, off, off offset:116
	v_mov_b32_e32 v105, 0
	scratch_store_b32 off, v105, off offset:116
	s_waitcnt vmcnt(0)
	ds_store_b32 v1, v2
.LBB114_255:
	s_or_b32 exec_lo, exec_lo, s0
	s_waitcnt lgkmcnt(0)
	s_waitcnt_vscnt null, 0x0
	s_barrier
	buffer_gl0_inv
	s_clause 0x5
	scratch_load_b128 v[105:108], off, off offset:116
	scratch_load_b128 v[109:112], off, off offset:132
	;; [unrolled: 1-line block ×5, first 2 shown]
	scratch_load_b64 v[133:134], off, off offset:196
	v_mov_b32_e32 v2, 0
	ds_load_2addr_b64 v[125:128], v2 offset0:41 offset1:42
	ds_load_2addr_b64 v[129:132], v2 offset0:43 offset1:44
	s_mov_b32 s0, exec_lo
	s_waitcnt vmcnt(5) lgkmcnt(1)
	v_fma_f32 v125, v106, v125, 0
	s_delay_alu instid0(VALU_DEP_1) | instskip(NEXT) | instid1(VALU_DEP_1)
	v_fmac_f32_e32 v125, v107, v126
	v_fmac_f32_e32 v125, v108, v127
	s_waitcnt vmcnt(4)
	s_delay_alu instid0(VALU_DEP_1) | instskip(SKIP_3) | instid1(VALU_DEP_1)
	v_fmac_f32_e32 v125, v109, v128
	ds_load_2addr_b64 v[106:109], v2 offset0:45 offset1:46
	s_waitcnt lgkmcnt(1)
	v_fmac_f32_e32 v125, v110, v129
	v_fmac_f32_e32 v125, v111, v130
	s_delay_alu instid0(VALU_DEP_1) | instskip(SKIP_1) | instid1(VALU_DEP_1)
	v_fmac_f32_e32 v125, v112, v131
	s_waitcnt vmcnt(3)
	v_fmac_f32_e32 v125, v113, v132
	ds_load_2addr_b64 v[110:113], v2 offset0:47 offset1:48
	s_waitcnt lgkmcnt(1)
	v_fmac_f32_e32 v125, v114, v106
	s_delay_alu instid0(VALU_DEP_1) | instskip(NEXT) | instid1(VALU_DEP_1)
	v_fmac_f32_e32 v125, v115, v107
	v_fmac_f32_e32 v125, v116, v108
	s_waitcnt vmcnt(2)
	s_delay_alu instid0(VALU_DEP_1)
	v_fmac_f32_e32 v125, v117, v109
	ds_load_2addr_b64 v[106:109], v2 offset0:49 offset1:50
	s_waitcnt lgkmcnt(1)
	v_fmac_f32_e32 v125, v118, v110
	ds_load_b32 v110, v2 offset:408
	v_fmac_f32_e32 v125, v119, v111
	s_delay_alu instid0(VALU_DEP_1) | instskip(SKIP_1) | instid1(VALU_DEP_1)
	v_fmac_f32_e32 v125, v120, v112
	s_waitcnt vmcnt(1)
	v_fmac_f32_e32 v125, v121, v113
	s_waitcnt lgkmcnt(1)
	s_delay_alu instid0(VALU_DEP_1) | instskip(NEXT) | instid1(VALU_DEP_1)
	v_fmac_f32_e32 v125, v122, v106
	v_fmac_f32_e32 v125, v123, v107
	s_delay_alu instid0(VALU_DEP_1) | instskip(SKIP_1) | instid1(VALU_DEP_1)
	v_fmac_f32_e32 v125, v124, v108
	s_waitcnt vmcnt(0)
	v_fmac_f32_e32 v125, v133, v109
	s_waitcnt lgkmcnt(0)
	s_delay_alu instid0(VALU_DEP_1) | instskip(NEXT) | instid1(VALU_DEP_1)
	v_fmac_f32_e32 v125, v134, v110
	v_sub_f32_e32 v105, v105, v125
	scratch_store_b32 off, v105, off offset:116
	v_cmpx_lt_u32_e32 28, v0
	s_cbranch_execz .LBB114_257
; %bb.256:
	scratch_load_b32 v105, off, off offset:112
	scratch_store_b32 off, v2, off offset:112
	s_waitcnt vmcnt(0)
	ds_store_b32 v1, v105
.LBB114_257:
	s_or_b32 exec_lo, exec_lo, s0
	s_waitcnt lgkmcnt(0)
	s_waitcnt_vscnt null, 0x0
	s_barrier
	buffer_gl0_inv
	s_clause 0x5
	scratch_load_b128 v[105:108], off, off offset:112
	scratch_load_b128 v[109:112], off, off offset:128
	;; [unrolled: 1-line block ×5, first 2 shown]
	scratch_load_b96 v[125:127], off, off offset:192
	ds_load_2addr_b32 v[128:129], v2 offset0:81 offset1:82
	ds_load_2addr_b32 v[130:131], v2 offset0:83 offset1:84
	;; [unrolled: 1-line block ×4, first 2 shown]
	s_mov_b32 s0, exec_lo
	s_waitcnt vmcnt(5) lgkmcnt(3)
	v_fma_f32 v128, v106, v128, 0
	s_delay_alu instid0(VALU_DEP_1) | instskip(SKIP_4) | instid1(VALU_DEP_1)
	v_fmac_f32_e32 v128, v107, v129
	ds_load_2addr_b32 v[106:107], v2 offset0:89 offset1:90
	s_waitcnt lgkmcnt(3)
	v_fmac_f32_e32 v128, v108, v130
	s_waitcnt vmcnt(4)
	v_fmac_f32_e32 v128, v109, v131
	ds_load_2addr_b32 v[108:109], v2 offset0:91 offset1:92
	s_waitcnt lgkmcnt(3)
	v_fmac_f32_e32 v128, v110, v132
	s_delay_alu instid0(VALU_DEP_1) | instskip(SKIP_1) | instid1(VALU_DEP_1)
	v_fmac_f32_e32 v128, v111, v133
	s_waitcnt lgkmcnt(2)
	v_fmac_f32_e32 v128, v112, v134
	s_waitcnt vmcnt(3)
	s_delay_alu instid0(VALU_DEP_1) | instskip(SKIP_4) | instid1(VALU_DEP_1)
	v_fmac_f32_e32 v128, v113, v135
	ds_load_2addr_b32 v[110:111], v2 offset0:93 offset1:94
	ds_load_2addr_b32 v[112:113], v2 offset0:95 offset1:96
	s_waitcnt lgkmcnt(3)
	v_fmac_f32_e32 v128, v114, v106
	v_fmac_f32_e32 v128, v115, v107
	ds_load_2addr_b32 v[106:107], v2 offset0:97 offset1:98
	s_waitcnt lgkmcnt(3)
	v_fmac_f32_e32 v128, v116, v108
	s_waitcnt vmcnt(2)
	s_delay_alu instid0(VALU_DEP_1) | instskip(SKIP_3) | instid1(VALU_DEP_1)
	v_fmac_f32_e32 v128, v117, v109
	ds_load_2addr_b32 v[108:109], v2 offset0:99 offset1:100
	s_waitcnt lgkmcnt(3)
	v_fmac_f32_e32 v128, v118, v110
	v_fmac_f32_e32 v128, v119, v111
	ds_load_2addr_b32 v[110:111], v2 offset0:101 offset1:102
	s_waitcnt lgkmcnt(3)
	v_fmac_f32_e32 v128, v120, v112
	s_waitcnt vmcnt(1)
	s_delay_alu instid0(VALU_DEP_1) | instskip(SKIP_1) | instid1(VALU_DEP_1)
	v_fmac_f32_e32 v128, v121, v113
	s_waitcnt lgkmcnt(2)
	v_fmac_f32_e32 v128, v122, v106
	s_delay_alu instid0(VALU_DEP_1) | instskip(SKIP_1) | instid1(VALU_DEP_1)
	v_fmac_f32_e32 v128, v123, v107
	s_waitcnt lgkmcnt(1)
	v_fmac_f32_e32 v128, v124, v108
	s_waitcnt vmcnt(0)
	s_delay_alu instid0(VALU_DEP_1) | instskip(SKIP_1) | instid1(VALU_DEP_1)
	v_fmac_f32_e32 v128, v125, v109
	s_waitcnt lgkmcnt(0)
	v_fmac_f32_e32 v128, v126, v110
	s_delay_alu instid0(VALU_DEP_1) | instskip(NEXT) | instid1(VALU_DEP_1)
	v_fmac_f32_e32 v128, v127, v111
	v_sub_f32_e32 v2, v105, v128
	scratch_store_b32 off, v2, off offset:112
	v_cmpx_lt_u32_e32 27, v0
	s_cbranch_execz .LBB114_259
; %bb.258:
	scratch_load_b32 v2, off, off offset:108
	v_mov_b32_e32 v105, 0
	scratch_store_b32 off, v105, off offset:108
	s_waitcnt vmcnt(0)
	ds_store_b32 v1, v2
.LBB114_259:
	s_or_b32 exec_lo, exec_lo, s0
	s_waitcnt lgkmcnt(0)
	s_waitcnt_vscnt null, 0x0
	s_barrier
	buffer_gl0_inv
	s_clause 0x5
	scratch_load_b128 v[105:108], off, off offset:108
	scratch_load_b128 v[109:112], off, off offset:124
	;; [unrolled: 1-line block ×6, first 2 shown]
	v_mov_b32_e32 v2, 0
	ds_load_b128 v[129:132], v2 offset:320
	ds_load_b128 v[133:136], v2 offset:336
	s_mov_b32 s0, exec_lo
	s_waitcnt vmcnt(5) lgkmcnt(1)
	v_fma_f32 v129, v106, v129, 0
	s_delay_alu instid0(VALU_DEP_1) | instskip(NEXT) | instid1(VALU_DEP_1)
	v_fmac_f32_e32 v129, v107, v130
	v_fmac_f32_e32 v129, v108, v131
	s_waitcnt vmcnt(4)
	s_delay_alu instid0(VALU_DEP_1) | instskip(SKIP_3) | instid1(VALU_DEP_1)
	v_fmac_f32_e32 v129, v109, v132
	ds_load_b128 v[106:109], v2 offset:352
	s_waitcnt lgkmcnt(1)
	v_fmac_f32_e32 v129, v110, v133
	v_fmac_f32_e32 v129, v111, v134
	s_delay_alu instid0(VALU_DEP_1) | instskip(SKIP_1) | instid1(VALU_DEP_1)
	v_fmac_f32_e32 v129, v112, v135
	s_waitcnt vmcnt(3)
	v_fmac_f32_e32 v129, v113, v136
	ds_load_b128 v[110:113], v2 offset:368
	s_waitcnt lgkmcnt(1)
	v_fmac_f32_e32 v129, v114, v106
	s_delay_alu instid0(VALU_DEP_1) | instskip(NEXT) | instid1(VALU_DEP_1)
	v_fmac_f32_e32 v129, v115, v107
	v_fmac_f32_e32 v129, v116, v108
	s_waitcnt vmcnt(2)
	s_delay_alu instid0(VALU_DEP_1) | instskip(SKIP_3) | instid1(VALU_DEP_1)
	v_fmac_f32_e32 v129, v117, v109
	ds_load_b128 v[106:109], v2 offset:384
	s_waitcnt lgkmcnt(1)
	v_fmac_f32_e32 v129, v118, v110
	v_fmac_f32_e32 v129, v119, v111
	s_delay_alu instid0(VALU_DEP_1) | instskip(SKIP_4) | instid1(VALU_DEP_1)
	v_fmac_f32_e32 v129, v120, v112
	ds_load_b96 v[110:112], v2 offset:400
	s_waitcnt vmcnt(1)
	v_fmac_f32_e32 v129, v121, v113
	s_waitcnt lgkmcnt(1)
	v_fmac_f32_e32 v129, v122, v106
	s_delay_alu instid0(VALU_DEP_1) | instskip(NEXT) | instid1(VALU_DEP_1)
	v_fmac_f32_e32 v129, v123, v107
	v_fmac_f32_e32 v129, v124, v108
	s_waitcnt vmcnt(0)
	s_delay_alu instid0(VALU_DEP_1) | instskip(SKIP_1) | instid1(VALU_DEP_1)
	v_fmac_f32_e32 v129, v125, v109
	s_waitcnt lgkmcnt(0)
	v_fmac_f32_e32 v129, v126, v110
	s_delay_alu instid0(VALU_DEP_1) | instskip(NEXT) | instid1(VALU_DEP_1)
	v_fmac_f32_e32 v129, v127, v111
	v_fmac_f32_e32 v129, v128, v112
	s_delay_alu instid0(VALU_DEP_1)
	v_sub_f32_e32 v105, v105, v129
	scratch_store_b32 off, v105, off offset:108
	v_cmpx_lt_u32_e32 26, v0
	s_cbranch_execz .LBB114_261
; %bb.260:
	scratch_load_b32 v105, off, off offset:104
	scratch_store_b32 off, v2, off offset:104
	s_waitcnt vmcnt(0)
	ds_store_b32 v1, v105
.LBB114_261:
	s_or_b32 exec_lo, exec_lo, s0
	s_waitcnt lgkmcnt(0)
	s_waitcnt_vscnt null, 0x0
	s_barrier
	buffer_gl0_inv
	s_clause 0x6
	scratch_load_b128 v[105:108], off, off offset:104
	scratch_load_b128 v[109:112], off, off offset:120
	;; [unrolled: 1-line block ×6, first 2 shown]
	scratch_load_b32 v137, off, off offset:200
	ds_load_2addr_b32 v[129:130], v2 offset0:79 offset1:80
	ds_load_2addr_b32 v[131:132], v2 offset0:81 offset1:82
	;; [unrolled: 1-line block ×4, first 2 shown]
	s_mov_b32 s0, exec_lo
	s_waitcnt vmcnt(6) lgkmcnt(3)
	v_fma_f32 v129, v106, v129, 0
	s_delay_alu instid0(VALU_DEP_1) | instskip(SKIP_4) | instid1(VALU_DEP_1)
	v_fmac_f32_e32 v129, v107, v130
	ds_load_2addr_b32 v[106:107], v2 offset0:87 offset1:88
	s_waitcnt lgkmcnt(3)
	v_fmac_f32_e32 v129, v108, v131
	s_waitcnt vmcnt(5)
	v_fmac_f32_e32 v129, v109, v132
	ds_load_2addr_b32 v[108:109], v2 offset0:89 offset1:90
	s_waitcnt lgkmcnt(3)
	v_fmac_f32_e32 v129, v110, v133
	s_delay_alu instid0(VALU_DEP_1) | instskip(SKIP_1) | instid1(VALU_DEP_1)
	v_fmac_f32_e32 v129, v111, v134
	s_waitcnt lgkmcnt(2)
	v_fmac_f32_e32 v129, v112, v135
	s_waitcnt vmcnt(4)
	s_delay_alu instid0(VALU_DEP_1) | instskip(SKIP_4) | instid1(VALU_DEP_1)
	v_fmac_f32_e32 v129, v113, v136
	ds_load_2addr_b32 v[110:111], v2 offset0:91 offset1:92
	ds_load_2addr_b32 v[112:113], v2 offset0:93 offset1:94
	s_waitcnt lgkmcnt(3)
	v_fmac_f32_e32 v129, v114, v106
	v_fmac_f32_e32 v129, v115, v107
	ds_load_2addr_b32 v[106:107], v2 offset0:95 offset1:96
	s_waitcnt lgkmcnt(3)
	v_fmac_f32_e32 v129, v116, v108
	s_waitcnt vmcnt(3)
	s_delay_alu instid0(VALU_DEP_1) | instskip(SKIP_3) | instid1(VALU_DEP_1)
	v_fmac_f32_e32 v129, v117, v109
	ds_load_2addr_b32 v[108:109], v2 offset0:97 offset1:98
	s_waitcnt lgkmcnt(3)
	v_fmac_f32_e32 v129, v118, v110
	v_fmac_f32_e32 v129, v119, v111
	s_waitcnt lgkmcnt(2)
	s_delay_alu instid0(VALU_DEP_1) | instskip(SKIP_1) | instid1(VALU_DEP_1)
	v_fmac_f32_e32 v129, v120, v112
	s_waitcnt vmcnt(2)
	v_fmac_f32_e32 v129, v121, v113
	ds_load_2addr_b32 v[110:111], v2 offset0:99 offset1:100
	ds_load_2addr_b32 v[112:113], v2 offset0:101 offset1:102
	s_waitcnt lgkmcnt(3)
	v_fmac_f32_e32 v129, v122, v106
	s_delay_alu instid0(VALU_DEP_1) | instskip(SKIP_1) | instid1(VALU_DEP_1)
	v_fmac_f32_e32 v129, v123, v107
	s_waitcnt lgkmcnt(2)
	v_fmac_f32_e32 v129, v124, v108
	s_waitcnt vmcnt(1)
	s_delay_alu instid0(VALU_DEP_1) | instskip(SKIP_1) | instid1(VALU_DEP_1)
	v_fmac_f32_e32 v129, v125, v109
	s_waitcnt lgkmcnt(1)
	v_fmac_f32_e32 v129, v126, v110
	s_delay_alu instid0(VALU_DEP_1) | instskip(SKIP_1) | instid1(VALU_DEP_1)
	v_fmac_f32_e32 v129, v127, v111
	s_waitcnt lgkmcnt(0)
	v_fmac_f32_e32 v129, v128, v112
	s_waitcnt vmcnt(0)
	s_delay_alu instid0(VALU_DEP_1) | instskip(NEXT) | instid1(VALU_DEP_1)
	v_fmac_f32_e32 v129, v137, v113
	v_sub_f32_e32 v2, v105, v129
	scratch_store_b32 off, v2, off offset:104
	v_cmpx_lt_u32_e32 25, v0
	s_cbranch_execz .LBB114_263
; %bb.262:
	scratch_load_b32 v2, off, off offset:100
	v_mov_b32_e32 v105, 0
	scratch_store_b32 off, v105, off offset:100
	s_waitcnt vmcnt(0)
	ds_store_b32 v1, v2
.LBB114_263:
	s_or_b32 exec_lo, exec_lo, s0
	s_waitcnt lgkmcnt(0)
	s_waitcnt_vscnt null, 0x0
	s_barrier
	buffer_gl0_inv
	s_clause 0x6
	scratch_load_b128 v[105:108], off, off offset:100
	scratch_load_b128 v[109:112], off, off offset:116
	;; [unrolled: 1-line block ×6, first 2 shown]
	scratch_load_b64 v[137:138], off, off offset:196
	v_mov_b32_e32 v2, 0
	ds_load_2addr_b64 v[129:132], v2 offset0:39 offset1:40
	ds_load_2addr_b64 v[133:136], v2 offset0:41 offset1:42
	s_mov_b32 s0, exec_lo
	s_waitcnt vmcnt(6) lgkmcnt(1)
	v_fma_f32 v129, v106, v129, 0
	s_delay_alu instid0(VALU_DEP_1) | instskip(NEXT) | instid1(VALU_DEP_1)
	v_fmac_f32_e32 v129, v107, v130
	v_fmac_f32_e32 v129, v108, v131
	s_waitcnt vmcnt(5)
	s_delay_alu instid0(VALU_DEP_1) | instskip(SKIP_3) | instid1(VALU_DEP_1)
	v_fmac_f32_e32 v129, v109, v132
	ds_load_2addr_b64 v[106:109], v2 offset0:43 offset1:44
	s_waitcnt lgkmcnt(1)
	v_fmac_f32_e32 v129, v110, v133
	v_fmac_f32_e32 v129, v111, v134
	s_delay_alu instid0(VALU_DEP_1) | instskip(SKIP_1) | instid1(VALU_DEP_1)
	v_fmac_f32_e32 v129, v112, v135
	s_waitcnt vmcnt(4)
	v_fmac_f32_e32 v129, v113, v136
	ds_load_2addr_b64 v[110:113], v2 offset0:45 offset1:46
	s_waitcnt lgkmcnt(1)
	v_fmac_f32_e32 v129, v114, v106
	s_delay_alu instid0(VALU_DEP_1) | instskip(NEXT) | instid1(VALU_DEP_1)
	v_fmac_f32_e32 v129, v115, v107
	v_fmac_f32_e32 v129, v116, v108
	s_waitcnt vmcnt(3)
	s_delay_alu instid0(VALU_DEP_1) | instskip(SKIP_3) | instid1(VALU_DEP_1)
	v_fmac_f32_e32 v129, v117, v109
	ds_load_2addr_b64 v[106:109], v2 offset0:47 offset1:48
	s_waitcnt lgkmcnt(1)
	v_fmac_f32_e32 v129, v118, v110
	v_fmac_f32_e32 v129, v119, v111
	s_delay_alu instid0(VALU_DEP_1) | instskip(SKIP_1) | instid1(VALU_DEP_1)
	v_fmac_f32_e32 v129, v120, v112
	s_waitcnt vmcnt(2)
	v_fmac_f32_e32 v129, v121, v113
	ds_load_2addr_b64 v[110:113], v2 offset0:49 offset1:50
	s_waitcnt lgkmcnt(1)
	v_fmac_f32_e32 v129, v122, v106
	ds_load_b32 v106, v2 offset:408
	v_fmac_f32_e32 v129, v123, v107
	s_delay_alu instid0(VALU_DEP_1) | instskip(SKIP_1) | instid1(VALU_DEP_1)
	v_fmac_f32_e32 v129, v124, v108
	s_waitcnt vmcnt(1)
	v_fmac_f32_e32 v129, v125, v109
	s_waitcnt lgkmcnt(1)
	s_delay_alu instid0(VALU_DEP_1) | instskip(NEXT) | instid1(VALU_DEP_1)
	v_fmac_f32_e32 v129, v126, v110
	v_fmac_f32_e32 v129, v127, v111
	s_delay_alu instid0(VALU_DEP_1) | instskip(SKIP_1) | instid1(VALU_DEP_1)
	v_fmac_f32_e32 v129, v128, v112
	s_waitcnt vmcnt(0)
	v_fmac_f32_e32 v129, v137, v113
	s_waitcnt lgkmcnt(0)
	s_delay_alu instid0(VALU_DEP_1) | instskip(NEXT) | instid1(VALU_DEP_1)
	v_fmac_f32_e32 v129, v138, v106
	v_sub_f32_e32 v105, v105, v129
	scratch_store_b32 off, v105, off offset:100
	v_cmpx_lt_u32_e32 24, v0
	s_cbranch_execz .LBB114_265
; %bb.264:
	scratch_load_b32 v105, off, off offset:96
	scratch_store_b32 off, v2, off offset:96
	s_waitcnt vmcnt(0)
	ds_store_b32 v1, v105
.LBB114_265:
	s_or_b32 exec_lo, exec_lo, s0
	s_waitcnt lgkmcnt(0)
	s_waitcnt_vscnt null, 0x0
	s_barrier
	buffer_gl0_inv
	s_clause 0x6
	scratch_load_b128 v[105:108], off, off offset:96
	scratch_load_b128 v[109:112], off, off offset:112
	;; [unrolled: 1-line block ×6, first 2 shown]
	scratch_load_b96 v[129:131], off, off offset:192
	ds_load_2addr_b32 v[132:133], v2 offset0:77 offset1:78
	ds_load_2addr_b32 v[134:135], v2 offset0:79 offset1:80
	;; [unrolled: 1-line block ×4, first 2 shown]
	s_mov_b32 s0, exec_lo
	s_waitcnt vmcnt(6) lgkmcnt(3)
	v_fma_f32 v132, v106, v132, 0
	s_delay_alu instid0(VALU_DEP_1) | instskip(SKIP_4) | instid1(VALU_DEP_1)
	v_fmac_f32_e32 v132, v107, v133
	ds_load_2addr_b32 v[106:107], v2 offset0:85 offset1:86
	s_waitcnt lgkmcnt(3)
	v_fmac_f32_e32 v132, v108, v134
	s_waitcnt vmcnt(5)
	v_fmac_f32_e32 v132, v109, v135
	ds_load_2addr_b32 v[108:109], v2 offset0:87 offset1:88
	s_waitcnt lgkmcnt(3)
	v_fmac_f32_e32 v132, v110, v136
	s_delay_alu instid0(VALU_DEP_1) | instskip(SKIP_1) | instid1(VALU_DEP_1)
	v_fmac_f32_e32 v132, v111, v137
	s_waitcnt lgkmcnt(2)
	v_fmac_f32_e32 v132, v112, v138
	s_waitcnt vmcnt(4)
	s_delay_alu instid0(VALU_DEP_1) | instskip(SKIP_4) | instid1(VALU_DEP_1)
	v_fmac_f32_e32 v132, v113, v139
	ds_load_2addr_b32 v[110:111], v2 offset0:89 offset1:90
	ds_load_2addr_b32 v[112:113], v2 offset0:91 offset1:92
	s_waitcnt lgkmcnt(3)
	v_fmac_f32_e32 v132, v114, v106
	v_fmac_f32_e32 v132, v115, v107
	ds_load_2addr_b32 v[106:107], v2 offset0:93 offset1:94
	s_waitcnt lgkmcnt(3)
	v_fmac_f32_e32 v132, v116, v108
	s_waitcnt vmcnt(3)
	s_delay_alu instid0(VALU_DEP_1) | instskip(SKIP_3) | instid1(VALU_DEP_1)
	v_fmac_f32_e32 v132, v117, v109
	ds_load_2addr_b32 v[108:109], v2 offset0:95 offset1:96
	s_waitcnt lgkmcnt(3)
	v_fmac_f32_e32 v132, v118, v110
	v_fmac_f32_e32 v132, v119, v111
	s_waitcnt lgkmcnt(2)
	s_delay_alu instid0(VALU_DEP_1) | instskip(SKIP_1) | instid1(VALU_DEP_1)
	v_fmac_f32_e32 v132, v120, v112
	s_waitcnt vmcnt(2)
	v_fmac_f32_e32 v132, v121, v113
	ds_load_2addr_b32 v[110:111], v2 offset0:97 offset1:98
	ds_load_2addr_b32 v[112:113], v2 offset0:99 offset1:100
	s_waitcnt lgkmcnt(3)
	v_fmac_f32_e32 v132, v122, v106
	s_delay_alu instid0(VALU_DEP_1) | instskip(SKIP_4) | instid1(VALU_DEP_1)
	v_fmac_f32_e32 v132, v123, v107
	ds_load_2addr_b32 v[106:107], v2 offset0:101 offset1:102
	s_waitcnt lgkmcnt(3)
	v_fmac_f32_e32 v132, v124, v108
	s_waitcnt vmcnt(1)
	v_fmac_f32_e32 v132, v125, v109
	s_waitcnt lgkmcnt(2)
	s_delay_alu instid0(VALU_DEP_1) | instskip(NEXT) | instid1(VALU_DEP_1)
	v_fmac_f32_e32 v132, v126, v110
	v_fmac_f32_e32 v132, v127, v111
	s_waitcnt lgkmcnt(1)
	s_delay_alu instid0(VALU_DEP_1) | instskip(SKIP_1) | instid1(VALU_DEP_1)
	v_fmac_f32_e32 v132, v128, v112
	s_waitcnt vmcnt(0)
	v_fmac_f32_e32 v132, v129, v113
	s_waitcnt lgkmcnt(0)
	s_delay_alu instid0(VALU_DEP_1) | instskip(NEXT) | instid1(VALU_DEP_1)
	v_fmac_f32_e32 v132, v130, v106
	v_fmac_f32_e32 v132, v131, v107
	s_delay_alu instid0(VALU_DEP_1)
	v_sub_f32_e32 v2, v105, v132
	scratch_store_b32 off, v2, off offset:96
	v_cmpx_lt_u32_e32 23, v0
	s_cbranch_execz .LBB114_267
; %bb.266:
	scratch_load_b32 v2, off, off offset:92
	v_mov_b32_e32 v105, 0
	scratch_store_b32 off, v105, off offset:92
	s_waitcnt vmcnt(0)
	ds_store_b32 v1, v2
.LBB114_267:
	s_or_b32 exec_lo, exec_lo, s0
	s_waitcnt lgkmcnt(0)
	s_waitcnt_vscnt null, 0x0
	s_barrier
	buffer_gl0_inv
	s_clause 0x6
	scratch_load_b128 v[105:108], off, off offset:92
	scratch_load_b128 v[109:112], off, off offset:108
	;; [unrolled: 1-line block ×7, first 2 shown]
	v_mov_b32_e32 v2, 0
	ds_load_b128 v[133:136], v2 offset:304
	ds_load_b128 v[137:140], v2 offset:320
	s_mov_b32 s0, exec_lo
	s_waitcnt vmcnt(6) lgkmcnt(1)
	v_fma_f32 v133, v106, v133, 0
	s_delay_alu instid0(VALU_DEP_1) | instskip(NEXT) | instid1(VALU_DEP_1)
	v_fmac_f32_e32 v133, v107, v134
	v_fmac_f32_e32 v133, v108, v135
	s_waitcnt vmcnt(5)
	s_delay_alu instid0(VALU_DEP_1) | instskip(SKIP_3) | instid1(VALU_DEP_1)
	v_fmac_f32_e32 v133, v109, v136
	ds_load_b128 v[106:109], v2 offset:336
	s_waitcnt lgkmcnt(1)
	v_fmac_f32_e32 v133, v110, v137
	v_fmac_f32_e32 v133, v111, v138
	s_delay_alu instid0(VALU_DEP_1) | instskip(SKIP_1) | instid1(VALU_DEP_1)
	v_fmac_f32_e32 v133, v112, v139
	s_waitcnt vmcnt(4)
	v_fmac_f32_e32 v133, v113, v140
	ds_load_b128 v[110:113], v2 offset:352
	s_waitcnt lgkmcnt(1)
	v_fmac_f32_e32 v133, v114, v106
	s_delay_alu instid0(VALU_DEP_1) | instskip(NEXT) | instid1(VALU_DEP_1)
	v_fmac_f32_e32 v133, v115, v107
	v_fmac_f32_e32 v133, v116, v108
	s_waitcnt vmcnt(3)
	s_delay_alu instid0(VALU_DEP_1) | instskip(SKIP_3) | instid1(VALU_DEP_1)
	v_fmac_f32_e32 v133, v117, v109
	ds_load_b128 v[106:109], v2 offset:368
	s_waitcnt lgkmcnt(1)
	v_fmac_f32_e32 v133, v118, v110
	v_fmac_f32_e32 v133, v119, v111
	s_delay_alu instid0(VALU_DEP_1) | instskip(SKIP_1) | instid1(VALU_DEP_1)
	v_fmac_f32_e32 v133, v120, v112
	s_waitcnt vmcnt(2)
	v_fmac_f32_e32 v133, v121, v113
	ds_load_b128 v[110:113], v2 offset:384
	s_waitcnt lgkmcnt(1)
	v_fmac_f32_e32 v133, v122, v106
	s_delay_alu instid0(VALU_DEP_1) | instskip(NEXT) | instid1(VALU_DEP_1)
	v_fmac_f32_e32 v133, v123, v107
	v_fmac_f32_e32 v133, v124, v108
	ds_load_b96 v[106:108], v2 offset:400
	s_waitcnt vmcnt(1)
	v_fmac_f32_e32 v133, v125, v109
	s_waitcnt lgkmcnt(1)
	s_delay_alu instid0(VALU_DEP_1) | instskip(NEXT) | instid1(VALU_DEP_1)
	v_fmac_f32_e32 v133, v126, v110
	v_fmac_f32_e32 v133, v127, v111
	s_delay_alu instid0(VALU_DEP_1) | instskip(SKIP_1) | instid1(VALU_DEP_1)
	v_fmac_f32_e32 v133, v128, v112
	s_waitcnt vmcnt(0)
	v_fmac_f32_e32 v133, v129, v113
	s_waitcnt lgkmcnt(0)
	s_delay_alu instid0(VALU_DEP_1) | instskip(NEXT) | instid1(VALU_DEP_1)
	v_fmac_f32_e32 v133, v130, v106
	v_fmac_f32_e32 v133, v131, v107
	s_delay_alu instid0(VALU_DEP_1) | instskip(NEXT) | instid1(VALU_DEP_1)
	v_fmac_f32_e32 v133, v132, v108
	v_sub_f32_e32 v105, v105, v133
	scratch_store_b32 off, v105, off offset:92
	v_cmpx_lt_u32_e32 22, v0
	s_cbranch_execz .LBB114_269
; %bb.268:
	scratch_load_b32 v105, off, off offset:88
	scratch_store_b32 off, v2, off offset:88
	s_waitcnt vmcnt(0)
	ds_store_b32 v1, v105
.LBB114_269:
	s_or_b32 exec_lo, exec_lo, s0
	s_waitcnt lgkmcnt(0)
	s_waitcnt_vscnt null, 0x0
	s_barrier
	buffer_gl0_inv
	s_clause 0x7
	scratch_load_b128 v[105:108], off, off offset:88
	scratch_load_b128 v[109:112], off, off offset:104
	;; [unrolled: 1-line block ×7, first 2 shown]
	scratch_load_b32 v141, off, off offset:200
	ds_load_2addr_b32 v[133:134], v2 offset0:75 offset1:76
	ds_load_2addr_b32 v[135:136], v2 offset0:77 offset1:78
	;; [unrolled: 1-line block ×4, first 2 shown]
	s_mov_b32 s0, exec_lo
	s_waitcnt vmcnt(7) lgkmcnt(3)
	v_fma_f32 v133, v106, v133, 0
	s_delay_alu instid0(VALU_DEP_1) | instskip(SKIP_4) | instid1(VALU_DEP_1)
	v_fmac_f32_e32 v133, v107, v134
	ds_load_2addr_b32 v[106:107], v2 offset0:83 offset1:84
	s_waitcnt lgkmcnt(3)
	v_fmac_f32_e32 v133, v108, v135
	s_waitcnt vmcnt(6)
	v_fmac_f32_e32 v133, v109, v136
	ds_load_2addr_b32 v[108:109], v2 offset0:85 offset1:86
	s_waitcnt lgkmcnt(3)
	v_fmac_f32_e32 v133, v110, v137
	s_delay_alu instid0(VALU_DEP_1) | instskip(SKIP_1) | instid1(VALU_DEP_1)
	v_fmac_f32_e32 v133, v111, v138
	s_waitcnt lgkmcnt(2)
	v_fmac_f32_e32 v133, v112, v139
	s_waitcnt vmcnt(5)
	s_delay_alu instid0(VALU_DEP_1) | instskip(SKIP_4) | instid1(VALU_DEP_1)
	v_fmac_f32_e32 v133, v113, v140
	ds_load_2addr_b32 v[110:111], v2 offset0:87 offset1:88
	ds_load_2addr_b32 v[112:113], v2 offset0:89 offset1:90
	s_waitcnt lgkmcnt(3)
	v_fmac_f32_e32 v133, v114, v106
	v_fmac_f32_e32 v133, v115, v107
	ds_load_2addr_b32 v[106:107], v2 offset0:91 offset1:92
	s_waitcnt lgkmcnt(3)
	v_fmac_f32_e32 v133, v116, v108
	s_waitcnt vmcnt(4)
	s_delay_alu instid0(VALU_DEP_1) | instskip(SKIP_3) | instid1(VALU_DEP_1)
	v_fmac_f32_e32 v133, v117, v109
	ds_load_2addr_b32 v[108:109], v2 offset0:93 offset1:94
	s_waitcnt lgkmcnt(3)
	v_fmac_f32_e32 v133, v118, v110
	v_fmac_f32_e32 v133, v119, v111
	s_waitcnt lgkmcnt(2)
	s_delay_alu instid0(VALU_DEP_1) | instskip(SKIP_1) | instid1(VALU_DEP_1)
	v_fmac_f32_e32 v133, v120, v112
	s_waitcnt vmcnt(3)
	v_fmac_f32_e32 v133, v121, v113
	ds_load_2addr_b32 v[110:111], v2 offset0:95 offset1:96
	ds_load_2addr_b32 v[112:113], v2 offset0:97 offset1:98
	s_waitcnt lgkmcnt(3)
	v_fmac_f32_e32 v133, v122, v106
	s_delay_alu instid0(VALU_DEP_1) | instskip(SKIP_4) | instid1(VALU_DEP_1)
	v_fmac_f32_e32 v133, v123, v107
	ds_load_2addr_b32 v[106:107], v2 offset0:99 offset1:100
	s_waitcnt lgkmcnt(3)
	v_fmac_f32_e32 v133, v124, v108
	s_waitcnt vmcnt(2)
	v_fmac_f32_e32 v133, v125, v109
	ds_load_2addr_b32 v[108:109], v2 offset0:101 offset1:102
	s_waitcnt lgkmcnt(3)
	v_fmac_f32_e32 v133, v126, v110
	s_delay_alu instid0(VALU_DEP_1) | instskip(SKIP_1) | instid1(VALU_DEP_1)
	v_fmac_f32_e32 v133, v127, v111
	s_waitcnt lgkmcnt(2)
	v_fmac_f32_e32 v133, v128, v112
	s_waitcnt vmcnt(1)
	s_delay_alu instid0(VALU_DEP_1) | instskip(SKIP_1) | instid1(VALU_DEP_1)
	v_fmac_f32_e32 v133, v129, v113
	s_waitcnt lgkmcnt(1)
	v_fmac_f32_e32 v133, v130, v106
	s_delay_alu instid0(VALU_DEP_1) | instskip(SKIP_1) | instid1(VALU_DEP_1)
	v_fmac_f32_e32 v133, v131, v107
	s_waitcnt lgkmcnt(0)
	v_fmac_f32_e32 v133, v132, v108
	s_waitcnt vmcnt(0)
	s_delay_alu instid0(VALU_DEP_1) | instskip(NEXT) | instid1(VALU_DEP_1)
	v_fmac_f32_e32 v133, v141, v109
	v_sub_f32_e32 v2, v105, v133
	scratch_store_b32 off, v2, off offset:88
	v_cmpx_lt_u32_e32 21, v0
	s_cbranch_execz .LBB114_271
; %bb.270:
	scratch_load_b32 v2, off, off offset:84
	v_mov_b32_e32 v105, 0
	scratch_store_b32 off, v105, off offset:84
	s_waitcnt vmcnt(0)
	ds_store_b32 v1, v2
.LBB114_271:
	s_or_b32 exec_lo, exec_lo, s0
	s_waitcnt lgkmcnt(0)
	s_waitcnt_vscnt null, 0x0
	s_barrier
	buffer_gl0_inv
	s_clause 0x7
	scratch_load_b128 v[105:108], off, off offset:84
	scratch_load_b128 v[109:112], off, off offset:100
	;; [unrolled: 1-line block ×7, first 2 shown]
	scratch_load_b64 v[141:142], off, off offset:196
	v_mov_b32_e32 v2, 0
	ds_load_2addr_b64 v[133:136], v2 offset0:37 offset1:38
	ds_load_2addr_b64 v[137:140], v2 offset0:39 offset1:40
	s_mov_b32 s0, exec_lo
	s_waitcnt vmcnt(7) lgkmcnt(1)
	v_fma_f32 v133, v106, v133, 0
	s_delay_alu instid0(VALU_DEP_1) | instskip(NEXT) | instid1(VALU_DEP_1)
	v_fmac_f32_e32 v133, v107, v134
	v_fmac_f32_e32 v133, v108, v135
	s_waitcnt vmcnt(6)
	s_delay_alu instid0(VALU_DEP_1) | instskip(SKIP_3) | instid1(VALU_DEP_1)
	v_fmac_f32_e32 v133, v109, v136
	ds_load_2addr_b64 v[106:109], v2 offset0:41 offset1:42
	s_waitcnt lgkmcnt(1)
	v_fmac_f32_e32 v133, v110, v137
	v_fmac_f32_e32 v133, v111, v138
	s_delay_alu instid0(VALU_DEP_1) | instskip(SKIP_1) | instid1(VALU_DEP_1)
	v_fmac_f32_e32 v133, v112, v139
	s_waitcnt vmcnt(5)
	v_fmac_f32_e32 v133, v113, v140
	ds_load_2addr_b64 v[110:113], v2 offset0:43 offset1:44
	s_waitcnt lgkmcnt(1)
	v_fmac_f32_e32 v133, v114, v106
	s_delay_alu instid0(VALU_DEP_1) | instskip(NEXT) | instid1(VALU_DEP_1)
	v_fmac_f32_e32 v133, v115, v107
	v_fmac_f32_e32 v133, v116, v108
	s_waitcnt vmcnt(4)
	s_delay_alu instid0(VALU_DEP_1) | instskip(SKIP_3) | instid1(VALU_DEP_1)
	v_fmac_f32_e32 v133, v117, v109
	ds_load_2addr_b64 v[106:109], v2 offset0:45 offset1:46
	s_waitcnt lgkmcnt(1)
	v_fmac_f32_e32 v133, v118, v110
	v_fmac_f32_e32 v133, v119, v111
	s_delay_alu instid0(VALU_DEP_1) | instskip(SKIP_1) | instid1(VALU_DEP_1)
	v_fmac_f32_e32 v133, v120, v112
	s_waitcnt vmcnt(3)
	v_fmac_f32_e32 v133, v121, v113
	ds_load_2addr_b64 v[110:113], v2 offset0:47 offset1:48
	s_waitcnt lgkmcnt(1)
	v_fmac_f32_e32 v133, v122, v106
	s_delay_alu instid0(VALU_DEP_1) | instskip(NEXT) | instid1(VALU_DEP_1)
	v_fmac_f32_e32 v133, v123, v107
	v_fmac_f32_e32 v133, v124, v108
	s_waitcnt vmcnt(2)
	s_delay_alu instid0(VALU_DEP_1)
	v_fmac_f32_e32 v133, v125, v109
	ds_load_2addr_b64 v[106:109], v2 offset0:49 offset1:50
	s_waitcnt lgkmcnt(1)
	v_fmac_f32_e32 v133, v126, v110
	ds_load_b32 v110, v2 offset:408
	v_fmac_f32_e32 v133, v127, v111
	s_delay_alu instid0(VALU_DEP_1) | instskip(SKIP_1) | instid1(VALU_DEP_1)
	v_fmac_f32_e32 v133, v128, v112
	s_waitcnt vmcnt(1)
	v_fmac_f32_e32 v133, v129, v113
	s_waitcnt lgkmcnt(1)
	s_delay_alu instid0(VALU_DEP_1) | instskip(NEXT) | instid1(VALU_DEP_1)
	v_fmac_f32_e32 v133, v130, v106
	v_fmac_f32_e32 v133, v131, v107
	s_delay_alu instid0(VALU_DEP_1) | instskip(SKIP_1) | instid1(VALU_DEP_1)
	v_fmac_f32_e32 v133, v132, v108
	s_waitcnt vmcnt(0)
	v_fmac_f32_e32 v133, v141, v109
	s_waitcnt lgkmcnt(0)
	s_delay_alu instid0(VALU_DEP_1) | instskip(NEXT) | instid1(VALU_DEP_1)
	v_fmac_f32_e32 v133, v142, v110
	v_sub_f32_e32 v105, v105, v133
	scratch_store_b32 off, v105, off offset:84
	v_cmpx_lt_u32_e32 20, v0
	s_cbranch_execz .LBB114_273
; %bb.272:
	scratch_load_b32 v105, off, off offset:80
	scratch_store_b32 off, v2, off offset:80
	s_waitcnt vmcnt(0)
	ds_store_b32 v1, v105
.LBB114_273:
	s_or_b32 exec_lo, exec_lo, s0
	s_waitcnt lgkmcnt(0)
	s_waitcnt_vscnt null, 0x0
	s_barrier
	buffer_gl0_inv
	s_clause 0x7
	scratch_load_b128 v[105:108], off, off offset:80
	scratch_load_b128 v[109:112], off, off offset:96
	;; [unrolled: 1-line block ×7, first 2 shown]
	scratch_load_b96 v[133:135], off, off offset:192
	ds_load_2addr_b32 v[136:137], v2 offset0:73 offset1:74
	ds_load_2addr_b32 v[138:139], v2 offset0:75 offset1:76
	;; [unrolled: 1-line block ×3, first 2 shown]
	s_mov_b32 s0, exec_lo
	s_waitcnt vmcnt(7) lgkmcnt(2)
	v_fma_f32 v136, v106, v136, 0
	s_delay_alu instid0(VALU_DEP_1) | instskip(SKIP_4) | instid1(VALU_DEP_1)
	v_fmac_f32_e32 v136, v107, v137
	ds_load_2addr_b32 v[106:107], v2 offset0:79 offset1:80
	s_waitcnt lgkmcnt(2)
	v_fmac_f32_e32 v136, v108, v138
	s_waitcnt vmcnt(6)
	v_fmac_f32_e32 v136, v109, v139
	ds_load_2addr_b32 v[108:109], v2 offset0:81 offset1:82
	s_waitcnt lgkmcnt(2)
	v_fmac_f32_e32 v136, v110, v140
	s_delay_alu instid0(VALU_DEP_1) | instskip(SKIP_4) | instid1(VALU_DEP_1)
	v_fmac_f32_e32 v136, v111, v141
	ds_load_2addr_b32 v[110:111], v2 offset0:83 offset1:84
	s_waitcnt lgkmcnt(2)
	v_fmac_f32_e32 v136, v112, v106
	s_waitcnt vmcnt(5)
	v_fmac_f32_e32 v136, v113, v107
	ds_load_2addr_b32 v[106:107], v2 offset0:85 offset1:86
	s_waitcnt lgkmcnt(2)
	v_fmac_f32_e32 v136, v114, v108
	;; [unrolled: 10-line block ×6, first 2 shown]
	s_delay_alu instid0(VALU_DEP_1) | instskip(SKIP_1) | instid1(VALU_DEP_1)
	v_fmac_f32_e32 v136, v131, v107
	s_waitcnt lgkmcnt(1)
	v_fmac_f32_e32 v136, v132, v108
	s_waitcnt vmcnt(0)
	s_delay_alu instid0(VALU_DEP_1) | instskip(SKIP_1) | instid1(VALU_DEP_1)
	v_fmac_f32_e32 v136, v133, v109
	s_waitcnt lgkmcnt(0)
	v_fmac_f32_e32 v136, v134, v110
	s_delay_alu instid0(VALU_DEP_1) | instskip(NEXT) | instid1(VALU_DEP_1)
	v_fmac_f32_e32 v136, v135, v111
	v_sub_f32_e32 v2, v105, v136
	scratch_store_b32 off, v2, off offset:80
	v_cmpx_lt_u32_e32 19, v0
	s_cbranch_execz .LBB114_275
; %bb.274:
	scratch_load_b32 v2, off, off offset:76
	v_mov_b32_e32 v105, 0
	scratch_store_b32 off, v105, off offset:76
	s_waitcnt vmcnt(0)
	ds_store_b32 v1, v2
.LBB114_275:
	s_or_b32 exec_lo, exec_lo, s0
	s_waitcnt lgkmcnt(0)
	s_waitcnt_vscnt null, 0x0
	s_barrier
	buffer_gl0_inv
	s_clause 0x7
	scratch_load_b128 v[105:108], off, off offset:76
	scratch_load_b128 v[109:112], off, off offset:92
	;; [unrolled: 1-line block ×8, first 2 shown]
	v_mov_b32_e32 v2, 0
	ds_load_b128 v[137:140], v2 offset:288
	ds_load_b128 v[141:144], v2 offset:304
	s_mov_b32 s0, exec_lo
	s_waitcnt vmcnt(7) lgkmcnt(1)
	v_fma_f32 v137, v106, v137, 0
	s_delay_alu instid0(VALU_DEP_1) | instskip(NEXT) | instid1(VALU_DEP_1)
	v_fmac_f32_e32 v137, v107, v138
	v_fmac_f32_e32 v137, v108, v139
	s_waitcnt vmcnt(6)
	s_delay_alu instid0(VALU_DEP_1) | instskip(SKIP_3) | instid1(VALU_DEP_1)
	v_fmac_f32_e32 v137, v109, v140
	ds_load_b128 v[106:109], v2 offset:320
	s_waitcnt lgkmcnt(1)
	v_fmac_f32_e32 v137, v110, v141
	v_fmac_f32_e32 v137, v111, v142
	s_delay_alu instid0(VALU_DEP_1) | instskip(SKIP_1) | instid1(VALU_DEP_1)
	v_fmac_f32_e32 v137, v112, v143
	s_waitcnt vmcnt(5)
	v_fmac_f32_e32 v137, v113, v144
	ds_load_b128 v[110:113], v2 offset:336
	s_waitcnt lgkmcnt(1)
	v_fmac_f32_e32 v137, v114, v106
	s_delay_alu instid0(VALU_DEP_1) | instskip(NEXT) | instid1(VALU_DEP_1)
	v_fmac_f32_e32 v137, v115, v107
	v_fmac_f32_e32 v137, v116, v108
	s_waitcnt vmcnt(4)
	s_delay_alu instid0(VALU_DEP_1) | instskip(SKIP_3) | instid1(VALU_DEP_1)
	v_fmac_f32_e32 v137, v117, v109
	ds_load_b128 v[106:109], v2 offset:352
	s_waitcnt lgkmcnt(1)
	v_fmac_f32_e32 v137, v118, v110
	v_fmac_f32_e32 v137, v119, v111
	s_delay_alu instid0(VALU_DEP_1) | instskip(SKIP_1) | instid1(VALU_DEP_1)
	v_fmac_f32_e32 v137, v120, v112
	s_waitcnt vmcnt(3)
	v_fmac_f32_e32 v137, v121, v113
	ds_load_b128 v[110:113], v2 offset:368
	s_waitcnt lgkmcnt(1)
	v_fmac_f32_e32 v137, v122, v106
	s_delay_alu instid0(VALU_DEP_1) | instskip(NEXT) | instid1(VALU_DEP_1)
	v_fmac_f32_e32 v137, v123, v107
	v_fmac_f32_e32 v137, v124, v108
	s_waitcnt vmcnt(2)
	s_delay_alu instid0(VALU_DEP_1) | instskip(SKIP_3) | instid1(VALU_DEP_1)
	v_fmac_f32_e32 v137, v125, v109
	ds_load_b128 v[106:109], v2 offset:384
	s_waitcnt lgkmcnt(1)
	v_fmac_f32_e32 v137, v126, v110
	v_fmac_f32_e32 v137, v127, v111
	s_delay_alu instid0(VALU_DEP_1) | instskip(SKIP_4) | instid1(VALU_DEP_1)
	v_fmac_f32_e32 v137, v128, v112
	ds_load_b96 v[110:112], v2 offset:400
	s_waitcnt vmcnt(1)
	v_fmac_f32_e32 v137, v129, v113
	s_waitcnt lgkmcnt(1)
	v_fmac_f32_e32 v137, v130, v106
	s_delay_alu instid0(VALU_DEP_1) | instskip(NEXT) | instid1(VALU_DEP_1)
	v_fmac_f32_e32 v137, v131, v107
	v_fmac_f32_e32 v137, v132, v108
	s_waitcnt vmcnt(0)
	s_delay_alu instid0(VALU_DEP_1) | instskip(SKIP_1) | instid1(VALU_DEP_1)
	v_fmac_f32_e32 v137, v133, v109
	s_waitcnt lgkmcnt(0)
	v_fmac_f32_e32 v137, v134, v110
	s_delay_alu instid0(VALU_DEP_1) | instskip(NEXT) | instid1(VALU_DEP_1)
	v_fmac_f32_e32 v137, v135, v111
	v_fmac_f32_e32 v137, v136, v112
	s_delay_alu instid0(VALU_DEP_1)
	v_sub_f32_e32 v105, v105, v137
	scratch_store_b32 off, v105, off offset:76
	v_cmpx_lt_u32_e32 18, v0
	s_cbranch_execz .LBB114_277
; %bb.276:
	scratch_load_b32 v105, off, off offset:72
	scratch_store_b32 off, v2, off offset:72
	s_waitcnt vmcnt(0)
	ds_store_b32 v1, v105
.LBB114_277:
	s_or_b32 exec_lo, exec_lo, s0
	s_waitcnt lgkmcnt(0)
	s_waitcnt_vscnt null, 0x0
	s_barrier
	buffer_gl0_inv
	s_clause 0x8
	scratch_load_b128 v[105:108], off, off offset:72
	scratch_load_b128 v[109:112], off, off offset:88
	;; [unrolled: 1-line block ×8, first 2 shown]
	scratch_load_b32 v145, off, off offset:200
	ds_load_2addr_b32 v[137:138], v2 offset0:71 offset1:72
	ds_load_2addr_b32 v[139:140], v2 offset0:73 offset1:74
	;; [unrolled: 1-line block ×4, first 2 shown]
	s_mov_b32 s0, exec_lo
	s_waitcnt vmcnt(8) lgkmcnt(3)
	v_fma_f32 v137, v106, v137, 0
	s_delay_alu instid0(VALU_DEP_1) | instskip(SKIP_4) | instid1(VALU_DEP_1)
	v_fmac_f32_e32 v137, v107, v138
	ds_load_2addr_b32 v[106:107], v2 offset0:79 offset1:80
	s_waitcnt lgkmcnt(3)
	v_fmac_f32_e32 v137, v108, v139
	s_waitcnt vmcnt(7)
	v_fmac_f32_e32 v137, v109, v140
	ds_load_2addr_b32 v[108:109], v2 offset0:81 offset1:82
	s_waitcnt lgkmcnt(3)
	v_fmac_f32_e32 v137, v110, v141
	s_delay_alu instid0(VALU_DEP_1) | instskip(SKIP_1) | instid1(VALU_DEP_1)
	v_fmac_f32_e32 v137, v111, v142
	s_waitcnt lgkmcnt(2)
	v_fmac_f32_e32 v137, v112, v143
	s_waitcnt vmcnt(6)
	s_delay_alu instid0(VALU_DEP_1) | instskip(SKIP_4) | instid1(VALU_DEP_1)
	v_fmac_f32_e32 v137, v113, v144
	ds_load_2addr_b32 v[110:111], v2 offset0:83 offset1:84
	ds_load_2addr_b32 v[112:113], v2 offset0:85 offset1:86
	s_waitcnt lgkmcnt(3)
	v_fmac_f32_e32 v137, v114, v106
	v_fmac_f32_e32 v137, v115, v107
	ds_load_2addr_b32 v[106:107], v2 offset0:87 offset1:88
	s_waitcnt lgkmcnt(3)
	v_fmac_f32_e32 v137, v116, v108
	s_waitcnt vmcnt(5)
	s_delay_alu instid0(VALU_DEP_1) | instskip(SKIP_3) | instid1(VALU_DEP_1)
	v_fmac_f32_e32 v137, v117, v109
	ds_load_2addr_b32 v[108:109], v2 offset0:89 offset1:90
	s_waitcnt lgkmcnt(3)
	v_fmac_f32_e32 v137, v118, v110
	v_fmac_f32_e32 v137, v119, v111
	s_waitcnt lgkmcnt(2)
	s_delay_alu instid0(VALU_DEP_1) | instskip(SKIP_1) | instid1(VALU_DEP_1)
	v_fmac_f32_e32 v137, v120, v112
	s_waitcnt vmcnt(4)
	v_fmac_f32_e32 v137, v121, v113
	ds_load_2addr_b32 v[110:111], v2 offset0:91 offset1:92
	ds_load_2addr_b32 v[112:113], v2 offset0:93 offset1:94
	s_waitcnt lgkmcnt(3)
	v_fmac_f32_e32 v137, v122, v106
	s_delay_alu instid0(VALU_DEP_1) | instskip(SKIP_4) | instid1(VALU_DEP_1)
	v_fmac_f32_e32 v137, v123, v107
	ds_load_2addr_b32 v[106:107], v2 offset0:95 offset1:96
	s_waitcnt lgkmcnt(3)
	v_fmac_f32_e32 v137, v124, v108
	s_waitcnt vmcnt(3)
	v_fmac_f32_e32 v137, v125, v109
	ds_load_2addr_b32 v[108:109], v2 offset0:97 offset1:98
	s_waitcnt lgkmcnt(3)
	v_fmac_f32_e32 v137, v126, v110
	s_delay_alu instid0(VALU_DEP_1) | instskip(SKIP_1) | instid1(VALU_DEP_1)
	v_fmac_f32_e32 v137, v127, v111
	s_waitcnt lgkmcnt(2)
	v_fmac_f32_e32 v137, v128, v112
	s_waitcnt vmcnt(2)
	s_delay_alu instid0(VALU_DEP_1) | instskip(SKIP_4) | instid1(VALU_DEP_1)
	v_fmac_f32_e32 v137, v129, v113
	ds_load_2addr_b32 v[110:111], v2 offset0:99 offset1:100
	ds_load_2addr_b32 v[112:113], v2 offset0:101 offset1:102
	s_waitcnt lgkmcnt(3)
	v_fmac_f32_e32 v137, v130, v106
	v_fmac_f32_e32 v137, v131, v107
	s_waitcnt lgkmcnt(2)
	s_delay_alu instid0(VALU_DEP_1) | instskip(SKIP_1) | instid1(VALU_DEP_1)
	v_fmac_f32_e32 v137, v132, v108
	s_waitcnt vmcnt(1)
	v_fmac_f32_e32 v137, v133, v109
	s_waitcnt lgkmcnt(1)
	s_delay_alu instid0(VALU_DEP_1) | instskip(NEXT) | instid1(VALU_DEP_1)
	v_fmac_f32_e32 v137, v134, v110
	v_fmac_f32_e32 v137, v135, v111
	s_waitcnt lgkmcnt(0)
	s_delay_alu instid0(VALU_DEP_1) | instskip(SKIP_1) | instid1(VALU_DEP_1)
	v_fmac_f32_e32 v137, v136, v112
	s_waitcnt vmcnt(0)
	v_fmac_f32_e32 v137, v145, v113
	s_delay_alu instid0(VALU_DEP_1)
	v_sub_f32_e32 v2, v105, v137
	scratch_store_b32 off, v2, off offset:72
	v_cmpx_lt_u32_e32 17, v0
	s_cbranch_execz .LBB114_279
; %bb.278:
	scratch_load_b32 v2, off, off offset:68
	v_mov_b32_e32 v105, 0
	scratch_store_b32 off, v105, off offset:68
	s_waitcnt vmcnt(0)
	ds_store_b32 v1, v2
.LBB114_279:
	s_or_b32 exec_lo, exec_lo, s0
	s_waitcnt lgkmcnt(0)
	s_waitcnt_vscnt null, 0x0
	s_barrier
	buffer_gl0_inv
	s_clause 0x8
	scratch_load_b128 v[105:108], off, off offset:68
	scratch_load_b128 v[109:112], off, off offset:84
	;; [unrolled: 1-line block ×8, first 2 shown]
	scratch_load_b64 v[145:146], off, off offset:196
	v_mov_b32_e32 v2, 0
	ds_load_2addr_b64 v[137:140], v2 offset0:35 offset1:36
	ds_load_2addr_b64 v[141:144], v2 offset0:37 offset1:38
	s_mov_b32 s0, exec_lo
	s_waitcnt vmcnt(8) lgkmcnt(1)
	v_fma_f32 v137, v106, v137, 0
	s_delay_alu instid0(VALU_DEP_1) | instskip(NEXT) | instid1(VALU_DEP_1)
	v_fmac_f32_e32 v137, v107, v138
	v_fmac_f32_e32 v137, v108, v139
	s_waitcnt vmcnt(7)
	s_delay_alu instid0(VALU_DEP_1) | instskip(SKIP_3) | instid1(VALU_DEP_1)
	v_fmac_f32_e32 v137, v109, v140
	ds_load_2addr_b64 v[106:109], v2 offset0:39 offset1:40
	s_waitcnt lgkmcnt(1)
	v_fmac_f32_e32 v137, v110, v141
	v_fmac_f32_e32 v137, v111, v142
	s_delay_alu instid0(VALU_DEP_1) | instskip(SKIP_1) | instid1(VALU_DEP_1)
	v_fmac_f32_e32 v137, v112, v143
	s_waitcnt vmcnt(6)
	v_fmac_f32_e32 v137, v113, v144
	ds_load_2addr_b64 v[110:113], v2 offset0:41 offset1:42
	s_waitcnt lgkmcnt(1)
	v_fmac_f32_e32 v137, v114, v106
	s_delay_alu instid0(VALU_DEP_1) | instskip(NEXT) | instid1(VALU_DEP_1)
	v_fmac_f32_e32 v137, v115, v107
	v_fmac_f32_e32 v137, v116, v108
	s_waitcnt vmcnt(5)
	s_delay_alu instid0(VALU_DEP_1) | instskip(SKIP_3) | instid1(VALU_DEP_1)
	v_fmac_f32_e32 v137, v117, v109
	ds_load_2addr_b64 v[106:109], v2 offset0:43 offset1:44
	s_waitcnt lgkmcnt(1)
	v_fmac_f32_e32 v137, v118, v110
	v_fmac_f32_e32 v137, v119, v111
	s_delay_alu instid0(VALU_DEP_1) | instskip(SKIP_1) | instid1(VALU_DEP_1)
	v_fmac_f32_e32 v137, v120, v112
	s_waitcnt vmcnt(4)
	v_fmac_f32_e32 v137, v121, v113
	ds_load_2addr_b64 v[110:113], v2 offset0:45 offset1:46
	s_waitcnt lgkmcnt(1)
	v_fmac_f32_e32 v137, v122, v106
	;; [unrolled: 17-line block ×3, first 2 shown]
	ds_load_b32 v106, v2 offset:408
	v_fmac_f32_e32 v137, v131, v107
	s_delay_alu instid0(VALU_DEP_1) | instskip(SKIP_1) | instid1(VALU_DEP_1)
	v_fmac_f32_e32 v137, v132, v108
	s_waitcnt vmcnt(1)
	v_fmac_f32_e32 v137, v133, v109
	s_waitcnt lgkmcnt(1)
	s_delay_alu instid0(VALU_DEP_1) | instskip(NEXT) | instid1(VALU_DEP_1)
	v_fmac_f32_e32 v137, v134, v110
	v_fmac_f32_e32 v137, v135, v111
	s_delay_alu instid0(VALU_DEP_1) | instskip(SKIP_1) | instid1(VALU_DEP_1)
	v_fmac_f32_e32 v137, v136, v112
	s_waitcnt vmcnt(0)
	v_fmac_f32_e32 v137, v145, v113
	s_waitcnt lgkmcnt(0)
	s_delay_alu instid0(VALU_DEP_1) | instskip(NEXT) | instid1(VALU_DEP_1)
	v_fmac_f32_e32 v137, v146, v106
	v_sub_f32_e32 v105, v105, v137
	scratch_store_b32 off, v105, off offset:68
	v_cmpx_lt_u32_e32 16, v0
	s_cbranch_execz .LBB114_281
; %bb.280:
	scratch_load_b32 v105, off, off offset:64
	scratch_store_b32 off, v2, off offset:64
	s_waitcnt vmcnt(0)
	ds_store_b32 v1, v105
.LBB114_281:
	s_or_b32 exec_lo, exec_lo, s0
	s_waitcnt lgkmcnt(0)
	s_waitcnt_vscnt null, 0x0
	s_barrier
	buffer_gl0_inv
	s_clause 0x8
	scratch_load_b128 v[105:108], off, off offset:64
	scratch_load_b128 v[109:112], off, off offset:80
	scratch_load_b128 v[113:116], off, off offset:96
	scratch_load_b128 v[117:120], off, off offset:112
	scratch_load_b128 v[121:124], off, off offset:128
	scratch_load_b128 v[125:128], off, off offset:144
	scratch_load_b128 v[129:132], off, off offset:160
	scratch_load_b128 v[133:136], off, off offset:176
	scratch_load_b96 v[137:139], off, off offset:192
	ds_load_2addr_b32 v[140:141], v2 offset0:69 offset1:70
	ds_load_2addr_b32 v[142:143], v2 offset0:71 offset1:72
	;; [unrolled: 1-line block ×4, first 2 shown]
	s_mov_b32 s0, exec_lo
	s_waitcnt vmcnt(8) lgkmcnt(3)
	v_fma_f32 v140, v106, v140, 0
	s_delay_alu instid0(VALU_DEP_1) | instskip(SKIP_4) | instid1(VALU_DEP_1)
	v_fmac_f32_e32 v140, v107, v141
	ds_load_2addr_b32 v[106:107], v2 offset0:77 offset1:78
	s_waitcnt lgkmcnt(3)
	v_fmac_f32_e32 v140, v108, v142
	s_waitcnt vmcnt(7)
	v_fmac_f32_e32 v140, v109, v143
	ds_load_2addr_b32 v[108:109], v2 offset0:79 offset1:80
	s_waitcnt lgkmcnt(3)
	v_fmac_f32_e32 v140, v110, v144
	s_delay_alu instid0(VALU_DEP_1) | instskip(SKIP_1) | instid1(VALU_DEP_1)
	v_fmac_f32_e32 v140, v111, v145
	s_waitcnt lgkmcnt(2)
	v_fmac_f32_e32 v140, v112, v146
	s_waitcnt vmcnt(6)
	s_delay_alu instid0(VALU_DEP_1) | instskip(SKIP_4) | instid1(VALU_DEP_1)
	v_fmac_f32_e32 v140, v113, v147
	ds_load_2addr_b32 v[110:111], v2 offset0:81 offset1:82
	ds_load_2addr_b32 v[112:113], v2 offset0:83 offset1:84
	s_waitcnt lgkmcnt(3)
	v_fmac_f32_e32 v140, v114, v106
	v_fmac_f32_e32 v140, v115, v107
	ds_load_2addr_b32 v[106:107], v2 offset0:85 offset1:86
	s_waitcnt lgkmcnt(3)
	v_fmac_f32_e32 v140, v116, v108
	s_waitcnt vmcnt(5)
	s_delay_alu instid0(VALU_DEP_1) | instskip(SKIP_3) | instid1(VALU_DEP_1)
	v_fmac_f32_e32 v140, v117, v109
	ds_load_2addr_b32 v[108:109], v2 offset0:87 offset1:88
	s_waitcnt lgkmcnt(3)
	v_fmac_f32_e32 v140, v118, v110
	v_fmac_f32_e32 v140, v119, v111
	s_waitcnt lgkmcnt(2)
	s_delay_alu instid0(VALU_DEP_1) | instskip(SKIP_1) | instid1(VALU_DEP_1)
	v_fmac_f32_e32 v140, v120, v112
	s_waitcnt vmcnt(4)
	v_fmac_f32_e32 v140, v121, v113
	ds_load_2addr_b32 v[110:111], v2 offset0:89 offset1:90
	ds_load_2addr_b32 v[112:113], v2 offset0:91 offset1:92
	s_waitcnt lgkmcnt(3)
	v_fmac_f32_e32 v140, v122, v106
	s_delay_alu instid0(VALU_DEP_1) | instskip(SKIP_4) | instid1(VALU_DEP_1)
	v_fmac_f32_e32 v140, v123, v107
	ds_load_2addr_b32 v[106:107], v2 offset0:93 offset1:94
	s_waitcnt lgkmcnt(3)
	v_fmac_f32_e32 v140, v124, v108
	s_waitcnt vmcnt(3)
	v_fmac_f32_e32 v140, v125, v109
	ds_load_2addr_b32 v[108:109], v2 offset0:95 offset1:96
	s_waitcnt lgkmcnt(3)
	v_fmac_f32_e32 v140, v126, v110
	s_delay_alu instid0(VALU_DEP_1) | instskip(SKIP_1) | instid1(VALU_DEP_1)
	v_fmac_f32_e32 v140, v127, v111
	s_waitcnt lgkmcnt(2)
	v_fmac_f32_e32 v140, v128, v112
	s_waitcnt vmcnt(2)
	s_delay_alu instid0(VALU_DEP_1) | instskip(SKIP_4) | instid1(VALU_DEP_1)
	v_fmac_f32_e32 v140, v129, v113
	ds_load_2addr_b32 v[110:111], v2 offset0:97 offset1:98
	ds_load_2addr_b32 v[112:113], v2 offset0:99 offset1:100
	s_waitcnt lgkmcnt(3)
	v_fmac_f32_e32 v140, v130, v106
	v_fmac_f32_e32 v140, v131, v107
	ds_load_2addr_b32 v[106:107], v2 offset0:101 offset1:102
	s_waitcnt lgkmcnt(3)
	v_fmac_f32_e32 v140, v132, v108
	s_waitcnt vmcnt(1)
	s_delay_alu instid0(VALU_DEP_1) | instskip(SKIP_1) | instid1(VALU_DEP_1)
	v_fmac_f32_e32 v140, v133, v109
	s_waitcnt lgkmcnt(2)
	v_fmac_f32_e32 v140, v134, v110
	s_delay_alu instid0(VALU_DEP_1) | instskip(SKIP_1) | instid1(VALU_DEP_1)
	v_fmac_f32_e32 v140, v135, v111
	s_waitcnt lgkmcnt(1)
	v_fmac_f32_e32 v140, v136, v112
	s_waitcnt vmcnt(0)
	s_delay_alu instid0(VALU_DEP_1) | instskip(SKIP_1) | instid1(VALU_DEP_1)
	v_fmac_f32_e32 v140, v137, v113
	s_waitcnt lgkmcnt(0)
	v_fmac_f32_e32 v140, v138, v106
	s_delay_alu instid0(VALU_DEP_1) | instskip(NEXT) | instid1(VALU_DEP_1)
	v_fmac_f32_e32 v140, v139, v107
	v_sub_f32_e32 v2, v105, v140
	scratch_store_b32 off, v2, off offset:64
	v_cmpx_lt_u32_e32 15, v0
	s_cbranch_execz .LBB114_283
; %bb.282:
	scratch_load_b32 v2, off, off offset:60
	v_mov_b32_e32 v105, 0
	scratch_store_b32 off, v105, off offset:60
	s_waitcnt vmcnt(0)
	ds_store_b32 v1, v2
.LBB114_283:
	s_or_b32 exec_lo, exec_lo, s0
	s_waitcnt lgkmcnt(0)
	s_waitcnt_vscnt null, 0x0
	s_barrier
	buffer_gl0_inv
	s_clause 0x8
	scratch_load_b128 v[105:108], off, off offset:60
	scratch_load_b128 v[109:112], off, off offset:76
	;; [unrolled: 1-line block ×9, first 2 shown]
	v_mov_b32_e32 v2, 0
	ds_load_b128 v[141:144], v2 offset:272
	ds_load_b128 v[145:148], v2 offset:288
	s_mov_b32 s0, exec_lo
	s_waitcnt vmcnt(8) lgkmcnt(1)
	v_fma_f32 v141, v106, v141, 0
	s_delay_alu instid0(VALU_DEP_1) | instskip(NEXT) | instid1(VALU_DEP_1)
	v_fmac_f32_e32 v141, v107, v142
	v_fmac_f32_e32 v141, v108, v143
	s_waitcnt vmcnt(7)
	s_delay_alu instid0(VALU_DEP_1) | instskip(SKIP_3) | instid1(VALU_DEP_1)
	v_fmac_f32_e32 v141, v109, v144
	ds_load_b128 v[106:109], v2 offset:304
	s_waitcnt lgkmcnt(1)
	v_fmac_f32_e32 v141, v110, v145
	v_fmac_f32_e32 v141, v111, v146
	s_delay_alu instid0(VALU_DEP_1) | instskip(SKIP_1) | instid1(VALU_DEP_1)
	v_fmac_f32_e32 v141, v112, v147
	s_waitcnt vmcnt(6)
	v_fmac_f32_e32 v141, v113, v148
	ds_load_b128 v[110:113], v2 offset:320
	s_waitcnt lgkmcnt(1)
	v_fmac_f32_e32 v141, v114, v106
	s_delay_alu instid0(VALU_DEP_1) | instskip(NEXT) | instid1(VALU_DEP_1)
	v_fmac_f32_e32 v141, v115, v107
	v_fmac_f32_e32 v141, v116, v108
	s_waitcnt vmcnt(5)
	s_delay_alu instid0(VALU_DEP_1) | instskip(SKIP_3) | instid1(VALU_DEP_1)
	v_fmac_f32_e32 v141, v117, v109
	ds_load_b128 v[106:109], v2 offset:336
	s_waitcnt lgkmcnt(1)
	v_fmac_f32_e32 v141, v118, v110
	v_fmac_f32_e32 v141, v119, v111
	s_delay_alu instid0(VALU_DEP_1) | instskip(SKIP_1) | instid1(VALU_DEP_1)
	v_fmac_f32_e32 v141, v120, v112
	s_waitcnt vmcnt(4)
	v_fmac_f32_e32 v141, v121, v113
	ds_load_b128 v[110:113], v2 offset:352
	s_waitcnt lgkmcnt(1)
	v_fmac_f32_e32 v141, v122, v106
	;; [unrolled: 17-line block ×3, first 2 shown]
	s_delay_alu instid0(VALU_DEP_1) | instskip(NEXT) | instid1(VALU_DEP_1)
	v_fmac_f32_e32 v141, v131, v107
	v_fmac_f32_e32 v141, v132, v108
	ds_load_b96 v[106:108], v2 offset:400
	s_waitcnt vmcnt(1)
	v_fmac_f32_e32 v141, v133, v109
	s_waitcnt lgkmcnt(1)
	s_delay_alu instid0(VALU_DEP_1) | instskip(NEXT) | instid1(VALU_DEP_1)
	v_fmac_f32_e32 v141, v134, v110
	v_fmac_f32_e32 v141, v135, v111
	s_delay_alu instid0(VALU_DEP_1) | instskip(SKIP_1) | instid1(VALU_DEP_1)
	v_fmac_f32_e32 v141, v136, v112
	s_waitcnt vmcnt(0)
	v_fmac_f32_e32 v141, v137, v113
	s_waitcnt lgkmcnt(0)
	s_delay_alu instid0(VALU_DEP_1) | instskip(NEXT) | instid1(VALU_DEP_1)
	v_fmac_f32_e32 v141, v138, v106
	v_fmac_f32_e32 v141, v139, v107
	s_delay_alu instid0(VALU_DEP_1) | instskip(NEXT) | instid1(VALU_DEP_1)
	v_fmac_f32_e32 v141, v140, v108
	v_sub_f32_e32 v105, v105, v141
	scratch_store_b32 off, v105, off offset:60
	v_cmpx_lt_u32_e32 14, v0
	s_cbranch_execz .LBB114_285
; %bb.284:
	scratch_load_b32 v105, off, off offset:56
	scratch_store_b32 off, v2, off offset:56
	s_waitcnt vmcnt(0)
	ds_store_b32 v1, v105
.LBB114_285:
	s_or_b32 exec_lo, exec_lo, s0
	s_waitcnt lgkmcnt(0)
	s_waitcnt_vscnt null, 0x0
	s_barrier
	buffer_gl0_inv
	s_clause 0x9
	scratch_load_b128 v[105:108], off, off offset:56
	scratch_load_b128 v[109:112], off, off offset:72
	;; [unrolled: 1-line block ×9, first 2 shown]
	scratch_load_b32 v149, off, off offset:200
	ds_load_2addr_b32 v[141:142], v2 offset0:67 offset1:68
	ds_load_2addr_b32 v[143:144], v2 offset0:69 offset1:70
	;; [unrolled: 1-line block ×4, first 2 shown]
	s_mov_b32 s0, exec_lo
	s_waitcnt vmcnt(9) lgkmcnt(3)
	v_fma_f32 v141, v106, v141, 0
	s_delay_alu instid0(VALU_DEP_1) | instskip(SKIP_4) | instid1(VALU_DEP_1)
	v_fmac_f32_e32 v141, v107, v142
	ds_load_2addr_b32 v[106:107], v2 offset0:75 offset1:76
	s_waitcnt lgkmcnt(3)
	v_fmac_f32_e32 v141, v108, v143
	s_waitcnt vmcnt(8)
	v_fmac_f32_e32 v141, v109, v144
	ds_load_2addr_b32 v[108:109], v2 offset0:77 offset1:78
	s_waitcnt lgkmcnt(3)
	v_fmac_f32_e32 v141, v110, v145
	s_delay_alu instid0(VALU_DEP_1) | instskip(SKIP_1) | instid1(VALU_DEP_1)
	v_fmac_f32_e32 v141, v111, v146
	s_waitcnt lgkmcnt(2)
	v_fmac_f32_e32 v141, v112, v147
	s_waitcnt vmcnt(7)
	s_delay_alu instid0(VALU_DEP_1) | instskip(SKIP_4) | instid1(VALU_DEP_1)
	v_fmac_f32_e32 v141, v113, v148
	ds_load_2addr_b32 v[110:111], v2 offset0:79 offset1:80
	ds_load_2addr_b32 v[112:113], v2 offset0:81 offset1:82
	s_waitcnt lgkmcnt(3)
	v_fmac_f32_e32 v141, v114, v106
	v_fmac_f32_e32 v141, v115, v107
	ds_load_2addr_b32 v[106:107], v2 offset0:83 offset1:84
	s_waitcnt lgkmcnt(3)
	v_fmac_f32_e32 v141, v116, v108
	s_waitcnt vmcnt(6)
	s_delay_alu instid0(VALU_DEP_1) | instskip(SKIP_3) | instid1(VALU_DEP_1)
	v_fmac_f32_e32 v141, v117, v109
	ds_load_2addr_b32 v[108:109], v2 offset0:85 offset1:86
	s_waitcnt lgkmcnt(3)
	v_fmac_f32_e32 v141, v118, v110
	v_fmac_f32_e32 v141, v119, v111
	s_waitcnt lgkmcnt(2)
	s_delay_alu instid0(VALU_DEP_1) | instskip(SKIP_1) | instid1(VALU_DEP_1)
	v_fmac_f32_e32 v141, v120, v112
	s_waitcnt vmcnt(5)
	v_fmac_f32_e32 v141, v121, v113
	ds_load_2addr_b32 v[110:111], v2 offset0:87 offset1:88
	ds_load_2addr_b32 v[112:113], v2 offset0:89 offset1:90
	s_waitcnt lgkmcnt(3)
	v_fmac_f32_e32 v141, v122, v106
	s_delay_alu instid0(VALU_DEP_1) | instskip(SKIP_4) | instid1(VALU_DEP_1)
	v_fmac_f32_e32 v141, v123, v107
	ds_load_2addr_b32 v[106:107], v2 offset0:91 offset1:92
	s_waitcnt lgkmcnt(3)
	v_fmac_f32_e32 v141, v124, v108
	s_waitcnt vmcnt(4)
	v_fmac_f32_e32 v141, v125, v109
	ds_load_2addr_b32 v[108:109], v2 offset0:93 offset1:94
	s_waitcnt lgkmcnt(3)
	v_fmac_f32_e32 v141, v126, v110
	s_delay_alu instid0(VALU_DEP_1) | instskip(SKIP_1) | instid1(VALU_DEP_1)
	v_fmac_f32_e32 v141, v127, v111
	s_waitcnt lgkmcnt(2)
	v_fmac_f32_e32 v141, v128, v112
	s_waitcnt vmcnt(3)
	s_delay_alu instid0(VALU_DEP_1) | instskip(SKIP_4) | instid1(VALU_DEP_1)
	v_fmac_f32_e32 v141, v129, v113
	ds_load_2addr_b32 v[110:111], v2 offset0:95 offset1:96
	ds_load_2addr_b32 v[112:113], v2 offset0:97 offset1:98
	s_waitcnt lgkmcnt(3)
	v_fmac_f32_e32 v141, v130, v106
	v_fmac_f32_e32 v141, v131, v107
	ds_load_2addr_b32 v[106:107], v2 offset0:99 offset1:100
	s_waitcnt lgkmcnt(3)
	v_fmac_f32_e32 v141, v132, v108
	s_waitcnt vmcnt(2)
	s_delay_alu instid0(VALU_DEP_1) | instskip(SKIP_3) | instid1(VALU_DEP_1)
	v_fmac_f32_e32 v141, v133, v109
	ds_load_2addr_b32 v[108:109], v2 offset0:101 offset1:102
	s_waitcnt lgkmcnt(3)
	v_fmac_f32_e32 v141, v134, v110
	v_fmac_f32_e32 v141, v135, v111
	s_waitcnt lgkmcnt(2)
	s_delay_alu instid0(VALU_DEP_1) | instskip(SKIP_1) | instid1(VALU_DEP_1)
	v_fmac_f32_e32 v141, v136, v112
	s_waitcnt vmcnt(1)
	v_fmac_f32_e32 v141, v137, v113
	s_waitcnt lgkmcnt(1)
	s_delay_alu instid0(VALU_DEP_1) | instskip(NEXT) | instid1(VALU_DEP_1)
	v_fmac_f32_e32 v141, v138, v106
	v_fmac_f32_e32 v141, v139, v107
	s_waitcnt lgkmcnt(0)
	s_delay_alu instid0(VALU_DEP_1) | instskip(SKIP_1) | instid1(VALU_DEP_1)
	v_fmac_f32_e32 v141, v140, v108
	s_waitcnt vmcnt(0)
	v_fmac_f32_e32 v141, v149, v109
	s_delay_alu instid0(VALU_DEP_1)
	v_sub_f32_e32 v2, v105, v141
	scratch_store_b32 off, v2, off offset:56
	v_cmpx_lt_u32_e32 13, v0
	s_cbranch_execz .LBB114_287
; %bb.286:
	scratch_load_b32 v2, off, off offset:52
	v_mov_b32_e32 v105, 0
	scratch_store_b32 off, v105, off offset:52
	s_waitcnt vmcnt(0)
	ds_store_b32 v1, v2
.LBB114_287:
	s_or_b32 exec_lo, exec_lo, s0
	s_waitcnt lgkmcnt(0)
	s_waitcnt_vscnt null, 0x0
	s_barrier
	buffer_gl0_inv
	s_clause 0x9
	scratch_load_b128 v[105:108], off, off offset:52
	scratch_load_b128 v[109:112], off, off offset:68
	;; [unrolled: 1-line block ×9, first 2 shown]
	scratch_load_b64 v[149:150], off, off offset:196
	v_mov_b32_e32 v2, 0
	ds_load_2addr_b64 v[141:144], v2 offset0:33 offset1:34
	ds_load_2addr_b64 v[145:148], v2 offset0:35 offset1:36
	s_mov_b32 s0, exec_lo
	s_waitcnt vmcnt(9) lgkmcnt(1)
	v_fma_f32 v141, v106, v141, 0
	s_delay_alu instid0(VALU_DEP_1) | instskip(NEXT) | instid1(VALU_DEP_1)
	v_fmac_f32_e32 v141, v107, v142
	v_fmac_f32_e32 v141, v108, v143
	s_waitcnt vmcnt(8)
	s_delay_alu instid0(VALU_DEP_1) | instskip(SKIP_3) | instid1(VALU_DEP_1)
	v_fmac_f32_e32 v141, v109, v144
	ds_load_2addr_b64 v[106:109], v2 offset0:37 offset1:38
	s_waitcnt lgkmcnt(1)
	v_fmac_f32_e32 v141, v110, v145
	v_fmac_f32_e32 v141, v111, v146
	s_delay_alu instid0(VALU_DEP_1) | instskip(SKIP_1) | instid1(VALU_DEP_1)
	v_fmac_f32_e32 v141, v112, v147
	s_waitcnt vmcnt(7)
	v_fmac_f32_e32 v141, v113, v148
	ds_load_2addr_b64 v[110:113], v2 offset0:39 offset1:40
	s_waitcnt lgkmcnt(1)
	v_fmac_f32_e32 v141, v114, v106
	s_delay_alu instid0(VALU_DEP_1) | instskip(NEXT) | instid1(VALU_DEP_1)
	v_fmac_f32_e32 v141, v115, v107
	v_fmac_f32_e32 v141, v116, v108
	s_waitcnt vmcnt(6)
	s_delay_alu instid0(VALU_DEP_1) | instskip(SKIP_3) | instid1(VALU_DEP_1)
	v_fmac_f32_e32 v141, v117, v109
	ds_load_2addr_b64 v[106:109], v2 offset0:41 offset1:42
	s_waitcnt lgkmcnt(1)
	v_fmac_f32_e32 v141, v118, v110
	v_fmac_f32_e32 v141, v119, v111
	s_delay_alu instid0(VALU_DEP_1) | instskip(SKIP_1) | instid1(VALU_DEP_1)
	v_fmac_f32_e32 v141, v120, v112
	s_waitcnt vmcnt(5)
	v_fmac_f32_e32 v141, v121, v113
	ds_load_2addr_b64 v[110:113], v2 offset0:43 offset1:44
	s_waitcnt lgkmcnt(1)
	v_fmac_f32_e32 v141, v122, v106
	;; [unrolled: 17-line block ×3, first 2 shown]
	s_delay_alu instid0(VALU_DEP_1) | instskip(NEXT) | instid1(VALU_DEP_1)
	v_fmac_f32_e32 v141, v131, v107
	v_fmac_f32_e32 v141, v132, v108
	s_waitcnt vmcnt(2)
	s_delay_alu instid0(VALU_DEP_1)
	v_fmac_f32_e32 v141, v133, v109
	ds_load_2addr_b64 v[106:109], v2 offset0:49 offset1:50
	s_waitcnt lgkmcnt(1)
	v_fmac_f32_e32 v141, v134, v110
	ds_load_b32 v110, v2 offset:408
	v_fmac_f32_e32 v141, v135, v111
	s_delay_alu instid0(VALU_DEP_1) | instskip(SKIP_1) | instid1(VALU_DEP_1)
	v_fmac_f32_e32 v141, v136, v112
	s_waitcnt vmcnt(1)
	v_fmac_f32_e32 v141, v137, v113
	s_waitcnt lgkmcnt(1)
	s_delay_alu instid0(VALU_DEP_1) | instskip(NEXT) | instid1(VALU_DEP_1)
	v_fmac_f32_e32 v141, v138, v106
	v_fmac_f32_e32 v141, v139, v107
	s_delay_alu instid0(VALU_DEP_1) | instskip(SKIP_1) | instid1(VALU_DEP_1)
	v_fmac_f32_e32 v141, v140, v108
	s_waitcnt vmcnt(0)
	v_fmac_f32_e32 v141, v149, v109
	s_waitcnt lgkmcnt(0)
	s_delay_alu instid0(VALU_DEP_1) | instskip(NEXT) | instid1(VALU_DEP_1)
	v_fmac_f32_e32 v141, v150, v110
	v_sub_f32_e32 v105, v105, v141
	scratch_store_b32 off, v105, off offset:52
	v_cmpx_lt_u32_e32 12, v0
	s_cbranch_execz .LBB114_289
; %bb.288:
	scratch_load_b32 v105, off, off offset:48
	scratch_store_b32 off, v2, off offset:48
	s_waitcnt vmcnt(0)
	ds_store_b32 v1, v105
.LBB114_289:
	s_or_b32 exec_lo, exec_lo, s0
	s_waitcnt lgkmcnt(0)
	s_waitcnt_vscnt null, 0x0
	s_barrier
	buffer_gl0_inv
	s_clause 0x9
	scratch_load_b128 v[105:108], off, off offset:48
	scratch_load_b128 v[109:112], off, off offset:64
	;; [unrolled: 1-line block ×9, first 2 shown]
	scratch_load_b96 v[141:143], off, off offset:192
	ds_load_2addr_b32 v[144:145], v2 offset0:65 offset1:66
	ds_load_2addr_b32 v[146:147], v2 offset0:67 offset1:68
	;; [unrolled: 1-line block ×4, first 2 shown]
	s_mov_b32 s0, exec_lo
	s_waitcnt vmcnt(9) lgkmcnt(3)
	v_fma_f32 v144, v106, v144, 0
	s_delay_alu instid0(VALU_DEP_1) | instskip(SKIP_4) | instid1(VALU_DEP_1)
	v_fmac_f32_e32 v144, v107, v145
	ds_load_2addr_b32 v[106:107], v2 offset0:73 offset1:74
	s_waitcnt lgkmcnt(3)
	v_fmac_f32_e32 v144, v108, v146
	s_waitcnt vmcnt(8)
	v_fmac_f32_e32 v144, v109, v147
	ds_load_2addr_b32 v[108:109], v2 offset0:75 offset1:76
	s_waitcnt lgkmcnt(3)
	v_fmac_f32_e32 v144, v110, v148
	s_delay_alu instid0(VALU_DEP_1) | instskip(SKIP_1) | instid1(VALU_DEP_1)
	v_fmac_f32_e32 v144, v111, v149
	s_waitcnt lgkmcnt(2)
	v_fmac_f32_e32 v144, v112, v150
	s_waitcnt vmcnt(7)
	s_delay_alu instid0(VALU_DEP_1) | instskip(SKIP_4) | instid1(VALU_DEP_1)
	v_fmac_f32_e32 v144, v113, v151
	ds_load_2addr_b32 v[110:111], v2 offset0:77 offset1:78
	ds_load_2addr_b32 v[112:113], v2 offset0:79 offset1:80
	s_waitcnt lgkmcnt(3)
	v_fmac_f32_e32 v144, v114, v106
	v_fmac_f32_e32 v144, v115, v107
	ds_load_2addr_b32 v[106:107], v2 offset0:81 offset1:82
	s_waitcnt lgkmcnt(3)
	v_fmac_f32_e32 v144, v116, v108
	s_waitcnt vmcnt(6)
	s_delay_alu instid0(VALU_DEP_1) | instskip(SKIP_3) | instid1(VALU_DEP_1)
	v_fmac_f32_e32 v144, v117, v109
	ds_load_2addr_b32 v[108:109], v2 offset0:83 offset1:84
	s_waitcnt lgkmcnt(3)
	v_fmac_f32_e32 v144, v118, v110
	v_fmac_f32_e32 v144, v119, v111
	s_waitcnt lgkmcnt(2)
	s_delay_alu instid0(VALU_DEP_1) | instskip(SKIP_1) | instid1(VALU_DEP_1)
	v_fmac_f32_e32 v144, v120, v112
	s_waitcnt vmcnt(5)
	v_fmac_f32_e32 v144, v121, v113
	ds_load_2addr_b32 v[110:111], v2 offset0:85 offset1:86
	ds_load_2addr_b32 v[112:113], v2 offset0:87 offset1:88
	s_waitcnt lgkmcnt(3)
	v_fmac_f32_e32 v144, v122, v106
	s_delay_alu instid0(VALU_DEP_1) | instskip(SKIP_4) | instid1(VALU_DEP_1)
	v_fmac_f32_e32 v144, v123, v107
	ds_load_2addr_b32 v[106:107], v2 offset0:89 offset1:90
	s_waitcnt lgkmcnt(3)
	v_fmac_f32_e32 v144, v124, v108
	s_waitcnt vmcnt(4)
	v_fmac_f32_e32 v144, v125, v109
	ds_load_2addr_b32 v[108:109], v2 offset0:91 offset1:92
	s_waitcnt lgkmcnt(3)
	v_fmac_f32_e32 v144, v126, v110
	s_delay_alu instid0(VALU_DEP_1) | instskip(SKIP_1) | instid1(VALU_DEP_1)
	v_fmac_f32_e32 v144, v127, v111
	s_waitcnt lgkmcnt(2)
	v_fmac_f32_e32 v144, v128, v112
	s_waitcnt vmcnt(3)
	s_delay_alu instid0(VALU_DEP_1) | instskip(SKIP_4) | instid1(VALU_DEP_1)
	v_fmac_f32_e32 v144, v129, v113
	ds_load_2addr_b32 v[110:111], v2 offset0:93 offset1:94
	ds_load_2addr_b32 v[112:113], v2 offset0:95 offset1:96
	s_waitcnt lgkmcnt(3)
	v_fmac_f32_e32 v144, v130, v106
	v_fmac_f32_e32 v144, v131, v107
	ds_load_2addr_b32 v[106:107], v2 offset0:97 offset1:98
	s_waitcnt lgkmcnt(3)
	v_fmac_f32_e32 v144, v132, v108
	s_waitcnt vmcnt(2)
	s_delay_alu instid0(VALU_DEP_1) | instskip(SKIP_3) | instid1(VALU_DEP_1)
	v_fmac_f32_e32 v144, v133, v109
	ds_load_2addr_b32 v[108:109], v2 offset0:99 offset1:100
	s_waitcnt lgkmcnt(3)
	v_fmac_f32_e32 v144, v134, v110
	v_fmac_f32_e32 v144, v135, v111
	ds_load_2addr_b32 v[110:111], v2 offset0:101 offset1:102
	s_waitcnt lgkmcnt(3)
	v_fmac_f32_e32 v144, v136, v112
	s_waitcnt vmcnt(1)
	s_delay_alu instid0(VALU_DEP_1) | instskip(SKIP_1) | instid1(VALU_DEP_1)
	v_fmac_f32_e32 v144, v137, v113
	s_waitcnt lgkmcnt(2)
	v_fmac_f32_e32 v144, v138, v106
	s_delay_alu instid0(VALU_DEP_1) | instskip(SKIP_1) | instid1(VALU_DEP_1)
	v_fmac_f32_e32 v144, v139, v107
	s_waitcnt lgkmcnt(1)
	v_fmac_f32_e32 v144, v140, v108
	s_waitcnt vmcnt(0)
	s_delay_alu instid0(VALU_DEP_1) | instskip(SKIP_1) | instid1(VALU_DEP_1)
	v_fmac_f32_e32 v144, v141, v109
	s_waitcnt lgkmcnt(0)
	v_fmac_f32_e32 v144, v142, v110
	s_delay_alu instid0(VALU_DEP_1) | instskip(NEXT) | instid1(VALU_DEP_1)
	v_fmac_f32_e32 v144, v143, v111
	v_sub_f32_e32 v2, v105, v144
	scratch_store_b32 off, v2, off offset:48
	v_cmpx_lt_u32_e32 11, v0
	s_cbranch_execz .LBB114_291
; %bb.290:
	scratch_load_b32 v2, off, off offset:44
	v_mov_b32_e32 v105, 0
	scratch_store_b32 off, v105, off offset:44
	s_waitcnt vmcnt(0)
	ds_store_b32 v1, v2
.LBB114_291:
	s_or_b32 exec_lo, exec_lo, s0
	s_waitcnt lgkmcnt(0)
	s_waitcnt_vscnt null, 0x0
	s_barrier
	buffer_gl0_inv
	s_clause 0x9
	scratch_load_b128 v[105:108], off, off offset:44
	scratch_load_b128 v[109:112], off, off offset:60
	;; [unrolled: 1-line block ×10, first 2 shown]
	v_mov_b32_e32 v2, 0
	ds_load_b128 v[145:148], v2 offset:256
	ds_load_b128 v[149:152], v2 offset:272
	s_mov_b32 s0, exec_lo
	s_waitcnt vmcnt(9) lgkmcnt(1)
	v_fma_f32 v145, v106, v145, 0
	s_delay_alu instid0(VALU_DEP_1) | instskip(NEXT) | instid1(VALU_DEP_1)
	v_fmac_f32_e32 v145, v107, v146
	v_fmac_f32_e32 v145, v108, v147
	s_waitcnt vmcnt(8)
	s_delay_alu instid0(VALU_DEP_1) | instskip(SKIP_3) | instid1(VALU_DEP_1)
	v_fmac_f32_e32 v145, v109, v148
	ds_load_b128 v[106:109], v2 offset:288
	s_waitcnt lgkmcnt(1)
	v_fmac_f32_e32 v145, v110, v149
	v_fmac_f32_e32 v145, v111, v150
	s_delay_alu instid0(VALU_DEP_1) | instskip(SKIP_1) | instid1(VALU_DEP_1)
	v_fmac_f32_e32 v145, v112, v151
	s_waitcnt vmcnt(7)
	v_fmac_f32_e32 v145, v113, v152
	ds_load_b128 v[110:113], v2 offset:304
	s_waitcnt lgkmcnt(1)
	v_fmac_f32_e32 v145, v114, v106
	s_delay_alu instid0(VALU_DEP_1) | instskip(NEXT) | instid1(VALU_DEP_1)
	v_fmac_f32_e32 v145, v115, v107
	v_fmac_f32_e32 v145, v116, v108
	s_waitcnt vmcnt(6)
	s_delay_alu instid0(VALU_DEP_1) | instskip(SKIP_3) | instid1(VALU_DEP_1)
	v_fmac_f32_e32 v145, v117, v109
	ds_load_b128 v[106:109], v2 offset:320
	s_waitcnt lgkmcnt(1)
	v_fmac_f32_e32 v145, v118, v110
	v_fmac_f32_e32 v145, v119, v111
	s_delay_alu instid0(VALU_DEP_1) | instskip(SKIP_1) | instid1(VALU_DEP_1)
	v_fmac_f32_e32 v145, v120, v112
	s_waitcnt vmcnt(5)
	v_fmac_f32_e32 v145, v121, v113
	ds_load_b128 v[110:113], v2 offset:336
	s_waitcnt lgkmcnt(1)
	v_fmac_f32_e32 v145, v122, v106
	;; [unrolled: 17-line block ×3, first 2 shown]
	s_delay_alu instid0(VALU_DEP_1) | instskip(NEXT) | instid1(VALU_DEP_1)
	v_fmac_f32_e32 v145, v131, v107
	v_fmac_f32_e32 v145, v132, v108
	s_waitcnt vmcnt(2)
	s_delay_alu instid0(VALU_DEP_1) | instskip(SKIP_3) | instid1(VALU_DEP_1)
	v_fmac_f32_e32 v145, v133, v109
	ds_load_b128 v[106:109], v2 offset:384
	s_waitcnt lgkmcnt(1)
	v_fmac_f32_e32 v145, v134, v110
	v_fmac_f32_e32 v145, v135, v111
	s_delay_alu instid0(VALU_DEP_1) | instskip(SKIP_4) | instid1(VALU_DEP_1)
	v_fmac_f32_e32 v145, v136, v112
	ds_load_b96 v[110:112], v2 offset:400
	s_waitcnt vmcnt(1)
	v_fmac_f32_e32 v145, v137, v113
	s_waitcnt lgkmcnt(1)
	v_fmac_f32_e32 v145, v138, v106
	s_delay_alu instid0(VALU_DEP_1) | instskip(NEXT) | instid1(VALU_DEP_1)
	v_fmac_f32_e32 v145, v139, v107
	v_fmac_f32_e32 v145, v140, v108
	s_waitcnt vmcnt(0)
	s_delay_alu instid0(VALU_DEP_1) | instskip(SKIP_1) | instid1(VALU_DEP_1)
	v_fmac_f32_e32 v145, v141, v109
	s_waitcnt lgkmcnt(0)
	v_fmac_f32_e32 v145, v142, v110
	s_delay_alu instid0(VALU_DEP_1) | instskip(NEXT) | instid1(VALU_DEP_1)
	v_fmac_f32_e32 v145, v143, v111
	v_fmac_f32_e32 v145, v144, v112
	s_delay_alu instid0(VALU_DEP_1)
	v_sub_f32_e32 v105, v105, v145
	scratch_store_b32 off, v105, off offset:44
	v_cmpx_lt_u32_e32 10, v0
	s_cbranch_execz .LBB114_293
; %bb.292:
	scratch_load_b32 v105, off, off offset:40
	scratch_store_b32 off, v2, off offset:40
	s_waitcnt vmcnt(0)
	ds_store_b32 v1, v105
.LBB114_293:
	s_or_b32 exec_lo, exec_lo, s0
	s_waitcnt lgkmcnt(0)
	s_waitcnt_vscnt null, 0x0
	s_barrier
	buffer_gl0_inv
	s_clause 0xa
	scratch_load_b128 v[105:108], off, off offset:40
	scratch_load_b128 v[109:112], off, off offset:56
	;; [unrolled: 1-line block ×10, first 2 shown]
	scratch_load_b32 v153, off, off offset:200
	ds_load_2addr_b32 v[145:146], v2 offset0:63 offset1:64
	ds_load_2addr_b32 v[147:148], v2 offset0:65 offset1:66
	ds_load_2addr_b32 v[149:150], v2 offset0:67 offset1:68
	ds_load_2addr_b32 v[151:152], v2 offset0:69 offset1:70
	s_mov_b32 s0, exec_lo
	s_waitcnt vmcnt(10) lgkmcnt(3)
	v_fma_f32 v145, v106, v145, 0
	s_delay_alu instid0(VALU_DEP_1) | instskip(SKIP_4) | instid1(VALU_DEP_1)
	v_fmac_f32_e32 v145, v107, v146
	ds_load_2addr_b32 v[106:107], v2 offset0:71 offset1:72
	s_waitcnt lgkmcnt(3)
	v_fmac_f32_e32 v145, v108, v147
	s_waitcnt vmcnt(9)
	v_fmac_f32_e32 v145, v109, v148
	ds_load_2addr_b32 v[108:109], v2 offset0:73 offset1:74
	s_waitcnt lgkmcnt(3)
	v_fmac_f32_e32 v145, v110, v149
	s_delay_alu instid0(VALU_DEP_1) | instskip(SKIP_1) | instid1(VALU_DEP_1)
	v_fmac_f32_e32 v145, v111, v150
	s_waitcnt lgkmcnt(2)
	v_fmac_f32_e32 v145, v112, v151
	s_waitcnt vmcnt(8)
	s_delay_alu instid0(VALU_DEP_1) | instskip(SKIP_4) | instid1(VALU_DEP_1)
	v_fmac_f32_e32 v145, v113, v152
	ds_load_2addr_b32 v[110:111], v2 offset0:75 offset1:76
	ds_load_2addr_b32 v[112:113], v2 offset0:77 offset1:78
	s_waitcnt lgkmcnt(3)
	v_fmac_f32_e32 v145, v114, v106
	v_fmac_f32_e32 v145, v115, v107
	ds_load_2addr_b32 v[106:107], v2 offset0:79 offset1:80
	s_waitcnt lgkmcnt(3)
	v_fmac_f32_e32 v145, v116, v108
	s_waitcnt vmcnt(7)
	s_delay_alu instid0(VALU_DEP_1) | instskip(SKIP_3) | instid1(VALU_DEP_1)
	v_fmac_f32_e32 v145, v117, v109
	ds_load_2addr_b32 v[108:109], v2 offset0:81 offset1:82
	s_waitcnt lgkmcnt(3)
	v_fmac_f32_e32 v145, v118, v110
	v_fmac_f32_e32 v145, v119, v111
	s_waitcnt lgkmcnt(2)
	s_delay_alu instid0(VALU_DEP_1) | instskip(SKIP_1) | instid1(VALU_DEP_1)
	v_fmac_f32_e32 v145, v120, v112
	s_waitcnt vmcnt(6)
	v_fmac_f32_e32 v145, v121, v113
	ds_load_2addr_b32 v[110:111], v2 offset0:83 offset1:84
	ds_load_2addr_b32 v[112:113], v2 offset0:85 offset1:86
	s_waitcnt lgkmcnt(3)
	v_fmac_f32_e32 v145, v122, v106
	s_delay_alu instid0(VALU_DEP_1) | instskip(SKIP_4) | instid1(VALU_DEP_1)
	v_fmac_f32_e32 v145, v123, v107
	ds_load_2addr_b32 v[106:107], v2 offset0:87 offset1:88
	s_waitcnt lgkmcnt(3)
	v_fmac_f32_e32 v145, v124, v108
	s_waitcnt vmcnt(5)
	v_fmac_f32_e32 v145, v125, v109
	ds_load_2addr_b32 v[108:109], v2 offset0:89 offset1:90
	s_waitcnt lgkmcnt(3)
	v_fmac_f32_e32 v145, v126, v110
	s_delay_alu instid0(VALU_DEP_1) | instskip(SKIP_1) | instid1(VALU_DEP_1)
	v_fmac_f32_e32 v145, v127, v111
	s_waitcnt lgkmcnt(2)
	v_fmac_f32_e32 v145, v128, v112
	s_waitcnt vmcnt(4)
	s_delay_alu instid0(VALU_DEP_1) | instskip(SKIP_4) | instid1(VALU_DEP_1)
	v_fmac_f32_e32 v145, v129, v113
	ds_load_2addr_b32 v[110:111], v2 offset0:91 offset1:92
	ds_load_2addr_b32 v[112:113], v2 offset0:93 offset1:94
	s_waitcnt lgkmcnt(3)
	v_fmac_f32_e32 v145, v130, v106
	v_fmac_f32_e32 v145, v131, v107
	ds_load_2addr_b32 v[106:107], v2 offset0:95 offset1:96
	s_waitcnt lgkmcnt(3)
	v_fmac_f32_e32 v145, v132, v108
	s_waitcnt vmcnt(3)
	s_delay_alu instid0(VALU_DEP_1) | instskip(SKIP_3) | instid1(VALU_DEP_1)
	v_fmac_f32_e32 v145, v133, v109
	ds_load_2addr_b32 v[108:109], v2 offset0:97 offset1:98
	s_waitcnt lgkmcnt(3)
	v_fmac_f32_e32 v145, v134, v110
	v_fmac_f32_e32 v145, v135, v111
	s_waitcnt lgkmcnt(2)
	s_delay_alu instid0(VALU_DEP_1) | instskip(SKIP_1) | instid1(VALU_DEP_1)
	v_fmac_f32_e32 v145, v136, v112
	s_waitcnt vmcnt(2)
	v_fmac_f32_e32 v145, v137, v113
	ds_load_2addr_b32 v[110:111], v2 offset0:99 offset1:100
	ds_load_2addr_b32 v[112:113], v2 offset0:101 offset1:102
	s_waitcnt lgkmcnt(3)
	v_fmac_f32_e32 v145, v138, v106
	s_delay_alu instid0(VALU_DEP_1) | instskip(SKIP_1) | instid1(VALU_DEP_1)
	v_fmac_f32_e32 v145, v139, v107
	s_waitcnt lgkmcnt(2)
	v_fmac_f32_e32 v145, v140, v108
	s_waitcnt vmcnt(1)
	s_delay_alu instid0(VALU_DEP_1) | instskip(SKIP_1) | instid1(VALU_DEP_1)
	v_fmac_f32_e32 v145, v141, v109
	s_waitcnt lgkmcnt(1)
	v_fmac_f32_e32 v145, v142, v110
	s_delay_alu instid0(VALU_DEP_1) | instskip(SKIP_1) | instid1(VALU_DEP_1)
	v_fmac_f32_e32 v145, v143, v111
	s_waitcnt lgkmcnt(0)
	v_fmac_f32_e32 v145, v144, v112
	s_waitcnt vmcnt(0)
	s_delay_alu instid0(VALU_DEP_1) | instskip(NEXT) | instid1(VALU_DEP_1)
	v_fmac_f32_e32 v145, v153, v113
	v_sub_f32_e32 v2, v105, v145
	scratch_store_b32 off, v2, off offset:40
	v_cmpx_lt_u32_e32 9, v0
	s_cbranch_execz .LBB114_295
; %bb.294:
	scratch_load_b32 v2, off, off offset:36
	v_mov_b32_e32 v105, 0
	scratch_store_b32 off, v105, off offset:36
	s_waitcnt vmcnt(0)
	ds_store_b32 v1, v2
.LBB114_295:
	s_or_b32 exec_lo, exec_lo, s0
	s_waitcnt lgkmcnt(0)
	s_waitcnt_vscnt null, 0x0
	s_barrier
	buffer_gl0_inv
	s_clause 0xa
	scratch_load_b128 v[105:108], off, off offset:36
	scratch_load_b128 v[109:112], off, off offset:52
	;; [unrolled: 1-line block ×10, first 2 shown]
	scratch_load_b64 v[153:154], off, off offset:196
	v_mov_b32_e32 v2, 0
	ds_load_2addr_b64 v[145:148], v2 offset0:31 offset1:32
	ds_load_2addr_b64 v[149:152], v2 offset0:33 offset1:34
	s_mov_b32 s0, exec_lo
	s_waitcnt vmcnt(10) lgkmcnt(1)
	v_fma_f32 v145, v106, v145, 0
	s_delay_alu instid0(VALU_DEP_1) | instskip(NEXT) | instid1(VALU_DEP_1)
	v_fmac_f32_e32 v145, v107, v146
	v_fmac_f32_e32 v145, v108, v147
	s_waitcnt vmcnt(9)
	s_delay_alu instid0(VALU_DEP_1) | instskip(SKIP_3) | instid1(VALU_DEP_1)
	v_fmac_f32_e32 v145, v109, v148
	ds_load_2addr_b64 v[106:109], v2 offset0:35 offset1:36
	s_waitcnt lgkmcnt(1)
	v_fmac_f32_e32 v145, v110, v149
	v_fmac_f32_e32 v145, v111, v150
	s_delay_alu instid0(VALU_DEP_1) | instskip(SKIP_1) | instid1(VALU_DEP_1)
	v_fmac_f32_e32 v145, v112, v151
	s_waitcnt vmcnt(8)
	v_fmac_f32_e32 v145, v113, v152
	ds_load_2addr_b64 v[110:113], v2 offset0:37 offset1:38
	s_waitcnt lgkmcnt(1)
	v_fmac_f32_e32 v145, v114, v106
	s_delay_alu instid0(VALU_DEP_1) | instskip(NEXT) | instid1(VALU_DEP_1)
	v_fmac_f32_e32 v145, v115, v107
	v_fmac_f32_e32 v145, v116, v108
	s_waitcnt vmcnt(7)
	s_delay_alu instid0(VALU_DEP_1) | instskip(SKIP_3) | instid1(VALU_DEP_1)
	v_fmac_f32_e32 v145, v117, v109
	ds_load_2addr_b64 v[106:109], v2 offset0:39 offset1:40
	s_waitcnt lgkmcnt(1)
	v_fmac_f32_e32 v145, v118, v110
	v_fmac_f32_e32 v145, v119, v111
	s_delay_alu instid0(VALU_DEP_1) | instskip(SKIP_1) | instid1(VALU_DEP_1)
	v_fmac_f32_e32 v145, v120, v112
	s_waitcnt vmcnt(6)
	v_fmac_f32_e32 v145, v121, v113
	ds_load_2addr_b64 v[110:113], v2 offset0:41 offset1:42
	s_waitcnt lgkmcnt(1)
	v_fmac_f32_e32 v145, v122, v106
	;; [unrolled: 17-line block ×4, first 2 shown]
	ds_load_b32 v106, v2 offset:408
	v_fmac_f32_e32 v145, v139, v107
	s_delay_alu instid0(VALU_DEP_1) | instskip(SKIP_1) | instid1(VALU_DEP_1)
	v_fmac_f32_e32 v145, v140, v108
	s_waitcnt vmcnt(1)
	v_fmac_f32_e32 v145, v141, v109
	s_waitcnt lgkmcnt(1)
	s_delay_alu instid0(VALU_DEP_1) | instskip(NEXT) | instid1(VALU_DEP_1)
	v_fmac_f32_e32 v145, v142, v110
	v_fmac_f32_e32 v145, v143, v111
	s_delay_alu instid0(VALU_DEP_1) | instskip(SKIP_1) | instid1(VALU_DEP_1)
	v_fmac_f32_e32 v145, v144, v112
	s_waitcnt vmcnt(0)
	v_fmac_f32_e32 v145, v153, v113
	s_waitcnt lgkmcnt(0)
	s_delay_alu instid0(VALU_DEP_1) | instskip(NEXT) | instid1(VALU_DEP_1)
	v_fmac_f32_e32 v145, v154, v106
	v_sub_f32_e32 v105, v105, v145
	scratch_store_b32 off, v105, off offset:36
	v_cmpx_lt_u32_e32 8, v0
	s_cbranch_execz .LBB114_297
; %bb.296:
	scratch_load_b32 v105, off, off offset:32
	scratch_store_b32 off, v2, off offset:32
	s_waitcnt vmcnt(0)
	ds_store_b32 v1, v105
.LBB114_297:
	s_or_b32 exec_lo, exec_lo, s0
	s_waitcnt lgkmcnt(0)
	s_waitcnt_vscnt null, 0x0
	s_barrier
	buffer_gl0_inv
	s_clause 0xa
	scratch_load_b128 v[105:108], off, off offset:32
	scratch_load_b128 v[109:112], off, off offset:48
	;; [unrolled: 1-line block ×10, first 2 shown]
	scratch_load_b96 v[145:147], off, off offset:192
	ds_load_2addr_b32 v[148:149], v2 offset0:61 offset1:62
	ds_load_2addr_b32 v[150:151], v2 offset0:63 offset1:64
	;; [unrolled: 1-line block ×4, first 2 shown]
	s_mov_b32 s0, exec_lo
	s_waitcnt vmcnt(10) lgkmcnt(3)
	v_fma_f32 v148, v106, v148, 0
	s_delay_alu instid0(VALU_DEP_1) | instskip(SKIP_4) | instid1(VALU_DEP_1)
	v_fmac_f32_e32 v148, v107, v149
	ds_load_2addr_b32 v[106:107], v2 offset0:69 offset1:70
	s_waitcnt lgkmcnt(3)
	v_fmac_f32_e32 v148, v108, v150
	s_waitcnt vmcnt(9)
	v_fmac_f32_e32 v148, v109, v151
	ds_load_2addr_b32 v[108:109], v2 offset0:71 offset1:72
	s_waitcnt lgkmcnt(3)
	v_fmac_f32_e32 v148, v110, v152
	s_delay_alu instid0(VALU_DEP_1) | instskip(SKIP_1) | instid1(VALU_DEP_1)
	v_fmac_f32_e32 v148, v111, v153
	s_waitcnt lgkmcnt(2)
	v_fmac_f32_e32 v148, v112, v154
	s_waitcnt vmcnt(8)
	s_delay_alu instid0(VALU_DEP_1) | instskip(SKIP_4) | instid1(VALU_DEP_1)
	v_fmac_f32_e32 v148, v113, v155
	ds_load_2addr_b32 v[110:111], v2 offset0:73 offset1:74
	ds_load_2addr_b32 v[112:113], v2 offset0:75 offset1:76
	s_waitcnt lgkmcnt(3)
	v_fmac_f32_e32 v148, v114, v106
	v_fmac_f32_e32 v148, v115, v107
	ds_load_2addr_b32 v[106:107], v2 offset0:77 offset1:78
	s_waitcnt lgkmcnt(3)
	v_fmac_f32_e32 v148, v116, v108
	s_waitcnt vmcnt(7)
	s_delay_alu instid0(VALU_DEP_1) | instskip(SKIP_3) | instid1(VALU_DEP_1)
	v_fmac_f32_e32 v148, v117, v109
	ds_load_2addr_b32 v[108:109], v2 offset0:79 offset1:80
	s_waitcnt lgkmcnt(3)
	v_fmac_f32_e32 v148, v118, v110
	v_fmac_f32_e32 v148, v119, v111
	s_waitcnt lgkmcnt(2)
	s_delay_alu instid0(VALU_DEP_1) | instskip(SKIP_1) | instid1(VALU_DEP_1)
	v_fmac_f32_e32 v148, v120, v112
	s_waitcnt vmcnt(6)
	v_fmac_f32_e32 v148, v121, v113
	ds_load_2addr_b32 v[110:111], v2 offset0:81 offset1:82
	ds_load_2addr_b32 v[112:113], v2 offset0:83 offset1:84
	s_waitcnt lgkmcnt(3)
	v_fmac_f32_e32 v148, v122, v106
	s_delay_alu instid0(VALU_DEP_1) | instskip(SKIP_4) | instid1(VALU_DEP_1)
	v_fmac_f32_e32 v148, v123, v107
	ds_load_2addr_b32 v[106:107], v2 offset0:85 offset1:86
	s_waitcnt lgkmcnt(3)
	v_fmac_f32_e32 v148, v124, v108
	s_waitcnt vmcnt(5)
	v_fmac_f32_e32 v148, v125, v109
	ds_load_2addr_b32 v[108:109], v2 offset0:87 offset1:88
	s_waitcnt lgkmcnt(3)
	v_fmac_f32_e32 v148, v126, v110
	s_delay_alu instid0(VALU_DEP_1) | instskip(SKIP_1) | instid1(VALU_DEP_1)
	v_fmac_f32_e32 v148, v127, v111
	s_waitcnt lgkmcnt(2)
	v_fmac_f32_e32 v148, v128, v112
	s_waitcnt vmcnt(4)
	s_delay_alu instid0(VALU_DEP_1) | instskip(SKIP_4) | instid1(VALU_DEP_1)
	v_fmac_f32_e32 v148, v129, v113
	ds_load_2addr_b32 v[110:111], v2 offset0:89 offset1:90
	ds_load_2addr_b32 v[112:113], v2 offset0:91 offset1:92
	s_waitcnt lgkmcnt(3)
	v_fmac_f32_e32 v148, v130, v106
	v_fmac_f32_e32 v148, v131, v107
	ds_load_2addr_b32 v[106:107], v2 offset0:93 offset1:94
	s_waitcnt lgkmcnt(3)
	v_fmac_f32_e32 v148, v132, v108
	s_waitcnt vmcnt(3)
	s_delay_alu instid0(VALU_DEP_1) | instskip(SKIP_3) | instid1(VALU_DEP_1)
	v_fmac_f32_e32 v148, v133, v109
	ds_load_2addr_b32 v[108:109], v2 offset0:95 offset1:96
	s_waitcnt lgkmcnt(3)
	v_fmac_f32_e32 v148, v134, v110
	v_fmac_f32_e32 v148, v135, v111
	s_waitcnt lgkmcnt(2)
	s_delay_alu instid0(VALU_DEP_1) | instskip(SKIP_1) | instid1(VALU_DEP_1)
	v_fmac_f32_e32 v148, v136, v112
	s_waitcnt vmcnt(2)
	v_fmac_f32_e32 v148, v137, v113
	ds_load_2addr_b32 v[110:111], v2 offset0:97 offset1:98
	ds_load_2addr_b32 v[112:113], v2 offset0:99 offset1:100
	s_waitcnt lgkmcnt(3)
	v_fmac_f32_e32 v148, v138, v106
	s_delay_alu instid0(VALU_DEP_1) | instskip(SKIP_4) | instid1(VALU_DEP_1)
	v_fmac_f32_e32 v148, v139, v107
	ds_load_2addr_b32 v[106:107], v2 offset0:101 offset1:102
	s_waitcnt lgkmcnt(3)
	v_fmac_f32_e32 v148, v140, v108
	s_waitcnt vmcnt(1)
	v_fmac_f32_e32 v148, v141, v109
	s_waitcnt lgkmcnt(2)
	s_delay_alu instid0(VALU_DEP_1) | instskip(NEXT) | instid1(VALU_DEP_1)
	v_fmac_f32_e32 v148, v142, v110
	v_fmac_f32_e32 v148, v143, v111
	s_waitcnt lgkmcnt(1)
	s_delay_alu instid0(VALU_DEP_1) | instskip(SKIP_1) | instid1(VALU_DEP_1)
	v_fmac_f32_e32 v148, v144, v112
	s_waitcnt vmcnt(0)
	v_fmac_f32_e32 v148, v145, v113
	s_waitcnt lgkmcnt(0)
	s_delay_alu instid0(VALU_DEP_1) | instskip(NEXT) | instid1(VALU_DEP_1)
	v_fmac_f32_e32 v148, v146, v106
	v_fmac_f32_e32 v148, v147, v107
	s_delay_alu instid0(VALU_DEP_1)
	v_sub_f32_e32 v2, v105, v148
	scratch_store_b32 off, v2, off offset:32
	v_cmpx_lt_u32_e32 7, v0
	s_cbranch_execz .LBB114_299
; %bb.298:
	scratch_load_b32 v2, off, off offset:28
	v_mov_b32_e32 v105, 0
	scratch_store_b32 off, v105, off offset:28
	s_waitcnt vmcnt(0)
	ds_store_b32 v1, v2
.LBB114_299:
	s_or_b32 exec_lo, exec_lo, s0
	s_waitcnt lgkmcnt(0)
	s_waitcnt_vscnt null, 0x0
	s_barrier
	buffer_gl0_inv
	s_clause 0xa
	scratch_load_b128 v[105:108], off, off offset:28
	scratch_load_b128 v[109:112], off, off offset:44
	;; [unrolled: 1-line block ×11, first 2 shown]
	v_mov_b32_e32 v2, 0
	ds_load_b128 v[149:152], v2 offset:240
	ds_load_b128 v[153:156], v2 offset:256
	s_mov_b32 s0, exec_lo
	s_waitcnt vmcnt(10) lgkmcnt(1)
	v_fma_f32 v149, v106, v149, 0
	s_delay_alu instid0(VALU_DEP_1) | instskip(NEXT) | instid1(VALU_DEP_1)
	v_fmac_f32_e32 v149, v107, v150
	v_fmac_f32_e32 v149, v108, v151
	s_waitcnt vmcnt(9)
	s_delay_alu instid0(VALU_DEP_1) | instskip(SKIP_3) | instid1(VALU_DEP_1)
	v_fmac_f32_e32 v149, v109, v152
	ds_load_b128 v[106:109], v2 offset:272
	s_waitcnt lgkmcnt(1)
	v_fmac_f32_e32 v149, v110, v153
	v_fmac_f32_e32 v149, v111, v154
	s_delay_alu instid0(VALU_DEP_1) | instskip(SKIP_1) | instid1(VALU_DEP_1)
	v_fmac_f32_e32 v149, v112, v155
	s_waitcnt vmcnt(8)
	v_fmac_f32_e32 v149, v113, v156
	ds_load_b128 v[110:113], v2 offset:288
	s_waitcnt lgkmcnt(1)
	v_fmac_f32_e32 v149, v114, v106
	s_delay_alu instid0(VALU_DEP_1) | instskip(NEXT) | instid1(VALU_DEP_1)
	v_fmac_f32_e32 v149, v115, v107
	v_fmac_f32_e32 v149, v116, v108
	s_waitcnt vmcnt(7)
	s_delay_alu instid0(VALU_DEP_1) | instskip(SKIP_3) | instid1(VALU_DEP_1)
	v_fmac_f32_e32 v149, v117, v109
	ds_load_b128 v[106:109], v2 offset:304
	s_waitcnt lgkmcnt(1)
	v_fmac_f32_e32 v149, v118, v110
	v_fmac_f32_e32 v149, v119, v111
	s_delay_alu instid0(VALU_DEP_1) | instskip(SKIP_1) | instid1(VALU_DEP_1)
	v_fmac_f32_e32 v149, v120, v112
	s_waitcnt vmcnt(6)
	v_fmac_f32_e32 v149, v121, v113
	ds_load_b128 v[110:113], v2 offset:320
	s_waitcnt lgkmcnt(1)
	v_fmac_f32_e32 v149, v122, v106
	;; [unrolled: 17-line block ×4, first 2 shown]
	s_delay_alu instid0(VALU_DEP_1) | instskip(NEXT) | instid1(VALU_DEP_1)
	v_fmac_f32_e32 v149, v139, v107
	v_fmac_f32_e32 v149, v140, v108
	ds_load_b96 v[106:108], v2 offset:400
	s_waitcnt vmcnt(1)
	v_fmac_f32_e32 v149, v141, v109
	s_waitcnt lgkmcnt(1)
	s_delay_alu instid0(VALU_DEP_1) | instskip(NEXT) | instid1(VALU_DEP_1)
	v_fmac_f32_e32 v149, v142, v110
	v_fmac_f32_e32 v149, v143, v111
	s_delay_alu instid0(VALU_DEP_1) | instskip(SKIP_1) | instid1(VALU_DEP_1)
	v_fmac_f32_e32 v149, v144, v112
	s_waitcnt vmcnt(0)
	v_fmac_f32_e32 v149, v145, v113
	s_waitcnt lgkmcnt(0)
	s_delay_alu instid0(VALU_DEP_1) | instskip(NEXT) | instid1(VALU_DEP_1)
	v_fmac_f32_e32 v149, v146, v106
	v_fmac_f32_e32 v149, v147, v107
	s_delay_alu instid0(VALU_DEP_1) | instskip(NEXT) | instid1(VALU_DEP_1)
	v_fmac_f32_e32 v149, v148, v108
	v_sub_f32_e32 v105, v105, v149
	scratch_store_b32 off, v105, off offset:28
	v_cmpx_lt_u32_e32 6, v0
	s_cbranch_execz .LBB114_301
; %bb.300:
	scratch_load_b32 v105, off, off offset:24
	scratch_store_b32 off, v2, off offset:24
	s_waitcnt vmcnt(0)
	ds_store_b32 v1, v105
.LBB114_301:
	s_or_b32 exec_lo, exec_lo, s0
	s_waitcnt lgkmcnt(0)
	s_waitcnt_vscnt null, 0x0
	s_barrier
	buffer_gl0_inv
	s_clause 0xb
	scratch_load_b128 v[105:108], off, off offset:24
	scratch_load_b128 v[109:112], off, off offset:40
	;; [unrolled: 1-line block ×11, first 2 shown]
	scratch_load_b32 v157, off, off offset:200
	ds_load_2addr_b32 v[149:150], v2 offset0:59 offset1:60
	ds_load_2addr_b32 v[151:152], v2 offset0:61 offset1:62
	;; [unrolled: 1-line block ×4, first 2 shown]
	s_mov_b32 s0, exec_lo
	s_waitcnt vmcnt(11) lgkmcnt(3)
	v_fma_f32 v149, v106, v149, 0
	s_delay_alu instid0(VALU_DEP_1) | instskip(SKIP_4) | instid1(VALU_DEP_1)
	v_fmac_f32_e32 v149, v107, v150
	ds_load_2addr_b32 v[106:107], v2 offset0:67 offset1:68
	s_waitcnt lgkmcnt(3)
	v_fmac_f32_e32 v149, v108, v151
	s_waitcnt vmcnt(10)
	v_fmac_f32_e32 v149, v109, v152
	ds_load_2addr_b32 v[108:109], v2 offset0:69 offset1:70
	s_waitcnt lgkmcnt(3)
	v_fmac_f32_e32 v149, v110, v153
	s_delay_alu instid0(VALU_DEP_1) | instskip(SKIP_1) | instid1(VALU_DEP_1)
	v_fmac_f32_e32 v149, v111, v154
	s_waitcnt lgkmcnt(2)
	v_fmac_f32_e32 v149, v112, v155
	s_waitcnt vmcnt(9)
	s_delay_alu instid0(VALU_DEP_1) | instskip(SKIP_4) | instid1(VALU_DEP_1)
	v_fmac_f32_e32 v149, v113, v156
	ds_load_2addr_b32 v[110:111], v2 offset0:71 offset1:72
	ds_load_2addr_b32 v[112:113], v2 offset0:73 offset1:74
	s_waitcnt lgkmcnt(3)
	v_fmac_f32_e32 v149, v114, v106
	v_fmac_f32_e32 v149, v115, v107
	ds_load_2addr_b32 v[106:107], v2 offset0:75 offset1:76
	s_waitcnt lgkmcnt(3)
	v_fmac_f32_e32 v149, v116, v108
	s_waitcnt vmcnt(8)
	s_delay_alu instid0(VALU_DEP_1) | instskip(SKIP_3) | instid1(VALU_DEP_1)
	v_fmac_f32_e32 v149, v117, v109
	ds_load_2addr_b32 v[108:109], v2 offset0:77 offset1:78
	s_waitcnt lgkmcnt(3)
	v_fmac_f32_e32 v149, v118, v110
	v_fmac_f32_e32 v149, v119, v111
	s_waitcnt lgkmcnt(2)
	s_delay_alu instid0(VALU_DEP_1) | instskip(SKIP_1) | instid1(VALU_DEP_1)
	v_fmac_f32_e32 v149, v120, v112
	s_waitcnt vmcnt(7)
	v_fmac_f32_e32 v149, v121, v113
	ds_load_2addr_b32 v[110:111], v2 offset0:79 offset1:80
	ds_load_2addr_b32 v[112:113], v2 offset0:81 offset1:82
	s_waitcnt lgkmcnt(3)
	v_fmac_f32_e32 v149, v122, v106
	s_delay_alu instid0(VALU_DEP_1) | instskip(SKIP_4) | instid1(VALU_DEP_1)
	v_fmac_f32_e32 v149, v123, v107
	ds_load_2addr_b32 v[106:107], v2 offset0:83 offset1:84
	s_waitcnt lgkmcnt(3)
	v_fmac_f32_e32 v149, v124, v108
	s_waitcnt vmcnt(6)
	v_fmac_f32_e32 v149, v125, v109
	ds_load_2addr_b32 v[108:109], v2 offset0:85 offset1:86
	s_waitcnt lgkmcnt(3)
	v_fmac_f32_e32 v149, v126, v110
	s_delay_alu instid0(VALU_DEP_1) | instskip(SKIP_1) | instid1(VALU_DEP_1)
	v_fmac_f32_e32 v149, v127, v111
	s_waitcnt lgkmcnt(2)
	v_fmac_f32_e32 v149, v128, v112
	s_waitcnt vmcnt(5)
	s_delay_alu instid0(VALU_DEP_1) | instskip(SKIP_4) | instid1(VALU_DEP_1)
	v_fmac_f32_e32 v149, v129, v113
	ds_load_2addr_b32 v[110:111], v2 offset0:87 offset1:88
	ds_load_2addr_b32 v[112:113], v2 offset0:89 offset1:90
	s_waitcnt lgkmcnt(3)
	v_fmac_f32_e32 v149, v130, v106
	v_fmac_f32_e32 v149, v131, v107
	ds_load_2addr_b32 v[106:107], v2 offset0:91 offset1:92
	s_waitcnt lgkmcnt(3)
	v_fmac_f32_e32 v149, v132, v108
	s_waitcnt vmcnt(4)
	s_delay_alu instid0(VALU_DEP_1) | instskip(SKIP_3) | instid1(VALU_DEP_1)
	v_fmac_f32_e32 v149, v133, v109
	ds_load_2addr_b32 v[108:109], v2 offset0:93 offset1:94
	s_waitcnt lgkmcnt(3)
	v_fmac_f32_e32 v149, v134, v110
	v_fmac_f32_e32 v149, v135, v111
	s_waitcnt lgkmcnt(2)
	s_delay_alu instid0(VALU_DEP_1) | instskip(SKIP_1) | instid1(VALU_DEP_1)
	v_fmac_f32_e32 v149, v136, v112
	s_waitcnt vmcnt(3)
	v_fmac_f32_e32 v149, v137, v113
	ds_load_2addr_b32 v[110:111], v2 offset0:95 offset1:96
	ds_load_2addr_b32 v[112:113], v2 offset0:97 offset1:98
	s_waitcnt lgkmcnt(3)
	v_fmac_f32_e32 v149, v138, v106
	s_delay_alu instid0(VALU_DEP_1) | instskip(SKIP_4) | instid1(VALU_DEP_1)
	v_fmac_f32_e32 v149, v139, v107
	ds_load_2addr_b32 v[106:107], v2 offset0:99 offset1:100
	s_waitcnt lgkmcnt(3)
	v_fmac_f32_e32 v149, v140, v108
	s_waitcnt vmcnt(2)
	v_fmac_f32_e32 v149, v141, v109
	ds_load_2addr_b32 v[108:109], v2 offset0:101 offset1:102
	s_waitcnt lgkmcnt(3)
	v_fmac_f32_e32 v149, v142, v110
	s_delay_alu instid0(VALU_DEP_1) | instskip(SKIP_1) | instid1(VALU_DEP_1)
	v_fmac_f32_e32 v149, v143, v111
	s_waitcnt lgkmcnt(2)
	v_fmac_f32_e32 v149, v144, v112
	s_waitcnt vmcnt(1)
	s_delay_alu instid0(VALU_DEP_1) | instskip(SKIP_1) | instid1(VALU_DEP_1)
	v_fmac_f32_e32 v149, v145, v113
	s_waitcnt lgkmcnt(1)
	v_fmac_f32_e32 v149, v146, v106
	s_delay_alu instid0(VALU_DEP_1) | instskip(SKIP_1) | instid1(VALU_DEP_1)
	v_fmac_f32_e32 v149, v147, v107
	s_waitcnt lgkmcnt(0)
	v_fmac_f32_e32 v149, v148, v108
	s_waitcnt vmcnt(0)
	s_delay_alu instid0(VALU_DEP_1) | instskip(NEXT) | instid1(VALU_DEP_1)
	v_fmac_f32_e32 v149, v157, v109
	v_sub_f32_e32 v2, v105, v149
	scratch_store_b32 off, v2, off offset:24
	v_cmpx_lt_u32_e32 5, v0
	s_cbranch_execz .LBB114_303
; %bb.302:
	scratch_load_b32 v2, off, off offset:20
	v_mov_b32_e32 v105, 0
	scratch_store_b32 off, v105, off offset:20
	s_waitcnt vmcnt(0)
	ds_store_b32 v1, v2
.LBB114_303:
	s_or_b32 exec_lo, exec_lo, s0
	s_waitcnt lgkmcnt(0)
	s_waitcnt_vscnt null, 0x0
	s_barrier
	buffer_gl0_inv
	s_clause 0xb
	scratch_load_b128 v[105:108], off, off offset:20
	scratch_load_b128 v[109:112], off, off offset:36
	;; [unrolled: 1-line block ×11, first 2 shown]
	scratch_load_b64 v[157:158], off, off offset:196
	v_mov_b32_e32 v2, 0
	ds_load_2addr_b64 v[149:152], v2 offset0:29 offset1:30
	ds_load_2addr_b64 v[153:156], v2 offset0:31 offset1:32
	s_mov_b32 s0, exec_lo
	s_waitcnt vmcnt(11) lgkmcnt(1)
	v_fma_f32 v149, v106, v149, 0
	s_delay_alu instid0(VALU_DEP_1) | instskip(NEXT) | instid1(VALU_DEP_1)
	v_fmac_f32_e32 v149, v107, v150
	v_fmac_f32_e32 v149, v108, v151
	s_waitcnt vmcnt(10)
	s_delay_alu instid0(VALU_DEP_1) | instskip(SKIP_3) | instid1(VALU_DEP_1)
	v_fmac_f32_e32 v149, v109, v152
	ds_load_2addr_b64 v[106:109], v2 offset0:33 offset1:34
	s_waitcnt lgkmcnt(1)
	v_fmac_f32_e32 v149, v110, v153
	v_fmac_f32_e32 v149, v111, v154
	s_delay_alu instid0(VALU_DEP_1) | instskip(SKIP_1) | instid1(VALU_DEP_1)
	v_fmac_f32_e32 v149, v112, v155
	s_waitcnt vmcnt(9)
	v_fmac_f32_e32 v149, v113, v156
	ds_load_2addr_b64 v[110:113], v2 offset0:35 offset1:36
	s_waitcnt lgkmcnt(1)
	v_fmac_f32_e32 v149, v114, v106
	s_delay_alu instid0(VALU_DEP_1) | instskip(NEXT) | instid1(VALU_DEP_1)
	v_fmac_f32_e32 v149, v115, v107
	v_fmac_f32_e32 v149, v116, v108
	s_waitcnt vmcnt(8)
	s_delay_alu instid0(VALU_DEP_1) | instskip(SKIP_3) | instid1(VALU_DEP_1)
	v_fmac_f32_e32 v149, v117, v109
	ds_load_2addr_b64 v[106:109], v2 offset0:37 offset1:38
	s_waitcnt lgkmcnt(1)
	v_fmac_f32_e32 v149, v118, v110
	v_fmac_f32_e32 v149, v119, v111
	s_delay_alu instid0(VALU_DEP_1) | instskip(SKIP_1) | instid1(VALU_DEP_1)
	v_fmac_f32_e32 v149, v120, v112
	s_waitcnt vmcnt(7)
	v_fmac_f32_e32 v149, v121, v113
	ds_load_2addr_b64 v[110:113], v2 offset0:39 offset1:40
	s_waitcnt lgkmcnt(1)
	v_fmac_f32_e32 v149, v122, v106
	;; [unrolled: 17-line block ×4, first 2 shown]
	s_delay_alu instid0(VALU_DEP_1) | instskip(NEXT) | instid1(VALU_DEP_1)
	v_fmac_f32_e32 v149, v139, v107
	v_fmac_f32_e32 v149, v140, v108
	s_waitcnt vmcnt(2)
	s_delay_alu instid0(VALU_DEP_1)
	v_fmac_f32_e32 v149, v141, v109
	ds_load_2addr_b64 v[106:109], v2 offset0:49 offset1:50
	s_waitcnt lgkmcnt(1)
	v_fmac_f32_e32 v149, v142, v110
	ds_load_b32 v110, v2 offset:408
	v_fmac_f32_e32 v149, v143, v111
	s_delay_alu instid0(VALU_DEP_1) | instskip(SKIP_1) | instid1(VALU_DEP_1)
	v_fmac_f32_e32 v149, v144, v112
	s_waitcnt vmcnt(1)
	v_fmac_f32_e32 v149, v145, v113
	s_waitcnt lgkmcnt(1)
	s_delay_alu instid0(VALU_DEP_1) | instskip(NEXT) | instid1(VALU_DEP_1)
	v_fmac_f32_e32 v149, v146, v106
	v_fmac_f32_e32 v149, v147, v107
	s_delay_alu instid0(VALU_DEP_1) | instskip(SKIP_1) | instid1(VALU_DEP_1)
	v_fmac_f32_e32 v149, v148, v108
	s_waitcnt vmcnt(0)
	v_fmac_f32_e32 v149, v157, v109
	s_waitcnt lgkmcnt(0)
	s_delay_alu instid0(VALU_DEP_1) | instskip(NEXT) | instid1(VALU_DEP_1)
	v_fmac_f32_e32 v149, v158, v110
	v_sub_f32_e32 v105, v105, v149
	scratch_store_b32 off, v105, off offset:20
	v_cmpx_lt_u32_e32 4, v0
	s_cbranch_execz .LBB114_305
; %bb.304:
	scratch_load_b32 v105, off, off offset:16
	scratch_store_b32 off, v2, off offset:16
	s_waitcnt vmcnt(0)
	ds_store_b32 v1, v105
.LBB114_305:
	s_or_b32 exec_lo, exec_lo, s0
	s_waitcnt lgkmcnt(0)
	s_waitcnt_vscnt null, 0x0
	s_barrier
	buffer_gl0_inv
	s_clause 0xb
	scratch_load_b128 v[105:108], off, off offset:16
	scratch_load_b128 v[109:112], off, off offset:32
	;; [unrolled: 1-line block ×11, first 2 shown]
	scratch_load_b96 v[149:151], off, off offset:192
	ds_load_2addr_b32 v[152:153], v2 offset0:57 offset1:58
	ds_load_2addr_b32 v[154:155], v2 offset0:59 offset1:60
	;; [unrolled: 1-line block ×4, first 2 shown]
	s_mov_b32 s0, exec_lo
	s_waitcnt vmcnt(11) lgkmcnt(3)
	v_fma_f32 v152, v106, v152, 0
	s_delay_alu instid0(VALU_DEP_1) | instskip(SKIP_4) | instid1(VALU_DEP_1)
	v_fmac_f32_e32 v152, v107, v153
	ds_load_2addr_b32 v[106:107], v2 offset0:65 offset1:66
	s_waitcnt lgkmcnt(3)
	v_fmac_f32_e32 v152, v108, v154
	s_waitcnt vmcnt(10)
	v_fmac_f32_e32 v152, v109, v155
	ds_load_2addr_b32 v[108:109], v2 offset0:67 offset1:68
	s_waitcnt lgkmcnt(3)
	v_fmac_f32_e32 v152, v110, v156
	s_delay_alu instid0(VALU_DEP_1) | instskip(SKIP_1) | instid1(VALU_DEP_1)
	v_fmac_f32_e32 v152, v111, v157
	s_waitcnt lgkmcnt(2)
	v_fmac_f32_e32 v152, v112, v158
	s_waitcnt vmcnt(9)
	s_delay_alu instid0(VALU_DEP_1) | instskip(SKIP_4) | instid1(VALU_DEP_1)
	v_fmac_f32_e32 v152, v113, v159
	ds_load_2addr_b32 v[110:111], v2 offset0:69 offset1:70
	ds_load_2addr_b32 v[112:113], v2 offset0:71 offset1:72
	s_waitcnt lgkmcnt(3)
	v_fmac_f32_e32 v152, v114, v106
	v_fmac_f32_e32 v152, v115, v107
	ds_load_2addr_b32 v[106:107], v2 offset0:73 offset1:74
	s_waitcnt lgkmcnt(3)
	v_fmac_f32_e32 v152, v116, v108
	s_waitcnt vmcnt(8)
	s_delay_alu instid0(VALU_DEP_1) | instskip(SKIP_3) | instid1(VALU_DEP_1)
	v_fmac_f32_e32 v152, v117, v109
	ds_load_2addr_b32 v[108:109], v2 offset0:75 offset1:76
	s_waitcnt lgkmcnt(3)
	v_fmac_f32_e32 v152, v118, v110
	v_fmac_f32_e32 v152, v119, v111
	s_waitcnt lgkmcnt(2)
	s_delay_alu instid0(VALU_DEP_1) | instskip(SKIP_1) | instid1(VALU_DEP_1)
	v_fmac_f32_e32 v152, v120, v112
	s_waitcnt vmcnt(7)
	v_fmac_f32_e32 v152, v121, v113
	ds_load_2addr_b32 v[110:111], v2 offset0:77 offset1:78
	ds_load_2addr_b32 v[112:113], v2 offset0:79 offset1:80
	s_waitcnt lgkmcnt(3)
	v_fmac_f32_e32 v152, v122, v106
	s_delay_alu instid0(VALU_DEP_1) | instskip(SKIP_4) | instid1(VALU_DEP_1)
	v_fmac_f32_e32 v152, v123, v107
	ds_load_2addr_b32 v[106:107], v2 offset0:81 offset1:82
	s_waitcnt lgkmcnt(3)
	v_fmac_f32_e32 v152, v124, v108
	s_waitcnt vmcnt(6)
	v_fmac_f32_e32 v152, v125, v109
	ds_load_2addr_b32 v[108:109], v2 offset0:83 offset1:84
	s_waitcnt lgkmcnt(3)
	v_fmac_f32_e32 v152, v126, v110
	s_delay_alu instid0(VALU_DEP_1) | instskip(SKIP_1) | instid1(VALU_DEP_1)
	v_fmac_f32_e32 v152, v127, v111
	s_waitcnt lgkmcnt(2)
	v_fmac_f32_e32 v152, v128, v112
	s_waitcnt vmcnt(5)
	s_delay_alu instid0(VALU_DEP_1) | instskip(SKIP_4) | instid1(VALU_DEP_1)
	v_fmac_f32_e32 v152, v129, v113
	ds_load_2addr_b32 v[110:111], v2 offset0:85 offset1:86
	ds_load_2addr_b32 v[112:113], v2 offset0:87 offset1:88
	s_waitcnt lgkmcnt(3)
	v_fmac_f32_e32 v152, v130, v106
	v_fmac_f32_e32 v152, v131, v107
	ds_load_2addr_b32 v[106:107], v2 offset0:89 offset1:90
	s_waitcnt lgkmcnt(3)
	v_fmac_f32_e32 v152, v132, v108
	s_waitcnt vmcnt(4)
	s_delay_alu instid0(VALU_DEP_1) | instskip(SKIP_3) | instid1(VALU_DEP_1)
	v_fmac_f32_e32 v152, v133, v109
	ds_load_2addr_b32 v[108:109], v2 offset0:91 offset1:92
	s_waitcnt lgkmcnt(3)
	v_fmac_f32_e32 v152, v134, v110
	v_fmac_f32_e32 v152, v135, v111
	s_waitcnt lgkmcnt(2)
	s_delay_alu instid0(VALU_DEP_1) | instskip(SKIP_1) | instid1(VALU_DEP_1)
	v_fmac_f32_e32 v152, v136, v112
	s_waitcnt vmcnt(3)
	v_fmac_f32_e32 v152, v137, v113
	ds_load_2addr_b32 v[110:111], v2 offset0:93 offset1:94
	ds_load_2addr_b32 v[112:113], v2 offset0:95 offset1:96
	s_waitcnt lgkmcnt(3)
	v_fmac_f32_e32 v152, v138, v106
	s_delay_alu instid0(VALU_DEP_1) | instskip(SKIP_4) | instid1(VALU_DEP_1)
	v_fmac_f32_e32 v152, v139, v107
	ds_load_2addr_b32 v[106:107], v2 offset0:97 offset1:98
	s_waitcnt lgkmcnt(3)
	v_fmac_f32_e32 v152, v140, v108
	s_waitcnt vmcnt(2)
	v_fmac_f32_e32 v152, v141, v109
	ds_load_2addr_b32 v[108:109], v2 offset0:99 offset1:100
	s_waitcnt lgkmcnt(3)
	v_fmac_f32_e32 v152, v142, v110
	s_delay_alu instid0(VALU_DEP_1) | instskip(SKIP_4) | instid1(VALU_DEP_1)
	v_fmac_f32_e32 v152, v143, v111
	ds_load_2addr_b32 v[110:111], v2 offset0:101 offset1:102
	s_waitcnt lgkmcnt(3)
	v_fmac_f32_e32 v152, v144, v112
	s_waitcnt vmcnt(1)
	v_fmac_f32_e32 v152, v145, v113
	s_waitcnt lgkmcnt(2)
	s_delay_alu instid0(VALU_DEP_1) | instskip(NEXT) | instid1(VALU_DEP_1)
	v_fmac_f32_e32 v152, v146, v106
	v_fmac_f32_e32 v152, v147, v107
	s_waitcnt lgkmcnt(1)
	s_delay_alu instid0(VALU_DEP_1) | instskip(SKIP_1) | instid1(VALU_DEP_1)
	v_fmac_f32_e32 v152, v148, v108
	s_waitcnt vmcnt(0)
	v_fmac_f32_e32 v152, v149, v109
	s_waitcnt lgkmcnt(0)
	s_delay_alu instid0(VALU_DEP_1) | instskip(NEXT) | instid1(VALU_DEP_1)
	v_fmac_f32_e32 v152, v150, v110
	v_fmac_f32_e32 v152, v151, v111
	s_delay_alu instid0(VALU_DEP_1)
	v_sub_f32_e32 v2, v105, v152
	scratch_store_b32 off, v2, off offset:16
	v_cmpx_lt_u32_e32 3, v0
	s_cbranch_execz .LBB114_307
; %bb.306:
	scratch_load_b32 v2, off, off offset:12
	v_mov_b32_e32 v105, 0
	scratch_store_b32 off, v105, off offset:12
	s_waitcnt vmcnt(0)
	ds_store_b32 v1, v2
.LBB114_307:
	s_or_b32 exec_lo, exec_lo, s0
	s_waitcnt lgkmcnt(0)
	s_waitcnt_vscnt null, 0x0
	s_barrier
	buffer_gl0_inv
	s_clause 0xb
	scratch_load_b128 v[105:108], off, off offset:12
	scratch_load_b128 v[109:112], off, off offset:28
	;; [unrolled: 1-line block ×12, first 2 shown]
	v_mov_b32_e32 v2, 0
	ds_load_b128 v[153:156], v2 offset:224
	ds_load_b128 v[157:160], v2 offset:240
	s_mov_b32 s0, exec_lo
	s_waitcnt vmcnt(11) lgkmcnt(1)
	v_fma_f32 v153, v106, v153, 0
	s_delay_alu instid0(VALU_DEP_1) | instskip(NEXT) | instid1(VALU_DEP_1)
	v_fmac_f32_e32 v153, v107, v154
	v_fmac_f32_e32 v153, v108, v155
	s_waitcnt vmcnt(10)
	s_delay_alu instid0(VALU_DEP_1) | instskip(SKIP_3) | instid1(VALU_DEP_1)
	v_fmac_f32_e32 v153, v109, v156
	ds_load_b128 v[106:109], v2 offset:256
	s_waitcnt lgkmcnt(1)
	v_fmac_f32_e32 v153, v110, v157
	v_fmac_f32_e32 v153, v111, v158
	s_delay_alu instid0(VALU_DEP_1) | instskip(SKIP_1) | instid1(VALU_DEP_1)
	v_fmac_f32_e32 v153, v112, v159
	s_waitcnt vmcnt(9)
	v_fmac_f32_e32 v153, v113, v160
	ds_load_b128 v[110:113], v2 offset:272
	s_waitcnt lgkmcnt(1)
	v_fmac_f32_e32 v153, v114, v106
	s_delay_alu instid0(VALU_DEP_1) | instskip(NEXT) | instid1(VALU_DEP_1)
	v_fmac_f32_e32 v153, v115, v107
	v_fmac_f32_e32 v153, v116, v108
	s_waitcnt vmcnt(8)
	s_delay_alu instid0(VALU_DEP_1) | instskip(SKIP_3) | instid1(VALU_DEP_1)
	v_fmac_f32_e32 v153, v117, v109
	ds_load_b128 v[106:109], v2 offset:288
	s_waitcnt lgkmcnt(1)
	v_fmac_f32_e32 v153, v118, v110
	v_fmac_f32_e32 v153, v119, v111
	s_delay_alu instid0(VALU_DEP_1) | instskip(SKIP_1) | instid1(VALU_DEP_1)
	v_fmac_f32_e32 v153, v120, v112
	s_waitcnt vmcnt(7)
	v_fmac_f32_e32 v153, v121, v113
	ds_load_b128 v[110:113], v2 offset:304
	s_waitcnt lgkmcnt(1)
	v_fmac_f32_e32 v153, v122, v106
	;; [unrolled: 17-line block ×4, first 2 shown]
	s_delay_alu instid0(VALU_DEP_1) | instskip(NEXT) | instid1(VALU_DEP_1)
	v_fmac_f32_e32 v153, v139, v107
	v_fmac_f32_e32 v153, v140, v108
	s_waitcnt vmcnt(2)
	s_delay_alu instid0(VALU_DEP_1) | instskip(SKIP_3) | instid1(VALU_DEP_1)
	v_fmac_f32_e32 v153, v141, v109
	ds_load_b128 v[106:109], v2 offset:384
	s_waitcnt lgkmcnt(1)
	v_fmac_f32_e32 v153, v142, v110
	v_fmac_f32_e32 v153, v143, v111
	s_delay_alu instid0(VALU_DEP_1) | instskip(SKIP_4) | instid1(VALU_DEP_1)
	v_fmac_f32_e32 v153, v144, v112
	ds_load_b96 v[110:112], v2 offset:400
	s_waitcnt vmcnt(1)
	v_fmac_f32_e32 v153, v145, v113
	s_waitcnt lgkmcnt(1)
	v_fmac_f32_e32 v153, v146, v106
	s_delay_alu instid0(VALU_DEP_1) | instskip(NEXT) | instid1(VALU_DEP_1)
	v_fmac_f32_e32 v153, v147, v107
	v_fmac_f32_e32 v153, v148, v108
	s_waitcnt vmcnt(0)
	s_delay_alu instid0(VALU_DEP_1) | instskip(SKIP_1) | instid1(VALU_DEP_1)
	v_fmac_f32_e32 v153, v149, v109
	s_waitcnt lgkmcnt(0)
	v_fmac_f32_e32 v153, v150, v110
	s_delay_alu instid0(VALU_DEP_1) | instskip(NEXT) | instid1(VALU_DEP_1)
	v_fmac_f32_e32 v153, v151, v111
	v_fmac_f32_e32 v153, v152, v112
	s_delay_alu instid0(VALU_DEP_1)
	v_sub_f32_e32 v105, v105, v153
	scratch_store_b32 off, v105, off offset:12
	v_cmpx_lt_u32_e32 2, v0
	s_cbranch_execz .LBB114_309
; %bb.308:
	scratch_load_b32 v105, off, off offset:8
	scratch_store_b32 off, v2, off offset:8
	s_waitcnt vmcnt(0)
	ds_store_b32 v1, v105
.LBB114_309:
	s_or_b32 exec_lo, exec_lo, s0
	s_waitcnt lgkmcnt(0)
	s_waitcnt_vscnt null, 0x0
	s_barrier
	buffer_gl0_inv
	s_clause 0xc
	scratch_load_b128 v[105:108], off, off offset:8
	scratch_load_b128 v[109:112], off, off offset:24
	;; [unrolled: 1-line block ×12, first 2 shown]
	scratch_load_b32 v161, off, off offset:200
	ds_load_2addr_b32 v[153:154], v2 offset0:55 offset1:56
	ds_load_2addr_b32 v[155:156], v2 offset0:57 offset1:58
	;; [unrolled: 1-line block ×4, first 2 shown]
	s_mov_b32 s0, exec_lo
	s_waitcnt vmcnt(12) lgkmcnt(3)
	v_fma_f32 v153, v106, v153, 0
	s_delay_alu instid0(VALU_DEP_1) | instskip(SKIP_4) | instid1(VALU_DEP_1)
	v_fmac_f32_e32 v153, v107, v154
	ds_load_2addr_b32 v[106:107], v2 offset0:63 offset1:64
	s_waitcnt lgkmcnt(3)
	v_fmac_f32_e32 v153, v108, v155
	s_waitcnt vmcnt(11)
	v_fmac_f32_e32 v153, v109, v156
	ds_load_2addr_b32 v[108:109], v2 offset0:65 offset1:66
	s_waitcnt lgkmcnt(3)
	v_fmac_f32_e32 v153, v110, v157
	s_delay_alu instid0(VALU_DEP_1) | instskip(SKIP_1) | instid1(VALU_DEP_1)
	v_fmac_f32_e32 v153, v111, v158
	s_waitcnt lgkmcnt(2)
	v_fmac_f32_e32 v153, v112, v159
	s_waitcnt vmcnt(10)
	s_delay_alu instid0(VALU_DEP_1) | instskip(SKIP_4) | instid1(VALU_DEP_1)
	v_fmac_f32_e32 v153, v113, v160
	ds_load_2addr_b32 v[110:111], v2 offset0:67 offset1:68
	ds_load_2addr_b32 v[112:113], v2 offset0:69 offset1:70
	s_waitcnt lgkmcnt(3)
	v_fmac_f32_e32 v153, v114, v106
	v_fmac_f32_e32 v153, v115, v107
	ds_load_2addr_b32 v[106:107], v2 offset0:71 offset1:72
	s_waitcnt lgkmcnt(3)
	v_fmac_f32_e32 v153, v116, v108
	s_waitcnt vmcnt(9)
	s_delay_alu instid0(VALU_DEP_1) | instskip(SKIP_3) | instid1(VALU_DEP_1)
	v_fmac_f32_e32 v153, v117, v109
	ds_load_2addr_b32 v[108:109], v2 offset0:73 offset1:74
	s_waitcnt lgkmcnt(3)
	v_fmac_f32_e32 v153, v118, v110
	v_fmac_f32_e32 v153, v119, v111
	s_waitcnt lgkmcnt(2)
	s_delay_alu instid0(VALU_DEP_1) | instskip(SKIP_1) | instid1(VALU_DEP_1)
	v_fmac_f32_e32 v153, v120, v112
	s_waitcnt vmcnt(8)
	v_fmac_f32_e32 v153, v121, v113
	ds_load_2addr_b32 v[110:111], v2 offset0:75 offset1:76
	ds_load_2addr_b32 v[112:113], v2 offset0:77 offset1:78
	s_waitcnt lgkmcnt(3)
	v_fmac_f32_e32 v153, v122, v106
	s_delay_alu instid0(VALU_DEP_1) | instskip(SKIP_4) | instid1(VALU_DEP_1)
	v_fmac_f32_e32 v153, v123, v107
	ds_load_2addr_b32 v[106:107], v2 offset0:79 offset1:80
	s_waitcnt lgkmcnt(3)
	v_fmac_f32_e32 v153, v124, v108
	s_waitcnt vmcnt(7)
	v_fmac_f32_e32 v153, v125, v109
	ds_load_2addr_b32 v[108:109], v2 offset0:81 offset1:82
	s_waitcnt lgkmcnt(3)
	v_fmac_f32_e32 v153, v126, v110
	s_delay_alu instid0(VALU_DEP_1) | instskip(SKIP_1) | instid1(VALU_DEP_1)
	v_fmac_f32_e32 v153, v127, v111
	s_waitcnt lgkmcnt(2)
	v_fmac_f32_e32 v153, v128, v112
	s_waitcnt vmcnt(6)
	s_delay_alu instid0(VALU_DEP_1) | instskip(SKIP_4) | instid1(VALU_DEP_1)
	v_fmac_f32_e32 v153, v129, v113
	ds_load_2addr_b32 v[110:111], v2 offset0:83 offset1:84
	ds_load_2addr_b32 v[112:113], v2 offset0:85 offset1:86
	s_waitcnt lgkmcnt(3)
	v_fmac_f32_e32 v153, v130, v106
	v_fmac_f32_e32 v153, v131, v107
	ds_load_2addr_b32 v[106:107], v2 offset0:87 offset1:88
	s_waitcnt lgkmcnt(3)
	v_fmac_f32_e32 v153, v132, v108
	s_waitcnt vmcnt(5)
	s_delay_alu instid0(VALU_DEP_1) | instskip(SKIP_3) | instid1(VALU_DEP_1)
	v_fmac_f32_e32 v153, v133, v109
	ds_load_2addr_b32 v[108:109], v2 offset0:89 offset1:90
	s_waitcnt lgkmcnt(3)
	v_fmac_f32_e32 v153, v134, v110
	v_fmac_f32_e32 v153, v135, v111
	s_waitcnt lgkmcnt(2)
	s_delay_alu instid0(VALU_DEP_1) | instskip(SKIP_1) | instid1(VALU_DEP_1)
	v_fmac_f32_e32 v153, v136, v112
	s_waitcnt vmcnt(4)
	v_fmac_f32_e32 v153, v137, v113
	ds_load_2addr_b32 v[110:111], v2 offset0:91 offset1:92
	ds_load_2addr_b32 v[112:113], v2 offset0:93 offset1:94
	s_waitcnt lgkmcnt(3)
	v_fmac_f32_e32 v153, v138, v106
	s_delay_alu instid0(VALU_DEP_1) | instskip(SKIP_4) | instid1(VALU_DEP_1)
	v_fmac_f32_e32 v153, v139, v107
	ds_load_2addr_b32 v[106:107], v2 offset0:95 offset1:96
	s_waitcnt lgkmcnt(3)
	v_fmac_f32_e32 v153, v140, v108
	s_waitcnt vmcnt(3)
	v_fmac_f32_e32 v153, v141, v109
	ds_load_2addr_b32 v[108:109], v2 offset0:97 offset1:98
	s_waitcnt lgkmcnt(3)
	v_fmac_f32_e32 v153, v142, v110
	s_delay_alu instid0(VALU_DEP_1) | instskip(SKIP_1) | instid1(VALU_DEP_1)
	v_fmac_f32_e32 v153, v143, v111
	s_waitcnt lgkmcnt(2)
	v_fmac_f32_e32 v153, v144, v112
	s_waitcnt vmcnt(2)
	s_delay_alu instid0(VALU_DEP_1) | instskip(SKIP_4) | instid1(VALU_DEP_1)
	v_fmac_f32_e32 v153, v145, v113
	ds_load_2addr_b32 v[110:111], v2 offset0:99 offset1:100
	ds_load_2addr_b32 v[112:113], v2 offset0:101 offset1:102
	s_waitcnt lgkmcnt(3)
	v_fmac_f32_e32 v153, v146, v106
	v_fmac_f32_e32 v153, v147, v107
	s_waitcnt lgkmcnt(2)
	s_delay_alu instid0(VALU_DEP_1) | instskip(SKIP_1) | instid1(VALU_DEP_1)
	v_fmac_f32_e32 v153, v148, v108
	s_waitcnt vmcnt(1)
	v_fmac_f32_e32 v153, v149, v109
	s_waitcnt lgkmcnt(1)
	s_delay_alu instid0(VALU_DEP_1) | instskip(NEXT) | instid1(VALU_DEP_1)
	v_fmac_f32_e32 v153, v150, v110
	v_fmac_f32_e32 v153, v151, v111
	s_waitcnt lgkmcnt(0)
	s_delay_alu instid0(VALU_DEP_1) | instskip(SKIP_1) | instid1(VALU_DEP_1)
	v_fmac_f32_e32 v153, v152, v112
	s_waitcnt vmcnt(0)
	v_fmac_f32_e32 v153, v161, v113
	s_delay_alu instid0(VALU_DEP_1)
	v_sub_f32_e32 v2, v105, v153
	scratch_store_b32 off, v2, off offset:8
	v_cmpx_lt_u32_e32 1, v0
	s_cbranch_execz .LBB114_311
; %bb.310:
	scratch_load_b32 v2, off, off offset:4
	v_mov_b32_e32 v105, 0
	scratch_store_b32 off, v105, off offset:4
	s_waitcnt vmcnt(0)
	ds_store_b32 v1, v2
.LBB114_311:
	s_or_b32 exec_lo, exec_lo, s0
	s_waitcnt lgkmcnt(0)
	s_waitcnt_vscnt null, 0x0
	s_barrier
	buffer_gl0_inv
	s_clause 0xc
	scratch_load_b128 v[106:109], off, off offset:4
	scratch_load_b128 v[110:113], off, off offset:20
	scratch_load_b128 v[114:117], off, off offset:36
	scratch_load_b128 v[118:121], off, off offset:52
	scratch_load_b128 v[122:125], off, off offset:68
	scratch_load_b128 v[126:129], off, off offset:84
	scratch_load_b128 v[130:133], off, off offset:100
	scratch_load_b128 v[134:137], off, off offset:116
	scratch_load_b128 v[138:141], off, off offset:132
	scratch_load_b128 v[142:145], off, off offset:148
	scratch_load_b128 v[146:149], off, off offset:164
	scratch_load_b128 v[150:153], off, off offset:180
	scratch_load_b64 v[162:163], off, off offset:196
	v_mov_b32_e32 v105, 0
	ds_load_2addr_b64 v[154:157], v105 offset0:27 offset1:28
	ds_load_2addr_b64 v[158:161], v105 offset0:29 offset1:30
	s_mov_b32 s0, exec_lo
	s_waitcnt vmcnt(12) lgkmcnt(1)
	v_fma_f32 v2, v107, v154, 0
	s_delay_alu instid0(VALU_DEP_1) | instskip(NEXT) | instid1(VALU_DEP_1)
	v_fmac_f32_e32 v2, v108, v155
	v_fmac_f32_e32 v2, v109, v156
	s_waitcnt vmcnt(11)
	s_delay_alu instid0(VALU_DEP_1) | instskip(SKIP_3) | instid1(VALU_DEP_1)
	v_fmac_f32_e32 v2, v110, v157
	ds_load_2addr_b64 v[107:110], v105 offset0:31 offset1:32
	s_waitcnt lgkmcnt(1)
	v_fmac_f32_e32 v2, v111, v158
	v_fmac_f32_e32 v2, v112, v159
	s_delay_alu instid0(VALU_DEP_1) | instskip(SKIP_1) | instid1(VALU_DEP_1)
	v_fmac_f32_e32 v2, v113, v160
	s_waitcnt vmcnt(10)
	v_fmac_f32_e32 v2, v114, v161
	ds_load_2addr_b64 v[111:114], v105 offset0:33 offset1:34
	s_waitcnt lgkmcnt(1)
	v_fmac_f32_e32 v2, v115, v107
	s_delay_alu instid0(VALU_DEP_1) | instskip(NEXT) | instid1(VALU_DEP_1)
	v_fmac_f32_e32 v2, v116, v108
	v_fmac_f32_e32 v2, v117, v109
	s_waitcnt vmcnt(9)
	s_delay_alu instid0(VALU_DEP_1) | instskip(SKIP_3) | instid1(VALU_DEP_1)
	v_fmac_f32_e32 v2, v118, v110
	ds_load_2addr_b64 v[107:110], v105 offset0:35 offset1:36
	s_waitcnt lgkmcnt(1)
	v_fmac_f32_e32 v2, v119, v111
	v_fmac_f32_e32 v2, v120, v112
	s_delay_alu instid0(VALU_DEP_1) | instskip(SKIP_1) | instid1(VALU_DEP_1)
	v_fmac_f32_e32 v2, v121, v113
	s_waitcnt vmcnt(8)
	v_fmac_f32_e32 v2, v122, v114
	ds_load_2addr_b64 v[111:114], v105 offset0:37 offset1:38
	s_waitcnt lgkmcnt(1)
	v_fmac_f32_e32 v2, v123, v107
	;; [unrolled: 17-line block ×5, first 2 shown]
	ds_load_b32 v107, v105 offset:408
	v_fmac_f32_e32 v2, v148, v108
	s_delay_alu instid0(VALU_DEP_1) | instskip(SKIP_1) | instid1(VALU_DEP_1)
	v_fmac_f32_e32 v2, v149, v109
	s_waitcnt vmcnt(1)
	v_fmac_f32_e32 v2, v150, v110
	s_waitcnt lgkmcnt(1)
	s_delay_alu instid0(VALU_DEP_1) | instskip(NEXT) | instid1(VALU_DEP_1)
	v_fmac_f32_e32 v2, v151, v111
	v_fmac_f32_e32 v2, v152, v112
	s_delay_alu instid0(VALU_DEP_1) | instskip(SKIP_1) | instid1(VALU_DEP_1)
	v_fmac_f32_e32 v2, v153, v113
	s_waitcnt vmcnt(0)
	v_fmac_f32_e32 v2, v162, v114
	s_waitcnt lgkmcnt(0)
	s_delay_alu instid0(VALU_DEP_1) | instskip(NEXT) | instid1(VALU_DEP_1)
	v_fmac_f32_e32 v2, v163, v107
	v_sub_f32_e32 v2, v106, v2
	scratch_store_b32 off, v2, off offset:4
	v_cmpx_ne_u32_e32 0, v0
	s_cbranch_execz .LBB114_313
; %bb.312:
	scratch_load_b32 v0, off, off
	scratch_store_b32 off, v105, off
	s_waitcnt vmcnt(0)
	ds_store_b32 v1, v0
.LBB114_313:
	s_or_b32 exec_lo, exec_lo, s0
	s_waitcnt lgkmcnt(0)
	s_waitcnt_vscnt null, 0x0
	s_barrier
	buffer_gl0_inv
	s_clause 0xc
	scratch_load_b128 v[106:109], off, off
	scratch_load_b128 v[110:113], off, off offset:16
	scratch_load_b128 v[114:117], off, off offset:32
	scratch_load_b128 v[118:121], off, off offset:48
	scratch_load_b128 v[122:125], off, off offset:64
	scratch_load_b128 v[126:129], off, off offset:80
	scratch_load_b128 v[130:133], off, off offset:96
	scratch_load_b128 v[134:137], off, off offset:112
	scratch_load_b128 v[138:141], off, off offset:128
	scratch_load_b128 v[142:145], off, off offset:144
	scratch_load_b128 v[146:149], off, off offset:160
	scratch_load_b128 v[150:153], off, off offset:176
	scratch_load_b96 v[0:2], off, off offset:192
	ds_load_2addr_b32 v[154:155], v105 offset0:53 offset1:54
	ds_load_2addr_b32 v[156:157], v105 offset0:55 offset1:56
	ds_load_2addr_b32 v[158:159], v105 offset0:57 offset1:58
	ds_load_2addr_b32 v[160:161], v105 offset0:59 offset1:60
	s_and_b32 vcc_lo, exec_lo, s12
	s_waitcnt vmcnt(12) lgkmcnt(3)
	v_fma_f32 v154, v107, v154, 0
	s_delay_alu instid0(VALU_DEP_1) | instskip(SKIP_4) | instid1(VALU_DEP_1)
	v_fmac_f32_e32 v154, v108, v155
	ds_load_2addr_b32 v[107:108], v105 offset0:61 offset1:62
	s_waitcnt lgkmcnt(3)
	v_fmac_f32_e32 v154, v109, v156
	s_waitcnt vmcnt(11)
	v_fmac_f32_e32 v154, v110, v157
	ds_load_2addr_b32 v[109:110], v105 offset0:63 offset1:64
	s_waitcnt lgkmcnt(3)
	v_fmac_f32_e32 v154, v111, v158
	s_delay_alu instid0(VALU_DEP_1) | instskip(SKIP_1) | instid1(VALU_DEP_1)
	v_fmac_f32_e32 v154, v112, v159
	s_waitcnt lgkmcnt(2)
	v_fmac_f32_e32 v154, v113, v160
	s_waitcnt vmcnt(10)
	s_delay_alu instid0(VALU_DEP_1) | instskip(SKIP_4) | instid1(VALU_DEP_1)
	v_fmac_f32_e32 v154, v114, v161
	ds_load_2addr_b32 v[111:112], v105 offset0:65 offset1:66
	ds_load_2addr_b32 v[113:114], v105 offset0:67 offset1:68
	s_waitcnt lgkmcnt(3)
	v_fmac_f32_e32 v154, v115, v107
	v_fmac_f32_e32 v154, v116, v108
	ds_load_2addr_b32 v[107:108], v105 offset0:69 offset1:70
	s_waitcnt lgkmcnt(3)
	v_fmac_f32_e32 v154, v117, v109
	s_waitcnt vmcnt(9)
	s_delay_alu instid0(VALU_DEP_1) | instskip(SKIP_3) | instid1(VALU_DEP_1)
	v_fmac_f32_e32 v154, v118, v110
	ds_load_2addr_b32 v[109:110], v105 offset0:71 offset1:72
	s_waitcnt lgkmcnt(3)
	v_fmac_f32_e32 v154, v119, v111
	v_fmac_f32_e32 v154, v120, v112
	s_waitcnt lgkmcnt(2)
	s_delay_alu instid0(VALU_DEP_1) | instskip(SKIP_1) | instid1(VALU_DEP_1)
	v_fmac_f32_e32 v154, v121, v113
	s_waitcnt vmcnt(8)
	v_fmac_f32_e32 v154, v122, v114
	ds_load_2addr_b32 v[111:112], v105 offset0:73 offset1:74
	ds_load_2addr_b32 v[113:114], v105 offset0:75 offset1:76
	s_waitcnt lgkmcnt(3)
	v_fmac_f32_e32 v154, v123, v107
	s_delay_alu instid0(VALU_DEP_1) | instskip(SKIP_4) | instid1(VALU_DEP_1)
	v_fmac_f32_e32 v154, v124, v108
	ds_load_2addr_b32 v[107:108], v105 offset0:77 offset1:78
	s_waitcnt lgkmcnt(3)
	v_fmac_f32_e32 v154, v125, v109
	s_waitcnt vmcnt(7)
	v_fmac_f32_e32 v154, v126, v110
	ds_load_2addr_b32 v[109:110], v105 offset0:79 offset1:80
	s_waitcnt lgkmcnt(3)
	v_fmac_f32_e32 v154, v127, v111
	s_delay_alu instid0(VALU_DEP_1) | instskip(SKIP_1) | instid1(VALU_DEP_1)
	v_fmac_f32_e32 v154, v128, v112
	s_waitcnt lgkmcnt(2)
	v_fmac_f32_e32 v154, v129, v113
	s_waitcnt vmcnt(6)
	s_delay_alu instid0(VALU_DEP_1) | instskip(SKIP_4) | instid1(VALU_DEP_1)
	v_fmac_f32_e32 v154, v130, v114
	ds_load_2addr_b32 v[111:112], v105 offset0:81 offset1:82
	ds_load_2addr_b32 v[113:114], v105 offset0:83 offset1:84
	s_waitcnt lgkmcnt(3)
	v_fmac_f32_e32 v154, v131, v107
	v_fmac_f32_e32 v154, v132, v108
	ds_load_2addr_b32 v[107:108], v105 offset0:85 offset1:86
	s_waitcnt lgkmcnt(3)
	v_fmac_f32_e32 v154, v133, v109
	s_waitcnt vmcnt(5)
	s_delay_alu instid0(VALU_DEP_1) | instskip(SKIP_3) | instid1(VALU_DEP_1)
	v_fmac_f32_e32 v154, v134, v110
	ds_load_2addr_b32 v[109:110], v105 offset0:87 offset1:88
	s_waitcnt lgkmcnt(3)
	v_fmac_f32_e32 v154, v135, v111
	v_fmac_f32_e32 v154, v136, v112
	s_waitcnt lgkmcnt(2)
	s_delay_alu instid0(VALU_DEP_1) | instskip(SKIP_1) | instid1(VALU_DEP_1)
	v_fmac_f32_e32 v154, v137, v113
	s_waitcnt vmcnt(4)
	v_fmac_f32_e32 v154, v138, v114
	ds_load_2addr_b32 v[111:112], v105 offset0:89 offset1:90
	ds_load_2addr_b32 v[113:114], v105 offset0:91 offset1:92
	s_waitcnt lgkmcnt(3)
	v_fmac_f32_e32 v154, v139, v107
	s_delay_alu instid0(VALU_DEP_1) | instskip(SKIP_4) | instid1(VALU_DEP_1)
	v_fmac_f32_e32 v154, v140, v108
	ds_load_2addr_b32 v[107:108], v105 offset0:93 offset1:94
	s_waitcnt lgkmcnt(3)
	v_fmac_f32_e32 v154, v141, v109
	s_waitcnt vmcnt(3)
	v_fmac_f32_e32 v154, v142, v110
	ds_load_2addr_b32 v[109:110], v105 offset0:95 offset1:96
	s_waitcnt lgkmcnt(3)
	v_fmac_f32_e32 v154, v143, v111
	s_delay_alu instid0(VALU_DEP_1) | instskip(SKIP_1) | instid1(VALU_DEP_1)
	v_fmac_f32_e32 v154, v144, v112
	s_waitcnt lgkmcnt(2)
	v_fmac_f32_e32 v154, v145, v113
	s_waitcnt vmcnt(2)
	s_delay_alu instid0(VALU_DEP_1) | instskip(SKIP_4) | instid1(VALU_DEP_1)
	v_fmac_f32_e32 v154, v146, v114
	ds_load_2addr_b32 v[111:112], v105 offset0:97 offset1:98
	ds_load_2addr_b32 v[113:114], v105 offset0:99 offset1:100
	s_waitcnt lgkmcnt(3)
	v_fmac_f32_e32 v154, v147, v107
	v_fmac_f32_e32 v154, v148, v108
	ds_load_2addr_b32 v[107:108], v105 offset0:101 offset1:102
	s_waitcnt lgkmcnt(3)
	v_fmac_f32_e32 v154, v149, v109
	s_waitcnt vmcnt(1)
	s_delay_alu instid0(VALU_DEP_1) | instskip(SKIP_1) | instid1(VALU_DEP_1)
	v_fmac_f32_e32 v154, v150, v110
	s_waitcnt lgkmcnt(2)
	v_fmac_f32_e32 v154, v151, v111
	s_delay_alu instid0(VALU_DEP_1) | instskip(SKIP_1) | instid1(VALU_DEP_1)
	v_fmac_f32_e32 v154, v152, v112
	s_waitcnt lgkmcnt(1)
	v_fmac_f32_e32 v154, v153, v113
	s_waitcnt vmcnt(0)
	s_delay_alu instid0(VALU_DEP_1) | instskip(SKIP_1) | instid1(VALU_DEP_1)
	v_fmac_f32_e32 v154, v0, v114
	s_waitcnt lgkmcnt(0)
	v_fmac_f32_e32 v154, v1, v107
	s_delay_alu instid0(VALU_DEP_1) | instskip(NEXT) | instid1(VALU_DEP_1)
	v_fmac_f32_e32 v154, v2, v108
	v_sub_f32_e32 v0, v106, v154
	scratch_store_b32 off, v0, off
	s_cbranch_vccz .LBB114_415
; %bb.314:
	v_dual_mov_b32 v106, s3 :: v_dual_mov_b32 v105, s2
	s_mov_b32 s0, exec_lo
	flat_load_b32 v0, v[105:106] offset:196
	s_waitcnt vmcnt(0) lgkmcnt(0)
	v_cmpx_ne_u32_e32 50, v0
	s_cbranch_execz .LBB114_316
; %bb.315:
	v_lshl_add_u32 v0, v0, 2, 0
	scratch_load_b32 v2, v0, off offset:-4
	s_waitcnt vmcnt(0)
	scratch_store_b32 off, v2, off offset:196
	scratch_store_b32 v0, v1, off offset:-4
.LBB114_316:
	s_or_b32 exec_lo, exec_lo, s0
	v_dual_mov_b32 v0, s2 :: v_dual_mov_b32 v1, s3
	s_mov_b32 s0, exec_lo
	flat_load_b32 v0, v[0:1] offset:192
	s_waitcnt vmcnt(0) lgkmcnt(0)
	v_cmpx_ne_u32_e32 49, v0
	s_cbranch_execz .LBB114_318
; %bb.317:
	v_lshl_add_u32 v0, v0, 2, 0
	scratch_load_b32 v1, v0, off offset:-4
	scratch_load_b32 v2, off, off offset:192
	s_waitcnt vmcnt(1)
	scratch_store_b32 off, v1, off offset:192
	s_waitcnt vmcnt(0)
	scratch_store_b32 v0, v2, off offset:-4
.LBB114_318:
	s_or_b32 exec_lo, exec_lo, s0
	v_dual_mov_b32 v0, s2 :: v_dual_mov_b32 v1, s3
	s_mov_b32 s0, exec_lo
	flat_load_b32 v0, v[0:1] offset:188
	s_waitcnt vmcnt(0) lgkmcnt(0)
	v_cmpx_ne_u32_e32 48, v0
	s_cbranch_execz .LBB114_320
; %bb.319:
	v_lshl_add_u32 v0, v0, 2, 0
	scratch_load_b32 v1, v0, off offset:-4
	scratch_load_b32 v2, off, off offset:188
	s_waitcnt vmcnt(1)
	scratch_store_b32 off, v1, off offset:188
	s_waitcnt vmcnt(0)
	scratch_store_b32 v0, v2, off offset:-4
.LBB114_320:
	;; [unrolled: 16-line block ×48, first 2 shown]
	s_or_b32 exec_lo, exec_lo, s0
	v_dual_mov_b32 v0, s2 :: v_dual_mov_b32 v1, s3
	s_mov_b32 s0, exec_lo
	flat_load_b32 v1, v[0:1]
	scratch_load_b32 v0, off, off
	s_waitcnt vmcnt(1) lgkmcnt(0)
	v_cmpx_ne_u32_e32 1, v1
	s_cbranch_execz .LBB114_414
; %bb.413:
	v_lshl_add_u32 v1, v1, 2, 0
	scratch_load_b32 v2, v1, off offset:-4
	s_waitcnt vmcnt(0)
	scratch_store_b32 off, v2, off
	scratch_store_b32 v1, v0, off offset:-4
	scratch_load_b32 v0, off, off
.LBB114_414:
	s_or_b32 exec_lo, exec_lo, s0
.LBB114_415:
	s_clause 0xc
	scratch_load_b128 v[105:108], off, off offset:4
	scratch_load_b128 v[109:112], off, off offset:20
	scratch_load_b128 v[113:116], off, off offset:36
	scratch_load_b128 v[117:120], off, off offset:52
	scratch_load_b128 v[121:124], off, off offset:68
	scratch_load_b128 v[125:128], off, off offset:84
	scratch_load_b128 v[129:132], off, off offset:100
	scratch_load_b128 v[133:136], off, off offset:116
	scratch_load_b128 v[137:140], off, off offset:132
	scratch_load_b128 v[141:144], off, off offset:148
	scratch_load_b128 v[145:148], off, off offset:164
	scratch_load_b128 v[149:152], off, off offset:180
	scratch_load_b64 v[1:2], off, off offset:196
	s_waitcnt vmcnt(13)
	global_store_b32 v[3:4], v0, off
	s_waitcnt vmcnt(12)
	s_clause 0x3
	global_store_b32 v[5:6], v105, off
	global_store_b32 v[7:8], v106, off
	global_store_b32 v[9:10], v107, off
	global_store_b32 v[11:12], v108, off
	s_waitcnt vmcnt(11)
	s_clause 0x3
	global_store_b32 v[13:14], v109, off
	global_store_b32 v[15:16], v110, off
	global_store_b32 v[17:18], v111, off
	;; [unrolled: 6-line block ×12, first 2 shown]
	global_store_b32 v[101:102], v152, off
	s_waitcnt vmcnt(0)
	s_clause 0x1
	global_store_b32 v[103:104], v1, off
	global_store_b32 v[59:60], v2, off
	s_endpgm
	.section	.rodata,"a",@progbits
	.p2align	6, 0x0
	.amdhsa_kernel _ZN9rocsolver6v33100L18getri_kernel_smallILi51EfPKPfEEvT1_iilPiilS6_bb
		.amdhsa_group_segment_fixed_size 412
		.amdhsa_private_segment_fixed_size 208
		.amdhsa_kernarg_size 60
		.amdhsa_user_sgpr_count 15
		.amdhsa_user_sgpr_dispatch_ptr 0
		.amdhsa_user_sgpr_queue_ptr 0
		.amdhsa_user_sgpr_kernarg_segment_ptr 1
		.amdhsa_user_sgpr_dispatch_id 0
		.amdhsa_user_sgpr_private_segment_size 0
		.amdhsa_wavefront_size32 1
		.amdhsa_uses_dynamic_stack 0
		.amdhsa_enable_private_segment 1
		.amdhsa_system_sgpr_workgroup_id_x 1
		.amdhsa_system_sgpr_workgroup_id_y 0
		.amdhsa_system_sgpr_workgroup_id_z 0
		.amdhsa_system_sgpr_workgroup_info 0
		.amdhsa_system_vgpr_workitem_id 0
		.amdhsa_next_free_vgpr 164
		.amdhsa_next_free_sgpr 17
		.amdhsa_reserve_vcc 1
		.amdhsa_float_round_mode_32 0
		.amdhsa_float_round_mode_16_64 0
		.amdhsa_float_denorm_mode_32 3
		.amdhsa_float_denorm_mode_16_64 3
		.amdhsa_dx10_clamp 1
		.amdhsa_ieee_mode 1
		.amdhsa_fp16_overflow 0
		.amdhsa_workgroup_processor_mode 1
		.amdhsa_memory_ordered 1
		.amdhsa_forward_progress 0
		.amdhsa_shared_vgpr_count 0
		.amdhsa_exception_fp_ieee_invalid_op 0
		.amdhsa_exception_fp_denorm_src 0
		.amdhsa_exception_fp_ieee_div_zero 0
		.amdhsa_exception_fp_ieee_overflow 0
		.amdhsa_exception_fp_ieee_underflow 0
		.amdhsa_exception_fp_ieee_inexact 0
		.amdhsa_exception_int_div_zero 0
	.end_amdhsa_kernel
	.section	.text._ZN9rocsolver6v33100L18getri_kernel_smallILi51EfPKPfEEvT1_iilPiilS6_bb,"axG",@progbits,_ZN9rocsolver6v33100L18getri_kernel_smallILi51EfPKPfEEvT1_iilPiilS6_bb,comdat
.Lfunc_end114:
	.size	_ZN9rocsolver6v33100L18getri_kernel_smallILi51EfPKPfEEvT1_iilPiilS6_bb, .Lfunc_end114-_ZN9rocsolver6v33100L18getri_kernel_smallILi51EfPKPfEEvT1_iilPiilS6_bb
                                        ; -- End function
	.section	.AMDGPU.csdata,"",@progbits
; Kernel info:
; codeLenInByte = 37964
; NumSgprs: 19
; NumVgprs: 164
; ScratchSize: 208
; MemoryBound: 0
; FloatMode: 240
; IeeeMode: 1
; LDSByteSize: 412 bytes/workgroup (compile time only)
; SGPRBlocks: 2
; VGPRBlocks: 20
; NumSGPRsForWavesPerEU: 19
; NumVGPRsForWavesPerEU: 164
; Occupancy: 9
; WaveLimiterHint : 1
; COMPUTE_PGM_RSRC2:SCRATCH_EN: 1
; COMPUTE_PGM_RSRC2:USER_SGPR: 15
; COMPUTE_PGM_RSRC2:TRAP_HANDLER: 0
; COMPUTE_PGM_RSRC2:TGID_X_EN: 1
; COMPUTE_PGM_RSRC2:TGID_Y_EN: 0
; COMPUTE_PGM_RSRC2:TGID_Z_EN: 0
; COMPUTE_PGM_RSRC2:TIDIG_COMP_CNT: 0
	.section	.text._ZN9rocsolver6v33100L18getri_kernel_smallILi52EfPKPfEEvT1_iilPiilS6_bb,"axG",@progbits,_ZN9rocsolver6v33100L18getri_kernel_smallILi52EfPKPfEEvT1_iilPiilS6_bb,comdat
	.globl	_ZN9rocsolver6v33100L18getri_kernel_smallILi52EfPKPfEEvT1_iilPiilS6_bb ; -- Begin function _ZN9rocsolver6v33100L18getri_kernel_smallILi52EfPKPfEEvT1_iilPiilS6_bb
	.p2align	8
	.type	_ZN9rocsolver6v33100L18getri_kernel_smallILi52EfPKPfEEvT1_iilPiilS6_bb,@function
_ZN9rocsolver6v33100L18getri_kernel_smallILi52EfPKPfEEvT1_iilPiilS6_bb: ; @_ZN9rocsolver6v33100L18getri_kernel_smallILi52EfPKPfEEvT1_iilPiilS6_bb
; %bb.0:
	s_mov_b32 s2, exec_lo
	v_cmpx_gt_u32_e32 52, v0
	s_cbranch_execz .LBB115_216
; %bb.1:
	s_clause 0x1
	s_load_b32 s13, s[0:1], 0x38
	s_load_b64 s[2:3], s[0:1], 0x0
	s_mov_b32 s8, s15
	s_load_b128 s[4:7], s[0:1], 0x28
	s_waitcnt lgkmcnt(0)
	s_bitcmp1_b32 s13, 8
	s_cselect_b32 s12, -1, 0
	s_ashr_i32 s9, s15, 31
	s_delay_alu instid0(SALU_CYCLE_1) | instskip(NEXT) | instid1(SALU_CYCLE_1)
	s_lshl_b64 s[10:11], s[8:9], 3
	s_add_u32 s2, s2, s10
	s_addc_u32 s3, s3, s11
	s_load_b64 s[10:11], s[2:3], 0x0
	s_bfe_u32 s2, s13, 0x10008
	s_delay_alu instid0(SALU_CYCLE_1)
	s_cmp_eq_u32 s2, 0
                                        ; implicit-def: $sgpr2_sgpr3
	s_cbranch_scc1 .LBB115_3
; %bb.2:
	s_clause 0x1
	s_load_b32 s2, s[0:1], 0x20
	s_load_b64 s[14:15], s[0:1], 0x18
	s_mul_i32 s3, s8, s5
	s_mul_hi_u32 s5, s8, s4
	s_mul_i32 s16, s9, s4
	s_add_i32 s3, s5, s3
	s_mul_i32 s4, s8, s4
	s_add_i32 s5, s3, s16
	s_delay_alu instid0(SALU_CYCLE_1)
	s_lshl_b64 s[4:5], s[4:5], 2
	s_waitcnt lgkmcnt(0)
	s_ashr_i32 s3, s2, 31
	s_add_u32 s4, s14, s4
	s_addc_u32 s5, s15, s5
	s_lshl_b64 s[2:3], s[2:3], 2
	s_delay_alu instid0(SALU_CYCLE_1)
	s_add_u32 s2, s4, s2
	s_addc_u32 s3, s5, s3
.LBB115_3:
	s_load_b64 s[0:1], s[0:1], 0x8
	v_lshlrev_b32_e32 v3, 2, v0
	s_waitcnt lgkmcnt(0)
	v_add3_u32 v1, s1, s1, v0
	s_ashr_i32 s5, s0, 31
	s_mov_b32 s4, s0
	s_mov_b32 s14, s1
	s_lshl_b64 s[4:5], s[4:5], 2
	v_add_nc_u32_e32 v8, s1, v1
	v_ashrrev_i32_e32 v2, 31, v1
	s_add_u32 s4, s10, s4
	s_addc_u32 s5, s11, s5
	v_add_co_u32 v4, s0, s4, v3
	v_add_nc_u32_e32 v10, s1, v8
	s_ashr_i32 s15, s1, 31
	v_add_co_ci_u32_e64 v5, null, s5, 0, s0
	v_ashrrev_i32_e32 v9, 31, v8
	s_delay_alu instid0(VALU_DEP_3)
	v_add_nc_u32_e32 v12, s1, v10
	v_lshlrev_b64 v[1:2], 2, v[1:2]
	s_lshl_b64 s[10:11], s[14:15], 2
	v_ashrrev_i32_e32 v11, 31, v10
	v_add_co_u32 v6, vcc_lo, v4, s10
	v_add_nc_u32_e32 v14, s1, v12
	v_add_co_ci_u32_e32 v7, vcc_lo, s11, v5, vcc_lo
	v_lshlrev_b64 v[43:44], 2, v[8:9]
	v_add_co_u32 v8, vcc_lo, s4, v1
	s_delay_alu instid0(VALU_DEP_4) | instskip(SKIP_3) | instid1(VALU_DEP_4)
	v_add_nc_u32_e32 v16, s1, v14
	v_add_co_ci_u32_e32 v9, vcc_lo, s5, v2, vcc_lo
	v_lshlrev_b64 v[1:2], 2, v[10:11]
	v_ashrrev_i32_e32 v13, 31, v12
	v_add_nc_u32_e32 v18, s1, v16
	v_add_co_u32 v10, vcc_lo, s4, v43
	v_ashrrev_i32_e32 v15, 31, v14
	v_add_co_ci_u32_e32 v11, vcc_lo, s5, v44, vcc_lo
	s_delay_alu instid0(VALU_DEP_4) | instskip(SKIP_3) | instid1(VALU_DEP_4)
	v_add_nc_u32_e32 v20, s1, v18
	v_lshlrev_b64 v[43:44], 2, v[12:13]
	v_add_co_u32 v12, vcc_lo, s4, v1
	v_add_co_ci_u32_e32 v13, vcc_lo, s5, v2, vcc_lo
	v_add_nc_u32_e32 v22, s1, v20
	v_lshlrev_b64 v[1:2], 2, v[14:15]
	v_ashrrev_i32_e32 v17, 31, v16
	v_add_co_u32 v14, vcc_lo, s4, v43
	s_delay_alu instid0(VALU_DEP_4) | instskip(SKIP_3) | instid1(VALU_DEP_4)
	v_add_nc_u32_e32 v24, s1, v22
	v_ashrrev_i32_e32 v19, 31, v18
	v_add_co_ci_u32_e32 v15, vcc_lo, s5, v44, vcc_lo
	v_lshlrev_b64 v[43:44], 2, v[16:17]
	v_add_nc_u32_e32 v26, s1, v24
	v_add_co_u32 v16, vcc_lo, s4, v1
	v_add_co_ci_u32_e32 v17, vcc_lo, s5, v2, vcc_lo
	s_delay_alu instid0(VALU_DEP_3) | instskip(SKIP_3) | instid1(VALU_DEP_4)
	v_add_nc_u32_e32 v28, s1, v26
	v_lshlrev_b64 v[1:2], 2, v[18:19]
	v_ashrrev_i32_e32 v21, 31, v20
	v_add_co_u32 v18, vcc_lo, s4, v43
	v_add_nc_u32_e32 v30, s1, v28
	v_ashrrev_i32_e32 v23, 31, v22
	v_add_co_ci_u32_e32 v19, vcc_lo, s5, v44, vcc_lo
	v_lshlrev_b64 v[43:44], 2, v[20:21]
	s_delay_alu instid0(VALU_DEP_4) | instskip(SKIP_2) | instid1(VALU_DEP_3)
	v_add_nc_u32_e32 v32, s1, v30
	v_add_co_u32 v20, vcc_lo, s4, v1
	v_add_co_ci_u32_e32 v21, vcc_lo, s5, v2, vcc_lo
	v_add_nc_u32_e32 v34, s1, v32
	v_lshlrev_b64 v[1:2], 2, v[22:23]
	v_ashrrev_i32_e32 v25, 31, v24
	v_add_co_u32 v22, vcc_lo, s4, v43
	s_delay_alu instid0(VALU_DEP_4) | instskip(SKIP_3) | instid1(VALU_DEP_4)
	v_add_nc_u32_e32 v36, s1, v34
	v_ashrrev_i32_e32 v27, 31, v26
	v_add_co_ci_u32_e32 v23, vcc_lo, s5, v44, vcc_lo
	v_lshlrev_b64 v[43:44], 2, v[24:25]
	v_add_nc_u32_e32 v38, s1, v36
	v_add_co_u32 v24, vcc_lo, s4, v1
	v_add_co_ci_u32_e32 v25, vcc_lo, s5, v2, vcc_lo
	s_delay_alu instid0(VALU_DEP_3) | instskip(SKIP_3) | instid1(VALU_DEP_4)
	v_add_nc_u32_e32 v40, s1, v38
	v_lshlrev_b64 v[1:2], 2, v[26:27]
	v_ashrrev_i32_e32 v29, 31, v28
	v_add_co_u32 v26, vcc_lo, s4, v43
	v_add_nc_u32_e32 v42, s1, v40
	v_ashrrev_i32_e32 v31, 31, v30
	v_add_co_ci_u32_e32 v27, vcc_lo, s5, v44, vcc_lo
	v_lshlrev_b64 v[43:44], 2, v[28:29]
	s_delay_alu instid0(VALU_DEP_4) | instskip(SKIP_2) | instid1(VALU_DEP_3)
	v_add_nc_u32_e32 v45, s1, v42
	;; [unrolled: 25-line block ×6, first 2 shown]
	v_add_co_u32 v60, vcc_lo, s4, v1
	v_add_co_ci_u32_e32 v61, vcc_lo, s5, v2, vcc_lo
	v_add_nc_u32_e32 v98, s1, v96
	v_lshlrev_b64 v[1:2], 2, v[63:64]
	v_ashrrev_i32_e32 v66, 31, v65
	v_add_co_u32 v62, vcc_lo, s4, v69
	s_delay_alu instid0(VALU_DEP_4) | instskip(SKIP_1) | instid1(VALU_DEP_4)
	v_add_nc_u32_e32 v100, s1, v98
	v_add_co_ci_u32_e32 v63, vcc_lo, s5, v70, vcc_lo
	v_lshlrev_b64 v[70:71], 2, v[65:66]
	v_ashrrev_i32_e32 v69, 31, v68
	s_delay_alu instid0(VALU_DEP_4) | instskip(SKIP_2) | instid1(VALU_DEP_3)
	v_add_nc_u32_e32 v102, s1, v100
	v_add_co_u32 v66, vcc_lo, s4, v1
	v_add_co_ci_u32_e32 v67, vcc_lo, s5, v2, vcc_lo
	v_add_nc_u32_e32 v104, s1, v102
	v_lshlrev_b64 v[1:2], 2, v[68:69]
	v_add_co_u32 v68, vcc_lo, s4, v70
	v_add_co_ci_u32_e32 v69, vcc_lo, s5, v71, vcc_lo
	s_delay_alu instid0(VALU_DEP_4)
	v_add_nc_u32_e32 v106, s1, v104
	v_ashrrev_i32_e32 v73, 31, v72
	v_ashrrev_i32_e32 v75, 31, v74
	v_ashrrev_i32_e32 v77, 31, v76
	v_ashrrev_i32_e32 v79, 31, v78
	v_add_nc_u32_e32 v64, s1, v106
	v_ashrrev_i32_e32 v81, 31, v80
	v_lshlrev_b64 v[74:75], 2, v[74:75]
	v_ashrrev_i32_e32 v83, 31, v82
	v_lshlrev_b64 v[78:79], 2, v[78:79]
	v_ashrrev_i32_e32 v65, 31, v64
	v_ashrrev_i32_e32 v85, 31, v84
	;; [unrolled: 1-line block ×3, first 2 shown]
	v_lshlrev_b64 v[82:83], 2, v[82:83]
	v_ashrrev_i32_e32 v89, 31, v88
	v_lshlrev_b64 v[64:65], 2, v[64:65]
	v_ashrrev_i32_e32 v91, 31, v90
	;; [unrolled: 2-line block ×3, first 2 shown]
	v_ashrrev_i32_e32 v95, 31, v94
	v_ashrrev_i32_e32 v97, 31, v96
	v_add_co_u32 v64, vcc_lo, s4, v64
	v_add_co_ci_u32_e32 v65, vcc_lo, s5, v65, vcc_lo
	v_add_co_u32 v70, vcc_lo, s4, v1
	v_add_co_ci_u32_e32 v71, vcc_lo, s5, v2, vcc_lo
	v_lshlrev_b64 v[1:2], 2, v[72:73]
	v_lshlrev_b64 v[90:91], 2, v[90:91]
	;; [unrolled: 1-line block ×3, first 2 shown]
	v_ashrrev_i32_e32 v99, 31, v98
	v_ashrrev_i32_e32 v101, 31, v100
	;; [unrolled: 1-line block ×3, first 2 shown]
	v_add_co_u32 v72, vcc_lo, s4, v1
	v_add_co_ci_u32_e32 v73, vcc_lo, s5, v2, vcc_lo
	v_lshlrev_b64 v[1:2], 2, v[76:77]
	v_add_co_u32 v74, vcc_lo, s4, v74
	v_add_co_ci_u32_e32 v75, vcc_lo, s5, v75, vcc_lo
	v_lshlrev_b64 v[98:99], 2, v[98:99]
	s_delay_alu instid0(VALU_DEP_4)
	v_add_co_u32 v76, vcc_lo, s4, v1
	v_add_co_ci_u32_e32 v77, vcc_lo, s5, v2, vcc_lo
	v_lshlrev_b64 v[1:2], 2, v[80:81]
	v_add_co_u32 v78, vcc_lo, s4, v78
	v_add_co_ci_u32_e32 v79, vcc_lo, s5, v79, vcc_lo
	v_ashrrev_i32_e32 v105, 31, v104
	s_delay_alu instid0(VALU_DEP_4)
	v_add_co_u32 v80, vcc_lo, s4, v1
	v_add_co_ci_u32_e32 v81, vcc_lo, s5, v2, vcc_lo
	v_lshlrev_b64 v[1:2], 2, v[84:85]
	v_add_co_u32 v82, vcc_lo, s4, v82
	v_add_co_ci_u32_e32 v83, vcc_lo, s5, v83, vcc_lo
	v_lshlrev_b64 v[102:103], 2, v[102:103]
	s_delay_alu instid0(VALU_DEP_4)
	v_add_co_u32 v84, vcc_lo, s4, v1
	v_add_co_ci_u32_e32 v85, vcc_lo, s5, v2, vcc_lo
	v_lshlrev_b64 v[1:2], 2, v[88:89]
	v_add_co_u32 v86, vcc_lo, s4, v86
	v_add_co_ci_u32_e32 v87, vcc_lo, s5, v87, vcc_lo
	v_ashrrev_i32_e32 v107, 31, v106
	s_delay_alu instid0(VALU_DEP_4)
	v_add_co_u32 v88, vcc_lo, s4, v1
	v_add_co_ci_u32_e32 v89, vcc_lo, s5, v2, vcc_lo
	v_lshlrev_b64 v[1:2], 2, v[92:93]
	v_add_co_u32 v90, vcc_lo, s4, v90
	v_add_co_ci_u32_e32 v91, vcc_lo, s5, v91, vcc_lo
	v_lshlrev_b64 v[106:107], 2, v[106:107]
	s_delay_alu instid0(VALU_DEP_4)
	v_add_co_u32 v92, vcc_lo, s4, v1
	v_add_co_ci_u32_e32 v93, vcc_lo, s5, v2, vcc_lo
	v_lshlrev_b64 v[1:2], 2, v[96:97]
	v_add_co_u32 v94, vcc_lo, s4, v94
	v_add_co_ci_u32_e32 v95, vcc_lo, s5, v95, vcc_lo
	global_load_b32 v108, v3, s[4:5]
	v_add_co_u32 v96, vcc_lo, s4, v1
	v_add_co_ci_u32_e32 v97, vcc_lo, s5, v2, vcc_lo
	v_lshlrev_b64 v[1:2], 2, v[100:101]
	v_add_co_u32 v98, vcc_lo, s4, v98
	v_add_co_ci_u32_e32 v99, vcc_lo, s5, v99, vcc_lo
	s_clause 0x7
	global_load_b32 v109, v[6:7], off
	global_load_b32 v110, v[8:9], off
	;; [unrolled: 1-line block ×8, first 2 shown]
	v_add_co_u32 v100, vcc_lo, s4, v1
	v_add_co_ci_u32_e32 v101, vcc_lo, s5, v2, vcc_lo
	v_lshlrev_b64 v[1:2], 2, v[104:105]
	v_add_co_u32 v102, vcc_lo, s4, v102
	v_add_co_ci_u32_e32 v103, vcc_lo, s5, v103, vcc_lo
	s_clause 0x7
	global_load_b32 v117, v[22:23], off
	global_load_b32 v118, v[24:25], off
	;; [unrolled: 1-line block ×8, first 2 shown]
	v_add_co_u32 v104, vcc_lo, s4, v1
	v_add_co_ci_u32_e32 v105, vcc_lo, s5, v2, vcc_lo
	v_add_co_u32 v106, vcc_lo, s4, v106
	s_clause 0x17
	global_load_b32 v125, v[38:39], off
	global_load_b32 v126, v[40:41], off
	;; [unrolled: 1-line block ×24, first 2 shown]
	v_add_co_ci_u32_e32 v107, vcc_lo, s5, v107, vcc_lo
	s_clause 0xa
	global_load_b32 v149, v[88:89], off
	global_load_b32 v150, v[90:91], off
	;; [unrolled: 1-line block ×11, first 2 shown]
	s_bitcmp0_b32 s13, 0
	s_mov_b32 s1, -1
	s_waitcnt vmcnt(48)
	scratch_store_b128 off, v[108:111], off
	s_waitcnt vmcnt(44)
	scratch_store_b128 off, v[112:115], off offset:16
	s_waitcnt vmcnt(40)
	scratch_store_b128 off, v[116:119], off offset:32
	;; [unrolled: 2-line block ×12, first 2 shown]
	s_cbranch_scc1 .LBB115_214
; %bb.4:
	v_cmp_eq_u32_e64 s0, 0, v0
	s_delay_alu instid0(VALU_DEP_1)
	s_and_saveexec_b32 s1, s0
	s_cbranch_execz .LBB115_6
; %bb.5:
	v_mov_b32_e32 v1, 0
	ds_store_b32 v1, v1 offset:416
.LBB115_6:
	s_or_b32 exec_lo, exec_lo, s1
	s_waitcnt lgkmcnt(0)
	s_waitcnt_vscnt null, 0x0
	s_barrier
	buffer_gl0_inv
	scratch_load_b32 v1, v3, off
	s_mov_b32 s4, exec_lo
	s_waitcnt vmcnt(0)
	v_cmpx_eq_f32_e32 0, v1
	s_cbranch_execz .LBB115_10
; %bb.7:
	v_mov_b32_e32 v1, 0
	s_mov_b32 s5, 0
	ds_load_b32 v2, v1 offset:416
	s_waitcnt lgkmcnt(0)
	v_readfirstlane_b32 s1, v2
	v_add_nc_u32_e32 v2, 1, v0
	s_delay_alu instid0(VALU_DEP_2) | instskip(NEXT) | instid1(VALU_DEP_1)
	s_cmp_eq_u32 s1, 0
	v_cmp_gt_i32_e32 vcc_lo, s1, v2
	s_cselect_b32 s10, -1, 0
	s_delay_alu instid0(SALU_CYCLE_1) | instskip(NEXT) | instid1(SALU_CYCLE_1)
	s_or_b32 s10, s10, vcc_lo
	s_and_b32 exec_lo, exec_lo, s10
	s_cbranch_execz .LBB115_10
; %bb.8:
	v_mov_b32_e32 v108, s1
.LBB115_9:                              ; =>This Inner Loop Header: Depth=1
	ds_cmpstore_rtn_b32 v108, v1, v2, v108 offset:416
	s_waitcnt lgkmcnt(0)
	v_cmp_ne_u32_e32 vcc_lo, 0, v108
	v_cmp_le_i32_e64 s1, v108, v2
	s_delay_alu instid0(VALU_DEP_1) | instskip(NEXT) | instid1(SALU_CYCLE_1)
	s_and_b32 s1, vcc_lo, s1
	s_and_b32 s1, exec_lo, s1
	s_delay_alu instid0(SALU_CYCLE_1) | instskip(NEXT) | instid1(SALU_CYCLE_1)
	s_or_b32 s5, s1, s5
	s_and_not1_b32 exec_lo, exec_lo, s5
	s_cbranch_execnz .LBB115_9
.LBB115_10:
	s_or_b32 exec_lo, exec_lo, s4
	v_mov_b32_e32 v1, 0
	s_barrier
	buffer_gl0_inv
	ds_load_b32 v2, v1 offset:416
	s_and_saveexec_b32 s1, s0
	s_cbranch_execz .LBB115_12
; %bb.11:
	s_lshl_b64 s[4:5], s[8:9], 2
	s_delay_alu instid0(SALU_CYCLE_1)
	s_add_u32 s4, s6, s4
	s_addc_u32 s5, s7, s5
	s_waitcnt lgkmcnt(0)
	global_store_b32 v1, v2, s[4:5]
.LBB115_12:
	s_or_b32 exec_lo, exec_lo, s1
	s_waitcnt lgkmcnt(0)
	v_cmp_ne_u32_e32 vcc_lo, 0, v2
	s_mov_b32 s1, 0
	s_cbranch_vccnz .LBB115_214
; %bb.13:
	v_add_nc_u32_e32 v1, 0, v3
	scratch_load_b32 v2, v1, off
	s_waitcnt vmcnt(0)
	v_div_scale_f32 v108, null, v2, v2, 1.0
	v_div_scale_f32 v111, vcc_lo, 1.0, v2, 1.0
	s_delay_alu instid0(VALU_DEP_2) | instskip(SKIP_2) | instid1(VALU_DEP_1)
	v_rcp_f32_e32 v109, v108
	s_waitcnt_depctr 0xfff
	v_fma_f32 v110, -v108, v109, 1.0
	v_fmac_f32_e32 v109, v110, v109
	s_delay_alu instid0(VALU_DEP_1) | instskip(NEXT) | instid1(VALU_DEP_1)
	v_mul_f32_e32 v110, v111, v109
	v_fma_f32 v112, -v108, v110, v111
	s_delay_alu instid0(VALU_DEP_1) | instskip(NEXT) | instid1(VALU_DEP_1)
	v_fmac_f32_e32 v110, v112, v109
	v_fma_f32 v108, -v108, v110, v111
	s_delay_alu instid0(VALU_DEP_1) | instskip(NEXT) | instid1(VALU_DEP_1)
	v_div_fmas_f32 v108, v108, v109, v110
	v_div_fixup_f32 v2, v108, v2, 1.0
	scratch_store_b32 v1, v2, off
	scratch_load_b32 v108, off, off offset:4
	v_xor_b32_e32 v109, 0x80000000, v2
	v_add_nc_u32_e32 v2, 0xd0, v3
	s_waitcnt vmcnt(0)
	ds_store_2addr_b32 v3, v109, v108 offset1:52
	s_waitcnt lgkmcnt(0)
	s_waitcnt_vscnt null, 0x0
	s_barrier
	buffer_gl0_inv
	s_and_saveexec_b32 s1, s0
	s_cbranch_execz .LBB115_15
; %bb.14:
	scratch_load_b32 v108, v1, off
	ds_load_b32 v109, v2
	v_mov_b32_e32 v110, 0
	ds_load_b32 v110, v110 offset:4
	s_waitcnt vmcnt(0) lgkmcnt(1)
	v_fma_f32 v108, v108, v109, 0
	s_waitcnt lgkmcnt(0)
	s_delay_alu instid0(VALU_DEP_1)
	v_mul_f32_e32 v108, v108, v110
	scratch_store_b32 off, v108, off offset:4
.LBB115_15:
	s_or_b32 exec_lo, exec_lo, s1
	s_waitcnt_vscnt null, 0x0
	s_barrier
	buffer_gl0_inv
	scratch_load_b32 v108, off, off offset:8
	s_mov_b32 s1, exec_lo
	s_waitcnt vmcnt(0)
	ds_store_b32 v2, v108
	s_waitcnt lgkmcnt(0)
	s_barrier
	buffer_gl0_inv
	v_cmpx_gt_u32_e32 2, v0
	s_cbranch_execz .LBB115_17
; %bb.16:
	scratch_load_b32 v110, v1, off
	scratch_load_b32 v111, off, off offset:4
	ds_load_b32 v112, v2
	v_mov_b32_e32 v108, 0
	ds_load_2addr_b32 v[108:109], v108 offset0:2 offset1:53
	s_waitcnt vmcnt(1) lgkmcnt(1)
	v_fma_f32 v110, v110, v112, 0
	s_waitcnt vmcnt(0) lgkmcnt(0)
	s_delay_alu instid0(VALU_DEP_1) | instskip(NEXT) | instid1(VALU_DEP_1)
	v_fma_f32 v109, v111, v109, v110
	v_cndmask_b32_e64 v109, v110, v109, s0
	s_delay_alu instid0(VALU_DEP_1)
	v_mul_f32_e32 v108, v109, v108
	scratch_store_b32 off, v108, off offset:8
.LBB115_17:
	s_or_b32 exec_lo, exec_lo, s1
	s_waitcnt_vscnt null, 0x0
	s_barrier
	buffer_gl0_inv
	scratch_load_b32 v109, off, off offset:12
	v_add_nc_u32_e32 v108, -1, v0
	s_mov_b32 s0, exec_lo
	s_waitcnt vmcnt(0)
	ds_store_b32 v2, v109
	s_waitcnt lgkmcnt(0)
	s_barrier
	buffer_gl0_inv
	v_cmpx_gt_u32_e32 3, v0
	s_cbranch_execz .LBB115_21
; %bb.18:
	v_dual_mov_b32 v109, 0 :: v_dual_add_nc_u32 v110, -1, v0
	v_add_nc_u32_e32 v111, 0xd0, v3
	v_add_nc_u32_e32 v112, 0, v3
	s_mov_b32 s1, 0
.LBB115_19:                             ; =>This Inner Loop Header: Depth=1
	scratch_load_b32 v113, v112, off
	ds_load_b32 v114, v111
	v_add_nc_u32_e32 v110, 1, v110
	v_add_nc_u32_e32 v111, 4, v111
	v_add_nc_u32_e32 v112, 4, v112
	s_delay_alu instid0(VALU_DEP_3)
	v_cmp_lt_u32_e32 vcc_lo, 1, v110
	s_or_b32 s1, vcc_lo, s1
	s_waitcnt vmcnt(0) lgkmcnt(0)
	v_fmac_f32_e32 v109, v113, v114
	s_and_not1_b32 exec_lo, exec_lo, s1
	s_cbranch_execnz .LBB115_19
; %bb.20:
	s_or_b32 exec_lo, exec_lo, s1
	v_mov_b32_e32 v110, 0
	ds_load_b32 v110, v110 offset:12
	s_waitcnt lgkmcnt(0)
	v_mul_f32_e32 v109, v109, v110
	scratch_store_b32 off, v109, off offset:12
.LBB115_21:
	s_or_b32 exec_lo, exec_lo, s0
	s_waitcnt_vscnt null, 0x0
	s_barrier
	buffer_gl0_inv
	scratch_load_b32 v109, off, off offset:16
	s_mov_b32 s0, exec_lo
	s_waitcnt vmcnt(0)
	ds_store_b32 v2, v109
	s_waitcnt lgkmcnt(0)
	s_barrier
	buffer_gl0_inv
	v_cmpx_gt_u32_e32 4, v0
	s_cbranch_execz .LBB115_25
; %bb.22:
	v_dual_mov_b32 v109, 0 :: v_dual_add_nc_u32 v110, -1, v0
	v_add_nc_u32_e32 v111, 0xd0, v3
	v_add_nc_u32_e32 v112, 0, v3
	s_mov_b32 s1, 0
.LBB115_23:                             ; =>This Inner Loop Header: Depth=1
	scratch_load_b32 v113, v112, off
	ds_load_b32 v114, v111
	v_add_nc_u32_e32 v110, 1, v110
	v_add_nc_u32_e32 v111, 4, v111
	v_add_nc_u32_e32 v112, 4, v112
	s_delay_alu instid0(VALU_DEP_3)
	v_cmp_lt_u32_e32 vcc_lo, 2, v110
	s_or_b32 s1, vcc_lo, s1
	s_waitcnt vmcnt(0) lgkmcnt(0)
	v_fmac_f32_e32 v109, v113, v114
	s_and_not1_b32 exec_lo, exec_lo, s1
	s_cbranch_execnz .LBB115_23
; %bb.24:
	s_or_b32 exec_lo, exec_lo, s1
	v_mov_b32_e32 v110, 0
	ds_load_b32 v110, v110 offset:16
	s_waitcnt lgkmcnt(0)
	v_mul_f32_e32 v109, v109, v110
	scratch_store_b32 off, v109, off offset:16
.LBB115_25:
	s_or_b32 exec_lo, exec_lo, s0
	s_waitcnt_vscnt null, 0x0
	s_barrier
	buffer_gl0_inv
	scratch_load_b32 v109, off, off offset:20
	s_mov_b32 s0, exec_lo
	s_waitcnt vmcnt(0)
	ds_store_b32 v2, v109
	s_waitcnt lgkmcnt(0)
	s_barrier
	buffer_gl0_inv
	v_cmpx_gt_u32_e32 5, v0
	s_cbranch_execz .LBB115_29
; %bb.26:
	v_dual_mov_b32 v109, 0 :: v_dual_add_nc_u32 v110, -1, v0
	v_add_nc_u32_e32 v111, 0xd0, v3
	v_add_nc_u32_e32 v112, 0, v3
	s_mov_b32 s1, 0
.LBB115_27:                             ; =>This Inner Loop Header: Depth=1
	scratch_load_b32 v113, v112, off
	ds_load_b32 v114, v111
	v_add_nc_u32_e32 v110, 1, v110
	v_add_nc_u32_e32 v111, 4, v111
	v_add_nc_u32_e32 v112, 4, v112
	s_delay_alu instid0(VALU_DEP_3)
	v_cmp_lt_u32_e32 vcc_lo, 3, v110
	s_or_b32 s1, vcc_lo, s1
	s_waitcnt vmcnt(0) lgkmcnt(0)
	v_fmac_f32_e32 v109, v113, v114
	s_and_not1_b32 exec_lo, exec_lo, s1
	s_cbranch_execnz .LBB115_27
; %bb.28:
	s_or_b32 exec_lo, exec_lo, s1
	v_mov_b32_e32 v110, 0
	ds_load_b32 v110, v110 offset:20
	s_waitcnt lgkmcnt(0)
	v_mul_f32_e32 v109, v109, v110
	scratch_store_b32 off, v109, off offset:20
.LBB115_29:
	s_or_b32 exec_lo, exec_lo, s0
	s_waitcnt_vscnt null, 0x0
	s_barrier
	buffer_gl0_inv
	scratch_load_b32 v109, off, off offset:24
	s_mov_b32 s0, exec_lo
	s_waitcnt vmcnt(0)
	ds_store_b32 v2, v109
	s_waitcnt lgkmcnt(0)
	s_barrier
	buffer_gl0_inv
	v_cmpx_gt_u32_e32 6, v0
	s_cbranch_execz .LBB115_33
; %bb.30:
	v_dual_mov_b32 v109, 0 :: v_dual_add_nc_u32 v110, -1, v0
	v_add_nc_u32_e32 v111, 0xd0, v3
	v_add_nc_u32_e32 v112, 0, v3
	s_mov_b32 s1, 0
.LBB115_31:                             ; =>This Inner Loop Header: Depth=1
	scratch_load_b32 v113, v112, off
	ds_load_b32 v114, v111
	v_add_nc_u32_e32 v110, 1, v110
	v_add_nc_u32_e32 v111, 4, v111
	v_add_nc_u32_e32 v112, 4, v112
	s_delay_alu instid0(VALU_DEP_3)
	v_cmp_lt_u32_e32 vcc_lo, 4, v110
	s_or_b32 s1, vcc_lo, s1
	s_waitcnt vmcnt(0) lgkmcnt(0)
	v_fmac_f32_e32 v109, v113, v114
	s_and_not1_b32 exec_lo, exec_lo, s1
	s_cbranch_execnz .LBB115_31
; %bb.32:
	s_or_b32 exec_lo, exec_lo, s1
	v_mov_b32_e32 v110, 0
	ds_load_b32 v110, v110 offset:24
	s_waitcnt lgkmcnt(0)
	v_mul_f32_e32 v109, v109, v110
	scratch_store_b32 off, v109, off offset:24
.LBB115_33:
	s_or_b32 exec_lo, exec_lo, s0
	s_waitcnt_vscnt null, 0x0
	s_barrier
	buffer_gl0_inv
	scratch_load_b32 v109, off, off offset:28
	s_mov_b32 s0, exec_lo
	s_waitcnt vmcnt(0)
	ds_store_b32 v2, v109
	s_waitcnt lgkmcnt(0)
	s_barrier
	buffer_gl0_inv
	v_cmpx_gt_u32_e32 7, v0
	s_cbranch_execz .LBB115_37
; %bb.34:
	v_dual_mov_b32 v109, 0 :: v_dual_add_nc_u32 v110, -1, v0
	v_add_nc_u32_e32 v111, 0xd0, v3
	v_add_nc_u32_e32 v112, 0, v3
	s_mov_b32 s1, 0
.LBB115_35:                             ; =>This Inner Loop Header: Depth=1
	scratch_load_b32 v113, v112, off
	ds_load_b32 v114, v111
	v_add_nc_u32_e32 v110, 1, v110
	v_add_nc_u32_e32 v111, 4, v111
	v_add_nc_u32_e32 v112, 4, v112
	s_delay_alu instid0(VALU_DEP_3)
	v_cmp_lt_u32_e32 vcc_lo, 5, v110
	s_or_b32 s1, vcc_lo, s1
	s_waitcnt vmcnt(0) lgkmcnt(0)
	v_fmac_f32_e32 v109, v113, v114
	s_and_not1_b32 exec_lo, exec_lo, s1
	s_cbranch_execnz .LBB115_35
; %bb.36:
	s_or_b32 exec_lo, exec_lo, s1
	v_mov_b32_e32 v110, 0
	ds_load_b32 v110, v110 offset:28
	s_waitcnt lgkmcnt(0)
	v_mul_f32_e32 v109, v109, v110
	scratch_store_b32 off, v109, off offset:28
.LBB115_37:
	s_or_b32 exec_lo, exec_lo, s0
	s_waitcnt_vscnt null, 0x0
	s_barrier
	buffer_gl0_inv
	scratch_load_b32 v109, off, off offset:32
	s_mov_b32 s0, exec_lo
	s_waitcnt vmcnt(0)
	ds_store_b32 v2, v109
	s_waitcnt lgkmcnt(0)
	s_barrier
	buffer_gl0_inv
	v_cmpx_gt_u32_e32 8, v0
	s_cbranch_execz .LBB115_41
; %bb.38:
	v_dual_mov_b32 v109, 0 :: v_dual_add_nc_u32 v110, -1, v0
	v_add_nc_u32_e32 v111, 0xd0, v3
	v_add_nc_u32_e32 v112, 0, v3
	s_mov_b32 s1, 0
.LBB115_39:                             ; =>This Inner Loop Header: Depth=1
	scratch_load_b32 v113, v112, off
	ds_load_b32 v114, v111
	v_add_nc_u32_e32 v110, 1, v110
	v_add_nc_u32_e32 v111, 4, v111
	v_add_nc_u32_e32 v112, 4, v112
	s_delay_alu instid0(VALU_DEP_3)
	v_cmp_lt_u32_e32 vcc_lo, 6, v110
	s_or_b32 s1, vcc_lo, s1
	s_waitcnt vmcnt(0) lgkmcnt(0)
	v_fmac_f32_e32 v109, v113, v114
	s_and_not1_b32 exec_lo, exec_lo, s1
	s_cbranch_execnz .LBB115_39
; %bb.40:
	s_or_b32 exec_lo, exec_lo, s1
	v_mov_b32_e32 v110, 0
	ds_load_b32 v110, v110 offset:32
	s_waitcnt lgkmcnt(0)
	v_mul_f32_e32 v109, v109, v110
	scratch_store_b32 off, v109, off offset:32
.LBB115_41:
	s_or_b32 exec_lo, exec_lo, s0
	s_waitcnt_vscnt null, 0x0
	s_barrier
	buffer_gl0_inv
	scratch_load_b32 v109, off, off offset:36
	s_mov_b32 s0, exec_lo
	s_waitcnt vmcnt(0)
	ds_store_b32 v2, v109
	s_waitcnt lgkmcnt(0)
	s_barrier
	buffer_gl0_inv
	v_cmpx_gt_u32_e32 9, v0
	s_cbranch_execz .LBB115_45
; %bb.42:
	v_dual_mov_b32 v109, 0 :: v_dual_add_nc_u32 v110, -1, v0
	v_add_nc_u32_e32 v111, 0xd0, v3
	v_add_nc_u32_e32 v112, 0, v3
	s_mov_b32 s1, 0
.LBB115_43:                             ; =>This Inner Loop Header: Depth=1
	scratch_load_b32 v113, v112, off
	ds_load_b32 v114, v111
	v_add_nc_u32_e32 v110, 1, v110
	v_add_nc_u32_e32 v111, 4, v111
	v_add_nc_u32_e32 v112, 4, v112
	s_delay_alu instid0(VALU_DEP_3)
	v_cmp_lt_u32_e32 vcc_lo, 7, v110
	s_or_b32 s1, vcc_lo, s1
	s_waitcnt vmcnt(0) lgkmcnt(0)
	v_fmac_f32_e32 v109, v113, v114
	s_and_not1_b32 exec_lo, exec_lo, s1
	s_cbranch_execnz .LBB115_43
; %bb.44:
	s_or_b32 exec_lo, exec_lo, s1
	v_mov_b32_e32 v110, 0
	ds_load_b32 v110, v110 offset:36
	s_waitcnt lgkmcnt(0)
	v_mul_f32_e32 v109, v109, v110
	scratch_store_b32 off, v109, off offset:36
.LBB115_45:
	s_or_b32 exec_lo, exec_lo, s0
	s_waitcnt_vscnt null, 0x0
	s_barrier
	buffer_gl0_inv
	scratch_load_b32 v109, off, off offset:40
	s_mov_b32 s0, exec_lo
	s_waitcnt vmcnt(0)
	ds_store_b32 v2, v109
	s_waitcnt lgkmcnt(0)
	s_barrier
	buffer_gl0_inv
	v_cmpx_gt_u32_e32 10, v0
	s_cbranch_execz .LBB115_49
; %bb.46:
	v_dual_mov_b32 v109, 0 :: v_dual_add_nc_u32 v110, -1, v0
	v_add_nc_u32_e32 v111, 0xd0, v3
	v_add_nc_u32_e32 v112, 0, v3
	s_mov_b32 s1, 0
.LBB115_47:                             ; =>This Inner Loop Header: Depth=1
	scratch_load_b32 v113, v112, off
	ds_load_b32 v114, v111
	v_add_nc_u32_e32 v110, 1, v110
	v_add_nc_u32_e32 v111, 4, v111
	v_add_nc_u32_e32 v112, 4, v112
	s_delay_alu instid0(VALU_DEP_3)
	v_cmp_lt_u32_e32 vcc_lo, 8, v110
	s_or_b32 s1, vcc_lo, s1
	s_waitcnt vmcnt(0) lgkmcnt(0)
	v_fmac_f32_e32 v109, v113, v114
	s_and_not1_b32 exec_lo, exec_lo, s1
	s_cbranch_execnz .LBB115_47
; %bb.48:
	s_or_b32 exec_lo, exec_lo, s1
	v_mov_b32_e32 v110, 0
	ds_load_b32 v110, v110 offset:40
	s_waitcnt lgkmcnt(0)
	v_mul_f32_e32 v109, v109, v110
	scratch_store_b32 off, v109, off offset:40
.LBB115_49:
	s_or_b32 exec_lo, exec_lo, s0
	s_waitcnt_vscnt null, 0x0
	s_barrier
	buffer_gl0_inv
	scratch_load_b32 v109, off, off offset:44
	s_mov_b32 s0, exec_lo
	s_waitcnt vmcnt(0)
	ds_store_b32 v2, v109
	s_waitcnt lgkmcnt(0)
	s_barrier
	buffer_gl0_inv
	v_cmpx_gt_u32_e32 11, v0
	s_cbranch_execz .LBB115_53
; %bb.50:
	v_dual_mov_b32 v109, 0 :: v_dual_add_nc_u32 v110, -1, v0
	v_add_nc_u32_e32 v111, 0xd0, v3
	v_add_nc_u32_e32 v112, 0, v3
	s_mov_b32 s1, 0
.LBB115_51:                             ; =>This Inner Loop Header: Depth=1
	scratch_load_b32 v113, v112, off
	ds_load_b32 v114, v111
	v_add_nc_u32_e32 v110, 1, v110
	v_add_nc_u32_e32 v111, 4, v111
	v_add_nc_u32_e32 v112, 4, v112
	s_delay_alu instid0(VALU_DEP_3)
	v_cmp_lt_u32_e32 vcc_lo, 9, v110
	s_or_b32 s1, vcc_lo, s1
	s_waitcnt vmcnt(0) lgkmcnt(0)
	v_fmac_f32_e32 v109, v113, v114
	s_and_not1_b32 exec_lo, exec_lo, s1
	s_cbranch_execnz .LBB115_51
; %bb.52:
	s_or_b32 exec_lo, exec_lo, s1
	v_mov_b32_e32 v110, 0
	ds_load_b32 v110, v110 offset:44
	s_waitcnt lgkmcnt(0)
	v_mul_f32_e32 v109, v109, v110
	scratch_store_b32 off, v109, off offset:44
.LBB115_53:
	s_or_b32 exec_lo, exec_lo, s0
	s_waitcnt_vscnt null, 0x0
	s_barrier
	buffer_gl0_inv
	scratch_load_b32 v109, off, off offset:48
	s_mov_b32 s0, exec_lo
	s_waitcnt vmcnt(0)
	ds_store_b32 v2, v109
	s_waitcnt lgkmcnt(0)
	s_barrier
	buffer_gl0_inv
	v_cmpx_gt_u32_e32 12, v0
	s_cbranch_execz .LBB115_57
; %bb.54:
	v_dual_mov_b32 v109, 0 :: v_dual_add_nc_u32 v110, -1, v0
	v_add_nc_u32_e32 v111, 0xd0, v3
	v_add_nc_u32_e32 v112, 0, v3
	s_mov_b32 s1, 0
.LBB115_55:                             ; =>This Inner Loop Header: Depth=1
	scratch_load_b32 v113, v112, off
	ds_load_b32 v114, v111
	v_add_nc_u32_e32 v110, 1, v110
	v_add_nc_u32_e32 v111, 4, v111
	v_add_nc_u32_e32 v112, 4, v112
	s_delay_alu instid0(VALU_DEP_3)
	v_cmp_lt_u32_e32 vcc_lo, 10, v110
	s_or_b32 s1, vcc_lo, s1
	s_waitcnt vmcnt(0) lgkmcnt(0)
	v_fmac_f32_e32 v109, v113, v114
	s_and_not1_b32 exec_lo, exec_lo, s1
	s_cbranch_execnz .LBB115_55
; %bb.56:
	s_or_b32 exec_lo, exec_lo, s1
	v_mov_b32_e32 v110, 0
	ds_load_b32 v110, v110 offset:48
	s_waitcnt lgkmcnt(0)
	v_mul_f32_e32 v109, v109, v110
	scratch_store_b32 off, v109, off offset:48
.LBB115_57:
	s_or_b32 exec_lo, exec_lo, s0
	s_waitcnt_vscnt null, 0x0
	s_barrier
	buffer_gl0_inv
	scratch_load_b32 v109, off, off offset:52
	s_mov_b32 s0, exec_lo
	s_waitcnt vmcnt(0)
	ds_store_b32 v2, v109
	s_waitcnt lgkmcnt(0)
	s_barrier
	buffer_gl0_inv
	v_cmpx_gt_u32_e32 13, v0
	s_cbranch_execz .LBB115_61
; %bb.58:
	v_dual_mov_b32 v109, 0 :: v_dual_add_nc_u32 v110, -1, v0
	v_add_nc_u32_e32 v111, 0xd0, v3
	v_add_nc_u32_e32 v112, 0, v3
	s_mov_b32 s1, 0
.LBB115_59:                             ; =>This Inner Loop Header: Depth=1
	scratch_load_b32 v113, v112, off
	ds_load_b32 v114, v111
	v_add_nc_u32_e32 v110, 1, v110
	v_add_nc_u32_e32 v111, 4, v111
	v_add_nc_u32_e32 v112, 4, v112
	s_delay_alu instid0(VALU_DEP_3)
	v_cmp_lt_u32_e32 vcc_lo, 11, v110
	s_or_b32 s1, vcc_lo, s1
	s_waitcnt vmcnt(0) lgkmcnt(0)
	v_fmac_f32_e32 v109, v113, v114
	s_and_not1_b32 exec_lo, exec_lo, s1
	s_cbranch_execnz .LBB115_59
; %bb.60:
	s_or_b32 exec_lo, exec_lo, s1
	v_mov_b32_e32 v110, 0
	ds_load_b32 v110, v110 offset:52
	s_waitcnt lgkmcnt(0)
	v_mul_f32_e32 v109, v109, v110
	scratch_store_b32 off, v109, off offset:52
.LBB115_61:
	s_or_b32 exec_lo, exec_lo, s0
	s_waitcnt_vscnt null, 0x0
	s_barrier
	buffer_gl0_inv
	scratch_load_b32 v109, off, off offset:56
	s_mov_b32 s0, exec_lo
	s_waitcnt vmcnt(0)
	ds_store_b32 v2, v109
	s_waitcnt lgkmcnt(0)
	s_barrier
	buffer_gl0_inv
	v_cmpx_gt_u32_e32 14, v0
	s_cbranch_execz .LBB115_65
; %bb.62:
	v_dual_mov_b32 v109, 0 :: v_dual_add_nc_u32 v110, -1, v0
	v_add_nc_u32_e32 v111, 0xd0, v3
	v_add_nc_u32_e32 v112, 0, v3
	s_mov_b32 s1, 0
.LBB115_63:                             ; =>This Inner Loop Header: Depth=1
	scratch_load_b32 v113, v112, off
	ds_load_b32 v114, v111
	v_add_nc_u32_e32 v110, 1, v110
	v_add_nc_u32_e32 v111, 4, v111
	v_add_nc_u32_e32 v112, 4, v112
	s_delay_alu instid0(VALU_DEP_3)
	v_cmp_lt_u32_e32 vcc_lo, 12, v110
	s_or_b32 s1, vcc_lo, s1
	s_waitcnt vmcnt(0) lgkmcnt(0)
	v_fmac_f32_e32 v109, v113, v114
	s_and_not1_b32 exec_lo, exec_lo, s1
	s_cbranch_execnz .LBB115_63
; %bb.64:
	s_or_b32 exec_lo, exec_lo, s1
	v_mov_b32_e32 v110, 0
	ds_load_b32 v110, v110 offset:56
	s_waitcnt lgkmcnt(0)
	v_mul_f32_e32 v109, v109, v110
	scratch_store_b32 off, v109, off offset:56
.LBB115_65:
	s_or_b32 exec_lo, exec_lo, s0
	s_waitcnt_vscnt null, 0x0
	s_barrier
	buffer_gl0_inv
	scratch_load_b32 v109, off, off offset:60
	s_mov_b32 s0, exec_lo
	s_waitcnt vmcnt(0)
	ds_store_b32 v2, v109
	s_waitcnt lgkmcnt(0)
	s_barrier
	buffer_gl0_inv
	v_cmpx_gt_u32_e32 15, v0
	s_cbranch_execz .LBB115_69
; %bb.66:
	v_dual_mov_b32 v109, 0 :: v_dual_add_nc_u32 v110, -1, v0
	v_add_nc_u32_e32 v111, 0xd0, v3
	v_add_nc_u32_e32 v112, 0, v3
	s_mov_b32 s1, 0
.LBB115_67:                             ; =>This Inner Loop Header: Depth=1
	scratch_load_b32 v113, v112, off
	ds_load_b32 v114, v111
	v_add_nc_u32_e32 v110, 1, v110
	v_add_nc_u32_e32 v111, 4, v111
	v_add_nc_u32_e32 v112, 4, v112
	s_delay_alu instid0(VALU_DEP_3)
	v_cmp_lt_u32_e32 vcc_lo, 13, v110
	s_or_b32 s1, vcc_lo, s1
	s_waitcnt vmcnt(0) lgkmcnt(0)
	v_fmac_f32_e32 v109, v113, v114
	s_and_not1_b32 exec_lo, exec_lo, s1
	s_cbranch_execnz .LBB115_67
; %bb.68:
	s_or_b32 exec_lo, exec_lo, s1
	v_mov_b32_e32 v110, 0
	ds_load_b32 v110, v110 offset:60
	s_waitcnt lgkmcnt(0)
	v_mul_f32_e32 v109, v109, v110
	scratch_store_b32 off, v109, off offset:60
.LBB115_69:
	s_or_b32 exec_lo, exec_lo, s0
	s_waitcnt_vscnt null, 0x0
	s_barrier
	buffer_gl0_inv
	scratch_load_b32 v109, off, off offset:64
	s_mov_b32 s0, exec_lo
	s_waitcnt vmcnt(0)
	ds_store_b32 v2, v109
	s_waitcnt lgkmcnt(0)
	s_barrier
	buffer_gl0_inv
	v_cmpx_gt_u32_e32 16, v0
	s_cbranch_execz .LBB115_73
; %bb.70:
	v_dual_mov_b32 v109, 0 :: v_dual_add_nc_u32 v110, -1, v0
	v_add_nc_u32_e32 v111, 0xd0, v3
	v_add_nc_u32_e32 v112, 0, v3
	s_mov_b32 s1, 0
.LBB115_71:                             ; =>This Inner Loop Header: Depth=1
	scratch_load_b32 v113, v112, off
	ds_load_b32 v114, v111
	v_add_nc_u32_e32 v110, 1, v110
	v_add_nc_u32_e32 v111, 4, v111
	v_add_nc_u32_e32 v112, 4, v112
	s_delay_alu instid0(VALU_DEP_3)
	v_cmp_lt_u32_e32 vcc_lo, 14, v110
	s_or_b32 s1, vcc_lo, s1
	s_waitcnt vmcnt(0) lgkmcnt(0)
	v_fmac_f32_e32 v109, v113, v114
	s_and_not1_b32 exec_lo, exec_lo, s1
	s_cbranch_execnz .LBB115_71
; %bb.72:
	s_or_b32 exec_lo, exec_lo, s1
	v_mov_b32_e32 v110, 0
	ds_load_b32 v110, v110 offset:64
	s_waitcnt lgkmcnt(0)
	v_mul_f32_e32 v109, v109, v110
	scratch_store_b32 off, v109, off offset:64
.LBB115_73:
	s_or_b32 exec_lo, exec_lo, s0
	s_waitcnt_vscnt null, 0x0
	s_barrier
	buffer_gl0_inv
	scratch_load_b32 v109, off, off offset:68
	s_mov_b32 s0, exec_lo
	s_waitcnt vmcnt(0)
	ds_store_b32 v2, v109
	s_waitcnt lgkmcnt(0)
	s_barrier
	buffer_gl0_inv
	v_cmpx_gt_u32_e32 17, v0
	s_cbranch_execz .LBB115_77
; %bb.74:
	v_dual_mov_b32 v109, 0 :: v_dual_add_nc_u32 v110, -1, v0
	v_add_nc_u32_e32 v111, 0xd0, v3
	v_add_nc_u32_e32 v112, 0, v3
	s_mov_b32 s1, 0
.LBB115_75:                             ; =>This Inner Loop Header: Depth=1
	scratch_load_b32 v113, v112, off
	ds_load_b32 v114, v111
	v_add_nc_u32_e32 v110, 1, v110
	v_add_nc_u32_e32 v111, 4, v111
	v_add_nc_u32_e32 v112, 4, v112
	s_delay_alu instid0(VALU_DEP_3)
	v_cmp_lt_u32_e32 vcc_lo, 15, v110
	s_or_b32 s1, vcc_lo, s1
	s_waitcnt vmcnt(0) lgkmcnt(0)
	v_fmac_f32_e32 v109, v113, v114
	s_and_not1_b32 exec_lo, exec_lo, s1
	s_cbranch_execnz .LBB115_75
; %bb.76:
	s_or_b32 exec_lo, exec_lo, s1
	v_mov_b32_e32 v110, 0
	ds_load_b32 v110, v110 offset:68
	s_waitcnt lgkmcnt(0)
	v_mul_f32_e32 v109, v109, v110
	scratch_store_b32 off, v109, off offset:68
.LBB115_77:
	s_or_b32 exec_lo, exec_lo, s0
	s_waitcnt_vscnt null, 0x0
	s_barrier
	buffer_gl0_inv
	scratch_load_b32 v109, off, off offset:72
	s_mov_b32 s0, exec_lo
	s_waitcnt vmcnt(0)
	ds_store_b32 v2, v109
	s_waitcnt lgkmcnt(0)
	s_barrier
	buffer_gl0_inv
	v_cmpx_gt_u32_e32 18, v0
	s_cbranch_execz .LBB115_81
; %bb.78:
	v_dual_mov_b32 v109, 0 :: v_dual_add_nc_u32 v110, -1, v0
	v_add_nc_u32_e32 v111, 0xd0, v3
	v_add_nc_u32_e32 v112, 0, v3
	s_mov_b32 s1, 0
.LBB115_79:                             ; =>This Inner Loop Header: Depth=1
	scratch_load_b32 v113, v112, off
	ds_load_b32 v114, v111
	v_add_nc_u32_e32 v110, 1, v110
	v_add_nc_u32_e32 v111, 4, v111
	v_add_nc_u32_e32 v112, 4, v112
	s_delay_alu instid0(VALU_DEP_3)
	v_cmp_lt_u32_e32 vcc_lo, 16, v110
	s_or_b32 s1, vcc_lo, s1
	s_waitcnt vmcnt(0) lgkmcnt(0)
	v_fmac_f32_e32 v109, v113, v114
	s_and_not1_b32 exec_lo, exec_lo, s1
	s_cbranch_execnz .LBB115_79
; %bb.80:
	s_or_b32 exec_lo, exec_lo, s1
	v_mov_b32_e32 v110, 0
	ds_load_b32 v110, v110 offset:72
	s_waitcnt lgkmcnt(0)
	v_mul_f32_e32 v109, v109, v110
	scratch_store_b32 off, v109, off offset:72
.LBB115_81:
	s_or_b32 exec_lo, exec_lo, s0
	s_waitcnt_vscnt null, 0x0
	s_barrier
	buffer_gl0_inv
	scratch_load_b32 v109, off, off offset:76
	s_mov_b32 s0, exec_lo
	s_waitcnt vmcnt(0)
	ds_store_b32 v2, v109
	s_waitcnt lgkmcnt(0)
	s_barrier
	buffer_gl0_inv
	v_cmpx_gt_u32_e32 19, v0
	s_cbranch_execz .LBB115_85
; %bb.82:
	v_dual_mov_b32 v109, 0 :: v_dual_add_nc_u32 v110, -1, v0
	v_add_nc_u32_e32 v111, 0xd0, v3
	v_add_nc_u32_e32 v112, 0, v3
	s_mov_b32 s1, 0
.LBB115_83:                             ; =>This Inner Loop Header: Depth=1
	scratch_load_b32 v113, v112, off
	ds_load_b32 v114, v111
	v_add_nc_u32_e32 v110, 1, v110
	v_add_nc_u32_e32 v111, 4, v111
	v_add_nc_u32_e32 v112, 4, v112
	s_delay_alu instid0(VALU_DEP_3)
	v_cmp_lt_u32_e32 vcc_lo, 17, v110
	s_or_b32 s1, vcc_lo, s1
	s_waitcnt vmcnt(0) lgkmcnt(0)
	v_fmac_f32_e32 v109, v113, v114
	s_and_not1_b32 exec_lo, exec_lo, s1
	s_cbranch_execnz .LBB115_83
; %bb.84:
	s_or_b32 exec_lo, exec_lo, s1
	v_mov_b32_e32 v110, 0
	ds_load_b32 v110, v110 offset:76
	s_waitcnt lgkmcnt(0)
	v_mul_f32_e32 v109, v109, v110
	scratch_store_b32 off, v109, off offset:76
.LBB115_85:
	s_or_b32 exec_lo, exec_lo, s0
	s_waitcnt_vscnt null, 0x0
	s_barrier
	buffer_gl0_inv
	scratch_load_b32 v109, off, off offset:80
	s_mov_b32 s0, exec_lo
	s_waitcnt vmcnt(0)
	ds_store_b32 v2, v109
	s_waitcnt lgkmcnt(0)
	s_barrier
	buffer_gl0_inv
	v_cmpx_gt_u32_e32 20, v0
	s_cbranch_execz .LBB115_89
; %bb.86:
	v_dual_mov_b32 v109, 0 :: v_dual_add_nc_u32 v110, -1, v0
	v_add_nc_u32_e32 v111, 0xd0, v3
	v_add_nc_u32_e32 v112, 0, v3
	s_mov_b32 s1, 0
.LBB115_87:                             ; =>This Inner Loop Header: Depth=1
	scratch_load_b32 v113, v112, off
	ds_load_b32 v114, v111
	v_add_nc_u32_e32 v110, 1, v110
	v_add_nc_u32_e32 v111, 4, v111
	v_add_nc_u32_e32 v112, 4, v112
	s_delay_alu instid0(VALU_DEP_3)
	v_cmp_lt_u32_e32 vcc_lo, 18, v110
	s_or_b32 s1, vcc_lo, s1
	s_waitcnt vmcnt(0) lgkmcnt(0)
	v_fmac_f32_e32 v109, v113, v114
	s_and_not1_b32 exec_lo, exec_lo, s1
	s_cbranch_execnz .LBB115_87
; %bb.88:
	s_or_b32 exec_lo, exec_lo, s1
	v_mov_b32_e32 v110, 0
	ds_load_b32 v110, v110 offset:80
	s_waitcnt lgkmcnt(0)
	v_mul_f32_e32 v109, v109, v110
	scratch_store_b32 off, v109, off offset:80
.LBB115_89:
	s_or_b32 exec_lo, exec_lo, s0
	s_waitcnt_vscnt null, 0x0
	s_barrier
	buffer_gl0_inv
	scratch_load_b32 v109, off, off offset:84
	s_mov_b32 s0, exec_lo
	s_waitcnt vmcnt(0)
	ds_store_b32 v2, v109
	s_waitcnt lgkmcnt(0)
	s_barrier
	buffer_gl0_inv
	v_cmpx_gt_u32_e32 21, v0
	s_cbranch_execz .LBB115_93
; %bb.90:
	v_dual_mov_b32 v109, 0 :: v_dual_add_nc_u32 v110, -1, v0
	v_add_nc_u32_e32 v111, 0xd0, v3
	v_add_nc_u32_e32 v112, 0, v3
	s_mov_b32 s1, 0
.LBB115_91:                             ; =>This Inner Loop Header: Depth=1
	scratch_load_b32 v113, v112, off
	ds_load_b32 v114, v111
	v_add_nc_u32_e32 v110, 1, v110
	v_add_nc_u32_e32 v111, 4, v111
	v_add_nc_u32_e32 v112, 4, v112
	s_delay_alu instid0(VALU_DEP_3)
	v_cmp_lt_u32_e32 vcc_lo, 19, v110
	s_or_b32 s1, vcc_lo, s1
	s_waitcnt vmcnt(0) lgkmcnt(0)
	v_fmac_f32_e32 v109, v113, v114
	s_and_not1_b32 exec_lo, exec_lo, s1
	s_cbranch_execnz .LBB115_91
; %bb.92:
	s_or_b32 exec_lo, exec_lo, s1
	v_mov_b32_e32 v110, 0
	ds_load_b32 v110, v110 offset:84
	s_waitcnt lgkmcnt(0)
	v_mul_f32_e32 v109, v109, v110
	scratch_store_b32 off, v109, off offset:84
.LBB115_93:
	s_or_b32 exec_lo, exec_lo, s0
	s_waitcnt_vscnt null, 0x0
	s_barrier
	buffer_gl0_inv
	scratch_load_b32 v109, off, off offset:88
	s_mov_b32 s0, exec_lo
	s_waitcnt vmcnt(0)
	ds_store_b32 v2, v109
	s_waitcnt lgkmcnt(0)
	s_barrier
	buffer_gl0_inv
	v_cmpx_gt_u32_e32 22, v0
	s_cbranch_execz .LBB115_97
; %bb.94:
	v_dual_mov_b32 v109, 0 :: v_dual_add_nc_u32 v110, -1, v0
	v_add_nc_u32_e32 v111, 0xd0, v3
	v_add_nc_u32_e32 v112, 0, v3
	s_mov_b32 s1, 0
.LBB115_95:                             ; =>This Inner Loop Header: Depth=1
	scratch_load_b32 v113, v112, off
	ds_load_b32 v114, v111
	v_add_nc_u32_e32 v110, 1, v110
	v_add_nc_u32_e32 v111, 4, v111
	v_add_nc_u32_e32 v112, 4, v112
	s_delay_alu instid0(VALU_DEP_3)
	v_cmp_lt_u32_e32 vcc_lo, 20, v110
	s_or_b32 s1, vcc_lo, s1
	s_waitcnt vmcnt(0) lgkmcnt(0)
	v_fmac_f32_e32 v109, v113, v114
	s_and_not1_b32 exec_lo, exec_lo, s1
	s_cbranch_execnz .LBB115_95
; %bb.96:
	s_or_b32 exec_lo, exec_lo, s1
	v_mov_b32_e32 v110, 0
	ds_load_b32 v110, v110 offset:88
	s_waitcnt lgkmcnt(0)
	v_mul_f32_e32 v109, v109, v110
	scratch_store_b32 off, v109, off offset:88
.LBB115_97:
	s_or_b32 exec_lo, exec_lo, s0
	s_waitcnt_vscnt null, 0x0
	s_barrier
	buffer_gl0_inv
	scratch_load_b32 v109, off, off offset:92
	s_mov_b32 s0, exec_lo
	s_waitcnt vmcnt(0)
	ds_store_b32 v2, v109
	s_waitcnt lgkmcnt(0)
	s_barrier
	buffer_gl0_inv
	v_cmpx_gt_u32_e32 23, v0
	s_cbranch_execz .LBB115_101
; %bb.98:
	v_dual_mov_b32 v109, 0 :: v_dual_add_nc_u32 v110, -1, v0
	v_add_nc_u32_e32 v111, 0xd0, v3
	v_add_nc_u32_e32 v112, 0, v3
	s_mov_b32 s1, 0
.LBB115_99:                             ; =>This Inner Loop Header: Depth=1
	scratch_load_b32 v113, v112, off
	ds_load_b32 v114, v111
	v_add_nc_u32_e32 v110, 1, v110
	v_add_nc_u32_e32 v111, 4, v111
	v_add_nc_u32_e32 v112, 4, v112
	s_delay_alu instid0(VALU_DEP_3)
	v_cmp_lt_u32_e32 vcc_lo, 21, v110
	s_or_b32 s1, vcc_lo, s1
	s_waitcnt vmcnt(0) lgkmcnt(0)
	v_fmac_f32_e32 v109, v113, v114
	s_and_not1_b32 exec_lo, exec_lo, s1
	s_cbranch_execnz .LBB115_99
; %bb.100:
	s_or_b32 exec_lo, exec_lo, s1
	v_mov_b32_e32 v110, 0
	ds_load_b32 v110, v110 offset:92
	s_waitcnt lgkmcnt(0)
	v_mul_f32_e32 v109, v109, v110
	scratch_store_b32 off, v109, off offset:92
.LBB115_101:
	s_or_b32 exec_lo, exec_lo, s0
	s_waitcnt_vscnt null, 0x0
	s_barrier
	buffer_gl0_inv
	scratch_load_b32 v109, off, off offset:96
	s_mov_b32 s0, exec_lo
	s_waitcnt vmcnt(0)
	ds_store_b32 v2, v109
	s_waitcnt lgkmcnt(0)
	s_barrier
	buffer_gl0_inv
	v_cmpx_gt_u32_e32 24, v0
	s_cbranch_execz .LBB115_105
; %bb.102:
	v_dual_mov_b32 v109, 0 :: v_dual_add_nc_u32 v110, -1, v0
	v_add_nc_u32_e32 v111, 0xd0, v3
	v_add_nc_u32_e32 v112, 0, v3
	s_mov_b32 s1, 0
.LBB115_103:                            ; =>This Inner Loop Header: Depth=1
	scratch_load_b32 v113, v112, off
	ds_load_b32 v114, v111
	v_add_nc_u32_e32 v110, 1, v110
	v_add_nc_u32_e32 v111, 4, v111
	v_add_nc_u32_e32 v112, 4, v112
	s_delay_alu instid0(VALU_DEP_3)
	v_cmp_lt_u32_e32 vcc_lo, 22, v110
	s_or_b32 s1, vcc_lo, s1
	s_waitcnt vmcnt(0) lgkmcnt(0)
	v_fmac_f32_e32 v109, v113, v114
	s_and_not1_b32 exec_lo, exec_lo, s1
	s_cbranch_execnz .LBB115_103
; %bb.104:
	s_or_b32 exec_lo, exec_lo, s1
	v_mov_b32_e32 v110, 0
	ds_load_b32 v110, v110 offset:96
	s_waitcnt lgkmcnt(0)
	v_mul_f32_e32 v109, v109, v110
	scratch_store_b32 off, v109, off offset:96
.LBB115_105:
	s_or_b32 exec_lo, exec_lo, s0
	s_waitcnt_vscnt null, 0x0
	s_barrier
	buffer_gl0_inv
	scratch_load_b32 v109, off, off offset:100
	s_mov_b32 s0, exec_lo
	s_waitcnt vmcnt(0)
	ds_store_b32 v2, v109
	s_waitcnt lgkmcnt(0)
	s_barrier
	buffer_gl0_inv
	v_cmpx_gt_u32_e32 25, v0
	s_cbranch_execz .LBB115_109
; %bb.106:
	v_dual_mov_b32 v109, 0 :: v_dual_add_nc_u32 v110, -1, v0
	v_add_nc_u32_e32 v111, 0xd0, v3
	v_add_nc_u32_e32 v112, 0, v3
	s_mov_b32 s1, 0
.LBB115_107:                            ; =>This Inner Loop Header: Depth=1
	scratch_load_b32 v113, v112, off
	ds_load_b32 v114, v111
	v_add_nc_u32_e32 v110, 1, v110
	v_add_nc_u32_e32 v111, 4, v111
	v_add_nc_u32_e32 v112, 4, v112
	s_delay_alu instid0(VALU_DEP_3)
	v_cmp_lt_u32_e32 vcc_lo, 23, v110
	s_or_b32 s1, vcc_lo, s1
	s_waitcnt vmcnt(0) lgkmcnt(0)
	v_fmac_f32_e32 v109, v113, v114
	s_and_not1_b32 exec_lo, exec_lo, s1
	s_cbranch_execnz .LBB115_107
; %bb.108:
	s_or_b32 exec_lo, exec_lo, s1
	v_mov_b32_e32 v110, 0
	ds_load_b32 v110, v110 offset:100
	s_waitcnt lgkmcnt(0)
	v_mul_f32_e32 v109, v109, v110
	scratch_store_b32 off, v109, off offset:100
.LBB115_109:
	s_or_b32 exec_lo, exec_lo, s0
	s_waitcnt_vscnt null, 0x0
	s_barrier
	buffer_gl0_inv
	scratch_load_b32 v109, off, off offset:104
	;; [unrolled: 39-line block ×26, first 2 shown]
	s_mov_b32 s0, exec_lo
	s_waitcnt vmcnt(0)
	ds_store_b32 v2, v109
	s_waitcnt lgkmcnt(0)
	s_barrier
	buffer_gl0_inv
	v_cmpx_gt_u32_e32 50, v0
	s_cbranch_execz .LBB115_209
; %bb.206:
	v_add_nc_u32_e32 v109, -1, v0
	v_add_nc_u32_e32 v110, 0xd0, v3
	v_add_nc_u32_e32 v111, 0, v3
	v_mov_b32_e32 v3, 0
	s_mov_b32 s1, 0
.LBB115_207:                            ; =>This Inner Loop Header: Depth=1
	scratch_load_b32 v112, v111, off
	ds_load_b32 v113, v110
	v_add_nc_u32_e32 v109, 1, v109
	v_add_nc_u32_e32 v110, 4, v110
	;; [unrolled: 1-line block ×3, first 2 shown]
	s_delay_alu instid0(VALU_DEP_3)
	v_cmp_lt_u32_e32 vcc_lo, 48, v109
	s_or_b32 s1, vcc_lo, s1
	s_waitcnt vmcnt(0) lgkmcnt(0)
	v_fmac_f32_e32 v3, v112, v113
	s_and_not1_b32 exec_lo, exec_lo, s1
	s_cbranch_execnz .LBB115_207
; %bb.208:
	s_or_b32 exec_lo, exec_lo, s1
	v_mov_b32_e32 v109, 0
	ds_load_b32 v109, v109 offset:200
	s_waitcnt lgkmcnt(0)
	v_mul_f32_e32 v3, v3, v109
	scratch_store_b32 off, v3, off offset:200
.LBB115_209:
	s_or_b32 exec_lo, exec_lo, s0
	s_waitcnt_vscnt null, 0x0
	s_barrier
	buffer_gl0_inv
	scratch_load_b32 v3, off, off offset:204
	s_mov_b32 s0, exec_lo
	s_waitcnt vmcnt(0)
	ds_store_b32 v2, v3
	s_waitcnt lgkmcnt(0)
	s_barrier
	buffer_gl0_inv
	v_cmpx_ne_u32_e32 51, v0
	s_cbranch_execz .LBB115_213
; %bb.210:
	v_mov_b32_e32 v3, 0
	s_mov_b32 s1, 0
.LBB115_211:                            ; =>This Inner Loop Header: Depth=1
	scratch_load_b32 v109, v1, off
	ds_load_b32 v110, v2
	v_add_nc_u32_e32 v108, 1, v108
	v_add_nc_u32_e32 v2, 4, v2
	;; [unrolled: 1-line block ×3, first 2 shown]
	s_waitcnt vmcnt(0) lgkmcnt(0)
	v_fmac_f32_e32 v3, v109, v110
	v_cmp_lt_u32_e32 vcc_lo, 49, v108
	s_or_b32 s1, vcc_lo, s1
	s_delay_alu instid0(SALU_CYCLE_1)
	s_and_not1_b32 exec_lo, exec_lo, s1
	s_cbranch_execnz .LBB115_211
; %bb.212:
	s_or_b32 exec_lo, exec_lo, s1
	v_mov_b32_e32 v1, 0
	ds_load_b32 v1, v1 offset:204
	s_waitcnt lgkmcnt(0)
	v_mul_f32_e32 v1, v3, v1
	scratch_store_b32 off, v1, off offset:204
.LBB115_213:
	s_or_b32 exec_lo, exec_lo, s0
	s_mov_b32 s1, -1
	s_waitcnt_vscnt null, 0x0
	s_barrier
	buffer_gl0_inv
.LBB115_214:
	s_and_b32 vcc_lo, exec_lo, s1
	s_cbranch_vccz .LBB115_216
; %bb.215:
	s_lshl_b64 s[0:1], s[8:9], 2
	v_mov_b32_e32 v1, 0
	s_add_u32 s0, s6, s0
	s_addc_u32 s1, s7, s1
	global_load_b32 v1, v1, s[0:1]
	s_waitcnt vmcnt(0)
	v_cmp_ne_u32_e32 vcc_lo, 0, v1
	s_cbranch_vccz .LBB115_217
.LBB115_216:
	s_endpgm
.LBB115_217:
	v_lshl_add_u32 v1, v0, 2, 0xd0
	s_mov_b32 s0, exec_lo
	v_cmpx_eq_u32_e32 51, v0
	s_cbranch_execz .LBB115_219
; %bb.218:
	scratch_load_b32 v2, off, off offset:200
	v_mov_b32_e32 v3, 0
	scratch_store_b32 off, v3, off offset:200
	s_waitcnt vmcnt(0)
	ds_store_b32 v1, v2
.LBB115_219:
	s_or_b32 exec_lo, exec_lo, s0
	s_waitcnt lgkmcnt(0)
	s_waitcnt_vscnt null, 0x0
	s_barrier
	buffer_gl0_inv
	scratch_load_b64 v[108:109], off, off offset:200
	v_mov_b32_e32 v2, 0
	s_mov_b32 s0, exec_lo
	ds_load_b32 v3, v2 offset:412
	s_waitcnt vmcnt(0) lgkmcnt(0)
	v_fma_f32 v3, v109, v3, 0
	s_delay_alu instid0(VALU_DEP_1)
	v_sub_f32_e32 v3, v108, v3
	scratch_store_b32 off, v3, off offset:200
	v_cmpx_lt_u32_e32 49, v0
	s_cbranch_execz .LBB115_221
; %bb.220:
	scratch_load_b32 v3, off, off offset:196
	scratch_store_b32 off, v2, off offset:196
	s_waitcnt vmcnt(0)
	ds_store_b32 v1, v3
.LBB115_221:
	s_or_b32 exec_lo, exec_lo, s0
	s_waitcnt lgkmcnt(0)
	s_waitcnt_vscnt null, 0x0
	s_barrier
	buffer_gl0_inv
	scratch_load_b96 v[108:110], off, off offset:196
	ds_load_b64 v[2:3], v2 offset:408
	s_mov_b32 s0, exec_lo
	s_waitcnt vmcnt(0) lgkmcnt(0)
	v_fma_f32 v2, v109, v2, 0
	s_delay_alu instid0(VALU_DEP_1) | instskip(NEXT) | instid1(VALU_DEP_1)
	v_fmac_f32_e32 v2, v110, v3
	v_sub_f32_e32 v2, v108, v2
	scratch_store_b32 off, v2, off offset:196
	v_cmpx_lt_u32_e32 48, v0
	s_cbranch_execz .LBB115_223
; %bb.222:
	scratch_load_b32 v2, off, off offset:192
	v_mov_b32_e32 v3, 0
	scratch_store_b32 off, v3, off offset:192
	s_waitcnt vmcnt(0)
	ds_store_b32 v1, v2
.LBB115_223:
	s_or_b32 exec_lo, exec_lo, s0
	s_waitcnt lgkmcnt(0)
	s_waitcnt_vscnt null, 0x0
	s_barrier
	buffer_gl0_inv
	scratch_load_b128 v[108:111], off, off offset:192
	v_mov_b32_e32 v2, 0
	ds_load_2addr_b32 v[112:113], v2 offset0:101 offset1:102
	ds_load_b32 v3, v2 offset:412
	s_mov_b32 s0, exec_lo
	s_waitcnt vmcnt(0) lgkmcnt(1)
	v_fma_f32 v109, v109, v112, 0
	s_delay_alu instid0(VALU_DEP_1) | instskip(SKIP_1) | instid1(VALU_DEP_1)
	v_fmac_f32_e32 v109, v110, v113
	s_waitcnt lgkmcnt(0)
	v_fmac_f32_e32 v109, v111, v3
	s_delay_alu instid0(VALU_DEP_1)
	v_sub_f32_e32 v3, v108, v109
	scratch_store_b32 off, v3, off offset:192
	v_cmpx_lt_u32_e32 47, v0
	s_cbranch_execz .LBB115_225
; %bb.224:
	scratch_load_b32 v3, off, off offset:188
	scratch_store_b32 off, v2, off offset:188
	s_waitcnt vmcnt(0)
	ds_store_b32 v1, v3
.LBB115_225:
	s_or_b32 exec_lo, exec_lo, s0
	s_waitcnt lgkmcnt(0)
	s_waitcnt_vscnt null, 0x0
	s_barrier
	buffer_gl0_inv
	s_clause 0x1
	scratch_load_b128 v[108:111], off, off offset:188
	scratch_load_b32 v3, off, off offset:204
	ds_load_b128 v[112:115], v2 offset:400
	s_mov_b32 s0, exec_lo
	s_waitcnt vmcnt(1) lgkmcnt(0)
	v_fma_f32 v2, v109, v112, 0
	s_delay_alu instid0(VALU_DEP_1) | instskip(NEXT) | instid1(VALU_DEP_1)
	v_fmac_f32_e32 v2, v110, v113
	v_fmac_f32_e32 v2, v111, v114
	s_waitcnt vmcnt(0)
	s_delay_alu instid0(VALU_DEP_1) | instskip(NEXT) | instid1(VALU_DEP_1)
	v_fmac_f32_e32 v2, v3, v115
	v_sub_f32_e32 v2, v108, v2
	scratch_store_b32 off, v2, off offset:188
	v_cmpx_lt_u32_e32 46, v0
	s_cbranch_execz .LBB115_227
; %bb.226:
	scratch_load_b32 v2, off, off offset:184
	v_mov_b32_e32 v3, 0
	scratch_store_b32 off, v3, off offset:184
	s_waitcnt vmcnt(0)
	ds_store_b32 v1, v2
.LBB115_227:
	s_or_b32 exec_lo, exec_lo, s0
	s_waitcnt lgkmcnt(0)
	s_waitcnt_vscnt null, 0x0
	s_barrier
	buffer_gl0_inv
	s_clause 0x1
	scratch_load_b128 v[108:111], off, off offset:184
	scratch_load_b64 v[112:113], off, off offset:200
	v_mov_b32_e32 v2, 0
	ds_load_2addr_b32 v[114:115], v2 offset0:99 offset1:100
	ds_load_2addr_b32 v[116:117], v2 offset0:101 offset1:102
	ds_load_b32 v3, v2 offset:412
	s_mov_b32 s0, exec_lo
	s_waitcnt vmcnt(1) lgkmcnt(2)
	v_fma_f32 v109, v109, v114, 0
	s_delay_alu instid0(VALU_DEP_1) | instskip(SKIP_1) | instid1(VALU_DEP_1)
	v_fmac_f32_e32 v109, v110, v115
	s_waitcnt lgkmcnt(1)
	v_fmac_f32_e32 v109, v111, v116
	s_waitcnt vmcnt(0)
	s_delay_alu instid0(VALU_DEP_1) | instskip(SKIP_1) | instid1(VALU_DEP_1)
	v_fmac_f32_e32 v109, v112, v117
	s_waitcnt lgkmcnt(0)
	v_fmac_f32_e32 v109, v113, v3
	s_delay_alu instid0(VALU_DEP_1)
	v_sub_f32_e32 v3, v108, v109
	scratch_store_b32 off, v3, off offset:184
	v_cmpx_lt_u32_e32 45, v0
	s_cbranch_execz .LBB115_229
; %bb.228:
	scratch_load_b32 v3, off, off offset:180
	scratch_store_b32 off, v2, off offset:180
	s_waitcnt vmcnt(0)
	ds_store_b32 v1, v3
.LBB115_229:
	s_or_b32 exec_lo, exec_lo, s0
	s_waitcnt lgkmcnt(0)
	s_waitcnt_vscnt null, 0x0
	s_barrier
	buffer_gl0_inv
	s_clause 0x1
	scratch_load_b128 v[108:111], off, off offset:180
	scratch_load_b96 v[116:118], off, off offset:196
	ds_load_2addr_b64 v[112:115], v2 offset0:49 offset1:50
	ds_load_b64 v[2:3], v2 offset:408
	s_mov_b32 s0, exec_lo
	s_waitcnt vmcnt(1) lgkmcnt(1)
	v_fma_f32 v109, v109, v112, 0
	s_delay_alu instid0(VALU_DEP_1) | instskip(NEXT) | instid1(VALU_DEP_1)
	v_fmac_f32_e32 v109, v110, v113
	v_fmac_f32_e32 v109, v111, v114
	s_waitcnt vmcnt(0)
	s_delay_alu instid0(VALU_DEP_1) | instskip(SKIP_1) | instid1(VALU_DEP_1)
	v_fmac_f32_e32 v109, v116, v115
	s_waitcnt lgkmcnt(0)
	v_fmac_f32_e32 v109, v117, v2
	s_delay_alu instid0(VALU_DEP_1) | instskip(NEXT) | instid1(VALU_DEP_1)
	v_fmac_f32_e32 v109, v118, v3
	v_sub_f32_e32 v2, v108, v109
	scratch_store_b32 off, v2, off offset:180
	v_cmpx_lt_u32_e32 44, v0
	s_cbranch_execz .LBB115_231
; %bb.230:
	scratch_load_b32 v2, off, off offset:176
	v_mov_b32_e32 v3, 0
	scratch_store_b32 off, v3, off offset:176
	s_waitcnt vmcnt(0)
	ds_store_b32 v1, v2
.LBB115_231:
	s_or_b32 exec_lo, exec_lo, s0
	s_waitcnt lgkmcnt(0)
	s_waitcnt_vscnt null, 0x0
	s_barrier
	buffer_gl0_inv
	s_clause 0x1
	scratch_load_b128 v[108:111], off, off offset:176
	scratch_load_b128 v[112:115], off, off offset:192
	v_mov_b32_e32 v2, 0
	ds_load_2addr_b32 v[116:117], v2 offset0:97 offset1:98
	ds_load_2addr_b32 v[118:119], v2 offset0:99 offset1:100
	;; [unrolled: 1-line block ×3, first 2 shown]
	ds_load_b32 v3, v2 offset:412
	s_mov_b32 s0, exec_lo
	s_waitcnt vmcnt(1) lgkmcnt(3)
	v_fma_f32 v109, v109, v116, 0
	s_delay_alu instid0(VALU_DEP_1) | instskip(SKIP_1) | instid1(VALU_DEP_1)
	v_fmac_f32_e32 v109, v110, v117
	s_waitcnt lgkmcnt(2)
	v_fmac_f32_e32 v109, v111, v118
	s_waitcnt vmcnt(0)
	s_delay_alu instid0(VALU_DEP_1) | instskip(SKIP_1) | instid1(VALU_DEP_1)
	v_fmac_f32_e32 v109, v112, v119
	s_waitcnt lgkmcnt(1)
	v_fmac_f32_e32 v109, v113, v120
	s_delay_alu instid0(VALU_DEP_1) | instskip(SKIP_1) | instid1(VALU_DEP_1)
	v_fmac_f32_e32 v109, v114, v121
	s_waitcnt lgkmcnt(0)
	v_fmac_f32_e32 v109, v115, v3
	s_delay_alu instid0(VALU_DEP_1)
	v_sub_f32_e32 v3, v108, v109
	scratch_store_b32 off, v3, off offset:176
	v_cmpx_lt_u32_e32 43, v0
	s_cbranch_execz .LBB115_233
; %bb.232:
	scratch_load_b32 v3, off, off offset:172
	scratch_store_b32 off, v2, off offset:172
	s_waitcnt vmcnt(0)
	ds_store_b32 v1, v3
.LBB115_233:
	s_or_b32 exec_lo, exec_lo, s0
	s_waitcnt lgkmcnt(0)
	s_waitcnt_vscnt null, 0x0
	s_barrier
	buffer_gl0_inv
	s_clause 0x2
	scratch_load_b128 v[108:111], off, off offset:172
	scratch_load_b128 v[112:115], off, off offset:188
	scratch_load_b32 v3, off, off offset:204
	ds_load_b128 v[116:119], v2 offset:384
	ds_load_b128 v[120:123], v2 offset:400
	s_mov_b32 s0, exec_lo
	s_waitcnt vmcnt(2) lgkmcnt(1)
	v_fma_f32 v2, v109, v116, 0
	s_delay_alu instid0(VALU_DEP_1) | instskip(NEXT) | instid1(VALU_DEP_1)
	v_fmac_f32_e32 v2, v110, v117
	v_fmac_f32_e32 v2, v111, v118
	s_waitcnt vmcnt(1)
	s_delay_alu instid0(VALU_DEP_1) | instskip(SKIP_1) | instid1(VALU_DEP_1)
	v_fmac_f32_e32 v2, v112, v119
	s_waitcnt lgkmcnt(0)
	v_fmac_f32_e32 v2, v113, v120
	s_delay_alu instid0(VALU_DEP_1) | instskip(NEXT) | instid1(VALU_DEP_1)
	v_fmac_f32_e32 v2, v114, v121
	v_fmac_f32_e32 v2, v115, v122
	s_waitcnt vmcnt(0)
	s_delay_alu instid0(VALU_DEP_1) | instskip(NEXT) | instid1(VALU_DEP_1)
	v_fmac_f32_e32 v2, v3, v123
	v_sub_f32_e32 v2, v108, v2
	scratch_store_b32 off, v2, off offset:172
	v_cmpx_lt_u32_e32 42, v0
	s_cbranch_execz .LBB115_235
; %bb.234:
	scratch_load_b32 v2, off, off offset:168
	v_mov_b32_e32 v3, 0
	scratch_store_b32 off, v3, off offset:168
	s_waitcnt vmcnt(0)
	ds_store_b32 v1, v2
.LBB115_235:
	s_or_b32 exec_lo, exec_lo, s0
	s_waitcnt lgkmcnt(0)
	s_waitcnt_vscnt null, 0x0
	s_barrier
	buffer_gl0_inv
	s_clause 0x2
	scratch_load_b128 v[108:111], off, off offset:168
	scratch_load_b128 v[112:115], off, off offset:184
	scratch_load_b64 v[116:117], off, off offset:200
	v_mov_b32_e32 v2, 0
	ds_load_2addr_b32 v[118:119], v2 offset0:95 offset1:96
	ds_load_2addr_b32 v[120:121], v2 offset0:97 offset1:98
	;; [unrolled: 1-line block ×4, first 2 shown]
	s_mov_b32 s0, exec_lo
	s_waitcnt vmcnt(2) lgkmcnt(3)
	v_fma_f32 v3, v109, v118, 0
	s_delay_alu instid0(VALU_DEP_1) | instskip(SKIP_4) | instid1(VALU_DEP_1)
	v_fmac_f32_e32 v3, v110, v119
	ds_load_b32 v109, v2 offset:412
	s_waitcnt lgkmcnt(3)
	v_fmac_f32_e32 v3, v111, v120
	s_waitcnt vmcnt(1)
	v_fmac_f32_e32 v3, v112, v121
	s_waitcnt lgkmcnt(2)
	s_delay_alu instid0(VALU_DEP_1) | instskip(NEXT) | instid1(VALU_DEP_1)
	v_fmac_f32_e32 v3, v113, v122
	v_fmac_f32_e32 v3, v114, v123
	s_waitcnt lgkmcnt(1)
	s_delay_alu instid0(VALU_DEP_1) | instskip(SKIP_1) | instid1(VALU_DEP_1)
	v_fmac_f32_e32 v3, v115, v124
	s_waitcnt vmcnt(0)
	v_fmac_f32_e32 v3, v116, v125
	s_waitcnt lgkmcnt(0)
	s_delay_alu instid0(VALU_DEP_1) | instskip(NEXT) | instid1(VALU_DEP_1)
	v_fmac_f32_e32 v3, v117, v109
	v_sub_f32_e32 v3, v108, v3
	scratch_store_b32 off, v3, off offset:168
	v_cmpx_lt_u32_e32 41, v0
	s_cbranch_execz .LBB115_237
; %bb.236:
	scratch_load_b32 v3, off, off offset:164
	scratch_store_b32 off, v2, off offset:164
	s_waitcnt vmcnt(0)
	ds_store_b32 v1, v3
.LBB115_237:
	s_or_b32 exec_lo, exec_lo, s0
	s_waitcnt lgkmcnt(0)
	s_waitcnt_vscnt null, 0x0
	s_barrier
	buffer_gl0_inv
	s_clause 0x2
	scratch_load_b128 v[108:111], off, off offset:164
	scratch_load_b128 v[112:115], off, off offset:180
	scratch_load_b96 v[124:126], off, off offset:196
	ds_load_2addr_b64 v[116:119], v2 offset0:47 offset1:48
	ds_load_2addr_b64 v[120:123], v2 offset0:49 offset1:50
	ds_load_b64 v[2:3], v2 offset:408
	s_mov_b32 s0, exec_lo
	s_waitcnt vmcnt(2) lgkmcnt(2)
	v_fma_f32 v109, v109, v116, 0
	s_delay_alu instid0(VALU_DEP_1) | instskip(NEXT) | instid1(VALU_DEP_1)
	v_fmac_f32_e32 v109, v110, v117
	v_fmac_f32_e32 v109, v111, v118
	s_waitcnt vmcnt(1)
	s_delay_alu instid0(VALU_DEP_1) | instskip(SKIP_1) | instid1(VALU_DEP_1)
	v_fmac_f32_e32 v109, v112, v119
	s_waitcnt lgkmcnt(1)
	v_fmac_f32_e32 v109, v113, v120
	s_delay_alu instid0(VALU_DEP_1) | instskip(NEXT) | instid1(VALU_DEP_1)
	v_fmac_f32_e32 v109, v114, v121
	v_fmac_f32_e32 v109, v115, v122
	s_waitcnt vmcnt(0)
	s_delay_alu instid0(VALU_DEP_1) | instskip(SKIP_1) | instid1(VALU_DEP_1)
	v_fmac_f32_e32 v109, v124, v123
	s_waitcnt lgkmcnt(0)
	v_fmac_f32_e32 v109, v125, v2
	s_delay_alu instid0(VALU_DEP_1) | instskip(NEXT) | instid1(VALU_DEP_1)
	v_fmac_f32_e32 v109, v126, v3
	v_sub_f32_e32 v2, v108, v109
	scratch_store_b32 off, v2, off offset:164
	v_cmpx_lt_u32_e32 40, v0
	s_cbranch_execz .LBB115_239
; %bb.238:
	scratch_load_b32 v2, off, off offset:160
	v_mov_b32_e32 v3, 0
	scratch_store_b32 off, v3, off offset:160
	s_waitcnt vmcnt(0)
	ds_store_b32 v1, v2
.LBB115_239:
	s_or_b32 exec_lo, exec_lo, s0
	s_waitcnt lgkmcnt(0)
	s_waitcnt_vscnt null, 0x0
	s_barrier
	buffer_gl0_inv
	s_clause 0x2
	scratch_load_b128 v[108:111], off, off offset:160
	scratch_load_b128 v[112:115], off, off offset:176
	scratch_load_b128 v[116:119], off, off offset:192
	v_mov_b32_e32 v2, 0
	ds_load_2addr_b32 v[120:121], v2 offset0:93 offset1:94
	ds_load_2addr_b32 v[122:123], v2 offset0:95 offset1:96
	;; [unrolled: 1-line block ×4, first 2 shown]
	s_mov_b32 s0, exec_lo
	s_waitcnt vmcnt(2) lgkmcnt(3)
	v_fma_f32 v3, v109, v120, 0
	s_delay_alu instid0(VALU_DEP_1)
	v_fmac_f32_e32 v3, v110, v121
	ds_load_2addr_b32 v[109:110], v2 offset0:101 offset1:102
	s_waitcnt lgkmcnt(3)
	v_fmac_f32_e32 v3, v111, v122
	ds_load_b32 v111, v2 offset:412
	s_waitcnt vmcnt(1)
	v_fmac_f32_e32 v3, v112, v123
	s_waitcnt lgkmcnt(3)
	s_delay_alu instid0(VALU_DEP_1) | instskip(NEXT) | instid1(VALU_DEP_1)
	v_fmac_f32_e32 v3, v113, v124
	v_fmac_f32_e32 v3, v114, v125
	s_waitcnt lgkmcnt(2)
	s_delay_alu instid0(VALU_DEP_1) | instskip(SKIP_1) | instid1(VALU_DEP_1)
	v_fmac_f32_e32 v3, v115, v126
	s_waitcnt vmcnt(0)
	v_fmac_f32_e32 v3, v116, v127
	s_waitcnt lgkmcnt(1)
	s_delay_alu instid0(VALU_DEP_1) | instskip(NEXT) | instid1(VALU_DEP_1)
	v_fmac_f32_e32 v3, v117, v109
	v_fmac_f32_e32 v3, v118, v110
	s_waitcnt lgkmcnt(0)
	s_delay_alu instid0(VALU_DEP_1) | instskip(NEXT) | instid1(VALU_DEP_1)
	v_fmac_f32_e32 v3, v119, v111
	v_sub_f32_e32 v3, v108, v3
	scratch_store_b32 off, v3, off offset:160
	v_cmpx_lt_u32_e32 39, v0
	s_cbranch_execz .LBB115_241
; %bb.240:
	scratch_load_b32 v3, off, off offset:156
	scratch_store_b32 off, v2, off offset:156
	s_waitcnt vmcnt(0)
	ds_store_b32 v1, v3
.LBB115_241:
	s_or_b32 exec_lo, exec_lo, s0
	s_waitcnt lgkmcnt(0)
	s_waitcnt_vscnt null, 0x0
	s_barrier
	buffer_gl0_inv
	s_clause 0x3
	scratch_load_b128 v[108:111], off, off offset:156
	scratch_load_b128 v[112:115], off, off offset:172
	scratch_load_b128 v[116:119], off, off offset:188
	scratch_load_b32 v3, off, off offset:204
	ds_load_b128 v[120:123], v2 offset:368
	ds_load_b128 v[124:127], v2 offset:384
	s_mov_b32 s0, exec_lo
	s_waitcnt vmcnt(3) lgkmcnt(1)
	v_fma_f32 v120, v109, v120, 0
	s_delay_alu instid0(VALU_DEP_1) | instskip(NEXT) | instid1(VALU_DEP_1)
	v_fmac_f32_e32 v120, v110, v121
	v_fmac_f32_e32 v120, v111, v122
	s_waitcnt vmcnt(2)
	s_delay_alu instid0(VALU_DEP_1) | instskip(SKIP_3) | instid1(VALU_DEP_1)
	v_fmac_f32_e32 v120, v112, v123
	ds_load_b128 v[109:112], v2 offset:400
	s_waitcnt lgkmcnt(1)
	v_fmac_f32_e32 v120, v113, v124
	v_fmac_f32_e32 v120, v114, v125
	s_delay_alu instid0(VALU_DEP_1) | instskip(SKIP_1) | instid1(VALU_DEP_1)
	v_fmac_f32_e32 v120, v115, v126
	s_waitcnt vmcnt(1)
	v_fmac_f32_e32 v120, v116, v127
	s_waitcnt lgkmcnt(0)
	s_delay_alu instid0(VALU_DEP_1) | instskip(NEXT) | instid1(VALU_DEP_1)
	v_fmac_f32_e32 v120, v117, v109
	v_fmac_f32_e32 v120, v118, v110
	s_delay_alu instid0(VALU_DEP_1) | instskip(SKIP_1) | instid1(VALU_DEP_1)
	v_fmac_f32_e32 v120, v119, v111
	s_waitcnt vmcnt(0)
	v_fmac_f32_e32 v120, v3, v112
	s_delay_alu instid0(VALU_DEP_1)
	v_sub_f32_e32 v2, v108, v120
	scratch_store_b32 off, v2, off offset:156
	v_cmpx_lt_u32_e32 38, v0
	s_cbranch_execz .LBB115_243
; %bb.242:
	scratch_load_b32 v2, off, off offset:152
	v_mov_b32_e32 v3, 0
	scratch_store_b32 off, v3, off offset:152
	s_waitcnt vmcnt(0)
	ds_store_b32 v1, v2
.LBB115_243:
	s_or_b32 exec_lo, exec_lo, s0
	s_waitcnt lgkmcnt(0)
	s_waitcnt_vscnt null, 0x0
	s_barrier
	buffer_gl0_inv
	s_clause 0x3
	scratch_load_b128 v[108:111], off, off offset:152
	scratch_load_b128 v[112:115], off, off offset:168
	;; [unrolled: 1-line block ×3, first 2 shown]
	scratch_load_b64 v[120:121], off, off offset:200
	v_mov_b32_e32 v2, 0
	ds_load_2addr_b32 v[122:123], v2 offset0:91 offset1:92
	ds_load_2addr_b32 v[124:125], v2 offset0:93 offset1:94
	;; [unrolled: 1-line block ×4, first 2 shown]
	s_mov_b32 s0, exec_lo
	s_waitcnt vmcnt(3) lgkmcnt(3)
	v_fma_f32 v3, v109, v122, 0
	s_delay_alu instid0(VALU_DEP_1) | instskip(SKIP_4) | instid1(VALU_DEP_1)
	v_fmac_f32_e32 v3, v110, v123
	ds_load_2addr_b32 v[109:110], v2 offset0:99 offset1:100
	s_waitcnt lgkmcnt(3)
	v_fmac_f32_e32 v3, v111, v124
	s_waitcnt vmcnt(2)
	v_fmac_f32_e32 v3, v112, v125
	ds_load_2addr_b32 v[111:112], v2 offset0:101 offset1:102
	s_waitcnt lgkmcnt(3)
	v_fmac_f32_e32 v3, v113, v126
	ds_load_b32 v113, v2 offset:412
	v_fmac_f32_e32 v3, v114, v127
	s_waitcnt lgkmcnt(3)
	s_delay_alu instid0(VALU_DEP_1) | instskip(SKIP_1) | instid1(VALU_DEP_1)
	v_fmac_f32_e32 v3, v115, v128
	s_waitcnt vmcnt(1)
	v_fmac_f32_e32 v3, v116, v129
	s_waitcnt lgkmcnt(2)
	s_delay_alu instid0(VALU_DEP_1) | instskip(NEXT) | instid1(VALU_DEP_1)
	v_fmac_f32_e32 v3, v117, v109
	v_fmac_f32_e32 v3, v118, v110
	s_waitcnt lgkmcnt(1)
	s_delay_alu instid0(VALU_DEP_1) | instskip(SKIP_1) | instid1(VALU_DEP_1)
	v_fmac_f32_e32 v3, v119, v111
	s_waitcnt vmcnt(0)
	v_fmac_f32_e32 v3, v120, v112
	s_waitcnt lgkmcnt(0)
	s_delay_alu instid0(VALU_DEP_1) | instskip(NEXT) | instid1(VALU_DEP_1)
	v_fmac_f32_e32 v3, v121, v113
	v_sub_f32_e32 v3, v108, v3
	scratch_store_b32 off, v3, off offset:152
	v_cmpx_lt_u32_e32 37, v0
	s_cbranch_execz .LBB115_245
; %bb.244:
	scratch_load_b32 v3, off, off offset:148
	scratch_store_b32 off, v2, off offset:148
	s_waitcnt vmcnt(0)
	ds_store_b32 v1, v3
.LBB115_245:
	s_or_b32 exec_lo, exec_lo, s0
	s_waitcnt lgkmcnt(0)
	s_waitcnt_vscnt null, 0x0
	s_barrier
	buffer_gl0_inv
	s_clause 0x3
	scratch_load_b128 v[108:111], off, off offset:148
	scratch_load_b128 v[112:115], off, off offset:164
	;; [unrolled: 1-line block ×3, first 2 shown]
	scratch_load_b96 v[128:130], off, off offset:196
	ds_load_2addr_b64 v[120:123], v2 offset0:45 offset1:46
	ds_load_2addr_b64 v[124:127], v2 offset0:47 offset1:48
	s_mov_b32 s0, exec_lo
	s_waitcnt vmcnt(3) lgkmcnt(1)
	v_fma_f32 v120, v109, v120, 0
	s_delay_alu instid0(VALU_DEP_1) | instskip(NEXT) | instid1(VALU_DEP_1)
	v_fmac_f32_e32 v120, v110, v121
	v_fmac_f32_e32 v120, v111, v122
	s_waitcnt vmcnt(2)
	s_delay_alu instid0(VALU_DEP_1) | instskip(SKIP_4) | instid1(VALU_DEP_1)
	v_fmac_f32_e32 v120, v112, v123
	ds_load_2addr_b64 v[109:112], v2 offset0:49 offset1:50
	ds_load_b64 v[2:3], v2 offset:408
	s_waitcnt lgkmcnt(2)
	v_fmac_f32_e32 v120, v113, v124
	v_fmac_f32_e32 v120, v114, v125
	s_delay_alu instid0(VALU_DEP_1) | instskip(SKIP_1) | instid1(VALU_DEP_1)
	v_fmac_f32_e32 v120, v115, v126
	s_waitcnt vmcnt(1)
	v_fmac_f32_e32 v120, v116, v127
	s_waitcnt lgkmcnt(1)
	s_delay_alu instid0(VALU_DEP_1) | instskip(NEXT) | instid1(VALU_DEP_1)
	v_fmac_f32_e32 v120, v117, v109
	v_fmac_f32_e32 v120, v118, v110
	s_delay_alu instid0(VALU_DEP_1) | instskip(SKIP_1) | instid1(VALU_DEP_1)
	v_fmac_f32_e32 v120, v119, v111
	s_waitcnt vmcnt(0)
	v_fmac_f32_e32 v120, v128, v112
	s_waitcnt lgkmcnt(0)
	s_delay_alu instid0(VALU_DEP_1) | instskip(NEXT) | instid1(VALU_DEP_1)
	v_fmac_f32_e32 v120, v129, v2
	v_fmac_f32_e32 v120, v130, v3
	s_delay_alu instid0(VALU_DEP_1)
	v_sub_f32_e32 v2, v108, v120
	scratch_store_b32 off, v2, off offset:148
	v_cmpx_lt_u32_e32 36, v0
	s_cbranch_execz .LBB115_247
; %bb.246:
	scratch_load_b32 v2, off, off offset:144
	v_mov_b32_e32 v3, 0
	scratch_store_b32 off, v3, off offset:144
	s_waitcnt vmcnt(0)
	ds_store_b32 v1, v2
.LBB115_247:
	s_or_b32 exec_lo, exec_lo, s0
	s_waitcnt lgkmcnt(0)
	s_waitcnt_vscnt null, 0x0
	s_barrier
	buffer_gl0_inv
	s_clause 0x3
	scratch_load_b128 v[108:111], off, off offset:144
	scratch_load_b128 v[112:115], off, off offset:160
	;; [unrolled: 1-line block ×4, first 2 shown]
	v_mov_b32_e32 v2, 0
	ds_load_2addr_b32 v[124:125], v2 offset0:89 offset1:90
	ds_load_2addr_b32 v[126:127], v2 offset0:91 offset1:92
	;; [unrolled: 1-line block ×4, first 2 shown]
	s_mov_b32 s0, exec_lo
	s_waitcnt vmcnt(3) lgkmcnt(3)
	v_fma_f32 v3, v109, v124, 0
	s_delay_alu instid0(VALU_DEP_1) | instskip(SKIP_4) | instid1(VALU_DEP_1)
	v_fmac_f32_e32 v3, v110, v125
	ds_load_2addr_b32 v[109:110], v2 offset0:97 offset1:98
	s_waitcnt lgkmcnt(3)
	v_fmac_f32_e32 v3, v111, v126
	s_waitcnt vmcnt(2)
	v_fmac_f32_e32 v3, v112, v127
	ds_load_2addr_b32 v[111:112], v2 offset0:99 offset1:100
	s_waitcnt lgkmcnt(3)
	v_fmac_f32_e32 v3, v113, v128
	s_delay_alu instid0(VALU_DEP_1) | instskip(SKIP_1) | instid1(VALU_DEP_1)
	v_fmac_f32_e32 v3, v114, v129
	s_waitcnt lgkmcnt(2)
	v_fmac_f32_e32 v3, v115, v130
	ds_load_2addr_b32 v[113:114], v2 offset0:101 offset1:102
	ds_load_b32 v115, v2 offset:412
	s_waitcnt vmcnt(1)
	v_fmac_f32_e32 v3, v116, v131
	s_waitcnt lgkmcnt(3)
	s_delay_alu instid0(VALU_DEP_1) | instskip(NEXT) | instid1(VALU_DEP_1)
	v_fmac_f32_e32 v3, v117, v109
	v_fmac_f32_e32 v3, v118, v110
	s_waitcnt lgkmcnt(2)
	s_delay_alu instid0(VALU_DEP_1) | instskip(SKIP_1) | instid1(VALU_DEP_1)
	v_fmac_f32_e32 v3, v119, v111
	s_waitcnt vmcnt(0)
	v_fmac_f32_e32 v3, v120, v112
	s_waitcnt lgkmcnt(1)
	s_delay_alu instid0(VALU_DEP_1) | instskip(NEXT) | instid1(VALU_DEP_1)
	v_fmac_f32_e32 v3, v121, v113
	v_fmac_f32_e32 v3, v122, v114
	s_waitcnt lgkmcnt(0)
	s_delay_alu instid0(VALU_DEP_1) | instskip(NEXT) | instid1(VALU_DEP_1)
	v_fmac_f32_e32 v3, v123, v115
	v_sub_f32_e32 v3, v108, v3
	scratch_store_b32 off, v3, off offset:144
	v_cmpx_lt_u32_e32 35, v0
	s_cbranch_execz .LBB115_249
; %bb.248:
	scratch_load_b32 v3, off, off offset:140
	scratch_store_b32 off, v2, off offset:140
	s_waitcnt vmcnt(0)
	ds_store_b32 v1, v3
.LBB115_249:
	s_or_b32 exec_lo, exec_lo, s0
	s_waitcnt lgkmcnt(0)
	s_waitcnt_vscnt null, 0x0
	s_barrier
	buffer_gl0_inv
	s_clause 0x4
	scratch_load_b128 v[108:111], off, off offset:140
	scratch_load_b128 v[112:115], off, off offset:156
	;; [unrolled: 1-line block ×4, first 2 shown]
	scratch_load_b32 v3, off, off offset:204
	ds_load_b128 v[124:127], v2 offset:352
	ds_load_b128 v[128:131], v2 offset:368
	s_mov_b32 s0, exec_lo
	s_waitcnt vmcnt(4) lgkmcnt(1)
	v_fma_f32 v124, v109, v124, 0
	s_delay_alu instid0(VALU_DEP_1) | instskip(NEXT) | instid1(VALU_DEP_1)
	v_fmac_f32_e32 v124, v110, v125
	v_fmac_f32_e32 v124, v111, v126
	s_waitcnt vmcnt(3)
	s_delay_alu instid0(VALU_DEP_1) | instskip(SKIP_3) | instid1(VALU_DEP_1)
	v_fmac_f32_e32 v124, v112, v127
	ds_load_b128 v[109:112], v2 offset:384
	s_waitcnt lgkmcnt(1)
	v_fmac_f32_e32 v124, v113, v128
	v_fmac_f32_e32 v124, v114, v129
	s_delay_alu instid0(VALU_DEP_1) | instskip(SKIP_1) | instid1(VALU_DEP_1)
	v_fmac_f32_e32 v124, v115, v130
	s_waitcnt vmcnt(2)
	v_fmac_f32_e32 v124, v116, v131
	ds_load_b128 v[113:116], v2 offset:400
	s_waitcnt lgkmcnt(1)
	v_fmac_f32_e32 v124, v117, v109
	s_delay_alu instid0(VALU_DEP_1) | instskip(NEXT) | instid1(VALU_DEP_1)
	v_fmac_f32_e32 v124, v118, v110
	v_fmac_f32_e32 v124, v119, v111
	s_waitcnt vmcnt(1)
	s_delay_alu instid0(VALU_DEP_1) | instskip(SKIP_1) | instid1(VALU_DEP_1)
	v_fmac_f32_e32 v124, v120, v112
	s_waitcnt lgkmcnt(0)
	v_fmac_f32_e32 v124, v121, v113
	s_delay_alu instid0(VALU_DEP_1) | instskip(NEXT) | instid1(VALU_DEP_1)
	v_fmac_f32_e32 v124, v122, v114
	v_fmac_f32_e32 v124, v123, v115
	s_waitcnt vmcnt(0)
	s_delay_alu instid0(VALU_DEP_1) | instskip(NEXT) | instid1(VALU_DEP_1)
	v_fmac_f32_e32 v124, v3, v116
	v_sub_f32_e32 v2, v108, v124
	scratch_store_b32 off, v2, off offset:140
	v_cmpx_lt_u32_e32 34, v0
	s_cbranch_execz .LBB115_251
; %bb.250:
	scratch_load_b32 v2, off, off offset:136
	v_mov_b32_e32 v3, 0
	scratch_store_b32 off, v3, off offset:136
	s_waitcnt vmcnt(0)
	ds_store_b32 v1, v2
.LBB115_251:
	s_or_b32 exec_lo, exec_lo, s0
	s_waitcnt lgkmcnt(0)
	s_waitcnt_vscnt null, 0x0
	s_barrier
	buffer_gl0_inv
	s_clause 0x4
	scratch_load_b128 v[108:111], off, off offset:136
	scratch_load_b128 v[112:115], off, off offset:152
	scratch_load_b128 v[116:119], off, off offset:168
	scratch_load_b128 v[120:123], off, off offset:184
	scratch_load_b64 v[124:125], off, off offset:200
	v_mov_b32_e32 v2, 0
	ds_load_2addr_b32 v[126:127], v2 offset0:87 offset1:88
	ds_load_2addr_b32 v[128:129], v2 offset0:89 offset1:90
	;; [unrolled: 1-line block ×4, first 2 shown]
	s_mov_b32 s0, exec_lo
	s_waitcnt vmcnt(4) lgkmcnt(3)
	v_fma_f32 v3, v109, v126, 0
	s_delay_alu instid0(VALU_DEP_1) | instskip(SKIP_4) | instid1(VALU_DEP_1)
	v_fmac_f32_e32 v3, v110, v127
	ds_load_2addr_b32 v[109:110], v2 offset0:95 offset1:96
	s_waitcnt lgkmcnt(3)
	v_fmac_f32_e32 v3, v111, v128
	s_waitcnt vmcnt(3)
	v_fmac_f32_e32 v3, v112, v129
	ds_load_2addr_b32 v[111:112], v2 offset0:97 offset1:98
	s_waitcnt lgkmcnt(3)
	v_fmac_f32_e32 v3, v113, v130
	s_delay_alu instid0(VALU_DEP_1) | instskip(SKIP_1) | instid1(VALU_DEP_1)
	v_fmac_f32_e32 v3, v114, v131
	s_waitcnt lgkmcnt(2)
	v_fmac_f32_e32 v3, v115, v132
	s_waitcnt vmcnt(2)
	s_delay_alu instid0(VALU_DEP_1)
	v_fmac_f32_e32 v3, v116, v133
	ds_load_2addr_b32 v[113:114], v2 offset0:99 offset1:100
	ds_load_2addr_b32 v[115:116], v2 offset0:101 offset1:102
	s_waitcnt lgkmcnt(3)
	v_fmac_f32_e32 v3, v117, v109
	ds_load_b32 v109, v2 offset:412
	v_fmac_f32_e32 v3, v118, v110
	s_waitcnt lgkmcnt(3)
	s_delay_alu instid0(VALU_DEP_1) | instskip(SKIP_1) | instid1(VALU_DEP_1)
	v_fmac_f32_e32 v3, v119, v111
	s_waitcnt vmcnt(1)
	v_fmac_f32_e32 v3, v120, v112
	s_waitcnt lgkmcnt(2)
	s_delay_alu instid0(VALU_DEP_1) | instskip(NEXT) | instid1(VALU_DEP_1)
	v_fmac_f32_e32 v3, v121, v113
	v_fmac_f32_e32 v3, v122, v114
	s_waitcnt lgkmcnt(1)
	s_delay_alu instid0(VALU_DEP_1) | instskip(SKIP_1) | instid1(VALU_DEP_1)
	v_fmac_f32_e32 v3, v123, v115
	s_waitcnt vmcnt(0)
	v_fmac_f32_e32 v3, v124, v116
	s_waitcnt lgkmcnt(0)
	s_delay_alu instid0(VALU_DEP_1) | instskip(NEXT) | instid1(VALU_DEP_1)
	v_fmac_f32_e32 v3, v125, v109
	v_sub_f32_e32 v3, v108, v3
	scratch_store_b32 off, v3, off offset:136
	v_cmpx_lt_u32_e32 33, v0
	s_cbranch_execz .LBB115_253
; %bb.252:
	scratch_load_b32 v3, off, off offset:132
	scratch_store_b32 off, v2, off offset:132
	s_waitcnt vmcnt(0)
	ds_store_b32 v1, v3
.LBB115_253:
	s_or_b32 exec_lo, exec_lo, s0
	s_waitcnt lgkmcnt(0)
	s_waitcnt_vscnt null, 0x0
	s_barrier
	buffer_gl0_inv
	s_clause 0x4
	scratch_load_b128 v[108:111], off, off offset:132
	scratch_load_b128 v[112:115], off, off offset:148
	;; [unrolled: 1-line block ×4, first 2 shown]
	scratch_load_b96 v[132:134], off, off offset:196
	ds_load_2addr_b64 v[124:127], v2 offset0:43 offset1:44
	ds_load_2addr_b64 v[128:131], v2 offset0:45 offset1:46
	s_mov_b32 s0, exec_lo
	s_waitcnt vmcnt(4) lgkmcnt(1)
	v_fma_f32 v124, v109, v124, 0
	s_delay_alu instid0(VALU_DEP_1) | instskip(NEXT) | instid1(VALU_DEP_1)
	v_fmac_f32_e32 v124, v110, v125
	v_fmac_f32_e32 v124, v111, v126
	s_waitcnt vmcnt(3)
	s_delay_alu instid0(VALU_DEP_1) | instskip(SKIP_3) | instid1(VALU_DEP_1)
	v_fmac_f32_e32 v124, v112, v127
	ds_load_2addr_b64 v[109:112], v2 offset0:47 offset1:48
	s_waitcnt lgkmcnt(1)
	v_fmac_f32_e32 v124, v113, v128
	v_fmac_f32_e32 v124, v114, v129
	s_delay_alu instid0(VALU_DEP_1) | instskip(SKIP_1) | instid1(VALU_DEP_1)
	v_fmac_f32_e32 v124, v115, v130
	s_waitcnt vmcnt(2)
	v_fmac_f32_e32 v124, v116, v131
	ds_load_2addr_b64 v[113:116], v2 offset0:49 offset1:50
	ds_load_b64 v[2:3], v2 offset:408
	s_waitcnt lgkmcnt(2)
	v_fmac_f32_e32 v124, v117, v109
	s_delay_alu instid0(VALU_DEP_1) | instskip(NEXT) | instid1(VALU_DEP_1)
	v_fmac_f32_e32 v124, v118, v110
	v_fmac_f32_e32 v124, v119, v111
	s_waitcnt vmcnt(1)
	s_delay_alu instid0(VALU_DEP_1) | instskip(SKIP_1) | instid1(VALU_DEP_1)
	v_fmac_f32_e32 v124, v120, v112
	s_waitcnt lgkmcnt(1)
	v_fmac_f32_e32 v124, v121, v113
	s_delay_alu instid0(VALU_DEP_1) | instskip(NEXT) | instid1(VALU_DEP_1)
	v_fmac_f32_e32 v124, v122, v114
	v_fmac_f32_e32 v124, v123, v115
	s_waitcnt vmcnt(0)
	s_delay_alu instid0(VALU_DEP_1) | instskip(SKIP_1) | instid1(VALU_DEP_1)
	v_fmac_f32_e32 v124, v132, v116
	s_waitcnt lgkmcnt(0)
	v_fmac_f32_e32 v124, v133, v2
	s_delay_alu instid0(VALU_DEP_1) | instskip(NEXT) | instid1(VALU_DEP_1)
	v_fmac_f32_e32 v124, v134, v3
	v_sub_f32_e32 v2, v108, v124
	scratch_store_b32 off, v2, off offset:132
	v_cmpx_lt_u32_e32 32, v0
	s_cbranch_execz .LBB115_255
; %bb.254:
	scratch_load_b32 v2, off, off offset:128
	v_mov_b32_e32 v3, 0
	scratch_store_b32 off, v3, off offset:128
	s_waitcnt vmcnt(0)
	ds_store_b32 v1, v2
.LBB115_255:
	s_or_b32 exec_lo, exec_lo, s0
	s_waitcnt lgkmcnt(0)
	s_waitcnt_vscnt null, 0x0
	s_barrier
	buffer_gl0_inv
	s_clause 0x4
	scratch_load_b128 v[108:111], off, off offset:128
	scratch_load_b128 v[112:115], off, off offset:144
	;; [unrolled: 1-line block ×5, first 2 shown]
	v_mov_b32_e32 v2, 0
	ds_load_2addr_b32 v[128:129], v2 offset0:85 offset1:86
	ds_load_2addr_b32 v[130:131], v2 offset0:87 offset1:88
	;; [unrolled: 1-line block ×4, first 2 shown]
	s_mov_b32 s0, exec_lo
	s_waitcnt vmcnt(4) lgkmcnt(3)
	v_fma_f32 v3, v109, v128, 0
	s_delay_alu instid0(VALU_DEP_1) | instskip(SKIP_4) | instid1(VALU_DEP_1)
	v_fmac_f32_e32 v3, v110, v129
	ds_load_2addr_b32 v[109:110], v2 offset0:93 offset1:94
	s_waitcnt lgkmcnt(3)
	v_fmac_f32_e32 v3, v111, v130
	s_waitcnt vmcnt(3)
	v_fmac_f32_e32 v3, v112, v131
	ds_load_2addr_b32 v[111:112], v2 offset0:95 offset1:96
	s_waitcnt lgkmcnt(3)
	v_fmac_f32_e32 v3, v113, v132
	s_delay_alu instid0(VALU_DEP_1) | instskip(SKIP_1) | instid1(VALU_DEP_1)
	v_fmac_f32_e32 v3, v114, v133
	s_waitcnt lgkmcnt(2)
	v_fmac_f32_e32 v3, v115, v134
	s_waitcnt vmcnt(2)
	s_delay_alu instid0(VALU_DEP_1) | instskip(SKIP_4) | instid1(VALU_DEP_1)
	v_fmac_f32_e32 v3, v116, v135
	ds_load_2addr_b32 v[113:114], v2 offset0:97 offset1:98
	ds_load_2addr_b32 v[115:116], v2 offset0:99 offset1:100
	s_waitcnt lgkmcnt(3)
	v_fmac_f32_e32 v3, v117, v109
	v_fmac_f32_e32 v3, v118, v110
	ds_load_2addr_b32 v[109:110], v2 offset0:101 offset1:102
	s_waitcnt lgkmcnt(3)
	v_fmac_f32_e32 v3, v119, v111
	ds_load_b32 v111, v2 offset:412
	s_waitcnt vmcnt(1)
	v_fmac_f32_e32 v3, v120, v112
	s_waitcnt lgkmcnt(3)
	s_delay_alu instid0(VALU_DEP_1) | instskip(NEXT) | instid1(VALU_DEP_1)
	v_fmac_f32_e32 v3, v121, v113
	v_fmac_f32_e32 v3, v122, v114
	s_waitcnt lgkmcnt(2)
	s_delay_alu instid0(VALU_DEP_1) | instskip(SKIP_1) | instid1(VALU_DEP_1)
	v_fmac_f32_e32 v3, v123, v115
	s_waitcnt vmcnt(0)
	v_fmac_f32_e32 v3, v124, v116
	s_waitcnt lgkmcnt(1)
	s_delay_alu instid0(VALU_DEP_1) | instskip(NEXT) | instid1(VALU_DEP_1)
	v_fmac_f32_e32 v3, v125, v109
	v_fmac_f32_e32 v3, v126, v110
	s_waitcnt lgkmcnt(0)
	s_delay_alu instid0(VALU_DEP_1) | instskip(NEXT) | instid1(VALU_DEP_1)
	v_fmac_f32_e32 v3, v127, v111
	v_sub_f32_e32 v3, v108, v3
	scratch_store_b32 off, v3, off offset:128
	v_cmpx_lt_u32_e32 31, v0
	s_cbranch_execz .LBB115_257
; %bb.256:
	scratch_load_b32 v3, off, off offset:124
	scratch_store_b32 off, v2, off offset:124
	s_waitcnt vmcnt(0)
	ds_store_b32 v1, v3
.LBB115_257:
	s_or_b32 exec_lo, exec_lo, s0
	s_waitcnt lgkmcnt(0)
	s_waitcnt_vscnt null, 0x0
	s_barrier
	buffer_gl0_inv
	s_clause 0x5
	scratch_load_b128 v[108:111], off, off offset:124
	scratch_load_b128 v[112:115], off, off offset:140
	;; [unrolled: 1-line block ×5, first 2 shown]
	scratch_load_b32 v3, off, off offset:204
	ds_load_b128 v[128:131], v2 offset:336
	ds_load_b128 v[132:135], v2 offset:352
	s_mov_b32 s0, exec_lo
	s_waitcnt vmcnt(5) lgkmcnt(1)
	v_fma_f32 v128, v109, v128, 0
	s_delay_alu instid0(VALU_DEP_1) | instskip(NEXT) | instid1(VALU_DEP_1)
	v_fmac_f32_e32 v128, v110, v129
	v_fmac_f32_e32 v128, v111, v130
	s_waitcnt vmcnt(4)
	s_delay_alu instid0(VALU_DEP_1) | instskip(SKIP_3) | instid1(VALU_DEP_1)
	v_fmac_f32_e32 v128, v112, v131
	ds_load_b128 v[109:112], v2 offset:368
	s_waitcnt lgkmcnt(1)
	v_fmac_f32_e32 v128, v113, v132
	v_fmac_f32_e32 v128, v114, v133
	s_delay_alu instid0(VALU_DEP_1) | instskip(SKIP_1) | instid1(VALU_DEP_1)
	v_fmac_f32_e32 v128, v115, v134
	s_waitcnt vmcnt(3)
	v_fmac_f32_e32 v128, v116, v135
	ds_load_b128 v[113:116], v2 offset:384
	s_waitcnt lgkmcnt(1)
	v_fmac_f32_e32 v128, v117, v109
	s_delay_alu instid0(VALU_DEP_1) | instskip(NEXT) | instid1(VALU_DEP_1)
	v_fmac_f32_e32 v128, v118, v110
	v_fmac_f32_e32 v128, v119, v111
	s_waitcnt vmcnt(2)
	s_delay_alu instid0(VALU_DEP_1) | instskip(SKIP_3) | instid1(VALU_DEP_1)
	v_fmac_f32_e32 v128, v120, v112
	ds_load_b128 v[109:112], v2 offset:400
	s_waitcnt lgkmcnt(1)
	v_fmac_f32_e32 v128, v121, v113
	v_fmac_f32_e32 v128, v122, v114
	s_delay_alu instid0(VALU_DEP_1) | instskip(SKIP_1) | instid1(VALU_DEP_1)
	v_fmac_f32_e32 v128, v123, v115
	s_waitcnt vmcnt(1)
	v_fmac_f32_e32 v128, v124, v116
	s_waitcnt lgkmcnt(0)
	s_delay_alu instid0(VALU_DEP_1) | instskip(NEXT) | instid1(VALU_DEP_1)
	v_fmac_f32_e32 v128, v125, v109
	v_fmac_f32_e32 v128, v126, v110
	s_delay_alu instid0(VALU_DEP_1) | instskip(SKIP_1) | instid1(VALU_DEP_1)
	v_fmac_f32_e32 v128, v127, v111
	s_waitcnt vmcnt(0)
	v_fmac_f32_e32 v128, v3, v112
	s_delay_alu instid0(VALU_DEP_1)
	v_sub_f32_e32 v2, v108, v128
	scratch_store_b32 off, v2, off offset:124
	v_cmpx_lt_u32_e32 30, v0
	s_cbranch_execz .LBB115_259
; %bb.258:
	scratch_load_b32 v2, off, off offset:120
	v_mov_b32_e32 v3, 0
	scratch_store_b32 off, v3, off offset:120
	s_waitcnt vmcnt(0)
	ds_store_b32 v1, v2
.LBB115_259:
	s_or_b32 exec_lo, exec_lo, s0
	s_waitcnt lgkmcnt(0)
	s_waitcnt_vscnt null, 0x0
	s_barrier
	buffer_gl0_inv
	s_clause 0x5
	scratch_load_b128 v[108:111], off, off offset:120
	scratch_load_b128 v[112:115], off, off offset:136
	;; [unrolled: 1-line block ×5, first 2 shown]
	scratch_load_b64 v[128:129], off, off offset:200
	v_mov_b32_e32 v2, 0
	ds_load_2addr_b32 v[130:131], v2 offset0:83 offset1:84
	ds_load_2addr_b32 v[132:133], v2 offset0:85 offset1:86
	;; [unrolled: 1-line block ×4, first 2 shown]
	s_mov_b32 s0, exec_lo
	s_waitcnt vmcnt(5) lgkmcnt(3)
	v_fma_f32 v3, v109, v130, 0
	s_delay_alu instid0(VALU_DEP_1) | instskip(SKIP_4) | instid1(VALU_DEP_1)
	v_fmac_f32_e32 v3, v110, v131
	ds_load_2addr_b32 v[109:110], v2 offset0:91 offset1:92
	s_waitcnt lgkmcnt(3)
	v_fmac_f32_e32 v3, v111, v132
	s_waitcnt vmcnt(4)
	v_fmac_f32_e32 v3, v112, v133
	ds_load_2addr_b32 v[111:112], v2 offset0:93 offset1:94
	s_waitcnt lgkmcnt(3)
	v_fmac_f32_e32 v3, v113, v134
	s_delay_alu instid0(VALU_DEP_1) | instskip(SKIP_1) | instid1(VALU_DEP_1)
	v_fmac_f32_e32 v3, v114, v135
	s_waitcnt lgkmcnt(2)
	v_fmac_f32_e32 v3, v115, v136
	s_waitcnt vmcnt(3)
	s_delay_alu instid0(VALU_DEP_1) | instskip(SKIP_4) | instid1(VALU_DEP_1)
	v_fmac_f32_e32 v3, v116, v137
	ds_load_2addr_b32 v[113:114], v2 offset0:95 offset1:96
	ds_load_2addr_b32 v[115:116], v2 offset0:97 offset1:98
	s_waitcnt lgkmcnt(3)
	v_fmac_f32_e32 v3, v117, v109
	v_fmac_f32_e32 v3, v118, v110
	ds_load_2addr_b32 v[109:110], v2 offset0:99 offset1:100
	s_waitcnt lgkmcnt(3)
	v_fmac_f32_e32 v3, v119, v111
	s_waitcnt vmcnt(2)
	s_delay_alu instid0(VALU_DEP_1)
	v_fmac_f32_e32 v3, v120, v112
	ds_load_2addr_b32 v[111:112], v2 offset0:101 offset1:102
	s_waitcnt lgkmcnt(3)
	v_fmac_f32_e32 v3, v121, v113
	ds_load_b32 v113, v2 offset:412
	v_fmac_f32_e32 v3, v122, v114
	s_waitcnt lgkmcnt(3)
	s_delay_alu instid0(VALU_DEP_1) | instskip(SKIP_1) | instid1(VALU_DEP_1)
	v_fmac_f32_e32 v3, v123, v115
	s_waitcnt vmcnt(1)
	v_fmac_f32_e32 v3, v124, v116
	s_waitcnt lgkmcnt(2)
	s_delay_alu instid0(VALU_DEP_1) | instskip(NEXT) | instid1(VALU_DEP_1)
	v_fmac_f32_e32 v3, v125, v109
	v_fmac_f32_e32 v3, v126, v110
	s_waitcnt lgkmcnt(1)
	s_delay_alu instid0(VALU_DEP_1) | instskip(SKIP_1) | instid1(VALU_DEP_1)
	v_fmac_f32_e32 v3, v127, v111
	s_waitcnt vmcnt(0)
	v_fmac_f32_e32 v3, v128, v112
	s_waitcnt lgkmcnt(0)
	s_delay_alu instid0(VALU_DEP_1) | instskip(NEXT) | instid1(VALU_DEP_1)
	v_fmac_f32_e32 v3, v129, v113
	v_sub_f32_e32 v3, v108, v3
	scratch_store_b32 off, v3, off offset:120
	v_cmpx_lt_u32_e32 29, v0
	s_cbranch_execz .LBB115_261
; %bb.260:
	scratch_load_b32 v3, off, off offset:116
	scratch_store_b32 off, v2, off offset:116
	s_waitcnt vmcnt(0)
	ds_store_b32 v1, v3
.LBB115_261:
	s_or_b32 exec_lo, exec_lo, s0
	s_waitcnt lgkmcnt(0)
	s_waitcnt_vscnt null, 0x0
	s_barrier
	buffer_gl0_inv
	s_clause 0x5
	scratch_load_b128 v[108:111], off, off offset:116
	scratch_load_b128 v[112:115], off, off offset:132
	;; [unrolled: 1-line block ×5, first 2 shown]
	scratch_load_b96 v[136:138], off, off offset:196
	ds_load_2addr_b64 v[128:131], v2 offset0:41 offset1:42
	ds_load_2addr_b64 v[132:135], v2 offset0:43 offset1:44
	s_mov_b32 s0, exec_lo
	s_waitcnt vmcnt(5) lgkmcnt(1)
	v_fma_f32 v128, v109, v128, 0
	s_delay_alu instid0(VALU_DEP_1) | instskip(NEXT) | instid1(VALU_DEP_1)
	v_fmac_f32_e32 v128, v110, v129
	v_fmac_f32_e32 v128, v111, v130
	s_waitcnt vmcnt(4)
	s_delay_alu instid0(VALU_DEP_1) | instskip(SKIP_3) | instid1(VALU_DEP_1)
	v_fmac_f32_e32 v128, v112, v131
	ds_load_2addr_b64 v[109:112], v2 offset0:45 offset1:46
	s_waitcnt lgkmcnt(1)
	v_fmac_f32_e32 v128, v113, v132
	v_fmac_f32_e32 v128, v114, v133
	s_delay_alu instid0(VALU_DEP_1) | instskip(SKIP_1) | instid1(VALU_DEP_1)
	v_fmac_f32_e32 v128, v115, v134
	s_waitcnt vmcnt(3)
	v_fmac_f32_e32 v128, v116, v135
	ds_load_2addr_b64 v[113:116], v2 offset0:47 offset1:48
	s_waitcnt lgkmcnt(1)
	v_fmac_f32_e32 v128, v117, v109
	s_delay_alu instid0(VALU_DEP_1) | instskip(NEXT) | instid1(VALU_DEP_1)
	v_fmac_f32_e32 v128, v118, v110
	v_fmac_f32_e32 v128, v119, v111
	s_waitcnt vmcnt(2)
	s_delay_alu instid0(VALU_DEP_1) | instskip(SKIP_4) | instid1(VALU_DEP_1)
	v_fmac_f32_e32 v128, v120, v112
	ds_load_2addr_b64 v[109:112], v2 offset0:49 offset1:50
	ds_load_b64 v[2:3], v2 offset:408
	s_waitcnt lgkmcnt(2)
	v_fmac_f32_e32 v128, v121, v113
	v_fmac_f32_e32 v128, v122, v114
	s_delay_alu instid0(VALU_DEP_1) | instskip(SKIP_1) | instid1(VALU_DEP_1)
	v_fmac_f32_e32 v128, v123, v115
	s_waitcnt vmcnt(1)
	v_fmac_f32_e32 v128, v124, v116
	s_waitcnt lgkmcnt(1)
	s_delay_alu instid0(VALU_DEP_1) | instskip(NEXT) | instid1(VALU_DEP_1)
	v_fmac_f32_e32 v128, v125, v109
	v_fmac_f32_e32 v128, v126, v110
	s_delay_alu instid0(VALU_DEP_1) | instskip(SKIP_1) | instid1(VALU_DEP_1)
	v_fmac_f32_e32 v128, v127, v111
	s_waitcnt vmcnt(0)
	v_fmac_f32_e32 v128, v136, v112
	s_waitcnt lgkmcnt(0)
	s_delay_alu instid0(VALU_DEP_1) | instskip(NEXT) | instid1(VALU_DEP_1)
	v_fmac_f32_e32 v128, v137, v2
	v_fmac_f32_e32 v128, v138, v3
	s_delay_alu instid0(VALU_DEP_1)
	v_sub_f32_e32 v2, v108, v128
	scratch_store_b32 off, v2, off offset:116
	v_cmpx_lt_u32_e32 28, v0
	s_cbranch_execz .LBB115_263
; %bb.262:
	scratch_load_b32 v2, off, off offset:112
	v_mov_b32_e32 v3, 0
	scratch_store_b32 off, v3, off offset:112
	s_waitcnt vmcnt(0)
	ds_store_b32 v1, v2
.LBB115_263:
	s_or_b32 exec_lo, exec_lo, s0
	s_waitcnt lgkmcnt(0)
	s_waitcnt_vscnt null, 0x0
	s_barrier
	buffer_gl0_inv
	s_clause 0x5
	scratch_load_b128 v[108:111], off, off offset:112
	scratch_load_b128 v[112:115], off, off offset:128
	;; [unrolled: 1-line block ×6, first 2 shown]
	v_mov_b32_e32 v2, 0
	ds_load_2addr_b32 v[132:133], v2 offset0:81 offset1:82
	ds_load_2addr_b32 v[134:135], v2 offset0:83 offset1:84
	;; [unrolled: 1-line block ×4, first 2 shown]
	s_mov_b32 s0, exec_lo
	s_waitcnt vmcnt(5) lgkmcnt(3)
	v_fma_f32 v3, v109, v132, 0
	s_delay_alu instid0(VALU_DEP_1) | instskip(SKIP_4) | instid1(VALU_DEP_1)
	v_fmac_f32_e32 v3, v110, v133
	ds_load_2addr_b32 v[109:110], v2 offset0:89 offset1:90
	s_waitcnt lgkmcnt(3)
	v_fmac_f32_e32 v3, v111, v134
	s_waitcnt vmcnt(4)
	v_fmac_f32_e32 v3, v112, v135
	ds_load_2addr_b32 v[111:112], v2 offset0:91 offset1:92
	s_waitcnt lgkmcnt(3)
	v_fmac_f32_e32 v3, v113, v136
	s_delay_alu instid0(VALU_DEP_1) | instskip(SKIP_1) | instid1(VALU_DEP_1)
	v_fmac_f32_e32 v3, v114, v137
	s_waitcnt lgkmcnt(2)
	v_fmac_f32_e32 v3, v115, v138
	s_waitcnt vmcnt(3)
	s_delay_alu instid0(VALU_DEP_1) | instskip(SKIP_4) | instid1(VALU_DEP_1)
	v_fmac_f32_e32 v3, v116, v139
	ds_load_2addr_b32 v[113:114], v2 offset0:93 offset1:94
	ds_load_2addr_b32 v[115:116], v2 offset0:95 offset1:96
	s_waitcnt lgkmcnt(3)
	v_fmac_f32_e32 v3, v117, v109
	v_fmac_f32_e32 v3, v118, v110
	ds_load_2addr_b32 v[109:110], v2 offset0:97 offset1:98
	s_waitcnt lgkmcnt(3)
	v_fmac_f32_e32 v3, v119, v111
	s_waitcnt vmcnt(2)
	s_delay_alu instid0(VALU_DEP_1) | instskip(SKIP_3) | instid1(VALU_DEP_1)
	v_fmac_f32_e32 v3, v120, v112
	ds_load_2addr_b32 v[111:112], v2 offset0:99 offset1:100
	s_waitcnt lgkmcnt(3)
	v_fmac_f32_e32 v3, v121, v113
	v_fmac_f32_e32 v3, v122, v114
	s_waitcnt lgkmcnt(2)
	s_delay_alu instid0(VALU_DEP_1)
	v_fmac_f32_e32 v3, v123, v115
	ds_load_2addr_b32 v[113:114], v2 offset0:101 offset1:102
	ds_load_b32 v115, v2 offset:412
	s_waitcnt vmcnt(1)
	v_fmac_f32_e32 v3, v124, v116
	s_waitcnt lgkmcnt(3)
	s_delay_alu instid0(VALU_DEP_1) | instskip(NEXT) | instid1(VALU_DEP_1)
	v_fmac_f32_e32 v3, v125, v109
	v_fmac_f32_e32 v3, v126, v110
	s_waitcnt lgkmcnt(2)
	s_delay_alu instid0(VALU_DEP_1) | instskip(SKIP_1) | instid1(VALU_DEP_1)
	v_fmac_f32_e32 v3, v127, v111
	s_waitcnt vmcnt(0)
	v_fmac_f32_e32 v3, v128, v112
	s_waitcnt lgkmcnt(1)
	s_delay_alu instid0(VALU_DEP_1) | instskip(NEXT) | instid1(VALU_DEP_1)
	v_fmac_f32_e32 v3, v129, v113
	v_fmac_f32_e32 v3, v130, v114
	s_waitcnt lgkmcnt(0)
	s_delay_alu instid0(VALU_DEP_1) | instskip(NEXT) | instid1(VALU_DEP_1)
	v_fmac_f32_e32 v3, v131, v115
	v_sub_f32_e32 v3, v108, v3
	scratch_store_b32 off, v3, off offset:112
	v_cmpx_lt_u32_e32 27, v0
	s_cbranch_execz .LBB115_265
; %bb.264:
	scratch_load_b32 v3, off, off offset:108
	scratch_store_b32 off, v2, off offset:108
	s_waitcnt vmcnt(0)
	ds_store_b32 v1, v3
.LBB115_265:
	s_or_b32 exec_lo, exec_lo, s0
	s_waitcnt lgkmcnt(0)
	s_waitcnt_vscnt null, 0x0
	s_barrier
	buffer_gl0_inv
	s_clause 0x6
	scratch_load_b128 v[108:111], off, off offset:108
	scratch_load_b128 v[112:115], off, off offset:124
	;; [unrolled: 1-line block ×6, first 2 shown]
	scratch_load_b32 v3, off, off offset:204
	ds_load_b128 v[132:135], v2 offset:320
	ds_load_b128 v[136:139], v2 offset:336
	s_mov_b32 s0, exec_lo
	s_waitcnt vmcnt(6) lgkmcnt(1)
	v_fma_f32 v132, v109, v132, 0
	s_delay_alu instid0(VALU_DEP_1) | instskip(NEXT) | instid1(VALU_DEP_1)
	v_fmac_f32_e32 v132, v110, v133
	v_fmac_f32_e32 v132, v111, v134
	s_waitcnt vmcnt(5)
	s_delay_alu instid0(VALU_DEP_1) | instskip(SKIP_3) | instid1(VALU_DEP_1)
	v_fmac_f32_e32 v132, v112, v135
	ds_load_b128 v[109:112], v2 offset:352
	s_waitcnt lgkmcnt(1)
	v_fmac_f32_e32 v132, v113, v136
	v_fmac_f32_e32 v132, v114, v137
	s_delay_alu instid0(VALU_DEP_1) | instskip(SKIP_1) | instid1(VALU_DEP_1)
	v_fmac_f32_e32 v132, v115, v138
	s_waitcnt vmcnt(4)
	v_fmac_f32_e32 v132, v116, v139
	ds_load_b128 v[113:116], v2 offset:368
	s_waitcnt lgkmcnt(1)
	v_fmac_f32_e32 v132, v117, v109
	s_delay_alu instid0(VALU_DEP_1) | instskip(NEXT) | instid1(VALU_DEP_1)
	v_fmac_f32_e32 v132, v118, v110
	v_fmac_f32_e32 v132, v119, v111
	s_waitcnt vmcnt(3)
	s_delay_alu instid0(VALU_DEP_1) | instskip(SKIP_3) | instid1(VALU_DEP_1)
	v_fmac_f32_e32 v132, v120, v112
	ds_load_b128 v[109:112], v2 offset:384
	s_waitcnt lgkmcnt(1)
	v_fmac_f32_e32 v132, v121, v113
	v_fmac_f32_e32 v132, v122, v114
	s_delay_alu instid0(VALU_DEP_1) | instskip(SKIP_1) | instid1(VALU_DEP_1)
	v_fmac_f32_e32 v132, v123, v115
	s_waitcnt vmcnt(2)
	v_fmac_f32_e32 v132, v124, v116
	ds_load_b128 v[113:116], v2 offset:400
	s_waitcnt lgkmcnt(1)
	v_fmac_f32_e32 v132, v125, v109
	s_delay_alu instid0(VALU_DEP_1) | instskip(NEXT) | instid1(VALU_DEP_1)
	v_fmac_f32_e32 v132, v126, v110
	v_fmac_f32_e32 v132, v127, v111
	s_waitcnt vmcnt(1)
	s_delay_alu instid0(VALU_DEP_1) | instskip(SKIP_1) | instid1(VALU_DEP_1)
	v_fmac_f32_e32 v132, v128, v112
	s_waitcnt lgkmcnt(0)
	v_fmac_f32_e32 v132, v129, v113
	s_delay_alu instid0(VALU_DEP_1) | instskip(NEXT) | instid1(VALU_DEP_1)
	v_fmac_f32_e32 v132, v130, v114
	v_fmac_f32_e32 v132, v131, v115
	s_waitcnt vmcnt(0)
	s_delay_alu instid0(VALU_DEP_1) | instskip(NEXT) | instid1(VALU_DEP_1)
	v_fmac_f32_e32 v132, v3, v116
	v_sub_f32_e32 v2, v108, v132
	scratch_store_b32 off, v2, off offset:108
	v_cmpx_lt_u32_e32 26, v0
	s_cbranch_execz .LBB115_267
; %bb.266:
	scratch_load_b32 v2, off, off offset:104
	v_mov_b32_e32 v3, 0
	scratch_store_b32 off, v3, off offset:104
	s_waitcnt vmcnt(0)
	ds_store_b32 v1, v2
.LBB115_267:
	s_or_b32 exec_lo, exec_lo, s0
	s_waitcnt lgkmcnt(0)
	s_waitcnt_vscnt null, 0x0
	s_barrier
	buffer_gl0_inv
	s_clause 0x6
	scratch_load_b128 v[108:111], off, off offset:104
	scratch_load_b128 v[112:115], off, off offset:120
	;; [unrolled: 1-line block ×6, first 2 shown]
	scratch_load_b64 v[132:133], off, off offset:200
	v_mov_b32_e32 v2, 0
	ds_load_2addr_b32 v[134:135], v2 offset0:79 offset1:80
	ds_load_2addr_b32 v[136:137], v2 offset0:81 offset1:82
	;; [unrolled: 1-line block ×4, first 2 shown]
	s_mov_b32 s0, exec_lo
	s_waitcnt vmcnt(6) lgkmcnt(3)
	v_fma_f32 v3, v109, v134, 0
	s_delay_alu instid0(VALU_DEP_1) | instskip(SKIP_4) | instid1(VALU_DEP_1)
	v_fmac_f32_e32 v3, v110, v135
	ds_load_2addr_b32 v[109:110], v2 offset0:87 offset1:88
	s_waitcnt lgkmcnt(3)
	v_fmac_f32_e32 v3, v111, v136
	s_waitcnt vmcnt(5)
	v_fmac_f32_e32 v3, v112, v137
	ds_load_2addr_b32 v[111:112], v2 offset0:89 offset1:90
	s_waitcnt lgkmcnt(3)
	v_fmac_f32_e32 v3, v113, v138
	s_delay_alu instid0(VALU_DEP_1) | instskip(SKIP_1) | instid1(VALU_DEP_1)
	v_fmac_f32_e32 v3, v114, v139
	s_waitcnt lgkmcnt(2)
	v_fmac_f32_e32 v3, v115, v140
	s_waitcnt vmcnt(4)
	s_delay_alu instid0(VALU_DEP_1) | instskip(SKIP_4) | instid1(VALU_DEP_1)
	v_fmac_f32_e32 v3, v116, v141
	ds_load_2addr_b32 v[113:114], v2 offset0:91 offset1:92
	ds_load_2addr_b32 v[115:116], v2 offset0:93 offset1:94
	s_waitcnt lgkmcnt(3)
	v_fmac_f32_e32 v3, v117, v109
	v_fmac_f32_e32 v3, v118, v110
	ds_load_2addr_b32 v[109:110], v2 offset0:95 offset1:96
	s_waitcnt lgkmcnt(3)
	v_fmac_f32_e32 v3, v119, v111
	s_waitcnt vmcnt(3)
	s_delay_alu instid0(VALU_DEP_1) | instskip(SKIP_3) | instid1(VALU_DEP_1)
	v_fmac_f32_e32 v3, v120, v112
	ds_load_2addr_b32 v[111:112], v2 offset0:97 offset1:98
	s_waitcnt lgkmcnt(3)
	v_fmac_f32_e32 v3, v121, v113
	v_fmac_f32_e32 v3, v122, v114
	s_waitcnt lgkmcnt(2)
	s_delay_alu instid0(VALU_DEP_1) | instskip(SKIP_1) | instid1(VALU_DEP_1)
	v_fmac_f32_e32 v3, v123, v115
	s_waitcnt vmcnt(2)
	v_fmac_f32_e32 v3, v124, v116
	ds_load_2addr_b32 v[113:114], v2 offset0:99 offset1:100
	ds_load_2addr_b32 v[115:116], v2 offset0:101 offset1:102
	s_waitcnt lgkmcnt(3)
	v_fmac_f32_e32 v3, v125, v109
	ds_load_b32 v109, v2 offset:412
	v_fmac_f32_e32 v3, v126, v110
	s_waitcnt lgkmcnt(3)
	s_delay_alu instid0(VALU_DEP_1) | instskip(SKIP_1) | instid1(VALU_DEP_1)
	v_fmac_f32_e32 v3, v127, v111
	s_waitcnt vmcnt(1)
	v_fmac_f32_e32 v3, v128, v112
	s_waitcnt lgkmcnt(2)
	s_delay_alu instid0(VALU_DEP_1) | instskip(NEXT) | instid1(VALU_DEP_1)
	v_fmac_f32_e32 v3, v129, v113
	v_fmac_f32_e32 v3, v130, v114
	s_waitcnt lgkmcnt(1)
	s_delay_alu instid0(VALU_DEP_1) | instskip(SKIP_1) | instid1(VALU_DEP_1)
	v_fmac_f32_e32 v3, v131, v115
	s_waitcnt vmcnt(0)
	v_fmac_f32_e32 v3, v132, v116
	s_waitcnt lgkmcnt(0)
	s_delay_alu instid0(VALU_DEP_1) | instskip(NEXT) | instid1(VALU_DEP_1)
	v_fmac_f32_e32 v3, v133, v109
	v_sub_f32_e32 v3, v108, v3
	scratch_store_b32 off, v3, off offset:104
	v_cmpx_lt_u32_e32 25, v0
	s_cbranch_execz .LBB115_269
; %bb.268:
	scratch_load_b32 v3, off, off offset:100
	scratch_store_b32 off, v2, off offset:100
	s_waitcnt vmcnt(0)
	ds_store_b32 v1, v3
.LBB115_269:
	s_or_b32 exec_lo, exec_lo, s0
	s_waitcnt lgkmcnt(0)
	s_waitcnt_vscnt null, 0x0
	s_barrier
	buffer_gl0_inv
	s_clause 0x6
	scratch_load_b128 v[108:111], off, off offset:100
	scratch_load_b128 v[112:115], off, off offset:116
	;; [unrolled: 1-line block ×6, first 2 shown]
	scratch_load_b96 v[140:142], off, off offset:196
	ds_load_2addr_b64 v[132:135], v2 offset0:39 offset1:40
	ds_load_2addr_b64 v[136:139], v2 offset0:41 offset1:42
	s_mov_b32 s0, exec_lo
	s_waitcnt vmcnt(6) lgkmcnt(1)
	v_fma_f32 v132, v109, v132, 0
	s_delay_alu instid0(VALU_DEP_1) | instskip(NEXT) | instid1(VALU_DEP_1)
	v_fmac_f32_e32 v132, v110, v133
	v_fmac_f32_e32 v132, v111, v134
	s_waitcnt vmcnt(5)
	s_delay_alu instid0(VALU_DEP_1) | instskip(SKIP_3) | instid1(VALU_DEP_1)
	v_fmac_f32_e32 v132, v112, v135
	ds_load_2addr_b64 v[109:112], v2 offset0:43 offset1:44
	s_waitcnt lgkmcnt(1)
	v_fmac_f32_e32 v132, v113, v136
	v_fmac_f32_e32 v132, v114, v137
	s_delay_alu instid0(VALU_DEP_1) | instskip(SKIP_1) | instid1(VALU_DEP_1)
	v_fmac_f32_e32 v132, v115, v138
	s_waitcnt vmcnt(4)
	v_fmac_f32_e32 v132, v116, v139
	ds_load_2addr_b64 v[113:116], v2 offset0:45 offset1:46
	s_waitcnt lgkmcnt(1)
	v_fmac_f32_e32 v132, v117, v109
	s_delay_alu instid0(VALU_DEP_1) | instskip(NEXT) | instid1(VALU_DEP_1)
	v_fmac_f32_e32 v132, v118, v110
	v_fmac_f32_e32 v132, v119, v111
	s_waitcnt vmcnt(3)
	s_delay_alu instid0(VALU_DEP_1) | instskip(SKIP_3) | instid1(VALU_DEP_1)
	v_fmac_f32_e32 v132, v120, v112
	ds_load_2addr_b64 v[109:112], v2 offset0:47 offset1:48
	s_waitcnt lgkmcnt(1)
	v_fmac_f32_e32 v132, v121, v113
	v_fmac_f32_e32 v132, v122, v114
	s_delay_alu instid0(VALU_DEP_1) | instskip(SKIP_1) | instid1(VALU_DEP_1)
	v_fmac_f32_e32 v132, v123, v115
	s_waitcnt vmcnt(2)
	v_fmac_f32_e32 v132, v124, v116
	ds_load_2addr_b64 v[113:116], v2 offset0:49 offset1:50
	ds_load_b64 v[2:3], v2 offset:408
	s_waitcnt lgkmcnt(2)
	v_fmac_f32_e32 v132, v125, v109
	s_delay_alu instid0(VALU_DEP_1) | instskip(NEXT) | instid1(VALU_DEP_1)
	v_fmac_f32_e32 v132, v126, v110
	v_fmac_f32_e32 v132, v127, v111
	s_waitcnt vmcnt(1)
	s_delay_alu instid0(VALU_DEP_1) | instskip(SKIP_1) | instid1(VALU_DEP_1)
	v_fmac_f32_e32 v132, v128, v112
	s_waitcnt lgkmcnt(1)
	v_fmac_f32_e32 v132, v129, v113
	s_delay_alu instid0(VALU_DEP_1) | instskip(NEXT) | instid1(VALU_DEP_1)
	v_fmac_f32_e32 v132, v130, v114
	v_fmac_f32_e32 v132, v131, v115
	s_waitcnt vmcnt(0)
	s_delay_alu instid0(VALU_DEP_1) | instskip(SKIP_1) | instid1(VALU_DEP_1)
	v_fmac_f32_e32 v132, v140, v116
	s_waitcnt lgkmcnt(0)
	v_fmac_f32_e32 v132, v141, v2
	s_delay_alu instid0(VALU_DEP_1) | instskip(NEXT) | instid1(VALU_DEP_1)
	v_fmac_f32_e32 v132, v142, v3
	v_sub_f32_e32 v2, v108, v132
	scratch_store_b32 off, v2, off offset:100
	v_cmpx_lt_u32_e32 24, v0
	s_cbranch_execz .LBB115_271
; %bb.270:
	scratch_load_b32 v2, off, off offset:96
	v_mov_b32_e32 v3, 0
	scratch_store_b32 off, v3, off offset:96
	s_waitcnt vmcnt(0)
	ds_store_b32 v1, v2
.LBB115_271:
	s_or_b32 exec_lo, exec_lo, s0
	s_waitcnt lgkmcnt(0)
	s_waitcnt_vscnt null, 0x0
	s_barrier
	buffer_gl0_inv
	s_clause 0x6
	scratch_load_b128 v[108:111], off, off offset:96
	scratch_load_b128 v[112:115], off, off offset:112
	;; [unrolled: 1-line block ×7, first 2 shown]
	v_mov_b32_e32 v2, 0
	ds_load_2addr_b32 v[136:137], v2 offset0:77 offset1:78
	ds_load_2addr_b32 v[138:139], v2 offset0:79 offset1:80
	;; [unrolled: 1-line block ×4, first 2 shown]
	s_mov_b32 s0, exec_lo
	s_waitcnt vmcnt(6) lgkmcnt(3)
	v_fma_f32 v3, v109, v136, 0
	s_delay_alu instid0(VALU_DEP_1) | instskip(SKIP_4) | instid1(VALU_DEP_1)
	v_fmac_f32_e32 v3, v110, v137
	ds_load_2addr_b32 v[109:110], v2 offset0:85 offset1:86
	s_waitcnt lgkmcnt(3)
	v_fmac_f32_e32 v3, v111, v138
	s_waitcnt vmcnt(5)
	v_fmac_f32_e32 v3, v112, v139
	ds_load_2addr_b32 v[111:112], v2 offset0:87 offset1:88
	s_waitcnt lgkmcnt(3)
	v_fmac_f32_e32 v3, v113, v140
	s_delay_alu instid0(VALU_DEP_1) | instskip(SKIP_1) | instid1(VALU_DEP_1)
	v_fmac_f32_e32 v3, v114, v141
	s_waitcnt lgkmcnt(2)
	v_fmac_f32_e32 v3, v115, v142
	s_waitcnt vmcnt(4)
	s_delay_alu instid0(VALU_DEP_1) | instskip(SKIP_4) | instid1(VALU_DEP_1)
	v_fmac_f32_e32 v3, v116, v143
	ds_load_2addr_b32 v[113:114], v2 offset0:89 offset1:90
	ds_load_2addr_b32 v[115:116], v2 offset0:91 offset1:92
	s_waitcnt lgkmcnt(3)
	v_fmac_f32_e32 v3, v117, v109
	v_fmac_f32_e32 v3, v118, v110
	ds_load_2addr_b32 v[109:110], v2 offset0:93 offset1:94
	s_waitcnt lgkmcnt(3)
	v_fmac_f32_e32 v3, v119, v111
	s_waitcnt vmcnt(3)
	s_delay_alu instid0(VALU_DEP_1) | instskip(SKIP_3) | instid1(VALU_DEP_1)
	v_fmac_f32_e32 v3, v120, v112
	ds_load_2addr_b32 v[111:112], v2 offset0:95 offset1:96
	s_waitcnt lgkmcnt(3)
	v_fmac_f32_e32 v3, v121, v113
	v_fmac_f32_e32 v3, v122, v114
	s_waitcnt lgkmcnt(2)
	s_delay_alu instid0(VALU_DEP_1) | instskip(SKIP_1) | instid1(VALU_DEP_1)
	v_fmac_f32_e32 v3, v123, v115
	s_waitcnt vmcnt(2)
	v_fmac_f32_e32 v3, v124, v116
	ds_load_2addr_b32 v[113:114], v2 offset0:97 offset1:98
	ds_load_2addr_b32 v[115:116], v2 offset0:99 offset1:100
	s_waitcnt lgkmcnt(3)
	v_fmac_f32_e32 v3, v125, v109
	s_delay_alu instid0(VALU_DEP_1)
	v_fmac_f32_e32 v3, v126, v110
	ds_load_2addr_b32 v[109:110], v2 offset0:101 offset1:102
	s_waitcnt lgkmcnt(3)
	v_fmac_f32_e32 v3, v127, v111
	ds_load_b32 v111, v2 offset:412
	s_waitcnt vmcnt(1)
	v_fmac_f32_e32 v3, v128, v112
	s_waitcnt lgkmcnt(3)
	s_delay_alu instid0(VALU_DEP_1) | instskip(NEXT) | instid1(VALU_DEP_1)
	v_fmac_f32_e32 v3, v129, v113
	v_fmac_f32_e32 v3, v130, v114
	s_waitcnt lgkmcnt(2)
	s_delay_alu instid0(VALU_DEP_1) | instskip(SKIP_1) | instid1(VALU_DEP_1)
	v_fmac_f32_e32 v3, v131, v115
	s_waitcnt vmcnt(0)
	v_fmac_f32_e32 v3, v132, v116
	s_waitcnt lgkmcnt(1)
	s_delay_alu instid0(VALU_DEP_1) | instskip(NEXT) | instid1(VALU_DEP_1)
	v_fmac_f32_e32 v3, v133, v109
	v_fmac_f32_e32 v3, v134, v110
	s_waitcnt lgkmcnt(0)
	s_delay_alu instid0(VALU_DEP_1) | instskip(NEXT) | instid1(VALU_DEP_1)
	v_fmac_f32_e32 v3, v135, v111
	v_sub_f32_e32 v3, v108, v3
	scratch_store_b32 off, v3, off offset:96
	v_cmpx_lt_u32_e32 23, v0
	s_cbranch_execz .LBB115_273
; %bb.272:
	scratch_load_b32 v3, off, off offset:92
	scratch_store_b32 off, v2, off offset:92
	s_waitcnt vmcnt(0)
	ds_store_b32 v1, v3
.LBB115_273:
	s_or_b32 exec_lo, exec_lo, s0
	s_waitcnt lgkmcnt(0)
	s_waitcnt_vscnt null, 0x0
	s_barrier
	buffer_gl0_inv
	s_clause 0x7
	scratch_load_b128 v[108:111], off, off offset:92
	scratch_load_b128 v[112:115], off, off offset:108
	;; [unrolled: 1-line block ×7, first 2 shown]
	scratch_load_b32 v3, off, off offset:204
	ds_load_b128 v[136:139], v2 offset:304
	ds_load_b128 v[140:143], v2 offset:320
	s_mov_b32 s0, exec_lo
	s_waitcnt vmcnt(7) lgkmcnt(1)
	v_fma_f32 v136, v109, v136, 0
	s_delay_alu instid0(VALU_DEP_1) | instskip(NEXT) | instid1(VALU_DEP_1)
	v_fmac_f32_e32 v136, v110, v137
	v_fmac_f32_e32 v136, v111, v138
	s_waitcnt vmcnt(6)
	s_delay_alu instid0(VALU_DEP_1) | instskip(SKIP_3) | instid1(VALU_DEP_1)
	v_fmac_f32_e32 v136, v112, v139
	ds_load_b128 v[109:112], v2 offset:336
	s_waitcnt lgkmcnt(1)
	v_fmac_f32_e32 v136, v113, v140
	v_fmac_f32_e32 v136, v114, v141
	s_delay_alu instid0(VALU_DEP_1) | instskip(SKIP_1) | instid1(VALU_DEP_1)
	v_fmac_f32_e32 v136, v115, v142
	s_waitcnt vmcnt(5)
	v_fmac_f32_e32 v136, v116, v143
	ds_load_b128 v[113:116], v2 offset:352
	s_waitcnt lgkmcnt(1)
	v_fmac_f32_e32 v136, v117, v109
	s_delay_alu instid0(VALU_DEP_1) | instskip(NEXT) | instid1(VALU_DEP_1)
	v_fmac_f32_e32 v136, v118, v110
	v_fmac_f32_e32 v136, v119, v111
	s_waitcnt vmcnt(4)
	s_delay_alu instid0(VALU_DEP_1) | instskip(SKIP_3) | instid1(VALU_DEP_1)
	v_fmac_f32_e32 v136, v120, v112
	ds_load_b128 v[109:112], v2 offset:368
	s_waitcnt lgkmcnt(1)
	v_fmac_f32_e32 v136, v121, v113
	v_fmac_f32_e32 v136, v122, v114
	s_delay_alu instid0(VALU_DEP_1) | instskip(SKIP_1) | instid1(VALU_DEP_1)
	v_fmac_f32_e32 v136, v123, v115
	s_waitcnt vmcnt(3)
	v_fmac_f32_e32 v136, v124, v116
	ds_load_b128 v[113:116], v2 offset:384
	s_waitcnt lgkmcnt(1)
	v_fmac_f32_e32 v136, v125, v109
	s_delay_alu instid0(VALU_DEP_1) | instskip(NEXT) | instid1(VALU_DEP_1)
	v_fmac_f32_e32 v136, v126, v110
	v_fmac_f32_e32 v136, v127, v111
	s_waitcnt vmcnt(2)
	s_delay_alu instid0(VALU_DEP_1) | instskip(SKIP_3) | instid1(VALU_DEP_1)
	v_fmac_f32_e32 v136, v128, v112
	ds_load_b128 v[109:112], v2 offset:400
	s_waitcnt lgkmcnt(1)
	v_fmac_f32_e32 v136, v129, v113
	v_fmac_f32_e32 v136, v130, v114
	s_delay_alu instid0(VALU_DEP_1) | instskip(SKIP_1) | instid1(VALU_DEP_1)
	v_fmac_f32_e32 v136, v131, v115
	s_waitcnt vmcnt(1)
	v_fmac_f32_e32 v136, v132, v116
	s_waitcnt lgkmcnt(0)
	s_delay_alu instid0(VALU_DEP_1) | instskip(NEXT) | instid1(VALU_DEP_1)
	v_fmac_f32_e32 v136, v133, v109
	v_fmac_f32_e32 v136, v134, v110
	s_delay_alu instid0(VALU_DEP_1) | instskip(SKIP_1) | instid1(VALU_DEP_1)
	v_fmac_f32_e32 v136, v135, v111
	s_waitcnt vmcnt(0)
	v_fmac_f32_e32 v136, v3, v112
	s_delay_alu instid0(VALU_DEP_1)
	v_sub_f32_e32 v2, v108, v136
	scratch_store_b32 off, v2, off offset:92
	v_cmpx_lt_u32_e32 22, v0
	s_cbranch_execz .LBB115_275
; %bb.274:
	scratch_load_b32 v2, off, off offset:88
	v_mov_b32_e32 v3, 0
	scratch_store_b32 off, v3, off offset:88
	s_waitcnt vmcnt(0)
	ds_store_b32 v1, v2
.LBB115_275:
	s_or_b32 exec_lo, exec_lo, s0
	s_waitcnt lgkmcnt(0)
	s_waitcnt_vscnt null, 0x0
	s_barrier
	buffer_gl0_inv
	s_clause 0x7
	scratch_load_b128 v[108:111], off, off offset:88
	scratch_load_b128 v[112:115], off, off offset:104
	;; [unrolled: 1-line block ×7, first 2 shown]
	scratch_load_b64 v[136:137], off, off offset:200
	v_mov_b32_e32 v2, 0
	ds_load_2addr_b32 v[138:139], v2 offset0:75 offset1:76
	ds_load_2addr_b32 v[140:141], v2 offset0:77 offset1:78
	;; [unrolled: 1-line block ×4, first 2 shown]
	s_mov_b32 s0, exec_lo
	s_waitcnt vmcnt(7) lgkmcnt(3)
	v_fma_f32 v3, v109, v138, 0
	s_delay_alu instid0(VALU_DEP_1) | instskip(SKIP_4) | instid1(VALU_DEP_1)
	v_fmac_f32_e32 v3, v110, v139
	ds_load_2addr_b32 v[109:110], v2 offset0:83 offset1:84
	s_waitcnt lgkmcnt(3)
	v_fmac_f32_e32 v3, v111, v140
	s_waitcnt vmcnt(6)
	v_fmac_f32_e32 v3, v112, v141
	ds_load_2addr_b32 v[111:112], v2 offset0:85 offset1:86
	s_waitcnt lgkmcnt(3)
	v_fmac_f32_e32 v3, v113, v142
	s_delay_alu instid0(VALU_DEP_1) | instskip(SKIP_1) | instid1(VALU_DEP_1)
	v_fmac_f32_e32 v3, v114, v143
	s_waitcnt lgkmcnt(2)
	v_fmac_f32_e32 v3, v115, v144
	s_waitcnt vmcnt(5)
	s_delay_alu instid0(VALU_DEP_1) | instskip(SKIP_4) | instid1(VALU_DEP_1)
	v_fmac_f32_e32 v3, v116, v145
	ds_load_2addr_b32 v[113:114], v2 offset0:87 offset1:88
	ds_load_2addr_b32 v[115:116], v2 offset0:89 offset1:90
	s_waitcnt lgkmcnt(3)
	v_fmac_f32_e32 v3, v117, v109
	v_fmac_f32_e32 v3, v118, v110
	ds_load_2addr_b32 v[109:110], v2 offset0:91 offset1:92
	s_waitcnt lgkmcnt(3)
	v_fmac_f32_e32 v3, v119, v111
	s_waitcnt vmcnt(4)
	s_delay_alu instid0(VALU_DEP_1) | instskip(SKIP_3) | instid1(VALU_DEP_1)
	v_fmac_f32_e32 v3, v120, v112
	ds_load_2addr_b32 v[111:112], v2 offset0:93 offset1:94
	s_waitcnt lgkmcnt(3)
	v_fmac_f32_e32 v3, v121, v113
	v_fmac_f32_e32 v3, v122, v114
	s_waitcnt lgkmcnt(2)
	s_delay_alu instid0(VALU_DEP_1) | instskip(SKIP_1) | instid1(VALU_DEP_1)
	v_fmac_f32_e32 v3, v123, v115
	s_waitcnt vmcnt(3)
	v_fmac_f32_e32 v3, v124, v116
	ds_load_2addr_b32 v[113:114], v2 offset0:95 offset1:96
	ds_load_2addr_b32 v[115:116], v2 offset0:97 offset1:98
	s_waitcnt lgkmcnt(3)
	v_fmac_f32_e32 v3, v125, v109
	s_delay_alu instid0(VALU_DEP_1) | instskip(SKIP_4) | instid1(VALU_DEP_1)
	v_fmac_f32_e32 v3, v126, v110
	ds_load_2addr_b32 v[109:110], v2 offset0:99 offset1:100
	s_waitcnt lgkmcnt(3)
	v_fmac_f32_e32 v3, v127, v111
	s_waitcnt vmcnt(2)
	v_fmac_f32_e32 v3, v128, v112
	ds_load_2addr_b32 v[111:112], v2 offset0:101 offset1:102
	s_waitcnt lgkmcnt(3)
	v_fmac_f32_e32 v3, v129, v113
	ds_load_b32 v113, v2 offset:412
	v_fmac_f32_e32 v3, v130, v114
	s_waitcnt lgkmcnt(3)
	s_delay_alu instid0(VALU_DEP_1) | instskip(SKIP_1) | instid1(VALU_DEP_1)
	v_fmac_f32_e32 v3, v131, v115
	s_waitcnt vmcnt(1)
	v_fmac_f32_e32 v3, v132, v116
	s_waitcnt lgkmcnt(2)
	s_delay_alu instid0(VALU_DEP_1) | instskip(NEXT) | instid1(VALU_DEP_1)
	v_fmac_f32_e32 v3, v133, v109
	v_fmac_f32_e32 v3, v134, v110
	s_waitcnt lgkmcnt(1)
	s_delay_alu instid0(VALU_DEP_1) | instskip(SKIP_1) | instid1(VALU_DEP_1)
	v_fmac_f32_e32 v3, v135, v111
	s_waitcnt vmcnt(0)
	v_fmac_f32_e32 v3, v136, v112
	s_waitcnt lgkmcnt(0)
	s_delay_alu instid0(VALU_DEP_1) | instskip(NEXT) | instid1(VALU_DEP_1)
	v_fmac_f32_e32 v3, v137, v113
	v_sub_f32_e32 v3, v108, v3
	scratch_store_b32 off, v3, off offset:88
	v_cmpx_lt_u32_e32 21, v0
	s_cbranch_execz .LBB115_277
; %bb.276:
	scratch_load_b32 v3, off, off offset:84
	scratch_store_b32 off, v2, off offset:84
	s_waitcnt vmcnt(0)
	ds_store_b32 v1, v3
.LBB115_277:
	s_or_b32 exec_lo, exec_lo, s0
	s_waitcnt lgkmcnt(0)
	s_waitcnt_vscnt null, 0x0
	s_barrier
	buffer_gl0_inv
	s_clause 0x7
	scratch_load_b128 v[108:111], off, off offset:84
	scratch_load_b128 v[112:115], off, off offset:100
	;; [unrolled: 1-line block ×7, first 2 shown]
	scratch_load_b96 v[144:146], off, off offset:196
	ds_load_2addr_b64 v[136:139], v2 offset0:37 offset1:38
	ds_load_2addr_b64 v[140:143], v2 offset0:39 offset1:40
	s_mov_b32 s0, exec_lo
	s_waitcnt vmcnt(7) lgkmcnt(1)
	v_fma_f32 v136, v109, v136, 0
	s_delay_alu instid0(VALU_DEP_1) | instskip(NEXT) | instid1(VALU_DEP_1)
	v_fmac_f32_e32 v136, v110, v137
	v_fmac_f32_e32 v136, v111, v138
	s_waitcnt vmcnt(6)
	s_delay_alu instid0(VALU_DEP_1) | instskip(SKIP_3) | instid1(VALU_DEP_1)
	v_fmac_f32_e32 v136, v112, v139
	ds_load_2addr_b64 v[109:112], v2 offset0:41 offset1:42
	s_waitcnt lgkmcnt(1)
	v_fmac_f32_e32 v136, v113, v140
	v_fmac_f32_e32 v136, v114, v141
	s_delay_alu instid0(VALU_DEP_1) | instskip(SKIP_1) | instid1(VALU_DEP_1)
	v_fmac_f32_e32 v136, v115, v142
	s_waitcnt vmcnt(5)
	v_fmac_f32_e32 v136, v116, v143
	ds_load_2addr_b64 v[113:116], v2 offset0:43 offset1:44
	s_waitcnt lgkmcnt(1)
	v_fmac_f32_e32 v136, v117, v109
	s_delay_alu instid0(VALU_DEP_1) | instskip(NEXT) | instid1(VALU_DEP_1)
	v_fmac_f32_e32 v136, v118, v110
	v_fmac_f32_e32 v136, v119, v111
	s_waitcnt vmcnt(4)
	s_delay_alu instid0(VALU_DEP_1) | instskip(SKIP_3) | instid1(VALU_DEP_1)
	v_fmac_f32_e32 v136, v120, v112
	ds_load_2addr_b64 v[109:112], v2 offset0:45 offset1:46
	s_waitcnt lgkmcnt(1)
	v_fmac_f32_e32 v136, v121, v113
	v_fmac_f32_e32 v136, v122, v114
	s_delay_alu instid0(VALU_DEP_1) | instskip(SKIP_1) | instid1(VALU_DEP_1)
	v_fmac_f32_e32 v136, v123, v115
	s_waitcnt vmcnt(3)
	v_fmac_f32_e32 v136, v124, v116
	ds_load_2addr_b64 v[113:116], v2 offset0:47 offset1:48
	s_waitcnt lgkmcnt(1)
	v_fmac_f32_e32 v136, v125, v109
	s_delay_alu instid0(VALU_DEP_1) | instskip(NEXT) | instid1(VALU_DEP_1)
	v_fmac_f32_e32 v136, v126, v110
	v_fmac_f32_e32 v136, v127, v111
	s_waitcnt vmcnt(2)
	s_delay_alu instid0(VALU_DEP_1) | instskip(SKIP_4) | instid1(VALU_DEP_1)
	v_fmac_f32_e32 v136, v128, v112
	ds_load_2addr_b64 v[109:112], v2 offset0:49 offset1:50
	ds_load_b64 v[2:3], v2 offset:408
	s_waitcnt lgkmcnt(2)
	v_fmac_f32_e32 v136, v129, v113
	v_fmac_f32_e32 v136, v130, v114
	s_delay_alu instid0(VALU_DEP_1) | instskip(SKIP_1) | instid1(VALU_DEP_1)
	v_fmac_f32_e32 v136, v131, v115
	s_waitcnt vmcnt(1)
	v_fmac_f32_e32 v136, v132, v116
	s_waitcnt lgkmcnt(1)
	s_delay_alu instid0(VALU_DEP_1) | instskip(NEXT) | instid1(VALU_DEP_1)
	v_fmac_f32_e32 v136, v133, v109
	v_fmac_f32_e32 v136, v134, v110
	s_delay_alu instid0(VALU_DEP_1) | instskip(SKIP_1) | instid1(VALU_DEP_1)
	v_fmac_f32_e32 v136, v135, v111
	s_waitcnt vmcnt(0)
	v_fmac_f32_e32 v136, v144, v112
	s_waitcnt lgkmcnt(0)
	s_delay_alu instid0(VALU_DEP_1) | instskip(NEXT) | instid1(VALU_DEP_1)
	v_fmac_f32_e32 v136, v145, v2
	v_fmac_f32_e32 v136, v146, v3
	s_delay_alu instid0(VALU_DEP_1)
	v_sub_f32_e32 v2, v108, v136
	scratch_store_b32 off, v2, off offset:84
	v_cmpx_lt_u32_e32 20, v0
	s_cbranch_execz .LBB115_279
; %bb.278:
	scratch_load_b32 v2, off, off offset:80
	v_mov_b32_e32 v3, 0
	scratch_store_b32 off, v3, off offset:80
	s_waitcnt vmcnt(0)
	ds_store_b32 v1, v2
.LBB115_279:
	s_or_b32 exec_lo, exec_lo, s0
	s_waitcnt lgkmcnt(0)
	s_waitcnt_vscnt null, 0x0
	s_barrier
	buffer_gl0_inv
	s_clause 0x7
	scratch_load_b128 v[108:111], off, off offset:80
	scratch_load_b128 v[112:115], off, off offset:96
	;; [unrolled: 1-line block ×8, first 2 shown]
	v_mov_b32_e32 v2, 0
	ds_load_2addr_b32 v[140:141], v2 offset0:73 offset1:74
	ds_load_2addr_b32 v[142:143], v2 offset0:75 offset1:76
	;; [unrolled: 1-line block ×4, first 2 shown]
	s_mov_b32 s0, exec_lo
	s_waitcnt vmcnt(7) lgkmcnt(3)
	v_fma_f32 v3, v109, v140, 0
	s_delay_alu instid0(VALU_DEP_1) | instskip(SKIP_4) | instid1(VALU_DEP_1)
	v_fmac_f32_e32 v3, v110, v141
	ds_load_2addr_b32 v[109:110], v2 offset0:81 offset1:82
	s_waitcnt lgkmcnt(3)
	v_fmac_f32_e32 v3, v111, v142
	s_waitcnt vmcnt(6)
	v_fmac_f32_e32 v3, v112, v143
	ds_load_2addr_b32 v[111:112], v2 offset0:83 offset1:84
	s_waitcnt lgkmcnt(3)
	v_fmac_f32_e32 v3, v113, v144
	s_delay_alu instid0(VALU_DEP_1) | instskip(SKIP_1) | instid1(VALU_DEP_1)
	v_fmac_f32_e32 v3, v114, v145
	s_waitcnt lgkmcnt(2)
	v_fmac_f32_e32 v3, v115, v146
	s_waitcnt vmcnt(5)
	s_delay_alu instid0(VALU_DEP_1) | instskip(SKIP_4) | instid1(VALU_DEP_1)
	v_fmac_f32_e32 v3, v116, v147
	ds_load_2addr_b32 v[113:114], v2 offset0:85 offset1:86
	ds_load_2addr_b32 v[115:116], v2 offset0:87 offset1:88
	s_waitcnt lgkmcnt(3)
	v_fmac_f32_e32 v3, v117, v109
	v_fmac_f32_e32 v3, v118, v110
	ds_load_2addr_b32 v[109:110], v2 offset0:89 offset1:90
	s_waitcnt lgkmcnt(3)
	v_fmac_f32_e32 v3, v119, v111
	s_waitcnt vmcnt(4)
	s_delay_alu instid0(VALU_DEP_1) | instskip(SKIP_3) | instid1(VALU_DEP_1)
	v_fmac_f32_e32 v3, v120, v112
	ds_load_2addr_b32 v[111:112], v2 offset0:91 offset1:92
	s_waitcnt lgkmcnt(3)
	v_fmac_f32_e32 v3, v121, v113
	v_fmac_f32_e32 v3, v122, v114
	s_waitcnt lgkmcnt(2)
	s_delay_alu instid0(VALU_DEP_1) | instskip(SKIP_1) | instid1(VALU_DEP_1)
	v_fmac_f32_e32 v3, v123, v115
	s_waitcnt vmcnt(3)
	v_fmac_f32_e32 v3, v124, v116
	ds_load_2addr_b32 v[113:114], v2 offset0:93 offset1:94
	ds_load_2addr_b32 v[115:116], v2 offset0:95 offset1:96
	s_waitcnt lgkmcnt(3)
	v_fmac_f32_e32 v3, v125, v109
	s_delay_alu instid0(VALU_DEP_1) | instskip(SKIP_4) | instid1(VALU_DEP_1)
	v_fmac_f32_e32 v3, v126, v110
	ds_load_2addr_b32 v[109:110], v2 offset0:97 offset1:98
	s_waitcnt lgkmcnt(3)
	v_fmac_f32_e32 v3, v127, v111
	s_waitcnt vmcnt(2)
	v_fmac_f32_e32 v3, v128, v112
	ds_load_2addr_b32 v[111:112], v2 offset0:99 offset1:100
	s_waitcnt lgkmcnt(3)
	v_fmac_f32_e32 v3, v129, v113
	s_delay_alu instid0(VALU_DEP_1) | instskip(SKIP_1) | instid1(VALU_DEP_1)
	v_fmac_f32_e32 v3, v130, v114
	s_waitcnt lgkmcnt(2)
	v_fmac_f32_e32 v3, v131, v115
	ds_load_2addr_b32 v[113:114], v2 offset0:101 offset1:102
	ds_load_b32 v115, v2 offset:412
	s_waitcnt vmcnt(1)
	v_fmac_f32_e32 v3, v132, v116
	s_waitcnt lgkmcnt(3)
	s_delay_alu instid0(VALU_DEP_1) | instskip(NEXT) | instid1(VALU_DEP_1)
	v_fmac_f32_e32 v3, v133, v109
	v_fmac_f32_e32 v3, v134, v110
	s_waitcnt lgkmcnt(2)
	s_delay_alu instid0(VALU_DEP_1) | instskip(SKIP_1) | instid1(VALU_DEP_1)
	v_fmac_f32_e32 v3, v135, v111
	s_waitcnt vmcnt(0)
	v_fmac_f32_e32 v3, v136, v112
	s_waitcnt lgkmcnt(1)
	s_delay_alu instid0(VALU_DEP_1) | instskip(NEXT) | instid1(VALU_DEP_1)
	v_fmac_f32_e32 v3, v137, v113
	v_fmac_f32_e32 v3, v138, v114
	s_waitcnt lgkmcnt(0)
	s_delay_alu instid0(VALU_DEP_1) | instskip(NEXT) | instid1(VALU_DEP_1)
	v_fmac_f32_e32 v3, v139, v115
	v_sub_f32_e32 v3, v108, v3
	scratch_store_b32 off, v3, off offset:80
	v_cmpx_lt_u32_e32 19, v0
	s_cbranch_execz .LBB115_281
; %bb.280:
	scratch_load_b32 v3, off, off offset:76
	scratch_store_b32 off, v2, off offset:76
	s_waitcnt vmcnt(0)
	ds_store_b32 v1, v3
.LBB115_281:
	s_or_b32 exec_lo, exec_lo, s0
	s_waitcnt lgkmcnt(0)
	s_waitcnt_vscnt null, 0x0
	s_barrier
	buffer_gl0_inv
	s_clause 0x8
	scratch_load_b128 v[108:111], off, off offset:76
	scratch_load_b128 v[112:115], off, off offset:92
	;; [unrolled: 1-line block ×8, first 2 shown]
	scratch_load_b32 v3, off, off offset:204
	ds_load_b128 v[140:143], v2 offset:288
	ds_load_b128 v[144:147], v2 offset:304
	s_mov_b32 s0, exec_lo
	s_waitcnt vmcnt(8) lgkmcnt(1)
	v_fma_f32 v140, v109, v140, 0
	s_delay_alu instid0(VALU_DEP_1) | instskip(NEXT) | instid1(VALU_DEP_1)
	v_fmac_f32_e32 v140, v110, v141
	v_fmac_f32_e32 v140, v111, v142
	s_waitcnt vmcnt(7)
	s_delay_alu instid0(VALU_DEP_1) | instskip(SKIP_3) | instid1(VALU_DEP_1)
	v_fmac_f32_e32 v140, v112, v143
	ds_load_b128 v[109:112], v2 offset:320
	s_waitcnt lgkmcnt(1)
	v_fmac_f32_e32 v140, v113, v144
	v_fmac_f32_e32 v140, v114, v145
	s_delay_alu instid0(VALU_DEP_1) | instskip(SKIP_1) | instid1(VALU_DEP_1)
	v_fmac_f32_e32 v140, v115, v146
	s_waitcnt vmcnt(6)
	v_fmac_f32_e32 v140, v116, v147
	ds_load_b128 v[113:116], v2 offset:336
	s_waitcnt lgkmcnt(1)
	v_fmac_f32_e32 v140, v117, v109
	s_delay_alu instid0(VALU_DEP_1) | instskip(NEXT) | instid1(VALU_DEP_1)
	v_fmac_f32_e32 v140, v118, v110
	v_fmac_f32_e32 v140, v119, v111
	s_waitcnt vmcnt(5)
	s_delay_alu instid0(VALU_DEP_1) | instskip(SKIP_3) | instid1(VALU_DEP_1)
	v_fmac_f32_e32 v140, v120, v112
	ds_load_b128 v[109:112], v2 offset:352
	s_waitcnt lgkmcnt(1)
	v_fmac_f32_e32 v140, v121, v113
	v_fmac_f32_e32 v140, v122, v114
	s_delay_alu instid0(VALU_DEP_1) | instskip(SKIP_1) | instid1(VALU_DEP_1)
	v_fmac_f32_e32 v140, v123, v115
	s_waitcnt vmcnt(4)
	v_fmac_f32_e32 v140, v124, v116
	ds_load_b128 v[113:116], v2 offset:368
	s_waitcnt lgkmcnt(1)
	v_fmac_f32_e32 v140, v125, v109
	;; [unrolled: 17-line block ×3, first 2 shown]
	s_delay_alu instid0(VALU_DEP_1) | instskip(NEXT) | instid1(VALU_DEP_1)
	v_fmac_f32_e32 v140, v134, v110
	v_fmac_f32_e32 v140, v135, v111
	s_waitcnt vmcnt(1)
	s_delay_alu instid0(VALU_DEP_1) | instskip(SKIP_1) | instid1(VALU_DEP_1)
	v_fmac_f32_e32 v140, v136, v112
	s_waitcnt lgkmcnt(0)
	v_fmac_f32_e32 v140, v137, v113
	s_delay_alu instid0(VALU_DEP_1) | instskip(NEXT) | instid1(VALU_DEP_1)
	v_fmac_f32_e32 v140, v138, v114
	v_fmac_f32_e32 v140, v139, v115
	s_waitcnt vmcnt(0)
	s_delay_alu instid0(VALU_DEP_1) | instskip(NEXT) | instid1(VALU_DEP_1)
	v_fmac_f32_e32 v140, v3, v116
	v_sub_f32_e32 v2, v108, v140
	scratch_store_b32 off, v2, off offset:76
	v_cmpx_lt_u32_e32 18, v0
	s_cbranch_execz .LBB115_283
; %bb.282:
	scratch_load_b32 v2, off, off offset:72
	v_mov_b32_e32 v3, 0
	scratch_store_b32 off, v3, off offset:72
	s_waitcnt vmcnt(0)
	ds_store_b32 v1, v2
.LBB115_283:
	s_or_b32 exec_lo, exec_lo, s0
	s_waitcnt lgkmcnt(0)
	s_waitcnt_vscnt null, 0x0
	s_barrier
	buffer_gl0_inv
	s_clause 0x8
	scratch_load_b128 v[108:111], off, off offset:72
	scratch_load_b128 v[112:115], off, off offset:88
	;; [unrolled: 1-line block ×8, first 2 shown]
	scratch_load_b64 v[140:141], off, off offset:200
	v_mov_b32_e32 v2, 0
	ds_load_2addr_b32 v[142:143], v2 offset0:71 offset1:72
	ds_load_2addr_b32 v[144:145], v2 offset0:73 offset1:74
	;; [unrolled: 1-line block ×4, first 2 shown]
	s_mov_b32 s0, exec_lo
	s_waitcnt vmcnt(8) lgkmcnt(3)
	v_fma_f32 v3, v109, v142, 0
	s_delay_alu instid0(VALU_DEP_1) | instskip(SKIP_4) | instid1(VALU_DEP_1)
	v_fmac_f32_e32 v3, v110, v143
	ds_load_2addr_b32 v[109:110], v2 offset0:79 offset1:80
	s_waitcnt lgkmcnt(3)
	v_fmac_f32_e32 v3, v111, v144
	s_waitcnt vmcnt(7)
	v_fmac_f32_e32 v3, v112, v145
	ds_load_2addr_b32 v[111:112], v2 offset0:81 offset1:82
	s_waitcnt lgkmcnt(3)
	v_fmac_f32_e32 v3, v113, v146
	s_delay_alu instid0(VALU_DEP_1) | instskip(SKIP_1) | instid1(VALU_DEP_1)
	v_fmac_f32_e32 v3, v114, v147
	s_waitcnt lgkmcnt(2)
	v_fmac_f32_e32 v3, v115, v148
	s_waitcnt vmcnt(6)
	s_delay_alu instid0(VALU_DEP_1) | instskip(SKIP_4) | instid1(VALU_DEP_1)
	v_fmac_f32_e32 v3, v116, v149
	ds_load_2addr_b32 v[113:114], v2 offset0:83 offset1:84
	ds_load_2addr_b32 v[115:116], v2 offset0:85 offset1:86
	s_waitcnt lgkmcnt(3)
	v_fmac_f32_e32 v3, v117, v109
	v_fmac_f32_e32 v3, v118, v110
	ds_load_2addr_b32 v[109:110], v2 offset0:87 offset1:88
	s_waitcnt lgkmcnt(3)
	v_fmac_f32_e32 v3, v119, v111
	s_waitcnt vmcnt(5)
	s_delay_alu instid0(VALU_DEP_1) | instskip(SKIP_3) | instid1(VALU_DEP_1)
	v_fmac_f32_e32 v3, v120, v112
	ds_load_2addr_b32 v[111:112], v2 offset0:89 offset1:90
	s_waitcnt lgkmcnt(3)
	v_fmac_f32_e32 v3, v121, v113
	v_fmac_f32_e32 v3, v122, v114
	s_waitcnt lgkmcnt(2)
	s_delay_alu instid0(VALU_DEP_1) | instskip(SKIP_1) | instid1(VALU_DEP_1)
	v_fmac_f32_e32 v3, v123, v115
	s_waitcnt vmcnt(4)
	v_fmac_f32_e32 v3, v124, v116
	ds_load_2addr_b32 v[113:114], v2 offset0:91 offset1:92
	ds_load_2addr_b32 v[115:116], v2 offset0:93 offset1:94
	s_waitcnt lgkmcnt(3)
	v_fmac_f32_e32 v3, v125, v109
	s_delay_alu instid0(VALU_DEP_1) | instskip(SKIP_4) | instid1(VALU_DEP_1)
	v_fmac_f32_e32 v3, v126, v110
	ds_load_2addr_b32 v[109:110], v2 offset0:95 offset1:96
	s_waitcnt lgkmcnt(3)
	v_fmac_f32_e32 v3, v127, v111
	s_waitcnt vmcnt(3)
	v_fmac_f32_e32 v3, v128, v112
	ds_load_2addr_b32 v[111:112], v2 offset0:97 offset1:98
	s_waitcnt lgkmcnt(3)
	v_fmac_f32_e32 v3, v129, v113
	s_delay_alu instid0(VALU_DEP_1) | instskip(SKIP_1) | instid1(VALU_DEP_1)
	v_fmac_f32_e32 v3, v130, v114
	s_waitcnt lgkmcnt(2)
	v_fmac_f32_e32 v3, v131, v115
	s_waitcnt vmcnt(2)
	s_delay_alu instid0(VALU_DEP_1)
	v_fmac_f32_e32 v3, v132, v116
	ds_load_2addr_b32 v[113:114], v2 offset0:99 offset1:100
	ds_load_2addr_b32 v[115:116], v2 offset0:101 offset1:102
	s_waitcnt lgkmcnt(3)
	v_fmac_f32_e32 v3, v133, v109
	ds_load_b32 v109, v2 offset:412
	v_fmac_f32_e32 v3, v134, v110
	s_waitcnt lgkmcnt(3)
	s_delay_alu instid0(VALU_DEP_1) | instskip(SKIP_1) | instid1(VALU_DEP_1)
	v_fmac_f32_e32 v3, v135, v111
	s_waitcnt vmcnt(1)
	v_fmac_f32_e32 v3, v136, v112
	s_waitcnt lgkmcnt(2)
	s_delay_alu instid0(VALU_DEP_1) | instskip(NEXT) | instid1(VALU_DEP_1)
	v_fmac_f32_e32 v3, v137, v113
	v_fmac_f32_e32 v3, v138, v114
	s_waitcnt lgkmcnt(1)
	s_delay_alu instid0(VALU_DEP_1) | instskip(SKIP_1) | instid1(VALU_DEP_1)
	v_fmac_f32_e32 v3, v139, v115
	s_waitcnt vmcnt(0)
	v_fmac_f32_e32 v3, v140, v116
	s_waitcnt lgkmcnt(0)
	s_delay_alu instid0(VALU_DEP_1) | instskip(NEXT) | instid1(VALU_DEP_1)
	v_fmac_f32_e32 v3, v141, v109
	v_sub_f32_e32 v3, v108, v3
	scratch_store_b32 off, v3, off offset:72
	v_cmpx_lt_u32_e32 17, v0
	s_cbranch_execz .LBB115_285
; %bb.284:
	scratch_load_b32 v3, off, off offset:68
	scratch_store_b32 off, v2, off offset:68
	s_waitcnt vmcnt(0)
	ds_store_b32 v1, v3
.LBB115_285:
	s_or_b32 exec_lo, exec_lo, s0
	s_waitcnt lgkmcnt(0)
	s_waitcnt_vscnt null, 0x0
	s_barrier
	buffer_gl0_inv
	s_clause 0x8
	scratch_load_b128 v[108:111], off, off offset:68
	scratch_load_b128 v[112:115], off, off offset:84
	scratch_load_b128 v[116:119], off, off offset:100
	scratch_load_b128 v[120:123], off, off offset:116
	scratch_load_b128 v[124:127], off, off offset:132
	scratch_load_b128 v[128:131], off, off offset:148
	scratch_load_b128 v[132:135], off, off offset:164
	scratch_load_b128 v[136:139], off, off offset:180
	scratch_load_b96 v[148:150], off, off offset:196
	ds_load_2addr_b64 v[140:143], v2 offset0:35 offset1:36
	ds_load_2addr_b64 v[144:147], v2 offset0:37 offset1:38
	s_mov_b32 s0, exec_lo
	s_waitcnt vmcnt(8) lgkmcnt(1)
	v_fma_f32 v140, v109, v140, 0
	s_delay_alu instid0(VALU_DEP_1) | instskip(NEXT) | instid1(VALU_DEP_1)
	v_fmac_f32_e32 v140, v110, v141
	v_fmac_f32_e32 v140, v111, v142
	s_waitcnt vmcnt(7)
	s_delay_alu instid0(VALU_DEP_1) | instskip(SKIP_3) | instid1(VALU_DEP_1)
	v_fmac_f32_e32 v140, v112, v143
	ds_load_2addr_b64 v[109:112], v2 offset0:39 offset1:40
	s_waitcnt lgkmcnt(1)
	v_fmac_f32_e32 v140, v113, v144
	v_fmac_f32_e32 v140, v114, v145
	s_delay_alu instid0(VALU_DEP_1) | instskip(SKIP_1) | instid1(VALU_DEP_1)
	v_fmac_f32_e32 v140, v115, v146
	s_waitcnt vmcnt(6)
	v_fmac_f32_e32 v140, v116, v147
	ds_load_2addr_b64 v[113:116], v2 offset0:41 offset1:42
	s_waitcnt lgkmcnt(1)
	v_fmac_f32_e32 v140, v117, v109
	s_delay_alu instid0(VALU_DEP_1) | instskip(NEXT) | instid1(VALU_DEP_1)
	v_fmac_f32_e32 v140, v118, v110
	v_fmac_f32_e32 v140, v119, v111
	s_waitcnt vmcnt(5)
	s_delay_alu instid0(VALU_DEP_1) | instskip(SKIP_3) | instid1(VALU_DEP_1)
	v_fmac_f32_e32 v140, v120, v112
	ds_load_2addr_b64 v[109:112], v2 offset0:43 offset1:44
	s_waitcnt lgkmcnt(1)
	v_fmac_f32_e32 v140, v121, v113
	v_fmac_f32_e32 v140, v122, v114
	s_delay_alu instid0(VALU_DEP_1) | instskip(SKIP_1) | instid1(VALU_DEP_1)
	v_fmac_f32_e32 v140, v123, v115
	s_waitcnt vmcnt(4)
	v_fmac_f32_e32 v140, v124, v116
	ds_load_2addr_b64 v[113:116], v2 offset0:45 offset1:46
	s_waitcnt lgkmcnt(1)
	v_fmac_f32_e32 v140, v125, v109
	s_delay_alu instid0(VALU_DEP_1) | instskip(NEXT) | instid1(VALU_DEP_1)
	v_fmac_f32_e32 v140, v126, v110
	v_fmac_f32_e32 v140, v127, v111
	s_waitcnt vmcnt(3)
	s_delay_alu instid0(VALU_DEP_1) | instskip(SKIP_3) | instid1(VALU_DEP_1)
	v_fmac_f32_e32 v140, v128, v112
	ds_load_2addr_b64 v[109:112], v2 offset0:47 offset1:48
	s_waitcnt lgkmcnt(1)
	v_fmac_f32_e32 v140, v129, v113
	v_fmac_f32_e32 v140, v130, v114
	s_delay_alu instid0(VALU_DEP_1) | instskip(SKIP_1) | instid1(VALU_DEP_1)
	v_fmac_f32_e32 v140, v131, v115
	s_waitcnt vmcnt(2)
	v_fmac_f32_e32 v140, v132, v116
	ds_load_2addr_b64 v[113:116], v2 offset0:49 offset1:50
	ds_load_b64 v[2:3], v2 offset:408
	s_waitcnt lgkmcnt(2)
	v_fmac_f32_e32 v140, v133, v109
	s_delay_alu instid0(VALU_DEP_1) | instskip(NEXT) | instid1(VALU_DEP_1)
	v_fmac_f32_e32 v140, v134, v110
	v_fmac_f32_e32 v140, v135, v111
	s_waitcnt vmcnt(1)
	s_delay_alu instid0(VALU_DEP_1) | instskip(SKIP_1) | instid1(VALU_DEP_1)
	v_fmac_f32_e32 v140, v136, v112
	s_waitcnt lgkmcnt(1)
	v_fmac_f32_e32 v140, v137, v113
	s_delay_alu instid0(VALU_DEP_1) | instskip(NEXT) | instid1(VALU_DEP_1)
	v_fmac_f32_e32 v140, v138, v114
	v_fmac_f32_e32 v140, v139, v115
	s_waitcnt vmcnt(0)
	s_delay_alu instid0(VALU_DEP_1) | instskip(SKIP_1) | instid1(VALU_DEP_1)
	v_fmac_f32_e32 v140, v148, v116
	s_waitcnt lgkmcnt(0)
	v_fmac_f32_e32 v140, v149, v2
	s_delay_alu instid0(VALU_DEP_1) | instskip(NEXT) | instid1(VALU_DEP_1)
	v_fmac_f32_e32 v140, v150, v3
	v_sub_f32_e32 v2, v108, v140
	scratch_store_b32 off, v2, off offset:68
	v_cmpx_lt_u32_e32 16, v0
	s_cbranch_execz .LBB115_287
; %bb.286:
	scratch_load_b32 v2, off, off offset:64
	v_mov_b32_e32 v3, 0
	scratch_store_b32 off, v3, off offset:64
	s_waitcnt vmcnt(0)
	ds_store_b32 v1, v2
.LBB115_287:
	s_or_b32 exec_lo, exec_lo, s0
	s_waitcnt lgkmcnt(0)
	s_waitcnt_vscnt null, 0x0
	s_barrier
	buffer_gl0_inv
	s_clause 0x8
	scratch_load_b128 v[108:111], off, off offset:64
	scratch_load_b128 v[112:115], off, off offset:80
	;; [unrolled: 1-line block ×9, first 2 shown]
	v_mov_b32_e32 v2, 0
	ds_load_2addr_b32 v[144:145], v2 offset0:69 offset1:70
	ds_load_2addr_b32 v[146:147], v2 offset0:71 offset1:72
	;; [unrolled: 1-line block ×4, first 2 shown]
	s_mov_b32 s0, exec_lo
	s_waitcnt vmcnt(8) lgkmcnt(3)
	v_fma_f32 v3, v109, v144, 0
	s_delay_alu instid0(VALU_DEP_1) | instskip(SKIP_4) | instid1(VALU_DEP_1)
	v_fmac_f32_e32 v3, v110, v145
	ds_load_2addr_b32 v[109:110], v2 offset0:77 offset1:78
	s_waitcnt lgkmcnt(3)
	v_fmac_f32_e32 v3, v111, v146
	s_waitcnt vmcnt(7)
	v_fmac_f32_e32 v3, v112, v147
	ds_load_2addr_b32 v[111:112], v2 offset0:79 offset1:80
	s_waitcnt lgkmcnt(3)
	v_fmac_f32_e32 v3, v113, v148
	s_delay_alu instid0(VALU_DEP_1) | instskip(SKIP_1) | instid1(VALU_DEP_1)
	v_fmac_f32_e32 v3, v114, v149
	s_waitcnt lgkmcnt(2)
	v_fmac_f32_e32 v3, v115, v150
	s_waitcnt vmcnt(6)
	s_delay_alu instid0(VALU_DEP_1) | instskip(SKIP_4) | instid1(VALU_DEP_1)
	v_fmac_f32_e32 v3, v116, v151
	ds_load_2addr_b32 v[113:114], v2 offset0:81 offset1:82
	ds_load_2addr_b32 v[115:116], v2 offset0:83 offset1:84
	s_waitcnt lgkmcnt(3)
	v_fmac_f32_e32 v3, v117, v109
	v_fmac_f32_e32 v3, v118, v110
	ds_load_2addr_b32 v[109:110], v2 offset0:85 offset1:86
	s_waitcnt lgkmcnt(3)
	v_fmac_f32_e32 v3, v119, v111
	s_waitcnt vmcnt(5)
	s_delay_alu instid0(VALU_DEP_1) | instskip(SKIP_3) | instid1(VALU_DEP_1)
	v_fmac_f32_e32 v3, v120, v112
	ds_load_2addr_b32 v[111:112], v2 offset0:87 offset1:88
	s_waitcnt lgkmcnt(3)
	v_fmac_f32_e32 v3, v121, v113
	v_fmac_f32_e32 v3, v122, v114
	s_waitcnt lgkmcnt(2)
	s_delay_alu instid0(VALU_DEP_1) | instskip(SKIP_1) | instid1(VALU_DEP_1)
	v_fmac_f32_e32 v3, v123, v115
	s_waitcnt vmcnt(4)
	v_fmac_f32_e32 v3, v124, v116
	ds_load_2addr_b32 v[113:114], v2 offset0:89 offset1:90
	ds_load_2addr_b32 v[115:116], v2 offset0:91 offset1:92
	s_waitcnt lgkmcnt(3)
	v_fmac_f32_e32 v3, v125, v109
	s_delay_alu instid0(VALU_DEP_1) | instskip(SKIP_4) | instid1(VALU_DEP_1)
	v_fmac_f32_e32 v3, v126, v110
	ds_load_2addr_b32 v[109:110], v2 offset0:93 offset1:94
	s_waitcnt lgkmcnt(3)
	v_fmac_f32_e32 v3, v127, v111
	s_waitcnt vmcnt(3)
	v_fmac_f32_e32 v3, v128, v112
	ds_load_2addr_b32 v[111:112], v2 offset0:95 offset1:96
	s_waitcnt lgkmcnt(3)
	v_fmac_f32_e32 v3, v129, v113
	s_delay_alu instid0(VALU_DEP_1) | instskip(SKIP_1) | instid1(VALU_DEP_1)
	v_fmac_f32_e32 v3, v130, v114
	s_waitcnt lgkmcnt(2)
	v_fmac_f32_e32 v3, v131, v115
	s_waitcnt vmcnt(2)
	s_delay_alu instid0(VALU_DEP_1) | instskip(SKIP_4) | instid1(VALU_DEP_1)
	v_fmac_f32_e32 v3, v132, v116
	ds_load_2addr_b32 v[113:114], v2 offset0:97 offset1:98
	ds_load_2addr_b32 v[115:116], v2 offset0:99 offset1:100
	s_waitcnt lgkmcnt(3)
	v_fmac_f32_e32 v3, v133, v109
	v_fmac_f32_e32 v3, v134, v110
	ds_load_2addr_b32 v[109:110], v2 offset0:101 offset1:102
	s_waitcnt lgkmcnt(3)
	v_fmac_f32_e32 v3, v135, v111
	ds_load_b32 v111, v2 offset:412
	s_waitcnt vmcnt(1)
	v_fmac_f32_e32 v3, v136, v112
	s_waitcnt lgkmcnt(3)
	s_delay_alu instid0(VALU_DEP_1) | instskip(NEXT) | instid1(VALU_DEP_1)
	v_fmac_f32_e32 v3, v137, v113
	v_fmac_f32_e32 v3, v138, v114
	s_waitcnt lgkmcnt(2)
	s_delay_alu instid0(VALU_DEP_1) | instskip(SKIP_1) | instid1(VALU_DEP_1)
	v_fmac_f32_e32 v3, v139, v115
	s_waitcnt vmcnt(0)
	v_fmac_f32_e32 v3, v140, v116
	s_waitcnt lgkmcnt(1)
	s_delay_alu instid0(VALU_DEP_1) | instskip(NEXT) | instid1(VALU_DEP_1)
	v_fmac_f32_e32 v3, v141, v109
	v_fmac_f32_e32 v3, v142, v110
	s_waitcnt lgkmcnt(0)
	s_delay_alu instid0(VALU_DEP_1) | instskip(NEXT) | instid1(VALU_DEP_1)
	v_fmac_f32_e32 v3, v143, v111
	v_sub_f32_e32 v3, v108, v3
	scratch_store_b32 off, v3, off offset:64
	v_cmpx_lt_u32_e32 15, v0
	s_cbranch_execz .LBB115_289
; %bb.288:
	scratch_load_b32 v3, off, off offset:60
	scratch_store_b32 off, v2, off offset:60
	s_waitcnt vmcnt(0)
	ds_store_b32 v1, v3
.LBB115_289:
	s_or_b32 exec_lo, exec_lo, s0
	s_waitcnt lgkmcnt(0)
	s_waitcnt_vscnt null, 0x0
	s_barrier
	buffer_gl0_inv
	s_clause 0x9
	scratch_load_b128 v[108:111], off, off offset:60
	scratch_load_b128 v[112:115], off, off offset:76
	;; [unrolled: 1-line block ×9, first 2 shown]
	scratch_load_b32 v3, off, off offset:204
	ds_load_b128 v[144:147], v2 offset:272
	ds_load_b128 v[148:151], v2 offset:288
	s_mov_b32 s0, exec_lo
	s_waitcnt vmcnt(9) lgkmcnt(1)
	v_fma_f32 v144, v109, v144, 0
	s_delay_alu instid0(VALU_DEP_1) | instskip(NEXT) | instid1(VALU_DEP_1)
	v_fmac_f32_e32 v144, v110, v145
	v_fmac_f32_e32 v144, v111, v146
	s_waitcnt vmcnt(8)
	s_delay_alu instid0(VALU_DEP_1) | instskip(SKIP_3) | instid1(VALU_DEP_1)
	v_fmac_f32_e32 v144, v112, v147
	ds_load_b128 v[109:112], v2 offset:304
	s_waitcnt lgkmcnt(1)
	v_fmac_f32_e32 v144, v113, v148
	v_fmac_f32_e32 v144, v114, v149
	s_delay_alu instid0(VALU_DEP_1) | instskip(SKIP_1) | instid1(VALU_DEP_1)
	v_fmac_f32_e32 v144, v115, v150
	s_waitcnt vmcnt(7)
	v_fmac_f32_e32 v144, v116, v151
	ds_load_b128 v[113:116], v2 offset:320
	s_waitcnt lgkmcnt(1)
	v_fmac_f32_e32 v144, v117, v109
	s_delay_alu instid0(VALU_DEP_1) | instskip(NEXT) | instid1(VALU_DEP_1)
	v_fmac_f32_e32 v144, v118, v110
	v_fmac_f32_e32 v144, v119, v111
	s_waitcnt vmcnt(6)
	s_delay_alu instid0(VALU_DEP_1) | instskip(SKIP_3) | instid1(VALU_DEP_1)
	v_fmac_f32_e32 v144, v120, v112
	ds_load_b128 v[109:112], v2 offset:336
	s_waitcnt lgkmcnt(1)
	v_fmac_f32_e32 v144, v121, v113
	v_fmac_f32_e32 v144, v122, v114
	s_delay_alu instid0(VALU_DEP_1) | instskip(SKIP_1) | instid1(VALU_DEP_1)
	v_fmac_f32_e32 v144, v123, v115
	s_waitcnt vmcnt(5)
	v_fmac_f32_e32 v144, v124, v116
	ds_load_b128 v[113:116], v2 offset:352
	s_waitcnt lgkmcnt(1)
	v_fmac_f32_e32 v144, v125, v109
	;; [unrolled: 17-line block ×3, first 2 shown]
	s_delay_alu instid0(VALU_DEP_1) | instskip(NEXT) | instid1(VALU_DEP_1)
	v_fmac_f32_e32 v144, v134, v110
	v_fmac_f32_e32 v144, v135, v111
	s_waitcnt vmcnt(2)
	s_delay_alu instid0(VALU_DEP_1) | instskip(SKIP_3) | instid1(VALU_DEP_1)
	v_fmac_f32_e32 v144, v136, v112
	ds_load_b128 v[109:112], v2 offset:400
	s_waitcnt lgkmcnt(1)
	v_fmac_f32_e32 v144, v137, v113
	v_fmac_f32_e32 v144, v138, v114
	s_delay_alu instid0(VALU_DEP_1) | instskip(SKIP_1) | instid1(VALU_DEP_1)
	v_fmac_f32_e32 v144, v139, v115
	s_waitcnt vmcnt(1)
	v_fmac_f32_e32 v144, v140, v116
	s_waitcnt lgkmcnt(0)
	s_delay_alu instid0(VALU_DEP_1) | instskip(NEXT) | instid1(VALU_DEP_1)
	v_fmac_f32_e32 v144, v141, v109
	v_fmac_f32_e32 v144, v142, v110
	s_delay_alu instid0(VALU_DEP_1) | instskip(SKIP_1) | instid1(VALU_DEP_1)
	v_fmac_f32_e32 v144, v143, v111
	s_waitcnt vmcnt(0)
	v_fmac_f32_e32 v144, v3, v112
	s_delay_alu instid0(VALU_DEP_1)
	v_sub_f32_e32 v2, v108, v144
	scratch_store_b32 off, v2, off offset:60
	v_cmpx_lt_u32_e32 14, v0
	s_cbranch_execz .LBB115_291
; %bb.290:
	scratch_load_b32 v2, off, off offset:56
	v_mov_b32_e32 v3, 0
	scratch_store_b32 off, v3, off offset:56
	s_waitcnt vmcnt(0)
	ds_store_b32 v1, v2
.LBB115_291:
	s_or_b32 exec_lo, exec_lo, s0
	s_waitcnt lgkmcnt(0)
	s_waitcnt_vscnt null, 0x0
	s_barrier
	buffer_gl0_inv
	s_clause 0x9
	scratch_load_b128 v[108:111], off, off offset:56
	scratch_load_b128 v[112:115], off, off offset:72
	;; [unrolled: 1-line block ×9, first 2 shown]
	scratch_load_b64 v[144:145], off, off offset:200
	v_mov_b32_e32 v2, 0
	ds_load_2addr_b32 v[146:147], v2 offset0:67 offset1:68
	ds_load_2addr_b32 v[148:149], v2 offset0:69 offset1:70
	ds_load_2addr_b32 v[150:151], v2 offset0:71 offset1:72
	ds_load_2addr_b32 v[152:153], v2 offset0:73 offset1:74
	s_mov_b32 s0, exec_lo
	s_waitcnt vmcnt(9) lgkmcnt(3)
	v_fma_f32 v3, v109, v146, 0
	s_delay_alu instid0(VALU_DEP_1) | instskip(SKIP_4) | instid1(VALU_DEP_1)
	v_fmac_f32_e32 v3, v110, v147
	ds_load_2addr_b32 v[109:110], v2 offset0:75 offset1:76
	s_waitcnt lgkmcnt(3)
	v_fmac_f32_e32 v3, v111, v148
	s_waitcnt vmcnt(8)
	v_fmac_f32_e32 v3, v112, v149
	ds_load_2addr_b32 v[111:112], v2 offset0:77 offset1:78
	s_waitcnt lgkmcnt(3)
	v_fmac_f32_e32 v3, v113, v150
	s_delay_alu instid0(VALU_DEP_1) | instskip(SKIP_1) | instid1(VALU_DEP_1)
	v_fmac_f32_e32 v3, v114, v151
	s_waitcnt lgkmcnt(2)
	v_fmac_f32_e32 v3, v115, v152
	s_waitcnt vmcnt(7)
	s_delay_alu instid0(VALU_DEP_1) | instskip(SKIP_4) | instid1(VALU_DEP_1)
	v_fmac_f32_e32 v3, v116, v153
	ds_load_2addr_b32 v[113:114], v2 offset0:79 offset1:80
	ds_load_2addr_b32 v[115:116], v2 offset0:81 offset1:82
	s_waitcnt lgkmcnt(3)
	v_fmac_f32_e32 v3, v117, v109
	v_fmac_f32_e32 v3, v118, v110
	ds_load_2addr_b32 v[109:110], v2 offset0:83 offset1:84
	s_waitcnt lgkmcnt(3)
	v_fmac_f32_e32 v3, v119, v111
	s_waitcnt vmcnt(6)
	s_delay_alu instid0(VALU_DEP_1) | instskip(SKIP_3) | instid1(VALU_DEP_1)
	v_fmac_f32_e32 v3, v120, v112
	ds_load_2addr_b32 v[111:112], v2 offset0:85 offset1:86
	s_waitcnt lgkmcnt(3)
	v_fmac_f32_e32 v3, v121, v113
	v_fmac_f32_e32 v3, v122, v114
	s_waitcnt lgkmcnt(2)
	s_delay_alu instid0(VALU_DEP_1) | instskip(SKIP_1) | instid1(VALU_DEP_1)
	v_fmac_f32_e32 v3, v123, v115
	s_waitcnt vmcnt(5)
	v_fmac_f32_e32 v3, v124, v116
	ds_load_2addr_b32 v[113:114], v2 offset0:87 offset1:88
	ds_load_2addr_b32 v[115:116], v2 offset0:89 offset1:90
	s_waitcnt lgkmcnt(3)
	v_fmac_f32_e32 v3, v125, v109
	s_delay_alu instid0(VALU_DEP_1) | instskip(SKIP_4) | instid1(VALU_DEP_1)
	v_fmac_f32_e32 v3, v126, v110
	ds_load_2addr_b32 v[109:110], v2 offset0:91 offset1:92
	s_waitcnt lgkmcnt(3)
	v_fmac_f32_e32 v3, v127, v111
	s_waitcnt vmcnt(4)
	v_fmac_f32_e32 v3, v128, v112
	ds_load_2addr_b32 v[111:112], v2 offset0:93 offset1:94
	s_waitcnt lgkmcnt(3)
	v_fmac_f32_e32 v3, v129, v113
	s_delay_alu instid0(VALU_DEP_1) | instskip(SKIP_1) | instid1(VALU_DEP_1)
	v_fmac_f32_e32 v3, v130, v114
	s_waitcnt lgkmcnt(2)
	v_fmac_f32_e32 v3, v131, v115
	s_waitcnt vmcnt(3)
	s_delay_alu instid0(VALU_DEP_1) | instskip(SKIP_4) | instid1(VALU_DEP_1)
	v_fmac_f32_e32 v3, v132, v116
	ds_load_2addr_b32 v[113:114], v2 offset0:95 offset1:96
	ds_load_2addr_b32 v[115:116], v2 offset0:97 offset1:98
	s_waitcnt lgkmcnt(3)
	v_fmac_f32_e32 v3, v133, v109
	v_fmac_f32_e32 v3, v134, v110
	ds_load_2addr_b32 v[109:110], v2 offset0:99 offset1:100
	s_waitcnt lgkmcnt(3)
	v_fmac_f32_e32 v3, v135, v111
	s_waitcnt vmcnt(2)
	s_delay_alu instid0(VALU_DEP_1)
	v_fmac_f32_e32 v3, v136, v112
	ds_load_2addr_b32 v[111:112], v2 offset0:101 offset1:102
	s_waitcnt lgkmcnt(3)
	v_fmac_f32_e32 v3, v137, v113
	ds_load_b32 v113, v2 offset:412
	v_fmac_f32_e32 v3, v138, v114
	s_waitcnt lgkmcnt(3)
	s_delay_alu instid0(VALU_DEP_1) | instskip(SKIP_1) | instid1(VALU_DEP_1)
	v_fmac_f32_e32 v3, v139, v115
	s_waitcnt vmcnt(1)
	v_fmac_f32_e32 v3, v140, v116
	s_waitcnt lgkmcnt(2)
	s_delay_alu instid0(VALU_DEP_1) | instskip(NEXT) | instid1(VALU_DEP_1)
	v_fmac_f32_e32 v3, v141, v109
	v_fmac_f32_e32 v3, v142, v110
	s_waitcnt lgkmcnt(1)
	s_delay_alu instid0(VALU_DEP_1) | instskip(SKIP_1) | instid1(VALU_DEP_1)
	v_fmac_f32_e32 v3, v143, v111
	s_waitcnt vmcnt(0)
	v_fmac_f32_e32 v3, v144, v112
	s_waitcnt lgkmcnt(0)
	s_delay_alu instid0(VALU_DEP_1) | instskip(NEXT) | instid1(VALU_DEP_1)
	v_fmac_f32_e32 v3, v145, v113
	v_sub_f32_e32 v3, v108, v3
	scratch_store_b32 off, v3, off offset:56
	v_cmpx_lt_u32_e32 13, v0
	s_cbranch_execz .LBB115_293
; %bb.292:
	scratch_load_b32 v3, off, off offset:52
	scratch_store_b32 off, v2, off offset:52
	s_waitcnt vmcnt(0)
	ds_store_b32 v1, v3
.LBB115_293:
	s_or_b32 exec_lo, exec_lo, s0
	s_waitcnt lgkmcnt(0)
	s_waitcnt_vscnt null, 0x0
	s_barrier
	buffer_gl0_inv
	s_clause 0x9
	scratch_load_b128 v[108:111], off, off offset:52
	scratch_load_b128 v[112:115], off, off offset:68
	;; [unrolled: 1-line block ×9, first 2 shown]
	scratch_load_b96 v[152:154], off, off offset:196
	ds_load_2addr_b64 v[144:147], v2 offset0:33 offset1:34
	ds_load_2addr_b64 v[148:151], v2 offset0:35 offset1:36
	s_mov_b32 s0, exec_lo
	s_waitcnt vmcnt(9) lgkmcnt(1)
	v_fma_f32 v144, v109, v144, 0
	s_delay_alu instid0(VALU_DEP_1) | instskip(NEXT) | instid1(VALU_DEP_1)
	v_fmac_f32_e32 v144, v110, v145
	v_fmac_f32_e32 v144, v111, v146
	s_waitcnt vmcnt(8)
	s_delay_alu instid0(VALU_DEP_1) | instskip(SKIP_3) | instid1(VALU_DEP_1)
	v_fmac_f32_e32 v144, v112, v147
	ds_load_2addr_b64 v[109:112], v2 offset0:37 offset1:38
	s_waitcnt lgkmcnt(1)
	v_fmac_f32_e32 v144, v113, v148
	v_fmac_f32_e32 v144, v114, v149
	s_delay_alu instid0(VALU_DEP_1) | instskip(SKIP_1) | instid1(VALU_DEP_1)
	v_fmac_f32_e32 v144, v115, v150
	s_waitcnt vmcnt(7)
	v_fmac_f32_e32 v144, v116, v151
	ds_load_2addr_b64 v[113:116], v2 offset0:39 offset1:40
	s_waitcnt lgkmcnt(1)
	v_fmac_f32_e32 v144, v117, v109
	s_delay_alu instid0(VALU_DEP_1) | instskip(NEXT) | instid1(VALU_DEP_1)
	v_fmac_f32_e32 v144, v118, v110
	v_fmac_f32_e32 v144, v119, v111
	s_waitcnt vmcnt(6)
	s_delay_alu instid0(VALU_DEP_1) | instskip(SKIP_3) | instid1(VALU_DEP_1)
	v_fmac_f32_e32 v144, v120, v112
	ds_load_2addr_b64 v[109:112], v2 offset0:41 offset1:42
	s_waitcnt lgkmcnt(1)
	v_fmac_f32_e32 v144, v121, v113
	v_fmac_f32_e32 v144, v122, v114
	s_delay_alu instid0(VALU_DEP_1) | instskip(SKIP_1) | instid1(VALU_DEP_1)
	v_fmac_f32_e32 v144, v123, v115
	s_waitcnt vmcnt(5)
	v_fmac_f32_e32 v144, v124, v116
	ds_load_2addr_b64 v[113:116], v2 offset0:43 offset1:44
	s_waitcnt lgkmcnt(1)
	v_fmac_f32_e32 v144, v125, v109
	;; [unrolled: 17-line block ×3, first 2 shown]
	s_delay_alu instid0(VALU_DEP_1) | instskip(NEXT) | instid1(VALU_DEP_1)
	v_fmac_f32_e32 v144, v134, v110
	v_fmac_f32_e32 v144, v135, v111
	s_waitcnt vmcnt(2)
	s_delay_alu instid0(VALU_DEP_1) | instskip(SKIP_4) | instid1(VALU_DEP_1)
	v_fmac_f32_e32 v144, v136, v112
	ds_load_2addr_b64 v[109:112], v2 offset0:49 offset1:50
	ds_load_b64 v[2:3], v2 offset:408
	s_waitcnt lgkmcnt(2)
	v_fmac_f32_e32 v144, v137, v113
	v_fmac_f32_e32 v144, v138, v114
	s_delay_alu instid0(VALU_DEP_1) | instskip(SKIP_1) | instid1(VALU_DEP_1)
	v_fmac_f32_e32 v144, v139, v115
	s_waitcnt vmcnt(1)
	v_fmac_f32_e32 v144, v140, v116
	s_waitcnt lgkmcnt(1)
	s_delay_alu instid0(VALU_DEP_1) | instskip(NEXT) | instid1(VALU_DEP_1)
	v_fmac_f32_e32 v144, v141, v109
	v_fmac_f32_e32 v144, v142, v110
	s_delay_alu instid0(VALU_DEP_1) | instskip(SKIP_1) | instid1(VALU_DEP_1)
	v_fmac_f32_e32 v144, v143, v111
	s_waitcnt vmcnt(0)
	v_fmac_f32_e32 v144, v152, v112
	s_waitcnt lgkmcnt(0)
	s_delay_alu instid0(VALU_DEP_1) | instskip(NEXT) | instid1(VALU_DEP_1)
	v_fmac_f32_e32 v144, v153, v2
	v_fmac_f32_e32 v144, v154, v3
	s_delay_alu instid0(VALU_DEP_1)
	v_sub_f32_e32 v2, v108, v144
	scratch_store_b32 off, v2, off offset:52
	v_cmpx_lt_u32_e32 12, v0
	s_cbranch_execz .LBB115_295
; %bb.294:
	scratch_load_b32 v2, off, off offset:48
	v_mov_b32_e32 v3, 0
	scratch_store_b32 off, v3, off offset:48
	s_waitcnt vmcnt(0)
	ds_store_b32 v1, v2
.LBB115_295:
	s_or_b32 exec_lo, exec_lo, s0
	s_waitcnt lgkmcnt(0)
	s_waitcnt_vscnt null, 0x0
	s_barrier
	buffer_gl0_inv
	s_clause 0x9
	scratch_load_b128 v[108:111], off, off offset:48
	scratch_load_b128 v[112:115], off, off offset:64
	;; [unrolled: 1-line block ×10, first 2 shown]
	v_mov_b32_e32 v2, 0
	ds_load_2addr_b32 v[148:149], v2 offset0:65 offset1:66
	ds_load_2addr_b32 v[150:151], v2 offset0:67 offset1:68
	;; [unrolled: 1-line block ×4, first 2 shown]
	s_mov_b32 s0, exec_lo
	s_waitcnt vmcnt(9) lgkmcnt(3)
	v_fma_f32 v3, v109, v148, 0
	s_delay_alu instid0(VALU_DEP_1) | instskip(SKIP_4) | instid1(VALU_DEP_1)
	v_fmac_f32_e32 v3, v110, v149
	ds_load_2addr_b32 v[109:110], v2 offset0:73 offset1:74
	s_waitcnt lgkmcnt(3)
	v_fmac_f32_e32 v3, v111, v150
	s_waitcnt vmcnt(8)
	v_fmac_f32_e32 v3, v112, v151
	ds_load_2addr_b32 v[111:112], v2 offset0:75 offset1:76
	s_waitcnt lgkmcnt(3)
	v_fmac_f32_e32 v3, v113, v152
	s_delay_alu instid0(VALU_DEP_1) | instskip(SKIP_1) | instid1(VALU_DEP_1)
	v_fmac_f32_e32 v3, v114, v153
	s_waitcnt lgkmcnt(2)
	v_fmac_f32_e32 v3, v115, v154
	s_waitcnt vmcnt(7)
	s_delay_alu instid0(VALU_DEP_1) | instskip(SKIP_4) | instid1(VALU_DEP_1)
	v_fmac_f32_e32 v3, v116, v155
	ds_load_2addr_b32 v[113:114], v2 offset0:77 offset1:78
	ds_load_2addr_b32 v[115:116], v2 offset0:79 offset1:80
	s_waitcnt lgkmcnt(3)
	v_fmac_f32_e32 v3, v117, v109
	v_fmac_f32_e32 v3, v118, v110
	ds_load_2addr_b32 v[109:110], v2 offset0:81 offset1:82
	s_waitcnt lgkmcnt(3)
	v_fmac_f32_e32 v3, v119, v111
	s_waitcnt vmcnt(6)
	s_delay_alu instid0(VALU_DEP_1) | instskip(SKIP_3) | instid1(VALU_DEP_1)
	v_fmac_f32_e32 v3, v120, v112
	ds_load_2addr_b32 v[111:112], v2 offset0:83 offset1:84
	s_waitcnt lgkmcnt(3)
	v_fmac_f32_e32 v3, v121, v113
	v_fmac_f32_e32 v3, v122, v114
	s_waitcnt lgkmcnt(2)
	s_delay_alu instid0(VALU_DEP_1) | instskip(SKIP_1) | instid1(VALU_DEP_1)
	v_fmac_f32_e32 v3, v123, v115
	s_waitcnt vmcnt(5)
	v_fmac_f32_e32 v3, v124, v116
	ds_load_2addr_b32 v[113:114], v2 offset0:85 offset1:86
	ds_load_2addr_b32 v[115:116], v2 offset0:87 offset1:88
	s_waitcnt lgkmcnt(3)
	v_fmac_f32_e32 v3, v125, v109
	s_delay_alu instid0(VALU_DEP_1) | instskip(SKIP_4) | instid1(VALU_DEP_1)
	v_fmac_f32_e32 v3, v126, v110
	ds_load_2addr_b32 v[109:110], v2 offset0:89 offset1:90
	s_waitcnt lgkmcnt(3)
	v_fmac_f32_e32 v3, v127, v111
	s_waitcnt vmcnt(4)
	v_fmac_f32_e32 v3, v128, v112
	ds_load_2addr_b32 v[111:112], v2 offset0:91 offset1:92
	s_waitcnt lgkmcnt(3)
	v_fmac_f32_e32 v3, v129, v113
	s_delay_alu instid0(VALU_DEP_1) | instskip(SKIP_1) | instid1(VALU_DEP_1)
	v_fmac_f32_e32 v3, v130, v114
	s_waitcnt lgkmcnt(2)
	v_fmac_f32_e32 v3, v131, v115
	s_waitcnt vmcnt(3)
	s_delay_alu instid0(VALU_DEP_1) | instskip(SKIP_4) | instid1(VALU_DEP_1)
	v_fmac_f32_e32 v3, v132, v116
	ds_load_2addr_b32 v[113:114], v2 offset0:93 offset1:94
	ds_load_2addr_b32 v[115:116], v2 offset0:95 offset1:96
	s_waitcnt lgkmcnt(3)
	v_fmac_f32_e32 v3, v133, v109
	v_fmac_f32_e32 v3, v134, v110
	ds_load_2addr_b32 v[109:110], v2 offset0:97 offset1:98
	s_waitcnt lgkmcnt(3)
	v_fmac_f32_e32 v3, v135, v111
	s_waitcnt vmcnt(2)
	s_delay_alu instid0(VALU_DEP_1) | instskip(SKIP_3) | instid1(VALU_DEP_1)
	v_fmac_f32_e32 v3, v136, v112
	ds_load_2addr_b32 v[111:112], v2 offset0:99 offset1:100
	s_waitcnt lgkmcnt(3)
	v_fmac_f32_e32 v3, v137, v113
	v_fmac_f32_e32 v3, v138, v114
	s_waitcnt lgkmcnt(2)
	s_delay_alu instid0(VALU_DEP_1)
	v_fmac_f32_e32 v3, v139, v115
	ds_load_2addr_b32 v[113:114], v2 offset0:101 offset1:102
	ds_load_b32 v115, v2 offset:412
	s_waitcnt vmcnt(1)
	v_fmac_f32_e32 v3, v140, v116
	s_waitcnt lgkmcnt(3)
	s_delay_alu instid0(VALU_DEP_1) | instskip(NEXT) | instid1(VALU_DEP_1)
	v_fmac_f32_e32 v3, v141, v109
	v_fmac_f32_e32 v3, v142, v110
	s_waitcnt lgkmcnt(2)
	s_delay_alu instid0(VALU_DEP_1) | instskip(SKIP_1) | instid1(VALU_DEP_1)
	v_fmac_f32_e32 v3, v143, v111
	s_waitcnt vmcnt(0)
	v_fmac_f32_e32 v3, v144, v112
	s_waitcnt lgkmcnt(1)
	s_delay_alu instid0(VALU_DEP_1) | instskip(NEXT) | instid1(VALU_DEP_1)
	v_fmac_f32_e32 v3, v145, v113
	v_fmac_f32_e32 v3, v146, v114
	s_waitcnt lgkmcnt(0)
	s_delay_alu instid0(VALU_DEP_1) | instskip(NEXT) | instid1(VALU_DEP_1)
	v_fmac_f32_e32 v3, v147, v115
	v_sub_f32_e32 v3, v108, v3
	scratch_store_b32 off, v3, off offset:48
	v_cmpx_lt_u32_e32 11, v0
	s_cbranch_execz .LBB115_297
; %bb.296:
	scratch_load_b32 v3, off, off offset:44
	scratch_store_b32 off, v2, off offset:44
	s_waitcnt vmcnt(0)
	ds_store_b32 v1, v3
.LBB115_297:
	s_or_b32 exec_lo, exec_lo, s0
	s_waitcnt lgkmcnt(0)
	s_waitcnt_vscnt null, 0x0
	s_barrier
	buffer_gl0_inv
	s_clause 0xa
	scratch_load_b128 v[108:111], off, off offset:44
	scratch_load_b128 v[112:115], off, off offset:60
	;; [unrolled: 1-line block ×10, first 2 shown]
	scratch_load_b32 v3, off, off offset:204
	ds_load_b128 v[148:151], v2 offset:256
	ds_load_b128 v[152:155], v2 offset:272
	s_mov_b32 s0, exec_lo
	s_waitcnt vmcnt(10) lgkmcnt(1)
	v_fma_f32 v148, v109, v148, 0
	s_delay_alu instid0(VALU_DEP_1) | instskip(NEXT) | instid1(VALU_DEP_1)
	v_fmac_f32_e32 v148, v110, v149
	v_fmac_f32_e32 v148, v111, v150
	s_waitcnt vmcnt(9)
	s_delay_alu instid0(VALU_DEP_1) | instskip(SKIP_3) | instid1(VALU_DEP_1)
	v_fmac_f32_e32 v148, v112, v151
	ds_load_b128 v[109:112], v2 offset:288
	s_waitcnt lgkmcnt(1)
	v_fmac_f32_e32 v148, v113, v152
	v_fmac_f32_e32 v148, v114, v153
	s_delay_alu instid0(VALU_DEP_1) | instskip(SKIP_1) | instid1(VALU_DEP_1)
	v_fmac_f32_e32 v148, v115, v154
	s_waitcnt vmcnt(8)
	v_fmac_f32_e32 v148, v116, v155
	ds_load_b128 v[113:116], v2 offset:304
	s_waitcnt lgkmcnt(1)
	v_fmac_f32_e32 v148, v117, v109
	s_delay_alu instid0(VALU_DEP_1) | instskip(NEXT) | instid1(VALU_DEP_1)
	v_fmac_f32_e32 v148, v118, v110
	v_fmac_f32_e32 v148, v119, v111
	s_waitcnt vmcnt(7)
	s_delay_alu instid0(VALU_DEP_1) | instskip(SKIP_3) | instid1(VALU_DEP_1)
	v_fmac_f32_e32 v148, v120, v112
	ds_load_b128 v[109:112], v2 offset:320
	s_waitcnt lgkmcnt(1)
	v_fmac_f32_e32 v148, v121, v113
	v_fmac_f32_e32 v148, v122, v114
	s_delay_alu instid0(VALU_DEP_1) | instskip(SKIP_1) | instid1(VALU_DEP_1)
	v_fmac_f32_e32 v148, v123, v115
	s_waitcnt vmcnt(6)
	v_fmac_f32_e32 v148, v124, v116
	ds_load_b128 v[113:116], v2 offset:336
	s_waitcnt lgkmcnt(1)
	v_fmac_f32_e32 v148, v125, v109
	;; [unrolled: 17-line block ×4, first 2 shown]
	s_delay_alu instid0(VALU_DEP_1) | instskip(NEXT) | instid1(VALU_DEP_1)
	v_fmac_f32_e32 v148, v142, v110
	v_fmac_f32_e32 v148, v143, v111
	s_waitcnt vmcnt(1)
	s_delay_alu instid0(VALU_DEP_1) | instskip(SKIP_1) | instid1(VALU_DEP_1)
	v_fmac_f32_e32 v148, v144, v112
	s_waitcnt lgkmcnt(0)
	v_fmac_f32_e32 v148, v145, v113
	s_delay_alu instid0(VALU_DEP_1) | instskip(NEXT) | instid1(VALU_DEP_1)
	v_fmac_f32_e32 v148, v146, v114
	v_fmac_f32_e32 v148, v147, v115
	s_waitcnt vmcnt(0)
	s_delay_alu instid0(VALU_DEP_1) | instskip(NEXT) | instid1(VALU_DEP_1)
	v_fmac_f32_e32 v148, v3, v116
	v_sub_f32_e32 v2, v108, v148
	scratch_store_b32 off, v2, off offset:44
	v_cmpx_lt_u32_e32 10, v0
	s_cbranch_execz .LBB115_299
; %bb.298:
	scratch_load_b32 v2, off, off offset:40
	v_mov_b32_e32 v3, 0
	scratch_store_b32 off, v3, off offset:40
	s_waitcnt vmcnt(0)
	ds_store_b32 v1, v2
.LBB115_299:
	s_or_b32 exec_lo, exec_lo, s0
	s_waitcnt lgkmcnt(0)
	s_waitcnt_vscnt null, 0x0
	s_barrier
	buffer_gl0_inv
	s_clause 0xa
	scratch_load_b128 v[108:111], off, off offset:40
	scratch_load_b128 v[112:115], off, off offset:56
	;; [unrolled: 1-line block ×10, first 2 shown]
	scratch_load_b64 v[148:149], off, off offset:200
	v_mov_b32_e32 v2, 0
	ds_load_2addr_b32 v[150:151], v2 offset0:63 offset1:64
	ds_load_2addr_b32 v[152:153], v2 offset0:65 offset1:66
	;; [unrolled: 1-line block ×4, first 2 shown]
	s_mov_b32 s0, exec_lo
	s_waitcnt vmcnt(10) lgkmcnt(3)
	v_fma_f32 v3, v109, v150, 0
	s_delay_alu instid0(VALU_DEP_1) | instskip(SKIP_4) | instid1(VALU_DEP_1)
	v_fmac_f32_e32 v3, v110, v151
	ds_load_2addr_b32 v[109:110], v2 offset0:71 offset1:72
	s_waitcnt lgkmcnt(3)
	v_fmac_f32_e32 v3, v111, v152
	s_waitcnt vmcnt(9)
	v_fmac_f32_e32 v3, v112, v153
	ds_load_2addr_b32 v[111:112], v2 offset0:73 offset1:74
	s_waitcnt lgkmcnt(3)
	v_fmac_f32_e32 v3, v113, v154
	s_delay_alu instid0(VALU_DEP_1) | instskip(SKIP_1) | instid1(VALU_DEP_1)
	v_fmac_f32_e32 v3, v114, v155
	s_waitcnt lgkmcnt(2)
	v_fmac_f32_e32 v3, v115, v156
	s_waitcnt vmcnt(8)
	s_delay_alu instid0(VALU_DEP_1) | instskip(SKIP_4) | instid1(VALU_DEP_1)
	v_fmac_f32_e32 v3, v116, v157
	ds_load_2addr_b32 v[113:114], v2 offset0:75 offset1:76
	ds_load_2addr_b32 v[115:116], v2 offset0:77 offset1:78
	s_waitcnt lgkmcnt(3)
	v_fmac_f32_e32 v3, v117, v109
	v_fmac_f32_e32 v3, v118, v110
	ds_load_2addr_b32 v[109:110], v2 offset0:79 offset1:80
	s_waitcnt lgkmcnt(3)
	v_fmac_f32_e32 v3, v119, v111
	s_waitcnt vmcnt(7)
	s_delay_alu instid0(VALU_DEP_1) | instskip(SKIP_3) | instid1(VALU_DEP_1)
	v_fmac_f32_e32 v3, v120, v112
	ds_load_2addr_b32 v[111:112], v2 offset0:81 offset1:82
	s_waitcnt lgkmcnt(3)
	v_fmac_f32_e32 v3, v121, v113
	v_fmac_f32_e32 v3, v122, v114
	s_waitcnt lgkmcnt(2)
	s_delay_alu instid0(VALU_DEP_1) | instskip(SKIP_1) | instid1(VALU_DEP_1)
	v_fmac_f32_e32 v3, v123, v115
	s_waitcnt vmcnt(6)
	v_fmac_f32_e32 v3, v124, v116
	ds_load_2addr_b32 v[113:114], v2 offset0:83 offset1:84
	ds_load_2addr_b32 v[115:116], v2 offset0:85 offset1:86
	s_waitcnt lgkmcnt(3)
	v_fmac_f32_e32 v3, v125, v109
	s_delay_alu instid0(VALU_DEP_1) | instskip(SKIP_4) | instid1(VALU_DEP_1)
	v_fmac_f32_e32 v3, v126, v110
	ds_load_2addr_b32 v[109:110], v2 offset0:87 offset1:88
	s_waitcnt lgkmcnt(3)
	v_fmac_f32_e32 v3, v127, v111
	s_waitcnt vmcnt(5)
	v_fmac_f32_e32 v3, v128, v112
	ds_load_2addr_b32 v[111:112], v2 offset0:89 offset1:90
	s_waitcnt lgkmcnt(3)
	v_fmac_f32_e32 v3, v129, v113
	s_delay_alu instid0(VALU_DEP_1) | instskip(SKIP_1) | instid1(VALU_DEP_1)
	v_fmac_f32_e32 v3, v130, v114
	s_waitcnt lgkmcnt(2)
	v_fmac_f32_e32 v3, v131, v115
	s_waitcnt vmcnt(4)
	s_delay_alu instid0(VALU_DEP_1) | instskip(SKIP_4) | instid1(VALU_DEP_1)
	v_fmac_f32_e32 v3, v132, v116
	ds_load_2addr_b32 v[113:114], v2 offset0:91 offset1:92
	ds_load_2addr_b32 v[115:116], v2 offset0:93 offset1:94
	s_waitcnt lgkmcnt(3)
	v_fmac_f32_e32 v3, v133, v109
	v_fmac_f32_e32 v3, v134, v110
	ds_load_2addr_b32 v[109:110], v2 offset0:95 offset1:96
	s_waitcnt lgkmcnt(3)
	v_fmac_f32_e32 v3, v135, v111
	s_waitcnt vmcnt(3)
	s_delay_alu instid0(VALU_DEP_1) | instskip(SKIP_3) | instid1(VALU_DEP_1)
	v_fmac_f32_e32 v3, v136, v112
	ds_load_2addr_b32 v[111:112], v2 offset0:97 offset1:98
	s_waitcnt lgkmcnt(3)
	v_fmac_f32_e32 v3, v137, v113
	v_fmac_f32_e32 v3, v138, v114
	s_waitcnt lgkmcnt(2)
	s_delay_alu instid0(VALU_DEP_1) | instskip(SKIP_1) | instid1(VALU_DEP_1)
	v_fmac_f32_e32 v3, v139, v115
	s_waitcnt vmcnt(2)
	v_fmac_f32_e32 v3, v140, v116
	ds_load_2addr_b32 v[113:114], v2 offset0:99 offset1:100
	ds_load_2addr_b32 v[115:116], v2 offset0:101 offset1:102
	s_waitcnt lgkmcnt(3)
	v_fmac_f32_e32 v3, v141, v109
	ds_load_b32 v109, v2 offset:412
	v_fmac_f32_e32 v3, v142, v110
	s_waitcnt lgkmcnt(3)
	s_delay_alu instid0(VALU_DEP_1) | instskip(SKIP_1) | instid1(VALU_DEP_1)
	v_fmac_f32_e32 v3, v143, v111
	s_waitcnt vmcnt(1)
	v_fmac_f32_e32 v3, v144, v112
	s_waitcnt lgkmcnt(2)
	s_delay_alu instid0(VALU_DEP_1) | instskip(NEXT) | instid1(VALU_DEP_1)
	v_fmac_f32_e32 v3, v145, v113
	v_fmac_f32_e32 v3, v146, v114
	s_waitcnt lgkmcnt(1)
	s_delay_alu instid0(VALU_DEP_1) | instskip(SKIP_1) | instid1(VALU_DEP_1)
	v_fmac_f32_e32 v3, v147, v115
	s_waitcnt vmcnt(0)
	v_fmac_f32_e32 v3, v148, v116
	s_waitcnt lgkmcnt(0)
	s_delay_alu instid0(VALU_DEP_1) | instskip(NEXT) | instid1(VALU_DEP_1)
	v_fmac_f32_e32 v3, v149, v109
	v_sub_f32_e32 v3, v108, v3
	scratch_store_b32 off, v3, off offset:40
	v_cmpx_lt_u32_e32 9, v0
	s_cbranch_execz .LBB115_301
; %bb.300:
	scratch_load_b32 v3, off, off offset:36
	scratch_store_b32 off, v2, off offset:36
	s_waitcnt vmcnt(0)
	ds_store_b32 v1, v3
.LBB115_301:
	s_or_b32 exec_lo, exec_lo, s0
	s_waitcnt lgkmcnt(0)
	s_waitcnt_vscnt null, 0x0
	s_barrier
	buffer_gl0_inv
	s_clause 0xa
	scratch_load_b128 v[108:111], off, off offset:36
	scratch_load_b128 v[112:115], off, off offset:52
	scratch_load_b128 v[116:119], off, off offset:68
	scratch_load_b128 v[120:123], off, off offset:84
	scratch_load_b128 v[124:127], off, off offset:100
	scratch_load_b128 v[128:131], off, off offset:116
	scratch_load_b128 v[132:135], off, off offset:132
	scratch_load_b128 v[136:139], off, off offset:148
	scratch_load_b128 v[140:143], off, off offset:164
	scratch_load_b128 v[144:147], off, off offset:180
	scratch_load_b96 v[156:158], off, off offset:196
	ds_load_2addr_b64 v[148:151], v2 offset0:31 offset1:32
	ds_load_2addr_b64 v[152:155], v2 offset0:33 offset1:34
	s_mov_b32 s0, exec_lo
	s_waitcnt vmcnt(10) lgkmcnt(1)
	v_fma_f32 v148, v109, v148, 0
	s_delay_alu instid0(VALU_DEP_1) | instskip(NEXT) | instid1(VALU_DEP_1)
	v_fmac_f32_e32 v148, v110, v149
	v_fmac_f32_e32 v148, v111, v150
	s_waitcnt vmcnt(9)
	s_delay_alu instid0(VALU_DEP_1) | instskip(SKIP_3) | instid1(VALU_DEP_1)
	v_fmac_f32_e32 v148, v112, v151
	ds_load_2addr_b64 v[109:112], v2 offset0:35 offset1:36
	s_waitcnt lgkmcnt(1)
	v_fmac_f32_e32 v148, v113, v152
	v_fmac_f32_e32 v148, v114, v153
	s_delay_alu instid0(VALU_DEP_1) | instskip(SKIP_1) | instid1(VALU_DEP_1)
	v_fmac_f32_e32 v148, v115, v154
	s_waitcnt vmcnt(8)
	v_fmac_f32_e32 v148, v116, v155
	ds_load_2addr_b64 v[113:116], v2 offset0:37 offset1:38
	s_waitcnt lgkmcnt(1)
	v_fmac_f32_e32 v148, v117, v109
	s_delay_alu instid0(VALU_DEP_1) | instskip(NEXT) | instid1(VALU_DEP_1)
	v_fmac_f32_e32 v148, v118, v110
	v_fmac_f32_e32 v148, v119, v111
	s_waitcnt vmcnt(7)
	s_delay_alu instid0(VALU_DEP_1) | instskip(SKIP_3) | instid1(VALU_DEP_1)
	v_fmac_f32_e32 v148, v120, v112
	ds_load_2addr_b64 v[109:112], v2 offset0:39 offset1:40
	s_waitcnt lgkmcnt(1)
	v_fmac_f32_e32 v148, v121, v113
	v_fmac_f32_e32 v148, v122, v114
	s_delay_alu instid0(VALU_DEP_1) | instskip(SKIP_1) | instid1(VALU_DEP_1)
	v_fmac_f32_e32 v148, v123, v115
	s_waitcnt vmcnt(6)
	v_fmac_f32_e32 v148, v124, v116
	ds_load_2addr_b64 v[113:116], v2 offset0:41 offset1:42
	s_waitcnt lgkmcnt(1)
	v_fmac_f32_e32 v148, v125, v109
	;; [unrolled: 17-line block ×3, first 2 shown]
	s_delay_alu instid0(VALU_DEP_1) | instskip(NEXT) | instid1(VALU_DEP_1)
	v_fmac_f32_e32 v148, v134, v110
	v_fmac_f32_e32 v148, v135, v111
	s_waitcnt vmcnt(3)
	s_delay_alu instid0(VALU_DEP_1) | instskip(SKIP_3) | instid1(VALU_DEP_1)
	v_fmac_f32_e32 v148, v136, v112
	ds_load_2addr_b64 v[109:112], v2 offset0:47 offset1:48
	s_waitcnt lgkmcnt(1)
	v_fmac_f32_e32 v148, v137, v113
	v_fmac_f32_e32 v148, v138, v114
	s_delay_alu instid0(VALU_DEP_1) | instskip(SKIP_1) | instid1(VALU_DEP_1)
	v_fmac_f32_e32 v148, v139, v115
	s_waitcnt vmcnt(2)
	v_fmac_f32_e32 v148, v140, v116
	ds_load_2addr_b64 v[113:116], v2 offset0:49 offset1:50
	ds_load_b64 v[2:3], v2 offset:408
	s_waitcnt lgkmcnt(2)
	v_fmac_f32_e32 v148, v141, v109
	s_delay_alu instid0(VALU_DEP_1) | instskip(NEXT) | instid1(VALU_DEP_1)
	v_fmac_f32_e32 v148, v142, v110
	v_fmac_f32_e32 v148, v143, v111
	s_waitcnt vmcnt(1)
	s_delay_alu instid0(VALU_DEP_1) | instskip(SKIP_1) | instid1(VALU_DEP_1)
	v_fmac_f32_e32 v148, v144, v112
	s_waitcnt lgkmcnt(1)
	v_fmac_f32_e32 v148, v145, v113
	s_delay_alu instid0(VALU_DEP_1) | instskip(NEXT) | instid1(VALU_DEP_1)
	v_fmac_f32_e32 v148, v146, v114
	v_fmac_f32_e32 v148, v147, v115
	s_waitcnt vmcnt(0)
	s_delay_alu instid0(VALU_DEP_1) | instskip(SKIP_1) | instid1(VALU_DEP_1)
	v_fmac_f32_e32 v148, v156, v116
	s_waitcnt lgkmcnt(0)
	v_fmac_f32_e32 v148, v157, v2
	s_delay_alu instid0(VALU_DEP_1) | instskip(NEXT) | instid1(VALU_DEP_1)
	v_fmac_f32_e32 v148, v158, v3
	v_sub_f32_e32 v2, v108, v148
	scratch_store_b32 off, v2, off offset:36
	v_cmpx_lt_u32_e32 8, v0
	s_cbranch_execz .LBB115_303
; %bb.302:
	scratch_load_b32 v2, off, off offset:32
	v_mov_b32_e32 v3, 0
	scratch_store_b32 off, v3, off offset:32
	s_waitcnt vmcnt(0)
	ds_store_b32 v1, v2
.LBB115_303:
	s_or_b32 exec_lo, exec_lo, s0
	s_waitcnt lgkmcnt(0)
	s_waitcnt_vscnt null, 0x0
	s_barrier
	buffer_gl0_inv
	s_clause 0xa
	scratch_load_b128 v[108:111], off, off offset:32
	scratch_load_b128 v[112:115], off, off offset:48
	;; [unrolled: 1-line block ×11, first 2 shown]
	v_mov_b32_e32 v2, 0
	ds_load_2addr_b32 v[152:153], v2 offset0:61 offset1:62
	ds_load_2addr_b32 v[154:155], v2 offset0:63 offset1:64
	;; [unrolled: 1-line block ×4, first 2 shown]
	s_mov_b32 s0, exec_lo
	s_waitcnt vmcnt(10) lgkmcnt(3)
	v_fma_f32 v3, v109, v152, 0
	s_delay_alu instid0(VALU_DEP_1) | instskip(SKIP_4) | instid1(VALU_DEP_1)
	v_fmac_f32_e32 v3, v110, v153
	ds_load_2addr_b32 v[109:110], v2 offset0:69 offset1:70
	s_waitcnt lgkmcnt(3)
	v_fmac_f32_e32 v3, v111, v154
	s_waitcnt vmcnt(9)
	v_fmac_f32_e32 v3, v112, v155
	ds_load_2addr_b32 v[111:112], v2 offset0:71 offset1:72
	s_waitcnt lgkmcnt(3)
	v_fmac_f32_e32 v3, v113, v156
	s_delay_alu instid0(VALU_DEP_1) | instskip(SKIP_1) | instid1(VALU_DEP_1)
	v_fmac_f32_e32 v3, v114, v157
	s_waitcnt lgkmcnt(2)
	v_fmac_f32_e32 v3, v115, v158
	s_waitcnt vmcnt(8)
	s_delay_alu instid0(VALU_DEP_1) | instskip(SKIP_4) | instid1(VALU_DEP_1)
	v_fmac_f32_e32 v3, v116, v159
	ds_load_2addr_b32 v[113:114], v2 offset0:73 offset1:74
	ds_load_2addr_b32 v[115:116], v2 offset0:75 offset1:76
	s_waitcnt lgkmcnt(3)
	v_fmac_f32_e32 v3, v117, v109
	v_fmac_f32_e32 v3, v118, v110
	ds_load_2addr_b32 v[109:110], v2 offset0:77 offset1:78
	s_waitcnt lgkmcnt(3)
	v_fmac_f32_e32 v3, v119, v111
	s_waitcnt vmcnt(7)
	s_delay_alu instid0(VALU_DEP_1) | instskip(SKIP_3) | instid1(VALU_DEP_1)
	v_fmac_f32_e32 v3, v120, v112
	ds_load_2addr_b32 v[111:112], v2 offset0:79 offset1:80
	s_waitcnt lgkmcnt(3)
	v_fmac_f32_e32 v3, v121, v113
	v_fmac_f32_e32 v3, v122, v114
	s_waitcnt lgkmcnt(2)
	s_delay_alu instid0(VALU_DEP_1) | instskip(SKIP_1) | instid1(VALU_DEP_1)
	v_fmac_f32_e32 v3, v123, v115
	s_waitcnt vmcnt(6)
	v_fmac_f32_e32 v3, v124, v116
	ds_load_2addr_b32 v[113:114], v2 offset0:81 offset1:82
	ds_load_2addr_b32 v[115:116], v2 offset0:83 offset1:84
	s_waitcnt lgkmcnt(3)
	v_fmac_f32_e32 v3, v125, v109
	s_delay_alu instid0(VALU_DEP_1) | instskip(SKIP_4) | instid1(VALU_DEP_1)
	v_fmac_f32_e32 v3, v126, v110
	ds_load_2addr_b32 v[109:110], v2 offset0:85 offset1:86
	s_waitcnt lgkmcnt(3)
	v_fmac_f32_e32 v3, v127, v111
	s_waitcnt vmcnt(5)
	v_fmac_f32_e32 v3, v128, v112
	ds_load_2addr_b32 v[111:112], v2 offset0:87 offset1:88
	s_waitcnt lgkmcnt(3)
	v_fmac_f32_e32 v3, v129, v113
	s_delay_alu instid0(VALU_DEP_1) | instskip(SKIP_1) | instid1(VALU_DEP_1)
	v_fmac_f32_e32 v3, v130, v114
	s_waitcnt lgkmcnt(2)
	v_fmac_f32_e32 v3, v131, v115
	s_waitcnt vmcnt(4)
	s_delay_alu instid0(VALU_DEP_1) | instskip(SKIP_4) | instid1(VALU_DEP_1)
	v_fmac_f32_e32 v3, v132, v116
	ds_load_2addr_b32 v[113:114], v2 offset0:89 offset1:90
	ds_load_2addr_b32 v[115:116], v2 offset0:91 offset1:92
	s_waitcnt lgkmcnt(3)
	v_fmac_f32_e32 v3, v133, v109
	v_fmac_f32_e32 v3, v134, v110
	ds_load_2addr_b32 v[109:110], v2 offset0:93 offset1:94
	s_waitcnt lgkmcnt(3)
	v_fmac_f32_e32 v3, v135, v111
	s_waitcnt vmcnt(3)
	s_delay_alu instid0(VALU_DEP_1) | instskip(SKIP_3) | instid1(VALU_DEP_1)
	v_fmac_f32_e32 v3, v136, v112
	ds_load_2addr_b32 v[111:112], v2 offset0:95 offset1:96
	s_waitcnt lgkmcnt(3)
	v_fmac_f32_e32 v3, v137, v113
	v_fmac_f32_e32 v3, v138, v114
	s_waitcnt lgkmcnt(2)
	s_delay_alu instid0(VALU_DEP_1) | instskip(SKIP_1) | instid1(VALU_DEP_1)
	v_fmac_f32_e32 v3, v139, v115
	s_waitcnt vmcnt(2)
	v_fmac_f32_e32 v3, v140, v116
	ds_load_2addr_b32 v[113:114], v2 offset0:97 offset1:98
	ds_load_2addr_b32 v[115:116], v2 offset0:99 offset1:100
	s_waitcnt lgkmcnt(3)
	v_fmac_f32_e32 v3, v141, v109
	s_delay_alu instid0(VALU_DEP_1)
	v_fmac_f32_e32 v3, v142, v110
	ds_load_2addr_b32 v[109:110], v2 offset0:101 offset1:102
	s_waitcnt lgkmcnt(3)
	v_fmac_f32_e32 v3, v143, v111
	ds_load_b32 v111, v2 offset:412
	s_waitcnt vmcnt(1)
	v_fmac_f32_e32 v3, v144, v112
	s_waitcnt lgkmcnt(3)
	s_delay_alu instid0(VALU_DEP_1) | instskip(NEXT) | instid1(VALU_DEP_1)
	v_fmac_f32_e32 v3, v145, v113
	v_fmac_f32_e32 v3, v146, v114
	s_waitcnt lgkmcnt(2)
	s_delay_alu instid0(VALU_DEP_1) | instskip(SKIP_1) | instid1(VALU_DEP_1)
	v_fmac_f32_e32 v3, v147, v115
	s_waitcnt vmcnt(0)
	v_fmac_f32_e32 v3, v148, v116
	s_waitcnt lgkmcnt(1)
	s_delay_alu instid0(VALU_DEP_1) | instskip(NEXT) | instid1(VALU_DEP_1)
	v_fmac_f32_e32 v3, v149, v109
	v_fmac_f32_e32 v3, v150, v110
	s_waitcnt lgkmcnt(0)
	s_delay_alu instid0(VALU_DEP_1) | instskip(NEXT) | instid1(VALU_DEP_1)
	v_fmac_f32_e32 v3, v151, v111
	v_sub_f32_e32 v3, v108, v3
	scratch_store_b32 off, v3, off offset:32
	v_cmpx_lt_u32_e32 7, v0
	s_cbranch_execz .LBB115_305
; %bb.304:
	scratch_load_b32 v3, off, off offset:28
	scratch_store_b32 off, v2, off offset:28
	s_waitcnt vmcnt(0)
	ds_store_b32 v1, v3
.LBB115_305:
	s_or_b32 exec_lo, exec_lo, s0
	s_waitcnt lgkmcnt(0)
	s_waitcnt_vscnt null, 0x0
	s_barrier
	buffer_gl0_inv
	s_clause 0xb
	scratch_load_b128 v[108:111], off, off offset:28
	scratch_load_b128 v[112:115], off, off offset:44
	;; [unrolled: 1-line block ×11, first 2 shown]
	scratch_load_b32 v3, off, off offset:204
	ds_load_b128 v[152:155], v2 offset:240
	ds_load_b128 v[156:159], v2 offset:256
	s_mov_b32 s0, exec_lo
	s_waitcnt vmcnt(11) lgkmcnt(1)
	v_fma_f32 v152, v109, v152, 0
	s_delay_alu instid0(VALU_DEP_1) | instskip(NEXT) | instid1(VALU_DEP_1)
	v_fmac_f32_e32 v152, v110, v153
	v_fmac_f32_e32 v152, v111, v154
	s_waitcnt vmcnt(10)
	s_delay_alu instid0(VALU_DEP_1) | instskip(SKIP_3) | instid1(VALU_DEP_1)
	v_fmac_f32_e32 v152, v112, v155
	ds_load_b128 v[109:112], v2 offset:272
	s_waitcnt lgkmcnt(1)
	v_fmac_f32_e32 v152, v113, v156
	v_fmac_f32_e32 v152, v114, v157
	s_delay_alu instid0(VALU_DEP_1) | instskip(SKIP_1) | instid1(VALU_DEP_1)
	v_fmac_f32_e32 v152, v115, v158
	s_waitcnt vmcnt(9)
	v_fmac_f32_e32 v152, v116, v159
	ds_load_b128 v[113:116], v2 offset:288
	s_waitcnt lgkmcnt(1)
	v_fmac_f32_e32 v152, v117, v109
	s_delay_alu instid0(VALU_DEP_1) | instskip(NEXT) | instid1(VALU_DEP_1)
	v_fmac_f32_e32 v152, v118, v110
	v_fmac_f32_e32 v152, v119, v111
	s_waitcnt vmcnt(8)
	s_delay_alu instid0(VALU_DEP_1) | instskip(SKIP_3) | instid1(VALU_DEP_1)
	v_fmac_f32_e32 v152, v120, v112
	ds_load_b128 v[109:112], v2 offset:304
	s_waitcnt lgkmcnt(1)
	v_fmac_f32_e32 v152, v121, v113
	v_fmac_f32_e32 v152, v122, v114
	s_delay_alu instid0(VALU_DEP_1) | instskip(SKIP_1) | instid1(VALU_DEP_1)
	v_fmac_f32_e32 v152, v123, v115
	s_waitcnt vmcnt(7)
	v_fmac_f32_e32 v152, v124, v116
	ds_load_b128 v[113:116], v2 offset:320
	s_waitcnt lgkmcnt(1)
	v_fmac_f32_e32 v152, v125, v109
	;; [unrolled: 17-line block ×4, first 2 shown]
	s_delay_alu instid0(VALU_DEP_1) | instskip(NEXT) | instid1(VALU_DEP_1)
	v_fmac_f32_e32 v152, v142, v110
	v_fmac_f32_e32 v152, v143, v111
	s_waitcnt vmcnt(2)
	s_delay_alu instid0(VALU_DEP_1) | instskip(SKIP_3) | instid1(VALU_DEP_1)
	v_fmac_f32_e32 v152, v144, v112
	ds_load_b128 v[109:112], v2 offset:400
	s_waitcnt lgkmcnt(1)
	v_fmac_f32_e32 v152, v145, v113
	v_fmac_f32_e32 v152, v146, v114
	s_delay_alu instid0(VALU_DEP_1) | instskip(SKIP_1) | instid1(VALU_DEP_1)
	v_fmac_f32_e32 v152, v147, v115
	s_waitcnt vmcnt(1)
	v_fmac_f32_e32 v152, v148, v116
	s_waitcnt lgkmcnt(0)
	s_delay_alu instid0(VALU_DEP_1) | instskip(NEXT) | instid1(VALU_DEP_1)
	v_fmac_f32_e32 v152, v149, v109
	v_fmac_f32_e32 v152, v150, v110
	s_delay_alu instid0(VALU_DEP_1) | instskip(SKIP_1) | instid1(VALU_DEP_1)
	v_fmac_f32_e32 v152, v151, v111
	s_waitcnt vmcnt(0)
	v_fmac_f32_e32 v152, v3, v112
	s_delay_alu instid0(VALU_DEP_1)
	v_sub_f32_e32 v2, v108, v152
	scratch_store_b32 off, v2, off offset:28
	v_cmpx_lt_u32_e32 6, v0
	s_cbranch_execz .LBB115_307
; %bb.306:
	scratch_load_b32 v2, off, off offset:24
	v_mov_b32_e32 v3, 0
	scratch_store_b32 off, v3, off offset:24
	s_waitcnt vmcnt(0)
	ds_store_b32 v1, v2
.LBB115_307:
	s_or_b32 exec_lo, exec_lo, s0
	s_waitcnt lgkmcnt(0)
	s_waitcnt_vscnt null, 0x0
	s_barrier
	buffer_gl0_inv
	s_clause 0xb
	scratch_load_b128 v[108:111], off, off offset:24
	scratch_load_b128 v[112:115], off, off offset:40
	;; [unrolled: 1-line block ×11, first 2 shown]
	scratch_load_b64 v[152:153], off, off offset:200
	v_mov_b32_e32 v2, 0
	ds_load_2addr_b32 v[154:155], v2 offset0:59 offset1:60
	ds_load_2addr_b32 v[156:157], v2 offset0:61 offset1:62
	;; [unrolled: 1-line block ×4, first 2 shown]
	s_mov_b32 s0, exec_lo
	s_waitcnt vmcnt(11) lgkmcnt(3)
	v_fma_f32 v3, v109, v154, 0
	s_delay_alu instid0(VALU_DEP_1) | instskip(SKIP_4) | instid1(VALU_DEP_1)
	v_fmac_f32_e32 v3, v110, v155
	ds_load_2addr_b32 v[109:110], v2 offset0:67 offset1:68
	s_waitcnt lgkmcnt(3)
	v_fmac_f32_e32 v3, v111, v156
	s_waitcnt vmcnt(10)
	v_fmac_f32_e32 v3, v112, v157
	ds_load_2addr_b32 v[111:112], v2 offset0:69 offset1:70
	s_waitcnt lgkmcnt(3)
	v_fmac_f32_e32 v3, v113, v158
	s_delay_alu instid0(VALU_DEP_1) | instskip(SKIP_1) | instid1(VALU_DEP_1)
	v_fmac_f32_e32 v3, v114, v159
	s_waitcnt lgkmcnt(2)
	v_fmac_f32_e32 v3, v115, v160
	s_waitcnt vmcnt(9)
	s_delay_alu instid0(VALU_DEP_1) | instskip(SKIP_4) | instid1(VALU_DEP_1)
	v_fmac_f32_e32 v3, v116, v161
	ds_load_2addr_b32 v[113:114], v2 offset0:71 offset1:72
	ds_load_2addr_b32 v[115:116], v2 offset0:73 offset1:74
	s_waitcnt lgkmcnt(3)
	v_fmac_f32_e32 v3, v117, v109
	v_fmac_f32_e32 v3, v118, v110
	ds_load_2addr_b32 v[109:110], v2 offset0:75 offset1:76
	s_waitcnt lgkmcnt(3)
	v_fmac_f32_e32 v3, v119, v111
	s_waitcnt vmcnt(8)
	s_delay_alu instid0(VALU_DEP_1) | instskip(SKIP_3) | instid1(VALU_DEP_1)
	v_fmac_f32_e32 v3, v120, v112
	ds_load_2addr_b32 v[111:112], v2 offset0:77 offset1:78
	s_waitcnt lgkmcnt(3)
	v_fmac_f32_e32 v3, v121, v113
	v_fmac_f32_e32 v3, v122, v114
	s_waitcnt lgkmcnt(2)
	s_delay_alu instid0(VALU_DEP_1) | instskip(SKIP_1) | instid1(VALU_DEP_1)
	v_fmac_f32_e32 v3, v123, v115
	s_waitcnt vmcnt(7)
	v_fmac_f32_e32 v3, v124, v116
	ds_load_2addr_b32 v[113:114], v2 offset0:79 offset1:80
	ds_load_2addr_b32 v[115:116], v2 offset0:81 offset1:82
	s_waitcnt lgkmcnt(3)
	v_fmac_f32_e32 v3, v125, v109
	s_delay_alu instid0(VALU_DEP_1) | instskip(SKIP_4) | instid1(VALU_DEP_1)
	v_fmac_f32_e32 v3, v126, v110
	ds_load_2addr_b32 v[109:110], v2 offset0:83 offset1:84
	s_waitcnt lgkmcnt(3)
	v_fmac_f32_e32 v3, v127, v111
	s_waitcnt vmcnt(6)
	v_fmac_f32_e32 v3, v128, v112
	ds_load_2addr_b32 v[111:112], v2 offset0:85 offset1:86
	s_waitcnt lgkmcnt(3)
	v_fmac_f32_e32 v3, v129, v113
	s_delay_alu instid0(VALU_DEP_1) | instskip(SKIP_1) | instid1(VALU_DEP_1)
	v_fmac_f32_e32 v3, v130, v114
	s_waitcnt lgkmcnt(2)
	v_fmac_f32_e32 v3, v131, v115
	s_waitcnt vmcnt(5)
	s_delay_alu instid0(VALU_DEP_1) | instskip(SKIP_4) | instid1(VALU_DEP_1)
	v_fmac_f32_e32 v3, v132, v116
	ds_load_2addr_b32 v[113:114], v2 offset0:87 offset1:88
	ds_load_2addr_b32 v[115:116], v2 offset0:89 offset1:90
	s_waitcnt lgkmcnt(3)
	v_fmac_f32_e32 v3, v133, v109
	v_fmac_f32_e32 v3, v134, v110
	ds_load_2addr_b32 v[109:110], v2 offset0:91 offset1:92
	s_waitcnt lgkmcnt(3)
	v_fmac_f32_e32 v3, v135, v111
	s_waitcnt vmcnt(4)
	s_delay_alu instid0(VALU_DEP_1) | instskip(SKIP_3) | instid1(VALU_DEP_1)
	v_fmac_f32_e32 v3, v136, v112
	ds_load_2addr_b32 v[111:112], v2 offset0:93 offset1:94
	s_waitcnt lgkmcnt(3)
	v_fmac_f32_e32 v3, v137, v113
	v_fmac_f32_e32 v3, v138, v114
	s_waitcnt lgkmcnt(2)
	s_delay_alu instid0(VALU_DEP_1) | instskip(SKIP_1) | instid1(VALU_DEP_1)
	v_fmac_f32_e32 v3, v139, v115
	s_waitcnt vmcnt(3)
	v_fmac_f32_e32 v3, v140, v116
	ds_load_2addr_b32 v[113:114], v2 offset0:95 offset1:96
	ds_load_2addr_b32 v[115:116], v2 offset0:97 offset1:98
	s_waitcnt lgkmcnt(3)
	v_fmac_f32_e32 v3, v141, v109
	s_delay_alu instid0(VALU_DEP_1) | instskip(SKIP_4) | instid1(VALU_DEP_1)
	v_fmac_f32_e32 v3, v142, v110
	ds_load_2addr_b32 v[109:110], v2 offset0:99 offset1:100
	s_waitcnt lgkmcnt(3)
	v_fmac_f32_e32 v3, v143, v111
	s_waitcnt vmcnt(2)
	v_fmac_f32_e32 v3, v144, v112
	ds_load_2addr_b32 v[111:112], v2 offset0:101 offset1:102
	s_waitcnt lgkmcnt(3)
	v_fmac_f32_e32 v3, v145, v113
	ds_load_b32 v113, v2 offset:412
	v_fmac_f32_e32 v3, v146, v114
	s_waitcnt lgkmcnt(3)
	s_delay_alu instid0(VALU_DEP_1) | instskip(SKIP_1) | instid1(VALU_DEP_1)
	v_fmac_f32_e32 v3, v147, v115
	s_waitcnt vmcnt(1)
	v_fmac_f32_e32 v3, v148, v116
	s_waitcnt lgkmcnt(2)
	s_delay_alu instid0(VALU_DEP_1) | instskip(NEXT) | instid1(VALU_DEP_1)
	v_fmac_f32_e32 v3, v149, v109
	v_fmac_f32_e32 v3, v150, v110
	s_waitcnt lgkmcnt(1)
	s_delay_alu instid0(VALU_DEP_1) | instskip(SKIP_1) | instid1(VALU_DEP_1)
	v_fmac_f32_e32 v3, v151, v111
	s_waitcnt vmcnt(0)
	v_fmac_f32_e32 v3, v152, v112
	s_waitcnt lgkmcnt(0)
	s_delay_alu instid0(VALU_DEP_1) | instskip(NEXT) | instid1(VALU_DEP_1)
	v_fmac_f32_e32 v3, v153, v113
	v_sub_f32_e32 v3, v108, v3
	scratch_store_b32 off, v3, off offset:24
	v_cmpx_lt_u32_e32 5, v0
	s_cbranch_execz .LBB115_309
; %bb.308:
	scratch_load_b32 v3, off, off offset:20
	scratch_store_b32 off, v2, off offset:20
	s_waitcnt vmcnt(0)
	ds_store_b32 v1, v3
.LBB115_309:
	s_or_b32 exec_lo, exec_lo, s0
	s_waitcnt lgkmcnt(0)
	s_waitcnt_vscnt null, 0x0
	s_barrier
	buffer_gl0_inv
	s_clause 0xb
	scratch_load_b128 v[108:111], off, off offset:20
	scratch_load_b128 v[112:115], off, off offset:36
	;; [unrolled: 1-line block ×11, first 2 shown]
	scratch_load_b96 v[160:162], off, off offset:196
	ds_load_2addr_b64 v[152:155], v2 offset0:29 offset1:30
	ds_load_2addr_b64 v[156:159], v2 offset0:31 offset1:32
	s_mov_b32 s0, exec_lo
	s_waitcnt vmcnt(11) lgkmcnt(1)
	v_fma_f32 v152, v109, v152, 0
	s_delay_alu instid0(VALU_DEP_1) | instskip(NEXT) | instid1(VALU_DEP_1)
	v_fmac_f32_e32 v152, v110, v153
	v_fmac_f32_e32 v152, v111, v154
	s_waitcnt vmcnt(10)
	s_delay_alu instid0(VALU_DEP_1) | instskip(SKIP_3) | instid1(VALU_DEP_1)
	v_fmac_f32_e32 v152, v112, v155
	ds_load_2addr_b64 v[109:112], v2 offset0:33 offset1:34
	s_waitcnt lgkmcnt(1)
	v_fmac_f32_e32 v152, v113, v156
	v_fmac_f32_e32 v152, v114, v157
	s_delay_alu instid0(VALU_DEP_1) | instskip(SKIP_1) | instid1(VALU_DEP_1)
	v_fmac_f32_e32 v152, v115, v158
	s_waitcnt vmcnt(9)
	v_fmac_f32_e32 v152, v116, v159
	ds_load_2addr_b64 v[113:116], v2 offset0:35 offset1:36
	s_waitcnt lgkmcnt(1)
	v_fmac_f32_e32 v152, v117, v109
	s_delay_alu instid0(VALU_DEP_1) | instskip(NEXT) | instid1(VALU_DEP_1)
	v_fmac_f32_e32 v152, v118, v110
	v_fmac_f32_e32 v152, v119, v111
	s_waitcnt vmcnt(8)
	s_delay_alu instid0(VALU_DEP_1) | instskip(SKIP_3) | instid1(VALU_DEP_1)
	v_fmac_f32_e32 v152, v120, v112
	ds_load_2addr_b64 v[109:112], v2 offset0:37 offset1:38
	s_waitcnt lgkmcnt(1)
	v_fmac_f32_e32 v152, v121, v113
	v_fmac_f32_e32 v152, v122, v114
	s_delay_alu instid0(VALU_DEP_1) | instskip(SKIP_1) | instid1(VALU_DEP_1)
	v_fmac_f32_e32 v152, v123, v115
	s_waitcnt vmcnt(7)
	v_fmac_f32_e32 v152, v124, v116
	ds_load_2addr_b64 v[113:116], v2 offset0:39 offset1:40
	s_waitcnt lgkmcnt(1)
	v_fmac_f32_e32 v152, v125, v109
	s_delay_alu instid0(VALU_DEP_1) | instskip(NEXT) | instid1(VALU_DEP_1)
	v_fmac_f32_e32 v152, v126, v110
	v_fmac_f32_e32 v152, v127, v111
	s_waitcnt vmcnt(6)
	s_delay_alu instid0(VALU_DEP_1) | instskip(SKIP_3) | instid1(VALU_DEP_1)
	v_fmac_f32_e32 v152, v128, v112
	ds_load_2addr_b64 v[109:112], v2 offset0:41 offset1:42
	s_waitcnt lgkmcnt(1)
	v_fmac_f32_e32 v152, v129, v113
	v_fmac_f32_e32 v152, v130, v114
	s_delay_alu instid0(VALU_DEP_1) | instskip(SKIP_1) | instid1(VALU_DEP_1)
	v_fmac_f32_e32 v152, v131, v115
	s_waitcnt vmcnt(5)
	v_fmac_f32_e32 v152, v132, v116
	ds_load_2addr_b64 v[113:116], v2 offset0:43 offset1:44
	s_waitcnt lgkmcnt(1)
	v_fmac_f32_e32 v152, v133, v109
	s_delay_alu instid0(VALU_DEP_1) | instskip(NEXT) | instid1(VALU_DEP_1)
	v_fmac_f32_e32 v152, v134, v110
	v_fmac_f32_e32 v152, v135, v111
	s_waitcnt vmcnt(4)
	s_delay_alu instid0(VALU_DEP_1) | instskip(SKIP_3) | instid1(VALU_DEP_1)
	v_fmac_f32_e32 v152, v136, v112
	ds_load_2addr_b64 v[109:112], v2 offset0:45 offset1:46
	s_waitcnt lgkmcnt(1)
	v_fmac_f32_e32 v152, v137, v113
	v_fmac_f32_e32 v152, v138, v114
	s_delay_alu instid0(VALU_DEP_1) | instskip(SKIP_1) | instid1(VALU_DEP_1)
	v_fmac_f32_e32 v152, v139, v115
	s_waitcnt vmcnt(3)
	v_fmac_f32_e32 v152, v140, v116
	ds_load_2addr_b64 v[113:116], v2 offset0:47 offset1:48
	s_waitcnt lgkmcnt(1)
	v_fmac_f32_e32 v152, v141, v109
	s_delay_alu instid0(VALU_DEP_1) | instskip(NEXT) | instid1(VALU_DEP_1)
	v_fmac_f32_e32 v152, v142, v110
	v_fmac_f32_e32 v152, v143, v111
	s_waitcnt vmcnt(2)
	s_delay_alu instid0(VALU_DEP_1) | instskip(SKIP_4) | instid1(VALU_DEP_1)
	v_fmac_f32_e32 v152, v144, v112
	ds_load_2addr_b64 v[109:112], v2 offset0:49 offset1:50
	ds_load_b64 v[2:3], v2 offset:408
	s_waitcnt lgkmcnt(2)
	v_fmac_f32_e32 v152, v145, v113
	v_fmac_f32_e32 v152, v146, v114
	s_delay_alu instid0(VALU_DEP_1) | instskip(SKIP_1) | instid1(VALU_DEP_1)
	v_fmac_f32_e32 v152, v147, v115
	s_waitcnt vmcnt(1)
	v_fmac_f32_e32 v152, v148, v116
	s_waitcnt lgkmcnt(1)
	s_delay_alu instid0(VALU_DEP_1) | instskip(NEXT) | instid1(VALU_DEP_1)
	v_fmac_f32_e32 v152, v149, v109
	v_fmac_f32_e32 v152, v150, v110
	s_delay_alu instid0(VALU_DEP_1) | instskip(SKIP_1) | instid1(VALU_DEP_1)
	v_fmac_f32_e32 v152, v151, v111
	s_waitcnt vmcnt(0)
	v_fmac_f32_e32 v152, v160, v112
	s_waitcnt lgkmcnt(0)
	s_delay_alu instid0(VALU_DEP_1) | instskip(NEXT) | instid1(VALU_DEP_1)
	v_fmac_f32_e32 v152, v161, v2
	v_fmac_f32_e32 v152, v162, v3
	s_delay_alu instid0(VALU_DEP_1)
	v_sub_f32_e32 v2, v108, v152
	scratch_store_b32 off, v2, off offset:20
	v_cmpx_lt_u32_e32 4, v0
	s_cbranch_execz .LBB115_311
; %bb.310:
	scratch_load_b32 v2, off, off offset:16
	v_mov_b32_e32 v3, 0
	scratch_store_b32 off, v3, off offset:16
	s_waitcnt vmcnt(0)
	ds_store_b32 v1, v2
.LBB115_311:
	s_or_b32 exec_lo, exec_lo, s0
	s_waitcnt lgkmcnt(0)
	s_waitcnt_vscnt null, 0x0
	s_barrier
	buffer_gl0_inv
	s_clause 0xb
	scratch_load_b128 v[108:111], off, off offset:16
	scratch_load_b128 v[112:115], off, off offset:32
	;; [unrolled: 1-line block ×12, first 2 shown]
	v_mov_b32_e32 v2, 0
	ds_load_2addr_b32 v[156:157], v2 offset0:57 offset1:58
	ds_load_2addr_b32 v[158:159], v2 offset0:59 offset1:60
	;; [unrolled: 1-line block ×4, first 2 shown]
	s_mov_b32 s0, exec_lo
	s_waitcnt vmcnt(11) lgkmcnt(3)
	v_fma_f32 v3, v109, v156, 0
	s_delay_alu instid0(VALU_DEP_1) | instskip(SKIP_4) | instid1(VALU_DEP_1)
	v_fmac_f32_e32 v3, v110, v157
	ds_load_2addr_b32 v[109:110], v2 offset0:65 offset1:66
	s_waitcnt lgkmcnt(3)
	v_fmac_f32_e32 v3, v111, v158
	s_waitcnt vmcnt(10)
	v_fmac_f32_e32 v3, v112, v159
	ds_load_2addr_b32 v[111:112], v2 offset0:67 offset1:68
	s_waitcnt lgkmcnt(3)
	v_fmac_f32_e32 v3, v113, v160
	s_delay_alu instid0(VALU_DEP_1) | instskip(SKIP_1) | instid1(VALU_DEP_1)
	v_fmac_f32_e32 v3, v114, v161
	s_waitcnt lgkmcnt(2)
	v_fmac_f32_e32 v3, v115, v162
	s_waitcnt vmcnt(9)
	s_delay_alu instid0(VALU_DEP_1) | instskip(SKIP_4) | instid1(VALU_DEP_1)
	v_fmac_f32_e32 v3, v116, v163
	ds_load_2addr_b32 v[113:114], v2 offset0:69 offset1:70
	ds_load_2addr_b32 v[115:116], v2 offset0:71 offset1:72
	s_waitcnt lgkmcnt(3)
	v_fmac_f32_e32 v3, v117, v109
	v_fmac_f32_e32 v3, v118, v110
	ds_load_2addr_b32 v[109:110], v2 offset0:73 offset1:74
	s_waitcnt lgkmcnt(3)
	v_fmac_f32_e32 v3, v119, v111
	s_waitcnt vmcnt(8)
	s_delay_alu instid0(VALU_DEP_1) | instskip(SKIP_3) | instid1(VALU_DEP_1)
	v_fmac_f32_e32 v3, v120, v112
	ds_load_2addr_b32 v[111:112], v2 offset0:75 offset1:76
	s_waitcnt lgkmcnt(3)
	v_fmac_f32_e32 v3, v121, v113
	v_fmac_f32_e32 v3, v122, v114
	s_waitcnt lgkmcnt(2)
	s_delay_alu instid0(VALU_DEP_1) | instskip(SKIP_1) | instid1(VALU_DEP_1)
	v_fmac_f32_e32 v3, v123, v115
	s_waitcnt vmcnt(7)
	v_fmac_f32_e32 v3, v124, v116
	ds_load_2addr_b32 v[113:114], v2 offset0:77 offset1:78
	ds_load_2addr_b32 v[115:116], v2 offset0:79 offset1:80
	s_waitcnt lgkmcnt(3)
	v_fmac_f32_e32 v3, v125, v109
	s_delay_alu instid0(VALU_DEP_1) | instskip(SKIP_4) | instid1(VALU_DEP_1)
	v_fmac_f32_e32 v3, v126, v110
	ds_load_2addr_b32 v[109:110], v2 offset0:81 offset1:82
	s_waitcnt lgkmcnt(3)
	v_fmac_f32_e32 v3, v127, v111
	s_waitcnt vmcnt(6)
	v_fmac_f32_e32 v3, v128, v112
	ds_load_2addr_b32 v[111:112], v2 offset0:83 offset1:84
	s_waitcnt lgkmcnt(3)
	v_fmac_f32_e32 v3, v129, v113
	s_delay_alu instid0(VALU_DEP_1) | instskip(SKIP_1) | instid1(VALU_DEP_1)
	v_fmac_f32_e32 v3, v130, v114
	s_waitcnt lgkmcnt(2)
	v_fmac_f32_e32 v3, v131, v115
	s_waitcnt vmcnt(5)
	s_delay_alu instid0(VALU_DEP_1) | instskip(SKIP_4) | instid1(VALU_DEP_1)
	v_fmac_f32_e32 v3, v132, v116
	ds_load_2addr_b32 v[113:114], v2 offset0:85 offset1:86
	ds_load_2addr_b32 v[115:116], v2 offset0:87 offset1:88
	s_waitcnt lgkmcnt(3)
	v_fmac_f32_e32 v3, v133, v109
	v_fmac_f32_e32 v3, v134, v110
	ds_load_2addr_b32 v[109:110], v2 offset0:89 offset1:90
	s_waitcnt lgkmcnt(3)
	v_fmac_f32_e32 v3, v135, v111
	s_waitcnt vmcnt(4)
	s_delay_alu instid0(VALU_DEP_1) | instskip(SKIP_3) | instid1(VALU_DEP_1)
	v_fmac_f32_e32 v3, v136, v112
	ds_load_2addr_b32 v[111:112], v2 offset0:91 offset1:92
	s_waitcnt lgkmcnt(3)
	v_fmac_f32_e32 v3, v137, v113
	v_fmac_f32_e32 v3, v138, v114
	s_waitcnt lgkmcnt(2)
	s_delay_alu instid0(VALU_DEP_1) | instskip(SKIP_1) | instid1(VALU_DEP_1)
	v_fmac_f32_e32 v3, v139, v115
	s_waitcnt vmcnt(3)
	v_fmac_f32_e32 v3, v140, v116
	ds_load_2addr_b32 v[113:114], v2 offset0:93 offset1:94
	ds_load_2addr_b32 v[115:116], v2 offset0:95 offset1:96
	s_waitcnt lgkmcnt(3)
	v_fmac_f32_e32 v3, v141, v109
	s_delay_alu instid0(VALU_DEP_1) | instskip(SKIP_4) | instid1(VALU_DEP_1)
	v_fmac_f32_e32 v3, v142, v110
	ds_load_2addr_b32 v[109:110], v2 offset0:97 offset1:98
	s_waitcnt lgkmcnt(3)
	v_fmac_f32_e32 v3, v143, v111
	s_waitcnt vmcnt(2)
	v_fmac_f32_e32 v3, v144, v112
	ds_load_2addr_b32 v[111:112], v2 offset0:99 offset1:100
	s_waitcnt lgkmcnt(3)
	v_fmac_f32_e32 v3, v145, v113
	s_delay_alu instid0(VALU_DEP_1) | instskip(SKIP_1) | instid1(VALU_DEP_1)
	v_fmac_f32_e32 v3, v146, v114
	s_waitcnt lgkmcnt(2)
	v_fmac_f32_e32 v3, v147, v115
	ds_load_2addr_b32 v[113:114], v2 offset0:101 offset1:102
	ds_load_b32 v115, v2 offset:412
	s_waitcnt vmcnt(1)
	v_fmac_f32_e32 v3, v148, v116
	s_waitcnt lgkmcnt(3)
	s_delay_alu instid0(VALU_DEP_1) | instskip(NEXT) | instid1(VALU_DEP_1)
	v_fmac_f32_e32 v3, v149, v109
	v_fmac_f32_e32 v3, v150, v110
	s_waitcnt lgkmcnt(2)
	s_delay_alu instid0(VALU_DEP_1) | instskip(SKIP_1) | instid1(VALU_DEP_1)
	v_fmac_f32_e32 v3, v151, v111
	s_waitcnt vmcnt(0)
	v_fmac_f32_e32 v3, v152, v112
	s_waitcnt lgkmcnt(1)
	s_delay_alu instid0(VALU_DEP_1) | instskip(NEXT) | instid1(VALU_DEP_1)
	v_fmac_f32_e32 v3, v153, v113
	v_fmac_f32_e32 v3, v154, v114
	s_waitcnt lgkmcnt(0)
	s_delay_alu instid0(VALU_DEP_1) | instskip(NEXT) | instid1(VALU_DEP_1)
	v_fmac_f32_e32 v3, v155, v115
	v_sub_f32_e32 v3, v108, v3
	scratch_store_b32 off, v3, off offset:16
	v_cmpx_lt_u32_e32 3, v0
	s_cbranch_execz .LBB115_313
; %bb.312:
	scratch_load_b32 v3, off, off offset:12
	scratch_store_b32 off, v2, off offset:12
	s_waitcnt vmcnt(0)
	ds_store_b32 v1, v3
.LBB115_313:
	s_or_b32 exec_lo, exec_lo, s0
	s_waitcnt lgkmcnt(0)
	s_waitcnt_vscnt null, 0x0
	s_barrier
	buffer_gl0_inv
	s_clause 0xc
	scratch_load_b128 v[108:111], off, off offset:12
	scratch_load_b128 v[112:115], off, off offset:28
	;; [unrolled: 1-line block ×12, first 2 shown]
	scratch_load_b32 v3, off, off offset:204
	ds_load_b128 v[156:159], v2 offset:224
	ds_load_b128 v[160:163], v2 offset:240
	s_mov_b32 s0, exec_lo
	s_waitcnt vmcnt(12) lgkmcnt(1)
	v_fma_f32 v156, v109, v156, 0
	s_delay_alu instid0(VALU_DEP_1) | instskip(NEXT) | instid1(VALU_DEP_1)
	v_fmac_f32_e32 v156, v110, v157
	v_fmac_f32_e32 v156, v111, v158
	s_waitcnt vmcnt(11)
	s_delay_alu instid0(VALU_DEP_1) | instskip(SKIP_3) | instid1(VALU_DEP_1)
	v_fmac_f32_e32 v156, v112, v159
	ds_load_b128 v[109:112], v2 offset:256
	s_waitcnt lgkmcnt(1)
	v_fmac_f32_e32 v156, v113, v160
	v_fmac_f32_e32 v156, v114, v161
	s_delay_alu instid0(VALU_DEP_1) | instskip(SKIP_1) | instid1(VALU_DEP_1)
	v_fmac_f32_e32 v156, v115, v162
	s_waitcnt vmcnt(10)
	v_fmac_f32_e32 v156, v116, v163
	ds_load_b128 v[113:116], v2 offset:272
	s_waitcnt lgkmcnt(1)
	v_fmac_f32_e32 v156, v117, v109
	s_delay_alu instid0(VALU_DEP_1) | instskip(NEXT) | instid1(VALU_DEP_1)
	v_fmac_f32_e32 v156, v118, v110
	v_fmac_f32_e32 v156, v119, v111
	s_waitcnt vmcnt(9)
	s_delay_alu instid0(VALU_DEP_1) | instskip(SKIP_3) | instid1(VALU_DEP_1)
	v_fmac_f32_e32 v156, v120, v112
	ds_load_b128 v[109:112], v2 offset:288
	s_waitcnt lgkmcnt(1)
	v_fmac_f32_e32 v156, v121, v113
	v_fmac_f32_e32 v156, v122, v114
	s_delay_alu instid0(VALU_DEP_1) | instskip(SKIP_1) | instid1(VALU_DEP_1)
	v_fmac_f32_e32 v156, v123, v115
	s_waitcnt vmcnt(8)
	v_fmac_f32_e32 v156, v124, v116
	ds_load_b128 v[113:116], v2 offset:304
	s_waitcnt lgkmcnt(1)
	v_fmac_f32_e32 v156, v125, v109
	;; [unrolled: 17-line block ×5, first 2 shown]
	s_delay_alu instid0(VALU_DEP_1) | instskip(NEXT) | instid1(VALU_DEP_1)
	v_fmac_f32_e32 v156, v150, v110
	v_fmac_f32_e32 v156, v151, v111
	s_waitcnt vmcnt(1)
	s_delay_alu instid0(VALU_DEP_1) | instskip(SKIP_1) | instid1(VALU_DEP_1)
	v_fmac_f32_e32 v156, v152, v112
	s_waitcnt lgkmcnt(0)
	v_fmac_f32_e32 v156, v153, v113
	s_delay_alu instid0(VALU_DEP_1) | instskip(NEXT) | instid1(VALU_DEP_1)
	v_fmac_f32_e32 v156, v154, v114
	v_fmac_f32_e32 v156, v155, v115
	s_waitcnt vmcnt(0)
	s_delay_alu instid0(VALU_DEP_1) | instskip(NEXT) | instid1(VALU_DEP_1)
	v_fmac_f32_e32 v156, v3, v116
	v_sub_f32_e32 v2, v108, v156
	scratch_store_b32 off, v2, off offset:12
	v_cmpx_lt_u32_e32 2, v0
	s_cbranch_execz .LBB115_315
; %bb.314:
	scratch_load_b32 v2, off, off offset:8
	v_mov_b32_e32 v3, 0
	scratch_store_b32 off, v3, off offset:8
	s_waitcnt vmcnt(0)
	ds_store_b32 v1, v2
.LBB115_315:
	s_or_b32 exec_lo, exec_lo, s0
	s_waitcnt lgkmcnt(0)
	s_waitcnt_vscnt null, 0x0
	s_barrier
	buffer_gl0_inv
	s_clause 0xc
	scratch_load_b128 v[108:111], off, off offset:8
	scratch_load_b128 v[112:115], off, off offset:24
	;; [unrolled: 1-line block ×12, first 2 shown]
	scratch_load_b64 v[156:157], off, off offset:200
	v_mov_b32_e32 v2, 0
	ds_load_2addr_b32 v[158:159], v2 offset0:55 offset1:56
	ds_load_2addr_b32 v[160:161], v2 offset0:57 offset1:58
	;; [unrolled: 1-line block ×4, first 2 shown]
	s_mov_b32 s0, exec_lo
	s_waitcnt vmcnt(12) lgkmcnt(3)
	v_fma_f32 v3, v109, v158, 0
	s_delay_alu instid0(VALU_DEP_1) | instskip(SKIP_4) | instid1(VALU_DEP_1)
	v_fmac_f32_e32 v3, v110, v159
	ds_load_2addr_b32 v[109:110], v2 offset0:63 offset1:64
	s_waitcnt lgkmcnt(3)
	v_fmac_f32_e32 v3, v111, v160
	s_waitcnt vmcnt(11)
	v_fmac_f32_e32 v3, v112, v161
	ds_load_2addr_b32 v[111:112], v2 offset0:65 offset1:66
	s_waitcnt lgkmcnt(3)
	v_fmac_f32_e32 v3, v113, v162
	s_delay_alu instid0(VALU_DEP_1) | instskip(SKIP_1) | instid1(VALU_DEP_1)
	v_fmac_f32_e32 v3, v114, v163
	s_waitcnt lgkmcnt(2)
	v_fmac_f32_e32 v3, v115, v164
	s_waitcnt vmcnt(10)
	s_delay_alu instid0(VALU_DEP_1) | instskip(SKIP_4) | instid1(VALU_DEP_1)
	v_fmac_f32_e32 v3, v116, v165
	ds_load_2addr_b32 v[113:114], v2 offset0:67 offset1:68
	ds_load_2addr_b32 v[115:116], v2 offset0:69 offset1:70
	s_waitcnt lgkmcnt(3)
	v_fmac_f32_e32 v3, v117, v109
	v_fmac_f32_e32 v3, v118, v110
	ds_load_2addr_b32 v[109:110], v2 offset0:71 offset1:72
	s_waitcnt lgkmcnt(3)
	v_fmac_f32_e32 v3, v119, v111
	s_waitcnt vmcnt(9)
	s_delay_alu instid0(VALU_DEP_1) | instskip(SKIP_3) | instid1(VALU_DEP_1)
	v_fmac_f32_e32 v3, v120, v112
	ds_load_2addr_b32 v[111:112], v2 offset0:73 offset1:74
	s_waitcnt lgkmcnt(3)
	v_fmac_f32_e32 v3, v121, v113
	v_fmac_f32_e32 v3, v122, v114
	s_waitcnt lgkmcnt(2)
	s_delay_alu instid0(VALU_DEP_1) | instskip(SKIP_1) | instid1(VALU_DEP_1)
	v_fmac_f32_e32 v3, v123, v115
	s_waitcnt vmcnt(8)
	v_fmac_f32_e32 v3, v124, v116
	ds_load_2addr_b32 v[113:114], v2 offset0:75 offset1:76
	ds_load_2addr_b32 v[115:116], v2 offset0:77 offset1:78
	s_waitcnt lgkmcnt(3)
	v_fmac_f32_e32 v3, v125, v109
	s_delay_alu instid0(VALU_DEP_1) | instskip(SKIP_4) | instid1(VALU_DEP_1)
	v_fmac_f32_e32 v3, v126, v110
	ds_load_2addr_b32 v[109:110], v2 offset0:79 offset1:80
	s_waitcnt lgkmcnt(3)
	v_fmac_f32_e32 v3, v127, v111
	s_waitcnt vmcnt(7)
	v_fmac_f32_e32 v3, v128, v112
	ds_load_2addr_b32 v[111:112], v2 offset0:81 offset1:82
	s_waitcnt lgkmcnt(3)
	v_fmac_f32_e32 v3, v129, v113
	s_delay_alu instid0(VALU_DEP_1) | instskip(SKIP_1) | instid1(VALU_DEP_1)
	v_fmac_f32_e32 v3, v130, v114
	s_waitcnt lgkmcnt(2)
	v_fmac_f32_e32 v3, v131, v115
	s_waitcnt vmcnt(6)
	s_delay_alu instid0(VALU_DEP_1) | instskip(SKIP_4) | instid1(VALU_DEP_1)
	v_fmac_f32_e32 v3, v132, v116
	ds_load_2addr_b32 v[113:114], v2 offset0:83 offset1:84
	ds_load_2addr_b32 v[115:116], v2 offset0:85 offset1:86
	s_waitcnt lgkmcnt(3)
	v_fmac_f32_e32 v3, v133, v109
	v_fmac_f32_e32 v3, v134, v110
	ds_load_2addr_b32 v[109:110], v2 offset0:87 offset1:88
	s_waitcnt lgkmcnt(3)
	v_fmac_f32_e32 v3, v135, v111
	s_waitcnt vmcnt(5)
	s_delay_alu instid0(VALU_DEP_1) | instskip(SKIP_3) | instid1(VALU_DEP_1)
	v_fmac_f32_e32 v3, v136, v112
	ds_load_2addr_b32 v[111:112], v2 offset0:89 offset1:90
	s_waitcnt lgkmcnt(3)
	v_fmac_f32_e32 v3, v137, v113
	v_fmac_f32_e32 v3, v138, v114
	s_waitcnt lgkmcnt(2)
	s_delay_alu instid0(VALU_DEP_1) | instskip(SKIP_1) | instid1(VALU_DEP_1)
	v_fmac_f32_e32 v3, v139, v115
	s_waitcnt vmcnt(4)
	v_fmac_f32_e32 v3, v140, v116
	ds_load_2addr_b32 v[113:114], v2 offset0:91 offset1:92
	ds_load_2addr_b32 v[115:116], v2 offset0:93 offset1:94
	s_waitcnt lgkmcnt(3)
	v_fmac_f32_e32 v3, v141, v109
	s_delay_alu instid0(VALU_DEP_1) | instskip(SKIP_4) | instid1(VALU_DEP_1)
	v_fmac_f32_e32 v3, v142, v110
	ds_load_2addr_b32 v[109:110], v2 offset0:95 offset1:96
	s_waitcnt lgkmcnt(3)
	v_fmac_f32_e32 v3, v143, v111
	s_waitcnt vmcnt(3)
	v_fmac_f32_e32 v3, v144, v112
	ds_load_2addr_b32 v[111:112], v2 offset0:97 offset1:98
	s_waitcnt lgkmcnt(3)
	v_fmac_f32_e32 v3, v145, v113
	s_delay_alu instid0(VALU_DEP_1) | instskip(SKIP_1) | instid1(VALU_DEP_1)
	v_fmac_f32_e32 v3, v146, v114
	s_waitcnt lgkmcnt(2)
	v_fmac_f32_e32 v3, v147, v115
	s_waitcnt vmcnt(2)
	s_delay_alu instid0(VALU_DEP_1)
	v_fmac_f32_e32 v3, v148, v116
	ds_load_2addr_b32 v[113:114], v2 offset0:99 offset1:100
	ds_load_2addr_b32 v[115:116], v2 offset0:101 offset1:102
	s_waitcnt lgkmcnt(3)
	v_fmac_f32_e32 v3, v149, v109
	ds_load_b32 v109, v2 offset:412
	v_fmac_f32_e32 v3, v150, v110
	s_waitcnt lgkmcnt(3)
	s_delay_alu instid0(VALU_DEP_1) | instskip(SKIP_1) | instid1(VALU_DEP_1)
	v_fmac_f32_e32 v3, v151, v111
	s_waitcnt vmcnt(1)
	v_fmac_f32_e32 v3, v152, v112
	s_waitcnt lgkmcnt(2)
	s_delay_alu instid0(VALU_DEP_1) | instskip(NEXT) | instid1(VALU_DEP_1)
	v_fmac_f32_e32 v3, v153, v113
	v_fmac_f32_e32 v3, v154, v114
	s_waitcnt lgkmcnt(1)
	s_delay_alu instid0(VALU_DEP_1) | instskip(SKIP_1) | instid1(VALU_DEP_1)
	v_fmac_f32_e32 v3, v155, v115
	s_waitcnt vmcnt(0)
	v_fmac_f32_e32 v3, v156, v116
	s_waitcnt lgkmcnt(0)
	s_delay_alu instid0(VALU_DEP_1) | instskip(NEXT) | instid1(VALU_DEP_1)
	v_fmac_f32_e32 v3, v157, v109
	v_sub_f32_e32 v3, v108, v3
	scratch_store_b32 off, v3, off offset:8
	v_cmpx_lt_u32_e32 1, v0
	s_cbranch_execz .LBB115_317
; %bb.316:
	scratch_load_b32 v3, off, off offset:4
	scratch_store_b32 off, v2, off offset:4
	s_waitcnt vmcnt(0)
	ds_store_b32 v1, v3
.LBB115_317:
	s_or_b32 exec_lo, exec_lo, s0
	s_waitcnt lgkmcnt(0)
	s_waitcnt_vscnt null, 0x0
	s_barrier
	buffer_gl0_inv
	s_clause 0xc
	scratch_load_b128 v[108:111], off, off offset:4
	scratch_load_b128 v[112:115], off, off offset:20
	scratch_load_b128 v[116:119], off, off offset:36
	scratch_load_b128 v[120:123], off, off offset:52
	scratch_load_b128 v[124:127], off, off offset:68
	scratch_load_b128 v[128:131], off, off offset:84
	scratch_load_b128 v[132:135], off, off offset:100
	scratch_load_b128 v[136:139], off, off offset:116
	scratch_load_b128 v[140:143], off, off offset:132
	scratch_load_b128 v[144:147], off, off offset:148
	scratch_load_b128 v[148:151], off, off offset:164
	scratch_load_b128 v[152:155], off, off offset:180
	scratch_load_b96 v[164:166], off, off offset:196
	ds_load_2addr_b64 v[156:159], v2 offset0:27 offset1:28
	ds_load_2addr_b64 v[160:163], v2 offset0:29 offset1:30
	s_mov_b32 s0, exec_lo
	s_waitcnt vmcnt(12) lgkmcnt(1)
	v_fma_f32 v156, v109, v156, 0
	s_delay_alu instid0(VALU_DEP_1) | instskip(NEXT) | instid1(VALU_DEP_1)
	v_fmac_f32_e32 v156, v110, v157
	v_fmac_f32_e32 v156, v111, v158
	s_waitcnt vmcnt(11)
	s_delay_alu instid0(VALU_DEP_1) | instskip(SKIP_3) | instid1(VALU_DEP_1)
	v_fmac_f32_e32 v156, v112, v159
	ds_load_2addr_b64 v[109:112], v2 offset0:31 offset1:32
	s_waitcnt lgkmcnt(1)
	v_fmac_f32_e32 v156, v113, v160
	v_fmac_f32_e32 v156, v114, v161
	s_delay_alu instid0(VALU_DEP_1) | instskip(SKIP_1) | instid1(VALU_DEP_1)
	v_fmac_f32_e32 v156, v115, v162
	s_waitcnt vmcnt(10)
	v_fmac_f32_e32 v156, v116, v163
	ds_load_2addr_b64 v[113:116], v2 offset0:33 offset1:34
	s_waitcnt lgkmcnt(1)
	v_fmac_f32_e32 v156, v117, v109
	s_delay_alu instid0(VALU_DEP_1) | instskip(NEXT) | instid1(VALU_DEP_1)
	v_fmac_f32_e32 v156, v118, v110
	v_fmac_f32_e32 v156, v119, v111
	s_waitcnt vmcnt(9)
	s_delay_alu instid0(VALU_DEP_1) | instskip(SKIP_3) | instid1(VALU_DEP_1)
	v_fmac_f32_e32 v156, v120, v112
	ds_load_2addr_b64 v[109:112], v2 offset0:35 offset1:36
	s_waitcnt lgkmcnt(1)
	v_fmac_f32_e32 v156, v121, v113
	v_fmac_f32_e32 v156, v122, v114
	s_delay_alu instid0(VALU_DEP_1) | instskip(SKIP_1) | instid1(VALU_DEP_1)
	v_fmac_f32_e32 v156, v123, v115
	s_waitcnt vmcnt(8)
	v_fmac_f32_e32 v156, v124, v116
	ds_load_2addr_b64 v[113:116], v2 offset0:37 offset1:38
	s_waitcnt lgkmcnt(1)
	v_fmac_f32_e32 v156, v125, v109
	s_delay_alu instid0(VALU_DEP_1) | instskip(NEXT) | instid1(VALU_DEP_1)
	v_fmac_f32_e32 v156, v126, v110
	v_fmac_f32_e32 v156, v127, v111
	s_waitcnt vmcnt(7)
	s_delay_alu instid0(VALU_DEP_1) | instskip(SKIP_3) | instid1(VALU_DEP_1)
	v_fmac_f32_e32 v156, v128, v112
	ds_load_2addr_b64 v[109:112], v2 offset0:39 offset1:40
	s_waitcnt lgkmcnt(1)
	v_fmac_f32_e32 v156, v129, v113
	v_fmac_f32_e32 v156, v130, v114
	s_delay_alu instid0(VALU_DEP_1) | instskip(SKIP_1) | instid1(VALU_DEP_1)
	v_fmac_f32_e32 v156, v131, v115
	s_waitcnt vmcnt(6)
	v_fmac_f32_e32 v156, v132, v116
	ds_load_2addr_b64 v[113:116], v2 offset0:41 offset1:42
	s_waitcnt lgkmcnt(1)
	v_fmac_f32_e32 v156, v133, v109
	s_delay_alu instid0(VALU_DEP_1) | instskip(NEXT) | instid1(VALU_DEP_1)
	v_fmac_f32_e32 v156, v134, v110
	v_fmac_f32_e32 v156, v135, v111
	s_waitcnt vmcnt(5)
	s_delay_alu instid0(VALU_DEP_1) | instskip(SKIP_3) | instid1(VALU_DEP_1)
	v_fmac_f32_e32 v156, v136, v112
	ds_load_2addr_b64 v[109:112], v2 offset0:43 offset1:44
	s_waitcnt lgkmcnt(1)
	v_fmac_f32_e32 v156, v137, v113
	v_fmac_f32_e32 v156, v138, v114
	s_delay_alu instid0(VALU_DEP_1) | instskip(SKIP_1) | instid1(VALU_DEP_1)
	v_fmac_f32_e32 v156, v139, v115
	s_waitcnt vmcnt(4)
	v_fmac_f32_e32 v156, v140, v116
	ds_load_2addr_b64 v[113:116], v2 offset0:45 offset1:46
	s_waitcnt lgkmcnt(1)
	v_fmac_f32_e32 v156, v141, v109
	s_delay_alu instid0(VALU_DEP_1) | instskip(NEXT) | instid1(VALU_DEP_1)
	v_fmac_f32_e32 v156, v142, v110
	v_fmac_f32_e32 v156, v143, v111
	s_waitcnt vmcnt(3)
	s_delay_alu instid0(VALU_DEP_1) | instskip(SKIP_3) | instid1(VALU_DEP_1)
	v_fmac_f32_e32 v156, v144, v112
	ds_load_2addr_b64 v[109:112], v2 offset0:47 offset1:48
	s_waitcnt lgkmcnt(1)
	v_fmac_f32_e32 v156, v145, v113
	v_fmac_f32_e32 v156, v146, v114
	s_delay_alu instid0(VALU_DEP_1) | instskip(SKIP_1) | instid1(VALU_DEP_1)
	v_fmac_f32_e32 v156, v147, v115
	s_waitcnt vmcnt(2)
	v_fmac_f32_e32 v156, v148, v116
	ds_load_2addr_b64 v[113:116], v2 offset0:49 offset1:50
	ds_load_b64 v[2:3], v2 offset:408
	s_waitcnt lgkmcnt(2)
	v_fmac_f32_e32 v156, v149, v109
	s_delay_alu instid0(VALU_DEP_1) | instskip(NEXT) | instid1(VALU_DEP_1)
	v_fmac_f32_e32 v156, v150, v110
	v_fmac_f32_e32 v156, v151, v111
	s_waitcnt vmcnt(1)
	s_delay_alu instid0(VALU_DEP_1) | instskip(SKIP_1) | instid1(VALU_DEP_1)
	v_fmac_f32_e32 v156, v152, v112
	s_waitcnt lgkmcnt(1)
	v_fmac_f32_e32 v156, v153, v113
	s_delay_alu instid0(VALU_DEP_1) | instskip(NEXT) | instid1(VALU_DEP_1)
	v_fmac_f32_e32 v156, v154, v114
	v_fmac_f32_e32 v156, v155, v115
	s_waitcnt vmcnt(0)
	s_delay_alu instid0(VALU_DEP_1) | instskip(SKIP_1) | instid1(VALU_DEP_1)
	v_fmac_f32_e32 v156, v164, v116
	s_waitcnt lgkmcnt(0)
	v_fmac_f32_e32 v156, v165, v2
	s_delay_alu instid0(VALU_DEP_1) | instskip(NEXT) | instid1(VALU_DEP_1)
	v_fmac_f32_e32 v156, v166, v3
	v_sub_f32_e32 v2, v108, v156
	scratch_store_b32 off, v2, off offset:4
	v_cmpx_ne_u32_e32 0, v0
	s_cbranch_execz .LBB115_319
; %bb.318:
	scratch_load_b32 v0, off, off
	v_mov_b32_e32 v2, 0
	scratch_store_b32 off, v2, off
	s_waitcnt vmcnt(0)
	ds_store_b32 v1, v0
.LBB115_319:
	s_or_b32 exec_lo, exec_lo, s0
	s_waitcnt lgkmcnt(0)
	s_waitcnt_vscnt null, 0x0
	s_barrier
	buffer_gl0_inv
	s_clause 0xc
	scratch_load_b128 v[108:111], off, off
	scratch_load_b128 v[112:115], off, off offset:16
	scratch_load_b128 v[116:119], off, off offset:32
	;; [unrolled: 1-line block ×12, first 2 shown]
	v_mov_b32_e32 v164, 0
	ds_load_2addr_b32 v[156:157], v164 offset0:53 offset1:54
	ds_load_2addr_b32 v[158:159], v164 offset0:55 offset1:56
	;; [unrolled: 1-line block ×4, first 2 shown]
	s_and_b32 vcc_lo, exec_lo, s12
	s_waitcnt vmcnt(12) lgkmcnt(3)
	v_fma_f32 v156, v109, v156, 0
	s_delay_alu instid0(VALU_DEP_1) | instskip(SKIP_4) | instid1(VALU_DEP_1)
	v_fmac_f32_e32 v156, v110, v157
	ds_load_2addr_b32 v[109:110], v164 offset0:61 offset1:62
	s_waitcnt lgkmcnt(3)
	v_fmac_f32_e32 v156, v111, v158
	s_waitcnt vmcnt(11)
	v_fmac_f32_e32 v156, v112, v159
	ds_load_2addr_b32 v[111:112], v164 offset0:63 offset1:64
	s_waitcnt lgkmcnt(3)
	v_fmac_f32_e32 v156, v113, v160
	s_delay_alu instid0(VALU_DEP_1) | instskip(SKIP_1) | instid1(VALU_DEP_1)
	v_fmac_f32_e32 v156, v114, v161
	s_waitcnt lgkmcnt(2)
	v_fmac_f32_e32 v156, v115, v162
	s_waitcnt vmcnt(10)
	s_delay_alu instid0(VALU_DEP_1) | instskip(SKIP_4) | instid1(VALU_DEP_1)
	v_fmac_f32_e32 v156, v116, v163
	ds_load_2addr_b32 v[113:114], v164 offset0:65 offset1:66
	ds_load_2addr_b32 v[115:116], v164 offset0:67 offset1:68
	s_waitcnt lgkmcnt(3)
	v_fmac_f32_e32 v156, v117, v109
	v_fmac_f32_e32 v156, v118, v110
	ds_load_2addr_b32 v[109:110], v164 offset0:69 offset1:70
	s_waitcnt lgkmcnt(3)
	v_fmac_f32_e32 v156, v119, v111
	s_waitcnt vmcnt(9)
	s_delay_alu instid0(VALU_DEP_1) | instskip(SKIP_3) | instid1(VALU_DEP_1)
	v_fmac_f32_e32 v156, v120, v112
	ds_load_2addr_b32 v[111:112], v164 offset0:71 offset1:72
	s_waitcnt lgkmcnt(3)
	v_fmac_f32_e32 v156, v121, v113
	v_fmac_f32_e32 v156, v122, v114
	s_waitcnt lgkmcnt(2)
	s_delay_alu instid0(VALU_DEP_1) | instskip(SKIP_1) | instid1(VALU_DEP_1)
	v_fmac_f32_e32 v156, v123, v115
	s_waitcnt vmcnt(8)
	v_fmac_f32_e32 v156, v124, v116
	ds_load_2addr_b32 v[113:114], v164 offset0:73 offset1:74
	ds_load_2addr_b32 v[115:116], v164 offset0:75 offset1:76
	s_waitcnt lgkmcnt(3)
	v_fmac_f32_e32 v156, v125, v109
	s_delay_alu instid0(VALU_DEP_1) | instskip(SKIP_4) | instid1(VALU_DEP_1)
	v_fmac_f32_e32 v156, v126, v110
	ds_load_2addr_b32 v[109:110], v164 offset0:77 offset1:78
	s_waitcnt lgkmcnt(3)
	v_fmac_f32_e32 v156, v127, v111
	s_waitcnt vmcnt(7)
	v_fmac_f32_e32 v156, v128, v112
	ds_load_2addr_b32 v[111:112], v164 offset0:79 offset1:80
	s_waitcnt lgkmcnt(3)
	v_fmac_f32_e32 v156, v129, v113
	s_delay_alu instid0(VALU_DEP_1) | instskip(SKIP_1) | instid1(VALU_DEP_1)
	v_fmac_f32_e32 v156, v130, v114
	s_waitcnt lgkmcnt(2)
	v_fmac_f32_e32 v156, v131, v115
	s_waitcnt vmcnt(6)
	s_delay_alu instid0(VALU_DEP_1) | instskip(SKIP_4) | instid1(VALU_DEP_1)
	v_fmac_f32_e32 v156, v132, v116
	ds_load_2addr_b32 v[113:114], v164 offset0:81 offset1:82
	ds_load_2addr_b32 v[115:116], v164 offset0:83 offset1:84
	s_waitcnt lgkmcnt(3)
	v_fmac_f32_e32 v156, v133, v109
	v_fmac_f32_e32 v156, v134, v110
	ds_load_2addr_b32 v[109:110], v164 offset0:85 offset1:86
	s_waitcnt lgkmcnt(3)
	v_fmac_f32_e32 v156, v135, v111
	s_waitcnt vmcnt(5)
	s_delay_alu instid0(VALU_DEP_1) | instskip(SKIP_3) | instid1(VALU_DEP_1)
	v_fmac_f32_e32 v156, v136, v112
	ds_load_2addr_b32 v[111:112], v164 offset0:87 offset1:88
	s_waitcnt lgkmcnt(3)
	v_fmac_f32_e32 v156, v137, v113
	v_fmac_f32_e32 v156, v138, v114
	s_waitcnt lgkmcnt(2)
	s_delay_alu instid0(VALU_DEP_1) | instskip(SKIP_1) | instid1(VALU_DEP_1)
	v_fmac_f32_e32 v156, v139, v115
	s_waitcnt vmcnt(4)
	v_fmac_f32_e32 v156, v140, v116
	ds_load_2addr_b32 v[113:114], v164 offset0:89 offset1:90
	ds_load_2addr_b32 v[115:116], v164 offset0:91 offset1:92
	s_waitcnt lgkmcnt(3)
	v_fmac_f32_e32 v156, v141, v109
	s_delay_alu instid0(VALU_DEP_1) | instskip(SKIP_4) | instid1(VALU_DEP_1)
	v_fmac_f32_e32 v156, v142, v110
	ds_load_2addr_b32 v[109:110], v164 offset0:93 offset1:94
	s_waitcnt lgkmcnt(3)
	v_fmac_f32_e32 v156, v143, v111
	s_waitcnt vmcnt(3)
	v_fmac_f32_e32 v156, v144, v112
	ds_load_2addr_b32 v[111:112], v164 offset0:95 offset1:96
	s_waitcnt lgkmcnt(3)
	v_fmac_f32_e32 v156, v145, v113
	s_delay_alu instid0(VALU_DEP_1) | instskip(SKIP_1) | instid1(VALU_DEP_1)
	v_fmac_f32_e32 v156, v146, v114
	s_waitcnt lgkmcnt(2)
	v_fmac_f32_e32 v156, v147, v115
	s_waitcnt vmcnt(2)
	s_delay_alu instid0(VALU_DEP_1) | instskip(SKIP_4) | instid1(VALU_DEP_1)
	v_fmac_f32_e32 v156, v148, v116
	ds_load_2addr_b32 v[113:114], v164 offset0:97 offset1:98
	ds_load_2addr_b32 v[115:116], v164 offset0:99 offset1:100
	s_waitcnt lgkmcnt(3)
	v_fmac_f32_e32 v156, v149, v109
	v_fmac_f32_e32 v156, v150, v110
	ds_load_2addr_b32 v[109:110], v164 offset0:101 offset1:102
	s_waitcnt lgkmcnt(3)
	v_fmac_f32_e32 v156, v151, v111
	ds_load_b32 v111, v164 offset:412
	s_waitcnt vmcnt(1)
	v_fmac_f32_e32 v156, v152, v112
	s_waitcnt lgkmcnt(3)
	s_delay_alu instid0(VALU_DEP_1) | instskip(NEXT) | instid1(VALU_DEP_1)
	v_fmac_f32_e32 v156, v153, v113
	v_fmac_f32_e32 v156, v154, v114
	s_waitcnt lgkmcnt(2)
	s_delay_alu instid0(VALU_DEP_1) | instskip(SKIP_1) | instid1(VALU_DEP_1)
	v_fmac_f32_e32 v156, v155, v115
	s_waitcnt vmcnt(0)
	v_fmac_f32_e32 v156, v0, v116
	s_waitcnt lgkmcnt(1)
	s_delay_alu instid0(VALU_DEP_1) | instskip(NEXT) | instid1(VALU_DEP_1)
	v_fmac_f32_e32 v156, v1, v109
	v_fmac_f32_e32 v156, v2, v110
	s_waitcnt lgkmcnt(0)
	s_delay_alu instid0(VALU_DEP_1) | instskip(NEXT) | instid1(VALU_DEP_1)
	v_fmac_f32_e32 v156, v3, v111
	v_sub_f32_e32 v0, v108, v156
	scratch_store_b32 off, v0, off
	s_cbranch_vccz .LBB115_423
; %bb.320:
	v_dual_mov_b32 v0, s2 :: v_dual_mov_b32 v1, s3
	s_mov_b32 s0, exec_lo
	flat_load_b32 v0, v[0:1] offset:200
	s_waitcnt vmcnt(0) lgkmcnt(0)
	v_cmpx_ne_u32_e32 51, v0
	s_cbranch_execz .LBB115_322
; %bb.321:
	v_lshl_add_u32 v0, v0, 2, 0
	scratch_load_b32 v1, v0, off offset:-4
	s_waitcnt vmcnt(0)
	scratch_store_b32 off, v1, off offset:200
	scratch_store_b32 v0, v2, off offset:-4
.LBB115_322:
	s_or_b32 exec_lo, exec_lo, s0
	v_dual_mov_b32 v0, s2 :: v_dual_mov_b32 v1, s3
	s_mov_b32 s0, exec_lo
	flat_load_b32 v0, v[0:1] offset:196
	s_waitcnt vmcnt(0) lgkmcnt(0)
	v_cmpx_ne_u32_e32 50, v0
	s_cbranch_execz .LBB115_324
; %bb.323:
	v_lshl_add_u32 v0, v0, 2, 0
	scratch_load_b32 v1, v0, off offset:-4
	scratch_load_b32 v2, off, off offset:196
	s_waitcnt vmcnt(1)
	scratch_store_b32 off, v1, off offset:196
	s_waitcnt vmcnt(0)
	scratch_store_b32 v0, v2, off offset:-4
.LBB115_324:
	s_or_b32 exec_lo, exec_lo, s0
	v_dual_mov_b32 v0, s2 :: v_dual_mov_b32 v1, s3
	s_mov_b32 s0, exec_lo
	flat_load_b32 v0, v[0:1] offset:192
	s_waitcnt vmcnt(0) lgkmcnt(0)
	v_cmpx_ne_u32_e32 49, v0
	s_cbranch_execz .LBB115_326
; %bb.325:
	v_lshl_add_u32 v0, v0, 2, 0
	scratch_load_b32 v1, v0, off offset:-4
	scratch_load_b32 v2, off, off offset:192
	s_waitcnt vmcnt(1)
	scratch_store_b32 off, v1, off offset:192
	s_waitcnt vmcnt(0)
	scratch_store_b32 v0, v2, off offset:-4
.LBB115_326:
	;; [unrolled: 16-line block ×49, first 2 shown]
	s_or_b32 exec_lo, exec_lo, s0
	v_dual_mov_b32 v0, s2 :: v_dual_mov_b32 v1, s3
	s_mov_b32 s0, exec_lo
	flat_load_b32 v1, v[0:1]
	scratch_load_b32 v0, off, off
	s_waitcnt vmcnt(1) lgkmcnt(0)
	v_cmpx_ne_u32_e32 1, v1
	s_cbranch_execz .LBB115_422
; %bb.421:
	v_lshl_add_u32 v1, v1, 2, 0
	scratch_load_b32 v2, v1, off offset:-4
	s_waitcnt vmcnt(0)
	scratch_store_b32 off, v2, off
	scratch_store_b32 v1, v0, off offset:-4
	scratch_load_b32 v0, off, off
.LBB115_422:
	s_or_b32 exec_lo, exec_lo, s0
.LBB115_423:
	s_clause 0xc
	scratch_load_b128 v[108:111], off, off offset:4
	scratch_load_b128 v[112:115], off, off offset:20
	;; [unrolled: 1-line block ×12, first 2 shown]
	scratch_load_b96 v[1:3], off, off offset:196
	s_waitcnt vmcnt(13)
	global_store_b32 v[4:5], v0, off
	s_waitcnt vmcnt(12)
	s_clause 0x3
	global_store_b32 v[6:7], v108, off
	global_store_b32 v[8:9], v109, off
	global_store_b32 v[10:11], v110, off
	global_store_b32 v[12:13], v111, off
	s_waitcnt vmcnt(11)
	s_clause 0x3
	global_store_b32 v[14:15], v112, off
	global_store_b32 v[16:17], v113, off
	global_store_b32 v[18:19], v114, off
	;; [unrolled: 6-line block ×13, first 2 shown]
	s_endpgm
	.section	.rodata,"a",@progbits
	.p2align	6, 0x0
	.amdhsa_kernel _ZN9rocsolver6v33100L18getri_kernel_smallILi52EfPKPfEEvT1_iilPiilS6_bb
		.amdhsa_group_segment_fixed_size 420
		.amdhsa_private_segment_fixed_size 224
		.amdhsa_kernarg_size 60
		.amdhsa_user_sgpr_count 15
		.amdhsa_user_sgpr_dispatch_ptr 0
		.amdhsa_user_sgpr_queue_ptr 0
		.amdhsa_user_sgpr_kernarg_segment_ptr 1
		.amdhsa_user_sgpr_dispatch_id 0
		.amdhsa_user_sgpr_private_segment_size 0
		.amdhsa_wavefront_size32 1
		.amdhsa_uses_dynamic_stack 0
		.amdhsa_enable_private_segment 1
		.amdhsa_system_sgpr_workgroup_id_x 1
		.amdhsa_system_sgpr_workgroup_id_y 0
		.amdhsa_system_sgpr_workgroup_id_z 0
		.amdhsa_system_sgpr_workgroup_info 0
		.amdhsa_system_vgpr_workitem_id 0
		.amdhsa_next_free_vgpr 167
		.amdhsa_next_free_sgpr 17
		.amdhsa_reserve_vcc 1
		.amdhsa_float_round_mode_32 0
		.amdhsa_float_round_mode_16_64 0
		.amdhsa_float_denorm_mode_32 3
		.amdhsa_float_denorm_mode_16_64 3
		.amdhsa_dx10_clamp 1
		.amdhsa_ieee_mode 1
		.amdhsa_fp16_overflow 0
		.amdhsa_workgroup_processor_mode 1
		.amdhsa_memory_ordered 1
		.amdhsa_forward_progress 0
		.amdhsa_shared_vgpr_count 0
		.amdhsa_exception_fp_ieee_invalid_op 0
		.amdhsa_exception_fp_denorm_src 0
		.amdhsa_exception_fp_ieee_div_zero 0
		.amdhsa_exception_fp_ieee_overflow 0
		.amdhsa_exception_fp_ieee_underflow 0
		.amdhsa_exception_fp_ieee_inexact 0
		.amdhsa_exception_int_div_zero 0
	.end_amdhsa_kernel
	.section	.text._ZN9rocsolver6v33100L18getri_kernel_smallILi52EfPKPfEEvT1_iilPiilS6_bb,"axG",@progbits,_ZN9rocsolver6v33100L18getri_kernel_smallILi52EfPKPfEEvT1_iilPiilS6_bb,comdat
.Lfunc_end115:
	.size	_ZN9rocsolver6v33100L18getri_kernel_smallILi52EfPKPfEEvT1_iilPiilS6_bb, .Lfunc_end115-_ZN9rocsolver6v33100L18getri_kernel_smallILi52EfPKPfEEvT1_iilPiilS6_bb
                                        ; -- End function
	.section	.AMDGPU.csdata,"",@progbits
; Kernel info:
; codeLenInByte = 39132
; NumSgprs: 19
; NumVgprs: 167
; ScratchSize: 224
; MemoryBound: 0
; FloatMode: 240
; IeeeMode: 1
; LDSByteSize: 420 bytes/workgroup (compile time only)
; SGPRBlocks: 2
; VGPRBlocks: 20
; NumSGPRsForWavesPerEU: 19
; NumVGPRsForWavesPerEU: 167
; Occupancy: 9
; WaveLimiterHint : 1
; COMPUTE_PGM_RSRC2:SCRATCH_EN: 1
; COMPUTE_PGM_RSRC2:USER_SGPR: 15
; COMPUTE_PGM_RSRC2:TRAP_HANDLER: 0
; COMPUTE_PGM_RSRC2:TGID_X_EN: 1
; COMPUTE_PGM_RSRC2:TGID_Y_EN: 0
; COMPUTE_PGM_RSRC2:TGID_Z_EN: 0
; COMPUTE_PGM_RSRC2:TIDIG_COMP_CNT: 0
	.section	.text._ZN9rocsolver6v33100L18getri_kernel_smallILi53EfPKPfEEvT1_iilPiilS6_bb,"axG",@progbits,_ZN9rocsolver6v33100L18getri_kernel_smallILi53EfPKPfEEvT1_iilPiilS6_bb,comdat
	.globl	_ZN9rocsolver6v33100L18getri_kernel_smallILi53EfPKPfEEvT1_iilPiilS6_bb ; -- Begin function _ZN9rocsolver6v33100L18getri_kernel_smallILi53EfPKPfEEvT1_iilPiilS6_bb
	.p2align	8
	.type	_ZN9rocsolver6v33100L18getri_kernel_smallILi53EfPKPfEEvT1_iilPiilS6_bb,@function
_ZN9rocsolver6v33100L18getri_kernel_smallILi53EfPKPfEEvT1_iilPiilS6_bb: ; @_ZN9rocsolver6v33100L18getri_kernel_smallILi53EfPKPfEEvT1_iilPiilS6_bb
; %bb.0:
	s_mov_b32 s2, exec_lo
	v_cmpx_gt_u32_e32 53, v0
	s_cbranch_execz .LBB116_220
; %bb.1:
	s_clause 0x1
	s_load_b32 s13, s[0:1], 0x38
	s_load_b64 s[2:3], s[0:1], 0x0
	s_mov_b32 s8, s15
	s_load_b128 s[4:7], s[0:1], 0x28
	s_waitcnt lgkmcnt(0)
	s_bitcmp1_b32 s13, 8
	s_cselect_b32 s12, -1, 0
	s_ashr_i32 s9, s15, 31
	s_delay_alu instid0(SALU_CYCLE_1) | instskip(NEXT) | instid1(SALU_CYCLE_1)
	s_lshl_b64 s[10:11], s[8:9], 3
	s_add_u32 s2, s2, s10
	s_addc_u32 s3, s3, s11
	s_load_b64 s[10:11], s[2:3], 0x0
	s_bfe_u32 s2, s13, 0x10008
	s_delay_alu instid0(SALU_CYCLE_1)
	s_cmp_eq_u32 s2, 0
                                        ; implicit-def: $sgpr2_sgpr3
	s_cbranch_scc1 .LBB116_3
; %bb.2:
	s_clause 0x1
	s_load_b32 s2, s[0:1], 0x20
	s_load_b64 s[14:15], s[0:1], 0x18
	s_mul_i32 s3, s8, s5
	s_mul_hi_u32 s5, s8, s4
	s_mul_i32 s16, s9, s4
	s_add_i32 s3, s5, s3
	s_mul_i32 s4, s8, s4
	s_add_i32 s5, s3, s16
	s_delay_alu instid0(SALU_CYCLE_1)
	s_lshl_b64 s[4:5], s[4:5], 2
	s_waitcnt lgkmcnt(0)
	s_ashr_i32 s3, s2, 31
	s_add_u32 s4, s14, s4
	s_addc_u32 s5, s15, s5
	s_lshl_b64 s[2:3], s[2:3], 2
	s_delay_alu instid0(SALU_CYCLE_1)
	s_add_u32 s2, s4, s2
	s_addc_u32 s3, s5, s3
.LBB116_3:
	s_load_b64 s[0:1], s[0:1], 0x8
	v_lshlrev_b32_e32 v3, 2, v0
	s_waitcnt lgkmcnt(0)
	v_add3_u32 v1, s1, s1, v0
	s_ashr_i32 s5, s0, 31
	s_mov_b32 s4, s0
	s_mov_b32 s14, s1
	s_lshl_b64 s[4:5], s[4:5], 2
	v_add_nc_u32_e32 v8, s1, v1
	v_ashrrev_i32_e32 v2, 31, v1
	s_add_u32 s4, s10, s4
	s_addc_u32 s5, s11, s5
	v_add_co_u32 v4, s0, s4, v3
	v_add_nc_u32_e32 v10, s1, v8
	s_ashr_i32 s15, s1, 31
	v_add_co_ci_u32_e64 v5, null, s5, 0, s0
	v_ashrrev_i32_e32 v9, 31, v8
	s_delay_alu instid0(VALU_DEP_3)
	v_add_nc_u32_e32 v12, s1, v10
	v_lshlrev_b64 v[1:2], 2, v[1:2]
	s_lshl_b64 s[10:11], s[14:15], 2
	v_ashrrev_i32_e32 v11, 31, v10
	v_add_co_u32 v6, vcc_lo, v4, s10
	v_add_nc_u32_e32 v14, s1, v12
	v_add_co_ci_u32_e32 v7, vcc_lo, s11, v5, vcc_lo
	v_lshlrev_b64 v[43:44], 2, v[8:9]
	v_add_co_u32 v8, vcc_lo, s4, v1
	s_delay_alu instid0(VALU_DEP_4) | instskip(SKIP_3) | instid1(VALU_DEP_4)
	v_add_nc_u32_e32 v16, s1, v14
	v_add_co_ci_u32_e32 v9, vcc_lo, s5, v2, vcc_lo
	v_lshlrev_b64 v[1:2], 2, v[10:11]
	v_ashrrev_i32_e32 v13, 31, v12
	v_add_nc_u32_e32 v18, s1, v16
	v_add_co_u32 v10, vcc_lo, s4, v43
	v_ashrrev_i32_e32 v15, 31, v14
	v_add_co_ci_u32_e32 v11, vcc_lo, s5, v44, vcc_lo
	s_delay_alu instid0(VALU_DEP_4) | instskip(SKIP_3) | instid1(VALU_DEP_4)
	v_add_nc_u32_e32 v20, s1, v18
	v_lshlrev_b64 v[43:44], 2, v[12:13]
	v_add_co_u32 v12, vcc_lo, s4, v1
	v_add_co_ci_u32_e32 v13, vcc_lo, s5, v2, vcc_lo
	v_add_nc_u32_e32 v22, s1, v20
	v_lshlrev_b64 v[1:2], 2, v[14:15]
	v_ashrrev_i32_e32 v17, 31, v16
	v_add_co_u32 v14, vcc_lo, s4, v43
	s_delay_alu instid0(VALU_DEP_4) | instskip(SKIP_3) | instid1(VALU_DEP_4)
	v_add_nc_u32_e32 v24, s1, v22
	v_ashrrev_i32_e32 v19, 31, v18
	v_add_co_ci_u32_e32 v15, vcc_lo, s5, v44, vcc_lo
	v_lshlrev_b64 v[43:44], 2, v[16:17]
	v_add_nc_u32_e32 v26, s1, v24
	v_add_co_u32 v16, vcc_lo, s4, v1
	v_add_co_ci_u32_e32 v17, vcc_lo, s5, v2, vcc_lo
	s_delay_alu instid0(VALU_DEP_3) | instskip(SKIP_3) | instid1(VALU_DEP_4)
	v_add_nc_u32_e32 v28, s1, v26
	v_lshlrev_b64 v[1:2], 2, v[18:19]
	v_ashrrev_i32_e32 v21, 31, v20
	v_add_co_u32 v18, vcc_lo, s4, v43
	v_add_nc_u32_e32 v30, s1, v28
	v_ashrrev_i32_e32 v23, 31, v22
	v_add_co_ci_u32_e32 v19, vcc_lo, s5, v44, vcc_lo
	v_lshlrev_b64 v[43:44], 2, v[20:21]
	s_delay_alu instid0(VALU_DEP_4) | instskip(SKIP_2) | instid1(VALU_DEP_3)
	v_add_nc_u32_e32 v32, s1, v30
	v_add_co_u32 v20, vcc_lo, s4, v1
	v_add_co_ci_u32_e32 v21, vcc_lo, s5, v2, vcc_lo
	v_add_nc_u32_e32 v34, s1, v32
	v_lshlrev_b64 v[1:2], 2, v[22:23]
	v_ashrrev_i32_e32 v25, 31, v24
	v_add_co_u32 v22, vcc_lo, s4, v43
	s_delay_alu instid0(VALU_DEP_4) | instskip(SKIP_3) | instid1(VALU_DEP_4)
	v_add_nc_u32_e32 v36, s1, v34
	v_ashrrev_i32_e32 v27, 31, v26
	v_add_co_ci_u32_e32 v23, vcc_lo, s5, v44, vcc_lo
	v_lshlrev_b64 v[43:44], 2, v[24:25]
	v_add_nc_u32_e32 v38, s1, v36
	v_add_co_u32 v24, vcc_lo, s4, v1
	v_add_co_ci_u32_e32 v25, vcc_lo, s5, v2, vcc_lo
	s_delay_alu instid0(VALU_DEP_3) | instskip(SKIP_3) | instid1(VALU_DEP_4)
	v_add_nc_u32_e32 v40, s1, v38
	v_lshlrev_b64 v[1:2], 2, v[26:27]
	v_ashrrev_i32_e32 v29, 31, v28
	v_add_co_u32 v26, vcc_lo, s4, v43
	v_add_nc_u32_e32 v42, s1, v40
	v_ashrrev_i32_e32 v31, 31, v30
	v_add_co_ci_u32_e32 v27, vcc_lo, s5, v44, vcc_lo
	v_lshlrev_b64 v[43:44], 2, v[28:29]
	s_delay_alu instid0(VALU_DEP_4) | instskip(SKIP_2) | instid1(VALU_DEP_3)
	v_add_nc_u32_e32 v45, s1, v42
	v_add_co_u32 v28, vcc_lo, s4, v1
	v_add_co_ci_u32_e32 v29, vcc_lo, s5, v2, vcc_lo
	v_add_nc_u32_e32 v47, s1, v45
	v_lshlrev_b64 v[1:2], 2, v[30:31]
	v_ashrrev_i32_e32 v33, 31, v32
	v_add_co_u32 v30, vcc_lo, s4, v43
	s_delay_alu instid0(VALU_DEP_4) | instskip(SKIP_3) | instid1(VALU_DEP_4)
	v_add_nc_u32_e32 v49, s1, v47
	v_ashrrev_i32_e32 v35, 31, v34
	v_add_co_ci_u32_e32 v31, vcc_lo, s5, v44, vcc_lo
	v_lshlrev_b64 v[43:44], 2, v[32:33]
	v_add_nc_u32_e32 v51, s1, v49
	v_add_co_u32 v32, vcc_lo, s4, v1
	v_add_co_ci_u32_e32 v33, vcc_lo, s5, v2, vcc_lo
	s_delay_alu instid0(VALU_DEP_3) | instskip(SKIP_3) | instid1(VALU_DEP_4)
	v_add_nc_u32_e32 v53, s1, v51
	v_lshlrev_b64 v[1:2], 2, v[34:35]
	v_ashrrev_i32_e32 v37, 31, v36
	v_add_co_u32 v34, vcc_lo, s4, v43
	v_add_nc_u32_e32 v55, s1, v53
	v_ashrrev_i32_e32 v39, 31, v38
	v_add_co_ci_u32_e32 v35, vcc_lo, s5, v44, vcc_lo
	v_lshlrev_b64 v[43:44], 2, v[36:37]
	s_delay_alu instid0(VALU_DEP_4) | instskip(SKIP_3) | instid1(VALU_DEP_4)
	v_add_nc_u32_e32 v57, s1, v55
	v_add_co_u32 v36, vcc_lo, s4, v1
	v_ashrrev_i32_e32 v41, 31, v40
	v_add_co_ci_u32_e32 v37, vcc_lo, s5, v2, vcc_lo
	v_add_nc_u32_e32 v59, s1, v57
	v_lshlrev_b64 v[1:2], 2, v[38:39]
	v_add_co_u32 v38, vcc_lo, s4, v43
	v_lshlrev_b64 v[68:69], 2, v[40:41]
	s_delay_alu instid0(VALU_DEP_4) | instskip(SKIP_3) | instid1(VALU_DEP_4)
	v_add_nc_u32_e32 v61, s1, v59
	v_ashrrev_i32_e32 v43, 31, v42
	v_add_co_ci_u32_e32 v39, vcc_lo, s5, v44, vcc_lo
	v_add_co_u32 v40, vcc_lo, s4, v1
	v_add_nc_u32_e32 v63, s1, v61
	v_ashrrev_i32_e32 v46, 31, v45
	v_add_co_ci_u32_e32 v41, vcc_lo, s5, v2, vcc_lo
	v_lshlrev_b64 v[1:2], 2, v[42:43]
	s_delay_alu instid0(VALU_DEP_4) | instskip(SKIP_2) | instid1(VALU_DEP_3)
	v_add_nc_u32_e32 v65, s1, v63
	v_add_co_u32 v42, vcc_lo, s4, v68
	v_add_co_ci_u32_e32 v43, vcc_lo, s5, v69, vcc_lo
	v_add_nc_u32_e32 v67, s1, v65
	v_lshlrev_b64 v[68:69], 2, v[45:46]
	v_ashrrev_i32_e32 v48, 31, v47
	v_add_co_u32 v44, vcc_lo, s4, v1
	s_delay_alu instid0(VALU_DEP_4) | instskip(SKIP_3) | instid1(VALU_DEP_4)
	v_add_nc_u32_e32 v72, s1, v67
	v_ashrrev_i32_e32 v50, 31, v49
	v_add_co_ci_u32_e32 v45, vcc_lo, s5, v2, vcc_lo
	v_lshlrev_b64 v[1:2], 2, v[47:48]
	v_add_nc_u32_e32 v74, s1, v72
	v_add_co_u32 v46, vcc_lo, s4, v68
	v_add_co_ci_u32_e32 v47, vcc_lo, s5, v69, vcc_lo
	s_delay_alu instid0(VALU_DEP_3) | instskip(SKIP_3) | instid1(VALU_DEP_4)
	v_add_nc_u32_e32 v76, s1, v74
	v_lshlrev_b64 v[68:69], 2, v[49:50]
	v_ashrrev_i32_e32 v52, 31, v51
	v_add_co_u32 v48, vcc_lo, s4, v1
	v_add_nc_u32_e32 v78, s1, v76
	v_ashrrev_i32_e32 v54, 31, v53
	v_add_co_ci_u32_e32 v49, vcc_lo, s5, v2, vcc_lo
	v_lshlrev_b64 v[1:2], 2, v[51:52]
	s_delay_alu instid0(VALU_DEP_4) | instskip(SKIP_2) | instid1(VALU_DEP_3)
	v_add_nc_u32_e32 v80, s1, v78
	v_add_co_u32 v50, vcc_lo, s4, v68
	v_add_co_ci_u32_e32 v51, vcc_lo, s5, v69, vcc_lo
	v_add_nc_u32_e32 v82, s1, v80
	v_lshlrev_b64 v[68:69], 2, v[53:54]
	v_ashrrev_i32_e32 v56, 31, v55
	v_add_co_u32 v52, vcc_lo, s4, v1
	s_delay_alu instid0(VALU_DEP_4) | instskip(SKIP_3) | instid1(VALU_DEP_4)
	v_add_nc_u32_e32 v84, s1, v82
	v_ashrrev_i32_e32 v58, 31, v57
	v_add_co_ci_u32_e32 v53, vcc_lo, s5, v2, vcc_lo
	v_lshlrev_b64 v[1:2], 2, v[55:56]
	v_add_nc_u32_e32 v86, s1, v84
	v_add_co_u32 v54, vcc_lo, s4, v68
	v_add_co_ci_u32_e32 v55, vcc_lo, s5, v69, vcc_lo
	s_delay_alu instid0(VALU_DEP_3) | instskip(SKIP_3) | instid1(VALU_DEP_4)
	v_add_nc_u32_e32 v88, s1, v86
	v_lshlrev_b64 v[68:69], 2, v[57:58]
	v_ashrrev_i32_e32 v60, 31, v59
	;; [unrolled: 25-line block ×3, first 2 shown]
	v_add_co_u32 v64, vcc_lo, s4, v1
	v_add_nc_u32_e32 v102, s1, v100
	v_add_co_ci_u32_e32 v65, vcc_lo, s5, v2, vcc_lo
	s_delay_alu instid0(VALU_DEP_4) | instskip(SKIP_1) | instid1(VALU_DEP_4)
	v_lshlrev_b64 v[1:2], 2, v[67:68]
	v_ashrrev_i32_e32 v73, 31, v72
	v_add_nc_u32_e32 v104, s1, v102
	v_add_co_u32 v68, vcc_lo, s4, v69
	v_add_co_ci_u32_e32 v69, vcc_lo, s5, v70, vcc_lo
	s_delay_alu instid0(VALU_DEP_3) | instskip(SKIP_2) | instid1(VALU_DEP_3)
	v_add_nc_u32_e32 v106, s1, v104
	v_add_co_u32 v70, vcc_lo, s4, v1
	v_add_co_ci_u32_e32 v71, vcc_lo, s5, v2, vcc_lo
	v_add_nc_u32_e32 v108, s1, v106
	v_lshlrev_b64 v[1:2], 2, v[72:73]
	v_ashrrev_i32_e32 v75, 31, v74
	v_ashrrev_i32_e32 v77, 31, v76
	v_ashrrev_i32_e32 v79, 31, v78
	v_add_nc_u32_e32 v66, s1, v108
	v_ashrrev_i32_e32 v81, 31, v80
	v_lshlrev_b64 v[74:75], 2, v[74:75]
	v_ashrrev_i32_e32 v83, 31, v82
	v_lshlrev_b64 v[78:79], 2, v[78:79]
	v_ashrrev_i32_e32 v67, 31, v66
	v_ashrrev_i32_e32 v85, 31, v84
	;; [unrolled: 1-line block ×3, first 2 shown]
	v_lshlrev_b64 v[82:83], 2, v[82:83]
	v_ashrrev_i32_e32 v89, 31, v88
	v_lshlrev_b64 v[66:67], 2, v[66:67]
	v_ashrrev_i32_e32 v91, 31, v90
	v_lshlrev_b64 v[86:87], 2, v[86:87]
	v_ashrrev_i32_e32 v93, 31, v92
	v_ashrrev_i32_e32 v95, 31, v94
	v_ashrrev_i32_e32 v97, 31, v96
	v_add_co_u32 v66, vcc_lo, s4, v66
	v_add_co_ci_u32_e32 v67, vcc_lo, s5, v67, vcc_lo
	v_add_co_u32 v72, vcc_lo, s4, v1
	v_add_co_ci_u32_e32 v73, vcc_lo, s5, v2, vcc_lo
	v_lshlrev_b64 v[1:2], 2, v[76:77]
	v_add_co_u32 v74, vcc_lo, s4, v74
	v_add_co_ci_u32_e32 v75, vcc_lo, s5, v75, vcc_lo
	v_lshlrev_b64 v[90:91], 2, v[90:91]
	s_delay_alu instid0(VALU_DEP_4)
	v_add_co_u32 v76, vcc_lo, s4, v1
	v_add_co_ci_u32_e32 v77, vcc_lo, s5, v2, vcc_lo
	v_lshlrev_b64 v[1:2], 2, v[80:81]
	v_add_co_u32 v78, vcc_lo, s4, v78
	v_add_co_ci_u32_e32 v79, vcc_lo, s5, v79, vcc_lo
	v_lshlrev_b64 v[94:95], 2, v[94:95]
	s_delay_alu instid0(VALU_DEP_4)
	v_add_co_u32 v80, vcc_lo, s4, v1
	v_add_co_ci_u32_e32 v81, vcc_lo, s5, v2, vcc_lo
	v_lshlrev_b64 v[1:2], 2, v[84:85]
	v_add_co_u32 v82, vcc_lo, s4, v82
	v_add_co_ci_u32_e32 v83, vcc_lo, s5, v83, vcc_lo
	v_ashrrev_i32_e32 v99, 31, v98
	s_delay_alu instid0(VALU_DEP_4)
	v_add_co_u32 v84, vcc_lo, s4, v1
	v_add_co_ci_u32_e32 v85, vcc_lo, s5, v2, vcc_lo
	v_lshlrev_b64 v[1:2], 2, v[88:89]
	v_add_co_u32 v86, vcc_lo, s4, v86
	v_add_co_ci_u32_e32 v87, vcc_lo, s5, v87, vcc_lo
	v_ashrrev_i32_e32 v101, 31, v100
	s_delay_alu instid0(VALU_DEP_4)
	v_add_co_u32 v88, vcc_lo, s4, v1
	v_add_co_ci_u32_e32 v89, vcc_lo, s5, v2, vcc_lo
	v_lshlrev_b64 v[1:2], 2, v[92:93]
	v_add_co_u32 v90, vcc_lo, s4, v90
	v_add_co_ci_u32_e32 v91, vcc_lo, s5, v91, vcc_lo
	v_lshlrev_b64 v[98:99], 2, v[98:99]
	s_delay_alu instid0(VALU_DEP_4)
	v_add_co_u32 v92, vcc_lo, s4, v1
	v_add_co_ci_u32_e32 v93, vcc_lo, s5, v2, vcc_lo
	v_lshlrev_b64 v[1:2], 2, v[96:97]
	v_add_co_u32 v94, vcc_lo, s4, v94
	v_add_co_ci_u32_e32 v95, vcc_lo, s5, v95, vcc_lo
	v_ashrrev_i32_e32 v103, 31, v102
	s_delay_alu instid0(VALU_DEP_4)
	v_add_co_u32 v96, vcc_lo, s4, v1
	v_add_co_ci_u32_e32 v97, vcc_lo, s5, v2, vcc_lo
	v_lshlrev_b64 v[1:2], 2, v[100:101]
	v_add_co_u32 v98, vcc_lo, s4, v98
	v_ashrrev_i32_e32 v105, 31, v104
	v_add_co_ci_u32_e32 v99, vcc_lo, s5, v99, vcc_lo
	v_lshlrev_b64 v[102:103], 2, v[102:103]
	v_add_co_u32 v100, vcc_lo, s4, v1
	v_add_co_ci_u32_e32 v101, vcc_lo, s5, v2, vcc_lo
	v_lshlrev_b64 v[1:2], 2, v[104:105]
	v_ashrrev_i32_e32 v107, 31, v106
	v_add_co_u32 v102, vcc_lo, s4, v102
	v_ashrrev_i32_e32 v109, 31, v108
	v_add_co_ci_u32_e32 v103, vcc_lo, s5, v103, vcc_lo
	s_delay_alu instid0(VALU_DEP_4) | instskip(SKIP_3) | instid1(VALU_DEP_4)
	v_lshlrev_b64 v[106:107], 2, v[106:107]
	v_add_co_u32 v104, vcc_lo, s4, v1
	v_add_co_ci_u32_e32 v105, vcc_lo, s5, v2, vcc_lo
	v_lshlrev_b64 v[1:2], 2, v[108:109]
	v_add_co_u32 v106, vcc_lo, s4, v106
	v_add_co_ci_u32_e32 v107, vcc_lo, s5, v107, vcc_lo
	global_load_b32 v110, v3, s[4:5]
	v_add_co_u32 v108, vcc_lo, s4, v1
	s_clause 0x1f
	global_load_b32 v111, v[6:7], off
	global_load_b32 v112, v[8:9], off
	;; [unrolled: 1-line block ×32, first 2 shown]
	s_clause 0x7
	global_load_b32 v143, v[72:73], off
	global_load_b32 v144, v[74:75], off
	;; [unrolled: 1-line block ×8, first 2 shown]
	v_add_co_ci_u32_e32 v109, vcc_lo, s5, v2, vcc_lo
	s_clause 0xb
	global_load_b32 v151, v[88:89], off
	global_load_b32 v152, v[90:91], off
	;; [unrolled: 1-line block ×12, first 2 shown]
	s_mov_b32 s1, -1
	s_bitcmp0_b32 s13, 0
	s_waitcnt vmcnt(49)
	scratch_store_b128 off, v[110:113], off
	s_waitcnt vmcnt(45)
	scratch_store_b128 off, v[114:117], off offset:16
	s_waitcnt vmcnt(41)
	scratch_store_b128 off, v[118:121], off offset:32
	;; [unrolled: 2-line block ×12, first 2 shown]
	s_waitcnt vmcnt(0)
	scratch_store_b32 off, v1, off offset:208
	s_cbranch_scc1 .LBB116_218
; %bb.4:
	v_cmp_eq_u32_e64 s0, 0, v0
	s_delay_alu instid0(VALU_DEP_1)
	s_and_saveexec_b32 s1, s0
	s_cbranch_execz .LBB116_6
; %bb.5:
	v_mov_b32_e32 v1, 0
	ds_store_b32 v1, v1 offset:212
.LBB116_6:
	s_or_b32 exec_lo, exec_lo, s1
	s_waitcnt lgkmcnt(0)
	s_waitcnt_vscnt null, 0x0
	s_barrier
	buffer_gl0_inv
	scratch_load_b32 v1, v3, off
	s_mov_b32 s4, exec_lo
	s_waitcnt vmcnt(0)
	v_cmpx_eq_f32_e32 0, v1
	s_cbranch_execz .LBB116_10
; %bb.7:
	v_mov_b32_e32 v1, 0
	s_mov_b32 s5, 0
	ds_load_b32 v2, v1 offset:212
	s_waitcnt lgkmcnt(0)
	v_readfirstlane_b32 s1, v2
	v_add_nc_u32_e32 v2, 1, v0
	s_delay_alu instid0(VALU_DEP_2) | instskip(NEXT) | instid1(VALU_DEP_1)
	s_cmp_eq_u32 s1, 0
	v_cmp_gt_i32_e32 vcc_lo, s1, v2
	s_cselect_b32 s10, -1, 0
	s_delay_alu instid0(SALU_CYCLE_1) | instskip(NEXT) | instid1(SALU_CYCLE_1)
	s_or_b32 s10, s10, vcc_lo
	s_and_b32 exec_lo, exec_lo, s10
	s_cbranch_execz .LBB116_10
; %bb.8:
	v_mov_b32_e32 v110, s1
.LBB116_9:                              ; =>This Inner Loop Header: Depth=1
	ds_cmpstore_rtn_b32 v110, v1, v2, v110 offset:212
	s_waitcnt lgkmcnt(0)
	v_cmp_ne_u32_e32 vcc_lo, 0, v110
	v_cmp_le_i32_e64 s1, v110, v2
	s_delay_alu instid0(VALU_DEP_1) | instskip(NEXT) | instid1(SALU_CYCLE_1)
	s_and_b32 s1, vcc_lo, s1
	s_and_b32 s1, exec_lo, s1
	s_delay_alu instid0(SALU_CYCLE_1) | instskip(NEXT) | instid1(SALU_CYCLE_1)
	s_or_b32 s5, s1, s5
	s_and_not1_b32 exec_lo, exec_lo, s5
	s_cbranch_execnz .LBB116_9
.LBB116_10:
	s_or_b32 exec_lo, exec_lo, s4
	v_mov_b32_e32 v1, 0
	s_barrier
	buffer_gl0_inv
	ds_load_b32 v2, v1 offset:212
	s_and_saveexec_b32 s1, s0
	s_cbranch_execz .LBB116_12
; %bb.11:
	s_lshl_b64 s[4:5], s[8:9], 2
	s_delay_alu instid0(SALU_CYCLE_1)
	s_add_u32 s4, s6, s4
	s_addc_u32 s5, s7, s5
	s_waitcnt lgkmcnt(0)
	global_store_b32 v1, v2, s[4:5]
.LBB116_12:
	s_or_b32 exec_lo, exec_lo, s1
	s_waitcnt lgkmcnt(0)
	v_cmp_ne_u32_e32 vcc_lo, 0, v2
	s_mov_b32 s1, 0
	s_cbranch_vccnz .LBB116_218
; %bb.13:
	v_add_nc_u32_e32 v1, 0, v3
	scratch_load_b32 v2, v1, off
	s_waitcnt vmcnt(0)
	v_div_scale_f32 v110, null, v2, v2, 1.0
	v_div_scale_f32 v113, vcc_lo, 1.0, v2, 1.0
	s_delay_alu instid0(VALU_DEP_2) | instskip(SKIP_2) | instid1(VALU_DEP_1)
	v_rcp_f32_e32 v111, v110
	s_waitcnt_depctr 0xfff
	v_fma_f32 v112, -v110, v111, 1.0
	v_fmac_f32_e32 v111, v112, v111
	s_delay_alu instid0(VALU_DEP_1) | instskip(NEXT) | instid1(VALU_DEP_1)
	v_mul_f32_e32 v112, v113, v111
	v_fma_f32 v114, -v110, v112, v113
	s_delay_alu instid0(VALU_DEP_1) | instskip(NEXT) | instid1(VALU_DEP_1)
	v_fmac_f32_e32 v112, v114, v111
	v_fma_f32 v110, -v110, v112, v113
	s_delay_alu instid0(VALU_DEP_1) | instskip(NEXT) | instid1(VALU_DEP_1)
	v_div_fmas_f32 v110, v110, v111, v112
	v_div_fixup_f32 v2, v110, v2, 1.0
	scratch_store_b32 v1, v2, off
	scratch_load_b32 v110, off, off offset:4
	v_xor_b32_e32 v111, 0x80000000, v2
	v_add_nc_u32_e32 v2, 0xe0, v3
	s_waitcnt vmcnt(0)
	ds_store_2addr_b32 v3, v111, v110 offset1:56
	s_waitcnt lgkmcnt(0)
	s_waitcnt_vscnt null, 0x0
	s_barrier
	buffer_gl0_inv
	s_and_saveexec_b32 s1, s0
	s_cbranch_execz .LBB116_15
; %bb.14:
	scratch_load_b32 v110, v1, off
	ds_load_b32 v111, v2
	v_mov_b32_e32 v112, 0
	ds_load_b32 v112, v112 offset:4
	s_waitcnt vmcnt(0) lgkmcnt(1)
	v_fma_f32 v110, v110, v111, 0
	s_waitcnt lgkmcnt(0)
	s_delay_alu instid0(VALU_DEP_1)
	v_mul_f32_e32 v110, v110, v112
	scratch_store_b32 off, v110, off offset:4
.LBB116_15:
	s_or_b32 exec_lo, exec_lo, s1
	s_waitcnt_vscnt null, 0x0
	s_barrier
	buffer_gl0_inv
	scratch_load_b32 v110, off, off offset:8
	s_mov_b32 s1, exec_lo
	s_waitcnt vmcnt(0)
	ds_store_b32 v2, v110
	s_waitcnt lgkmcnt(0)
	s_barrier
	buffer_gl0_inv
	v_cmpx_gt_u32_e32 2, v0
	s_cbranch_execz .LBB116_17
; %bb.16:
	scratch_load_b32 v112, v1, off
	scratch_load_b32 v113, off, off offset:4
	ds_load_b32 v114, v2
	v_mov_b32_e32 v110, 0
	ds_load_2addr_b32 v[110:111], v110 offset0:2 offset1:57
	s_waitcnt vmcnt(1) lgkmcnt(1)
	v_fma_f32 v112, v112, v114, 0
	s_waitcnt vmcnt(0) lgkmcnt(0)
	s_delay_alu instid0(VALU_DEP_1) | instskip(NEXT) | instid1(VALU_DEP_1)
	v_fma_f32 v111, v113, v111, v112
	v_cndmask_b32_e64 v111, v112, v111, s0
	s_delay_alu instid0(VALU_DEP_1)
	v_mul_f32_e32 v110, v111, v110
	scratch_store_b32 off, v110, off offset:8
.LBB116_17:
	s_or_b32 exec_lo, exec_lo, s1
	s_waitcnt_vscnt null, 0x0
	s_barrier
	buffer_gl0_inv
	scratch_load_b32 v111, off, off offset:12
	v_add_nc_u32_e32 v110, -1, v0
	s_mov_b32 s0, exec_lo
	s_waitcnt vmcnt(0)
	ds_store_b32 v2, v111
	s_waitcnt lgkmcnt(0)
	s_barrier
	buffer_gl0_inv
	v_cmpx_gt_u32_e32 3, v0
	s_cbranch_execz .LBB116_21
; %bb.18:
	v_dual_mov_b32 v111, 0 :: v_dual_add_nc_u32 v112, -1, v0
	v_add_nc_u32_e32 v113, 0xe0, v3
	v_add_nc_u32_e32 v114, 0, v3
	s_mov_b32 s1, 0
.LBB116_19:                             ; =>This Inner Loop Header: Depth=1
	scratch_load_b32 v115, v114, off
	ds_load_b32 v116, v113
	v_add_nc_u32_e32 v112, 1, v112
	v_add_nc_u32_e32 v113, 4, v113
	v_add_nc_u32_e32 v114, 4, v114
	s_delay_alu instid0(VALU_DEP_3)
	v_cmp_lt_u32_e32 vcc_lo, 1, v112
	s_or_b32 s1, vcc_lo, s1
	s_waitcnt vmcnt(0) lgkmcnt(0)
	v_fmac_f32_e32 v111, v115, v116
	s_and_not1_b32 exec_lo, exec_lo, s1
	s_cbranch_execnz .LBB116_19
; %bb.20:
	s_or_b32 exec_lo, exec_lo, s1
	v_mov_b32_e32 v112, 0
	ds_load_b32 v112, v112 offset:12
	s_waitcnt lgkmcnt(0)
	v_mul_f32_e32 v111, v111, v112
	scratch_store_b32 off, v111, off offset:12
.LBB116_21:
	s_or_b32 exec_lo, exec_lo, s0
	s_waitcnt_vscnt null, 0x0
	s_barrier
	buffer_gl0_inv
	scratch_load_b32 v111, off, off offset:16
	s_mov_b32 s0, exec_lo
	s_waitcnt vmcnt(0)
	ds_store_b32 v2, v111
	s_waitcnt lgkmcnt(0)
	s_barrier
	buffer_gl0_inv
	v_cmpx_gt_u32_e32 4, v0
	s_cbranch_execz .LBB116_25
; %bb.22:
	v_dual_mov_b32 v111, 0 :: v_dual_add_nc_u32 v112, -1, v0
	v_add_nc_u32_e32 v113, 0xe0, v3
	v_add_nc_u32_e32 v114, 0, v3
	s_mov_b32 s1, 0
.LBB116_23:                             ; =>This Inner Loop Header: Depth=1
	scratch_load_b32 v115, v114, off
	ds_load_b32 v116, v113
	v_add_nc_u32_e32 v112, 1, v112
	v_add_nc_u32_e32 v113, 4, v113
	v_add_nc_u32_e32 v114, 4, v114
	s_delay_alu instid0(VALU_DEP_3)
	v_cmp_lt_u32_e32 vcc_lo, 2, v112
	s_or_b32 s1, vcc_lo, s1
	s_waitcnt vmcnt(0) lgkmcnt(0)
	v_fmac_f32_e32 v111, v115, v116
	s_and_not1_b32 exec_lo, exec_lo, s1
	s_cbranch_execnz .LBB116_23
; %bb.24:
	s_or_b32 exec_lo, exec_lo, s1
	v_mov_b32_e32 v112, 0
	ds_load_b32 v112, v112 offset:16
	s_waitcnt lgkmcnt(0)
	v_mul_f32_e32 v111, v111, v112
	scratch_store_b32 off, v111, off offset:16
.LBB116_25:
	s_or_b32 exec_lo, exec_lo, s0
	s_waitcnt_vscnt null, 0x0
	s_barrier
	buffer_gl0_inv
	scratch_load_b32 v111, off, off offset:20
	s_mov_b32 s0, exec_lo
	s_waitcnt vmcnt(0)
	ds_store_b32 v2, v111
	s_waitcnt lgkmcnt(0)
	s_barrier
	buffer_gl0_inv
	v_cmpx_gt_u32_e32 5, v0
	s_cbranch_execz .LBB116_29
; %bb.26:
	v_dual_mov_b32 v111, 0 :: v_dual_add_nc_u32 v112, -1, v0
	v_add_nc_u32_e32 v113, 0xe0, v3
	v_add_nc_u32_e32 v114, 0, v3
	s_mov_b32 s1, 0
.LBB116_27:                             ; =>This Inner Loop Header: Depth=1
	scratch_load_b32 v115, v114, off
	ds_load_b32 v116, v113
	v_add_nc_u32_e32 v112, 1, v112
	v_add_nc_u32_e32 v113, 4, v113
	v_add_nc_u32_e32 v114, 4, v114
	s_delay_alu instid0(VALU_DEP_3)
	v_cmp_lt_u32_e32 vcc_lo, 3, v112
	s_or_b32 s1, vcc_lo, s1
	s_waitcnt vmcnt(0) lgkmcnt(0)
	v_fmac_f32_e32 v111, v115, v116
	s_and_not1_b32 exec_lo, exec_lo, s1
	s_cbranch_execnz .LBB116_27
; %bb.28:
	s_or_b32 exec_lo, exec_lo, s1
	v_mov_b32_e32 v112, 0
	ds_load_b32 v112, v112 offset:20
	s_waitcnt lgkmcnt(0)
	v_mul_f32_e32 v111, v111, v112
	scratch_store_b32 off, v111, off offset:20
.LBB116_29:
	s_or_b32 exec_lo, exec_lo, s0
	s_waitcnt_vscnt null, 0x0
	s_barrier
	buffer_gl0_inv
	scratch_load_b32 v111, off, off offset:24
	s_mov_b32 s0, exec_lo
	s_waitcnt vmcnt(0)
	ds_store_b32 v2, v111
	s_waitcnt lgkmcnt(0)
	s_barrier
	buffer_gl0_inv
	v_cmpx_gt_u32_e32 6, v0
	s_cbranch_execz .LBB116_33
; %bb.30:
	v_dual_mov_b32 v111, 0 :: v_dual_add_nc_u32 v112, -1, v0
	v_add_nc_u32_e32 v113, 0xe0, v3
	v_add_nc_u32_e32 v114, 0, v3
	s_mov_b32 s1, 0
.LBB116_31:                             ; =>This Inner Loop Header: Depth=1
	scratch_load_b32 v115, v114, off
	ds_load_b32 v116, v113
	v_add_nc_u32_e32 v112, 1, v112
	v_add_nc_u32_e32 v113, 4, v113
	v_add_nc_u32_e32 v114, 4, v114
	s_delay_alu instid0(VALU_DEP_3)
	v_cmp_lt_u32_e32 vcc_lo, 4, v112
	s_or_b32 s1, vcc_lo, s1
	s_waitcnt vmcnt(0) lgkmcnt(0)
	v_fmac_f32_e32 v111, v115, v116
	s_and_not1_b32 exec_lo, exec_lo, s1
	s_cbranch_execnz .LBB116_31
; %bb.32:
	s_or_b32 exec_lo, exec_lo, s1
	v_mov_b32_e32 v112, 0
	ds_load_b32 v112, v112 offset:24
	s_waitcnt lgkmcnt(0)
	v_mul_f32_e32 v111, v111, v112
	scratch_store_b32 off, v111, off offset:24
.LBB116_33:
	s_or_b32 exec_lo, exec_lo, s0
	s_waitcnt_vscnt null, 0x0
	s_barrier
	buffer_gl0_inv
	scratch_load_b32 v111, off, off offset:28
	s_mov_b32 s0, exec_lo
	s_waitcnt vmcnt(0)
	ds_store_b32 v2, v111
	s_waitcnt lgkmcnt(0)
	s_barrier
	buffer_gl0_inv
	v_cmpx_gt_u32_e32 7, v0
	s_cbranch_execz .LBB116_37
; %bb.34:
	v_dual_mov_b32 v111, 0 :: v_dual_add_nc_u32 v112, -1, v0
	v_add_nc_u32_e32 v113, 0xe0, v3
	v_add_nc_u32_e32 v114, 0, v3
	s_mov_b32 s1, 0
.LBB116_35:                             ; =>This Inner Loop Header: Depth=1
	scratch_load_b32 v115, v114, off
	ds_load_b32 v116, v113
	v_add_nc_u32_e32 v112, 1, v112
	v_add_nc_u32_e32 v113, 4, v113
	v_add_nc_u32_e32 v114, 4, v114
	s_delay_alu instid0(VALU_DEP_3)
	v_cmp_lt_u32_e32 vcc_lo, 5, v112
	s_or_b32 s1, vcc_lo, s1
	s_waitcnt vmcnt(0) lgkmcnt(0)
	v_fmac_f32_e32 v111, v115, v116
	s_and_not1_b32 exec_lo, exec_lo, s1
	s_cbranch_execnz .LBB116_35
; %bb.36:
	s_or_b32 exec_lo, exec_lo, s1
	v_mov_b32_e32 v112, 0
	ds_load_b32 v112, v112 offset:28
	s_waitcnt lgkmcnt(0)
	v_mul_f32_e32 v111, v111, v112
	scratch_store_b32 off, v111, off offset:28
.LBB116_37:
	s_or_b32 exec_lo, exec_lo, s0
	s_waitcnt_vscnt null, 0x0
	s_barrier
	buffer_gl0_inv
	scratch_load_b32 v111, off, off offset:32
	s_mov_b32 s0, exec_lo
	s_waitcnt vmcnt(0)
	ds_store_b32 v2, v111
	s_waitcnt lgkmcnt(0)
	s_barrier
	buffer_gl0_inv
	v_cmpx_gt_u32_e32 8, v0
	s_cbranch_execz .LBB116_41
; %bb.38:
	v_dual_mov_b32 v111, 0 :: v_dual_add_nc_u32 v112, -1, v0
	v_add_nc_u32_e32 v113, 0xe0, v3
	v_add_nc_u32_e32 v114, 0, v3
	s_mov_b32 s1, 0
.LBB116_39:                             ; =>This Inner Loop Header: Depth=1
	scratch_load_b32 v115, v114, off
	ds_load_b32 v116, v113
	v_add_nc_u32_e32 v112, 1, v112
	v_add_nc_u32_e32 v113, 4, v113
	v_add_nc_u32_e32 v114, 4, v114
	s_delay_alu instid0(VALU_DEP_3)
	v_cmp_lt_u32_e32 vcc_lo, 6, v112
	s_or_b32 s1, vcc_lo, s1
	s_waitcnt vmcnt(0) lgkmcnt(0)
	v_fmac_f32_e32 v111, v115, v116
	s_and_not1_b32 exec_lo, exec_lo, s1
	s_cbranch_execnz .LBB116_39
; %bb.40:
	s_or_b32 exec_lo, exec_lo, s1
	v_mov_b32_e32 v112, 0
	ds_load_b32 v112, v112 offset:32
	s_waitcnt lgkmcnt(0)
	v_mul_f32_e32 v111, v111, v112
	scratch_store_b32 off, v111, off offset:32
.LBB116_41:
	s_or_b32 exec_lo, exec_lo, s0
	s_waitcnt_vscnt null, 0x0
	s_barrier
	buffer_gl0_inv
	scratch_load_b32 v111, off, off offset:36
	s_mov_b32 s0, exec_lo
	s_waitcnt vmcnt(0)
	ds_store_b32 v2, v111
	s_waitcnt lgkmcnt(0)
	s_barrier
	buffer_gl0_inv
	v_cmpx_gt_u32_e32 9, v0
	s_cbranch_execz .LBB116_45
; %bb.42:
	v_dual_mov_b32 v111, 0 :: v_dual_add_nc_u32 v112, -1, v0
	v_add_nc_u32_e32 v113, 0xe0, v3
	v_add_nc_u32_e32 v114, 0, v3
	s_mov_b32 s1, 0
.LBB116_43:                             ; =>This Inner Loop Header: Depth=1
	scratch_load_b32 v115, v114, off
	ds_load_b32 v116, v113
	v_add_nc_u32_e32 v112, 1, v112
	v_add_nc_u32_e32 v113, 4, v113
	v_add_nc_u32_e32 v114, 4, v114
	s_delay_alu instid0(VALU_DEP_3)
	v_cmp_lt_u32_e32 vcc_lo, 7, v112
	s_or_b32 s1, vcc_lo, s1
	s_waitcnt vmcnt(0) lgkmcnt(0)
	v_fmac_f32_e32 v111, v115, v116
	s_and_not1_b32 exec_lo, exec_lo, s1
	s_cbranch_execnz .LBB116_43
; %bb.44:
	s_or_b32 exec_lo, exec_lo, s1
	v_mov_b32_e32 v112, 0
	ds_load_b32 v112, v112 offset:36
	s_waitcnt lgkmcnt(0)
	v_mul_f32_e32 v111, v111, v112
	scratch_store_b32 off, v111, off offset:36
.LBB116_45:
	s_or_b32 exec_lo, exec_lo, s0
	s_waitcnt_vscnt null, 0x0
	s_barrier
	buffer_gl0_inv
	scratch_load_b32 v111, off, off offset:40
	s_mov_b32 s0, exec_lo
	s_waitcnt vmcnt(0)
	ds_store_b32 v2, v111
	s_waitcnt lgkmcnt(0)
	s_barrier
	buffer_gl0_inv
	v_cmpx_gt_u32_e32 10, v0
	s_cbranch_execz .LBB116_49
; %bb.46:
	v_dual_mov_b32 v111, 0 :: v_dual_add_nc_u32 v112, -1, v0
	v_add_nc_u32_e32 v113, 0xe0, v3
	v_add_nc_u32_e32 v114, 0, v3
	s_mov_b32 s1, 0
.LBB116_47:                             ; =>This Inner Loop Header: Depth=1
	scratch_load_b32 v115, v114, off
	ds_load_b32 v116, v113
	v_add_nc_u32_e32 v112, 1, v112
	v_add_nc_u32_e32 v113, 4, v113
	v_add_nc_u32_e32 v114, 4, v114
	s_delay_alu instid0(VALU_DEP_3)
	v_cmp_lt_u32_e32 vcc_lo, 8, v112
	s_or_b32 s1, vcc_lo, s1
	s_waitcnt vmcnt(0) lgkmcnt(0)
	v_fmac_f32_e32 v111, v115, v116
	s_and_not1_b32 exec_lo, exec_lo, s1
	s_cbranch_execnz .LBB116_47
; %bb.48:
	s_or_b32 exec_lo, exec_lo, s1
	v_mov_b32_e32 v112, 0
	ds_load_b32 v112, v112 offset:40
	s_waitcnt lgkmcnt(0)
	v_mul_f32_e32 v111, v111, v112
	scratch_store_b32 off, v111, off offset:40
.LBB116_49:
	s_or_b32 exec_lo, exec_lo, s0
	s_waitcnt_vscnt null, 0x0
	s_barrier
	buffer_gl0_inv
	scratch_load_b32 v111, off, off offset:44
	s_mov_b32 s0, exec_lo
	s_waitcnt vmcnt(0)
	ds_store_b32 v2, v111
	s_waitcnt lgkmcnt(0)
	s_barrier
	buffer_gl0_inv
	v_cmpx_gt_u32_e32 11, v0
	s_cbranch_execz .LBB116_53
; %bb.50:
	v_dual_mov_b32 v111, 0 :: v_dual_add_nc_u32 v112, -1, v0
	v_add_nc_u32_e32 v113, 0xe0, v3
	v_add_nc_u32_e32 v114, 0, v3
	s_mov_b32 s1, 0
.LBB116_51:                             ; =>This Inner Loop Header: Depth=1
	scratch_load_b32 v115, v114, off
	ds_load_b32 v116, v113
	v_add_nc_u32_e32 v112, 1, v112
	v_add_nc_u32_e32 v113, 4, v113
	v_add_nc_u32_e32 v114, 4, v114
	s_delay_alu instid0(VALU_DEP_3)
	v_cmp_lt_u32_e32 vcc_lo, 9, v112
	s_or_b32 s1, vcc_lo, s1
	s_waitcnt vmcnt(0) lgkmcnt(0)
	v_fmac_f32_e32 v111, v115, v116
	s_and_not1_b32 exec_lo, exec_lo, s1
	s_cbranch_execnz .LBB116_51
; %bb.52:
	s_or_b32 exec_lo, exec_lo, s1
	v_mov_b32_e32 v112, 0
	ds_load_b32 v112, v112 offset:44
	s_waitcnt lgkmcnt(0)
	v_mul_f32_e32 v111, v111, v112
	scratch_store_b32 off, v111, off offset:44
.LBB116_53:
	s_or_b32 exec_lo, exec_lo, s0
	s_waitcnt_vscnt null, 0x0
	s_barrier
	buffer_gl0_inv
	scratch_load_b32 v111, off, off offset:48
	s_mov_b32 s0, exec_lo
	s_waitcnt vmcnt(0)
	ds_store_b32 v2, v111
	s_waitcnt lgkmcnt(0)
	s_barrier
	buffer_gl0_inv
	v_cmpx_gt_u32_e32 12, v0
	s_cbranch_execz .LBB116_57
; %bb.54:
	v_dual_mov_b32 v111, 0 :: v_dual_add_nc_u32 v112, -1, v0
	v_add_nc_u32_e32 v113, 0xe0, v3
	v_add_nc_u32_e32 v114, 0, v3
	s_mov_b32 s1, 0
.LBB116_55:                             ; =>This Inner Loop Header: Depth=1
	scratch_load_b32 v115, v114, off
	ds_load_b32 v116, v113
	v_add_nc_u32_e32 v112, 1, v112
	v_add_nc_u32_e32 v113, 4, v113
	v_add_nc_u32_e32 v114, 4, v114
	s_delay_alu instid0(VALU_DEP_3)
	v_cmp_lt_u32_e32 vcc_lo, 10, v112
	s_or_b32 s1, vcc_lo, s1
	s_waitcnt vmcnt(0) lgkmcnt(0)
	v_fmac_f32_e32 v111, v115, v116
	s_and_not1_b32 exec_lo, exec_lo, s1
	s_cbranch_execnz .LBB116_55
; %bb.56:
	s_or_b32 exec_lo, exec_lo, s1
	v_mov_b32_e32 v112, 0
	ds_load_b32 v112, v112 offset:48
	s_waitcnt lgkmcnt(0)
	v_mul_f32_e32 v111, v111, v112
	scratch_store_b32 off, v111, off offset:48
.LBB116_57:
	s_or_b32 exec_lo, exec_lo, s0
	s_waitcnt_vscnt null, 0x0
	s_barrier
	buffer_gl0_inv
	scratch_load_b32 v111, off, off offset:52
	s_mov_b32 s0, exec_lo
	s_waitcnt vmcnt(0)
	ds_store_b32 v2, v111
	s_waitcnt lgkmcnt(0)
	s_barrier
	buffer_gl0_inv
	v_cmpx_gt_u32_e32 13, v0
	s_cbranch_execz .LBB116_61
; %bb.58:
	v_dual_mov_b32 v111, 0 :: v_dual_add_nc_u32 v112, -1, v0
	v_add_nc_u32_e32 v113, 0xe0, v3
	v_add_nc_u32_e32 v114, 0, v3
	s_mov_b32 s1, 0
.LBB116_59:                             ; =>This Inner Loop Header: Depth=1
	scratch_load_b32 v115, v114, off
	ds_load_b32 v116, v113
	v_add_nc_u32_e32 v112, 1, v112
	v_add_nc_u32_e32 v113, 4, v113
	v_add_nc_u32_e32 v114, 4, v114
	s_delay_alu instid0(VALU_DEP_3)
	v_cmp_lt_u32_e32 vcc_lo, 11, v112
	s_or_b32 s1, vcc_lo, s1
	s_waitcnt vmcnt(0) lgkmcnt(0)
	v_fmac_f32_e32 v111, v115, v116
	s_and_not1_b32 exec_lo, exec_lo, s1
	s_cbranch_execnz .LBB116_59
; %bb.60:
	s_or_b32 exec_lo, exec_lo, s1
	v_mov_b32_e32 v112, 0
	ds_load_b32 v112, v112 offset:52
	s_waitcnt lgkmcnt(0)
	v_mul_f32_e32 v111, v111, v112
	scratch_store_b32 off, v111, off offset:52
.LBB116_61:
	s_or_b32 exec_lo, exec_lo, s0
	s_waitcnt_vscnt null, 0x0
	s_barrier
	buffer_gl0_inv
	scratch_load_b32 v111, off, off offset:56
	s_mov_b32 s0, exec_lo
	s_waitcnt vmcnt(0)
	ds_store_b32 v2, v111
	s_waitcnt lgkmcnt(0)
	s_barrier
	buffer_gl0_inv
	v_cmpx_gt_u32_e32 14, v0
	s_cbranch_execz .LBB116_65
; %bb.62:
	v_dual_mov_b32 v111, 0 :: v_dual_add_nc_u32 v112, -1, v0
	v_add_nc_u32_e32 v113, 0xe0, v3
	v_add_nc_u32_e32 v114, 0, v3
	s_mov_b32 s1, 0
.LBB116_63:                             ; =>This Inner Loop Header: Depth=1
	scratch_load_b32 v115, v114, off
	ds_load_b32 v116, v113
	v_add_nc_u32_e32 v112, 1, v112
	v_add_nc_u32_e32 v113, 4, v113
	v_add_nc_u32_e32 v114, 4, v114
	s_delay_alu instid0(VALU_DEP_3)
	v_cmp_lt_u32_e32 vcc_lo, 12, v112
	s_or_b32 s1, vcc_lo, s1
	s_waitcnt vmcnt(0) lgkmcnt(0)
	v_fmac_f32_e32 v111, v115, v116
	s_and_not1_b32 exec_lo, exec_lo, s1
	s_cbranch_execnz .LBB116_63
; %bb.64:
	s_or_b32 exec_lo, exec_lo, s1
	v_mov_b32_e32 v112, 0
	ds_load_b32 v112, v112 offset:56
	s_waitcnt lgkmcnt(0)
	v_mul_f32_e32 v111, v111, v112
	scratch_store_b32 off, v111, off offset:56
.LBB116_65:
	s_or_b32 exec_lo, exec_lo, s0
	s_waitcnt_vscnt null, 0x0
	s_barrier
	buffer_gl0_inv
	scratch_load_b32 v111, off, off offset:60
	s_mov_b32 s0, exec_lo
	s_waitcnt vmcnt(0)
	ds_store_b32 v2, v111
	s_waitcnt lgkmcnt(0)
	s_barrier
	buffer_gl0_inv
	v_cmpx_gt_u32_e32 15, v0
	s_cbranch_execz .LBB116_69
; %bb.66:
	v_dual_mov_b32 v111, 0 :: v_dual_add_nc_u32 v112, -1, v0
	v_add_nc_u32_e32 v113, 0xe0, v3
	v_add_nc_u32_e32 v114, 0, v3
	s_mov_b32 s1, 0
.LBB116_67:                             ; =>This Inner Loop Header: Depth=1
	scratch_load_b32 v115, v114, off
	ds_load_b32 v116, v113
	v_add_nc_u32_e32 v112, 1, v112
	v_add_nc_u32_e32 v113, 4, v113
	v_add_nc_u32_e32 v114, 4, v114
	s_delay_alu instid0(VALU_DEP_3)
	v_cmp_lt_u32_e32 vcc_lo, 13, v112
	s_or_b32 s1, vcc_lo, s1
	s_waitcnt vmcnt(0) lgkmcnt(0)
	v_fmac_f32_e32 v111, v115, v116
	s_and_not1_b32 exec_lo, exec_lo, s1
	s_cbranch_execnz .LBB116_67
; %bb.68:
	s_or_b32 exec_lo, exec_lo, s1
	v_mov_b32_e32 v112, 0
	ds_load_b32 v112, v112 offset:60
	s_waitcnt lgkmcnt(0)
	v_mul_f32_e32 v111, v111, v112
	scratch_store_b32 off, v111, off offset:60
.LBB116_69:
	s_or_b32 exec_lo, exec_lo, s0
	s_waitcnt_vscnt null, 0x0
	s_barrier
	buffer_gl0_inv
	scratch_load_b32 v111, off, off offset:64
	s_mov_b32 s0, exec_lo
	s_waitcnt vmcnt(0)
	ds_store_b32 v2, v111
	s_waitcnt lgkmcnt(0)
	s_barrier
	buffer_gl0_inv
	v_cmpx_gt_u32_e32 16, v0
	s_cbranch_execz .LBB116_73
; %bb.70:
	v_dual_mov_b32 v111, 0 :: v_dual_add_nc_u32 v112, -1, v0
	v_add_nc_u32_e32 v113, 0xe0, v3
	v_add_nc_u32_e32 v114, 0, v3
	s_mov_b32 s1, 0
.LBB116_71:                             ; =>This Inner Loop Header: Depth=1
	scratch_load_b32 v115, v114, off
	ds_load_b32 v116, v113
	v_add_nc_u32_e32 v112, 1, v112
	v_add_nc_u32_e32 v113, 4, v113
	v_add_nc_u32_e32 v114, 4, v114
	s_delay_alu instid0(VALU_DEP_3)
	v_cmp_lt_u32_e32 vcc_lo, 14, v112
	s_or_b32 s1, vcc_lo, s1
	s_waitcnt vmcnt(0) lgkmcnt(0)
	v_fmac_f32_e32 v111, v115, v116
	s_and_not1_b32 exec_lo, exec_lo, s1
	s_cbranch_execnz .LBB116_71
; %bb.72:
	s_or_b32 exec_lo, exec_lo, s1
	v_mov_b32_e32 v112, 0
	ds_load_b32 v112, v112 offset:64
	s_waitcnt lgkmcnt(0)
	v_mul_f32_e32 v111, v111, v112
	scratch_store_b32 off, v111, off offset:64
.LBB116_73:
	s_or_b32 exec_lo, exec_lo, s0
	s_waitcnt_vscnt null, 0x0
	s_barrier
	buffer_gl0_inv
	scratch_load_b32 v111, off, off offset:68
	s_mov_b32 s0, exec_lo
	s_waitcnt vmcnt(0)
	ds_store_b32 v2, v111
	s_waitcnt lgkmcnt(0)
	s_barrier
	buffer_gl0_inv
	v_cmpx_gt_u32_e32 17, v0
	s_cbranch_execz .LBB116_77
; %bb.74:
	v_dual_mov_b32 v111, 0 :: v_dual_add_nc_u32 v112, -1, v0
	v_add_nc_u32_e32 v113, 0xe0, v3
	v_add_nc_u32_e32 v114, 0, v3
	s_mov_b32 s1, 0
.LBB116_75:                             ; =>This Inner Loop Header: Depth=1
	scratch_load_b32 v115, v114, off
	ds_load_b32 v116, v113
	v_add_nc_u32_e32 v112, 1, v112
	v_add_nc_u32_e32 v113, 4, v113
	v_add_nc_u32_e32 v114, 4, v114
	s_delay_alu instid0(VALU_DEP_3)
	v_cmp_lt_u32_e32 vcc_lo, 15, v112
	s_or_b32 s1, vcc_lo, s1
	s_waitcnt vmcnt(0) lgkmcnt(0)
	v_fmac_f32_e32 v111, v115, v116
	s_and_not1_b32 exec_lo, exec_lo, s1
	s_cbranch_execnz .LBB116_75
; %bb.76:
	s_or_b32 exec_lo, exec_lo, s1
	v_mov_b32_e32 v112, 0
	ds_load_b32 v112, v112 offset:68
	s_waitcnt lgkmcnt(0)
	v_mul_f32_e32 v111, v111, v112
	scratch_store_b32 off, v111, off offset:68
.LBB116_77:
	s_or_b32 exec_lo, exec_lo, s0
	s_waitcnt_vscnt null, 0x0
	s_barrier
	buffer_gl0_inv
	scratch_load_b32 v111, off, off offset:72
	s_mov_b32 s0, exec_lo
	s_waitcnt vmcnt(0)
	ds_store_b32 v2, v111
	s_waitcnt lgkmcnt(0)
	s_barrier
	buffer_gl0_inv
	v_cmpx_gt_u32_e32 18, v0
	s_cbranch_execz .LBB116_81
; %bb.78:
	v_dual_mov_b32 v111, 0 :: v_dual_add_nc_u32 v112, -1, v0
	v_add_nc_u32_e32 v113, 0xe0, v3
	v_add_nc_u32_e32 v114, 0, v3
	s_mov_b32 s1, 0
.LBB116_79:                             ; =>This Inner Loop Header: Depth=1
	scratch_load_b32 v115, v114, off
	ds_load_b32 v116, v113
	v_add_nc_u32_e32 v112, 1, v112
	v_add_nc_u32_e32 v113, 4, v113
	v_add_nc_u32_e32 v114, 4, v114
	s_delay_alu instid0(VALU_DEP_3)
	v_cmp_lt_u32_e32 vcc_lo, 16, v112
	s_or_b32 s1, vcc_lo, s1
	s_waitcnt vmcnt(0) lgkmcnt(0)
	v_fmac_f32_e32 v111, v115, v116
	s_and_not1_b32 exec_lo, exec_lo, s1
	s_cbranch_execnz .LBB116_79
; %bb.80:
	s_or_b32 exec_lo, exec_lo, s1
	v_mov_b32_e32 v112, 0
	ds_load_b32 v112, v112 offset:72
	s_waitcnt lgkmcnt(0)
	v_mul_f32_e32 v111, v111, v112
	scratch_store_b32 off, v111, off offset:72
.LBB116_81:
	s_or_b32 exec_lo, exec_lo, s0
	s_waitcnt_vscnt null, 0x0
	s_barrier
	buffer_gl0_inv
	scratch_load_b32 v111, off, off offset:76
	s_mov_b32 s0, exec_lo
	s_waitcnt vmcnt(0)
	ds_store_b32 v2, v111
	s_waitcnt lgkmcnt(0)
	s_barrier
	buffer_gl0_inv
	v_cmpx_gt_u32_e32 19, v0
	s_cbranch_execz .LBB116_85
; %bb.82:
	v_dual_mov_b32 v111, 0 :: v_dual_add_nc_u32 v112, -1, v0
	v_add_nc_u32_e32 v113, 0xe0, v3
	v_add_nc_u32_e32 v114, 0, v3
	s_mov_b32 s1, 0
.LBB116_83:                             ; =>This Inner Loop Header: Depth=1
	scratch_load_b32 v115, v114, off
	ds_load_b32 v116, v113
	v_add_nc_u32_e32 v112, 1, v112
	v_add_nc_u32_e32 v113, 4, v113
	v_add_nc_u32_e32 v114, 4, v114
	s_delay_alu instid0(VALU_DEP_3)
	v_cmp_lt_u32_e32 vcc_lo, 17, v112
	s_or_b32 s1, vcc_lo, s1
	s_waitcnt vmcnt(0) lgkmcnt(0)
	v_fmac_f32_e32 v111, v115, v116
	s_and_not1_b32 exec_lo, exec_lo, s1
	s_cbranch_execnz .LBB116_83
; %bb.84:
	s_or_b32 exec_lo, exec_lo, s1
	v_mov_b32_e32 v112, 0
	ds_load_b32 v112, v112 offset:76
	s_waitcnt lgkmcnt(0)
	v_mul_f32_e32 v111, v111, v112
	scratch_store_b32 off, v111, off offset:76
.LBB116_85:
	s_or_b32 exec_lo, exec_lo, s0
	s_waitcnt_vscnt null, 0x0
	s_barrier
	buffer_gl0_inv
	scratch_load_b32 v111, off, off offset:80
	s_mov_b32 s0, exec_lo
	s_waitcnt vmcnt(0)
	ds_store_b32 v2, v111
	s_waitcnt lgkmcnt(0)
	s_barrier
	buffer_gl0_inv
	v_cmpx_gt_u32_e32 20, v0
	s_cbranch_execz .LBB116_89
; %bb.86:
	v_dual_mov_b32 v111, 0 :: v_dual_add_nc_u32 v112, -1, v0
	v_add_nc_u32_e32 v113, 0xe0, v3
	v_add_nc_u32_e32 v114, 0, v3
	s_mov_b32 s1, 0
.LBB116_87:                             ; =>This Inner Loop Header: Depth=1
	scratch_load_b32 v115, v114, off
	ds_load_b32 v116, v113
	v_add_nc_u32_e32 v112, 1, v112
	v_add_nc_u32_e32 v113, 4, v113
	v_add_nc_u32_e32 v114, 4, v114
	s_delay_alu instid0(VALU_DEP_3)
	v_cmp_lt_u32_e32 vcc_lo, 18, v112
	s_or_b32 s1, vcc_lo, s1
	s_waitcnt vmcnt(0) lgkmcnt(0)
	v_fmac_f32_e32 v111, v115, v116
	s_and_not1_b32 exec_lo, exec_lo, s1
	s_cbranch_execnz .LBB116_87
; %bb.88:
	s_or_b32 exec_lo, exec_lo, s1
	v_mov_b32_e32 v112, 0
	ds_load_b32 v112, v112 offset:80
	s_waitcnt lgkmcnt(0)
	v_mul_f32_e32 v111, v111, v112
	scratch_store_b32 off, v111, off offset:80
.LBB116_89:
	s_or_b32 exec_lo, exec_lo, s0
	s_waitcnt_vscnt null, 0x0
	s_barrier
	buffer_gl0_inv
	scratch_load_b32 v111, off, off offset:84
	s_mov_b32 s0, exec_lo
	s_waitcnt vmcnt(0)
	ds_store_b32 v2, v111
	s_waitcnt lgkmcnt(0)
	s_barrier
	buffer_gl0_inv
	v_cmpx_gt_u32_e32 21, v0
	s_cbranch_execz .LBB116_93
; %bb.90:
	v_dual_mov_b32 v111, 0 :: v_dual_add_nc_u32 v112, -1, v0
	v_add_nc_u32_e32 v113, 0xe0, v3
	v_add_nc_u32_e32 v114, 0, v3
	s_mov_b32 s1, 0
.LBB116_91:                             ; =>This Inner Loop Header: Depth=1
	scratch_load_b32 v115, v114, off
	ds_load_b32 v116, v113
	v_add_nc_u32_e32 v112, 1, v112
	v_add_nc_u32_e32 v113, 4, v113
	v_add_nc_u32_e32 v114, 4, v114
	s_delay_alu instid0(VALU_DEP_3)
	v_cmp_lt_u32_e32 vcc_lo, 19, v112
	s_or_b32 s1, vcc_lo, s1
	s_waitcnt vmcnt(0) lgkmcnt(0)
	v_fmac_f32_e32 v111, v115, v116
	s_and_not1_b32 exec_lo, exec_lo, s1
	s_cbranch_execnz .LBB116_91
; %bb.92:
	s_or_b32 exec_lo, exec_lo, s1
	v_mov_b32_e32 v112, 0
	ds_load_b32 v112, v112 offset:84
	s_waitcnt lgkmcnt(0)
	v_mul_f32_e32 v111, v111, v112
	scratch_store_b32 off, v111, off offset:84
.LBB116_93:
	s_or_b32 exec_lo, exec_lo, s0
	s_waitcnt_vscnt null, 0x0
	s_barrier
	buffer_gl0_inv
	scratch_load_b32 v111, off, off offset:88
	s_mov_b32 s0, exec_lo
	s_waitcnt vmcnt(0)
	ds_store_b32 v2, v111
	s_waitcnt lgkmcnt(0)
	s_barrier
	buffer_gl0_inv
	v_cmpx_gt_u32_e32 22, v0
	s_cbranch_execz .LBB116_97
; %bb.94:
	v_dual_mov_b32 v111, 0 :: v_dual_add_nc_u32 v112, -1, v0
	v_add_nc_u32_e32 v113, 0xe0, v3
	v_add_nc_u32_e32 v114, 0, v3
	s_mov_b32 s1, 0
.LBB116_95:                             ; =>This Inner Loop Header: Depth=1
	scratch_load_b32 v115, v114, off
	ds_load_b32 v116, v113
	v_add_nc_u32_e32 v112, 1, v112
	v_add_nc_u32_e32 v113, 4, v113
	v_add_nc_u32_e32 v114, 4, v114
	s_delay_alu instid0(VALU_DEP_3)
	v_cmp_lt_u32_e32 vcc_lo, 20, v112
	s_or_b32 s1, vcc_lo, s1
	s_waitcnt vmcnt(0) lgkmcnt(0)
	v_fmac_f32_e32 v111, v115, v116
	s_and_not1_b32 exec_lo, exec_lo, s1
	s_cbranch_execnz .LBB116_95
; %bb.96:
	s_or_b32 exec_lo, exec_lo, s1
	v_mov_b32_e32 v112, 0
	ds_load_b32 v112, v112 offset:88
	s_waitcnt lgkmcnt(0)
	v_mul_f32_e32 v111, v111, v112
	scratch_store_b32 off, v111, off offset:88
.LBB116_97:
	s_or_b32 exec_lo, exec_lo, s0
	s_waitcnt_vscnt null, 0x0
	s_barrier
	buffer_gl0_inv
	scratch_load_b32 v111, off, off offset:92
	s_mov_b32 s0, exec_lo
	s_waitcnt vmcnt(0)
	ds_store_b32 v2, v111
	s_waitcnt lgkmcnt(0)
	s_barrier
	buffer_gl0_inv
	v_cmpx_gt_u32_e32 23, v0
	s_cbranch_execz .LBB116_101
; %bb.98:
	v_dual_mov_b32 v111, 0 :: v_dual_add_nc_u32 v112, -1, v0
	v_add_nc_u32_e32 v113, 0xe0, v3
	v_add_nc_u32_e32 v114, 0, v3
	s_mov_b32 s1, 0
.LBB116_99:                             ; =>This Inner Loop Header: Depth=1
	scratch_load_b32 v115, v114, off
	ds_load_b32 v116, v113
	v_add_nc_u32_e32 v112, 1, v112
	v_add_nc_u32_e32 v113, 4, v113
	v_add_nc_u32_e32 v114, 4, v114
	s_delay_alu instid0(VALU_DEP_3)
	v_cmp_lt_u32_e32 vcc_lo, 21, v112
	s_or_b32 s1, vcc_lo, s1
	s_waitcnt vmcnt(0) lgkmcnt(0)
	v_fmac_f32_e32 v111, v115, v116
	s_and_not1_b32 exec_lo, exec_lo, s1
	s_cbranch_execnz .LBB116_99
; %bb.100:
	s_or_b32 exec_lo, exec_lo, s1
	v_mov_b32_e32 v112, 0
	ds_load_b32 v112, v112 offset:92
	s_waitcnt lgkmcnt(0)
	v_mul_f32_e32 v111, v111, v112
	scratch_store_b32 off, v111, off offset:92
.LBB116_101:
	s_or_b32 exec_lo, exec_lo, s0
	s_waitcnt_vscnt null, 0x0
	s_barrier
	buffer_gl0_inv
	scratch_load_b32 v111, off, off offset:96
	s_mov_b32 s0, exec_lo
	s_waitcnt vmcnt(0)
	ds_store_b32 v2, v111
	s_waitcnt lgkmcnt(0)
	s_barrier
	buffer_gl0_inv
	v_cmpx_gt_u32_e32 24, v0
	s_cbranch_execz .LBB116_105
; %bb.102:
	v_dual_mov_b32 v111, 0 :: v_dual_add_nc_u32 v112, -1, v0
	v_add_nc_u32_e32 v113, 0xe0, v3
	v_add_nc_u32_e32 v114, 0, v3
	s_mov_b32 s1, 0
.LBB116_103:                            ; =>This Inner Loop Header: Depth=1
	scratch_load_b32 v115, v114, off
	ds_load_b32 v116, v113
	v_add_nc_u32_e32 v112, 1, v112
	v_add_nc_u32_e32 v113, 4, v113
	v_add_nc_u32_e32 v114, 4, v114
	s_delay_alu instid0(VALU_DEP_3)
	v_cmp_lt_u32_e32 vcc_lo, 22, v112
	s_or_b32 s1, vcc_lo, s1
	s_waitcnt vmcnt(0) lgkmcnt(0)
	v_fmac_f32_e32 v111, v115, v116
	s_and_not1_b32 exec_lo, exec_lo, s1
	s_cbranch_execnz .LBB116_103
; %bb.104:
	s_or_b32 exec_lo, exec_lo, s1
	v_mov_b32_e32 v112, 0
	ds_load_b32 v112, v112 offset:96
	s_waitcnt lgkmcnt(0)
	v_mul_f32_e32 v111, v111, v112
	scratch_store_b32 off, v111, off offset:96
.LBB116_105:
	s_or_b32 exec_lo, exec_lo, s0
	s_waitcnt_vscnt null, 0x0
	s_barrier
	buffer_gl0_inv
	scratch_load_b32 v111, off, off offset:100
	s_mov_b32 s0, exec_lo
	s_waitcnt vmcnt(0)
	ds_store_b32 v2, v111
	s_waitcnt lgkmcnt(0)
	s_barrier
	buffer_gl0_inv
	v_cmpx_gt_u32_e32 25, v0
	s_cbranch_execz .LBB116_109
; %bb.106:
	v_dual_mov_b32 v111, 0 :: v_dual_add_nc_u32 v112, -1, v0
	v_add_nc_u32_e32 v113, 0xe0, v3
	v_add_nc_u32_e32 v114, 0, v3
	s_mov_b32 s1, 0
.LBB116_107:                            ; =>This Inner Loop Header: Depth=1
	scratch_load_b32 v115, v114, off
	ds_load_b32 v116, v113
	v_add_nc_u32_e32 v112, 1, v112
	v_add_nc_u32_e32 v113, 4, v113
	v_add_nc_u32_e32 v114, 4, v114
	s_delay_alu instid0(VALU_DEP_3)
	v_cmp_lt_u32_e32 vcc_lo, 23, v112
	s_or_b32 s1, vcc_lo, s1
	s_waitcnt vmcnt(0) lgkmcnt(0)
	v_fmac_f32_e32 v111, v115, v116
	s_and_not1_b32 exec_lo, exec_lo, s1
	s_cbranch_execnz .LBB116_107
; %bb.108:
	s_or_b32 exec_lo, exec_lo, s1
	v_mov_b32_e32 v112, 0
	ds_load_b32 v112, v112 offset:100
	s_waitcnt lgkmcnt(0)
	v_mul_f32_e32 v111, v111, v112
	scratch_store_b32 off, v111, off offset:100
.LBB116_109:
	s_or_b32 exec_lo, exec_lo, s0
	s_waitcnt_vscnt null, 0x0
	s_barrier
	buffer_gl0_inv
	scratch_load_b32 v111, off, off offset:104
	;; [unrolled: 39-line block ×27, first 2 shown]
	s_mov_b32 s0, exec_lo
	s_waitcnt vmcnt(0)
	ds_store_b32 v2, v111
	s_waitcnt lgkmcnt(0)
	s_barrier
	buffer_gl0_inv
	v_cmpx_gt_u32_e32 51, v0
	s_cbranch_execz .LBB116_213
; %bb.210:
	v_add_nc_u32_e32 v111, -1, v0
	v_add_nc_u32_e32 v112, 0xe0, v3
	v_add_nc_u32_e32 v113, 0, v3
	v_mov_b32_e32 v3, 0
	s_mov_b32 s1, 0
.LBB116_211:                            ; =>This Inner Loop Header: Depth=1
	scratch_load_b32 v114, v113, off
	ds_load_b32 v115, v112
	v_add_nc_u32_e32 v111, 1, v111
	v_add_nc_u32_e32 v112, 4, v112
	;; [unrolled: 1-line block ×3, first 2 shown]
	s_delay_alu instid0(VALU_DEP_3)
	v_cmp_lt_u32_e32 vcc_lo, 49, v111
	s_or_b32 s1, vcc_lo, s1
	s_waitcnt vmcnt(0) lgkmcnt(0)
	v_fmac_f32_e32 v3, v114, v115
	s_and_not1_b32 exec_lo, exec_lo, s1
	s_cbranch_execnz .LBB116_211
; %bb.212:
	s_or_b32 exec_lo, exec_lo, s1
	v_mov_b32_e32 v111, 0
	ds_load_b32 v111, v111 offset:204
	s_waitcnt lgkmcnt(0)
	v_mul_f32_e32 v3, v3, v111
	scratch_store_b32 off, v3, off offset:204
.LBB116_213:
	s_or_b32 exec_lo, exec_lo, s0
	s_waitcnt_vscnt null, 0x0
	s_barrier
	buffer_gl0_inv
	scratch_load_b32 v3, off, off offset:208
	s_mov_b32 s0, exec_lo
	s_waitcnt vmcnt(0)
	ds_store_b32 v2, v3
	s_waitcnt lgkmcnt(0)
	s_barrier
	buffer_gl0_inv
	v_cmpx_ne_u32_e32 52, v0
	s_cbranch_execz .LBB116_217
; %bb.214:
	v_mov_b32_e32 v3, 0
	s_mov_b32 s1, 0
.LBB116_215:                            ; =>This Inner Loop Header: Depth=1
	scratch_load_b32 v111, v1, off
	ds_load_b32 v112, v2
	v_add_nc_u32_e32 v110, 1, v110
	v_add_nc_u32_e32 v2, 4, v2
	;; [unrolled: 1-line block ×3, first 2 shown]
	s_waitcnt vmcnt(0) lgkmcnt(0)
	v_fmac_f32_e32 v3, v111, v112
	v_cmp_lt_u32_e32 vcc_lo, 50, v110
	s_or_b32 s1, vcc_lo, s1
	s_delay_alu instid0(SALU_CYCLE_1)
	s_and_not1_b32 exec_lo, exec_lo, s1
	s_cbranch_execnz .LBB116_215
; %bb.216:
	s_or_b32 exec_lo, exec_lo, s1
	v_mov_b32_e32 v1, 0
	ds_load_b32 v1, v1 offset:208
	s_waitcnt lgkmcnt(0)
	v_mul_f32_e32 v1, v3, v1
	scratch_store_b32 off, v1, off offset:208
.LBB116_217:
	s_or_b32 exec_lo, exec_lo, s0
	s_mov_b32 s1, -1
	s_waitcnt_vscnt null, 0x0
	s_barrier
	buffer_gl0_inv
.LBB116_218:
	s_and_b32 vcc_lo, exec_lo, s1
	s_cbranch_vccz .LBB116_220
; %bb.219:
	s_lshl_b64 s[0:1], s[8:9], 2
	v_mov_b32_e32 v1, 0
	s_add_u32 s0, s6, s0
	s_addc_u32 s1, s7, s1
	global_load_b32 v1, v1, s[0:1]
	s_waitcnt vmcnt(0)
	v_cmp_ne_u32_e32 vcc_lo, 0, v1
	s_cbranch_vccz .LBB116_221
.LBB116_220:
	s_endpgm
.LBB116_221:
	v_lshl_add_u32 v1, v0, 2, 0xe0
	s_mov_b32 s0, exec_lo
	v_cmpx_eq_u32_e32 52, v0
	s_cbranch_execz .LBB116_223
; %bb.222:
	scratch_load_b32 v2, off, off offset:204
	v_mov_b32_e32 v3, 0
	scratch_store_b32 off, v3, off offset:204
	s_waitcnt vmcnt(0)
	ds_store_b32 v1, v2
.LBB116_223:
	s_or_b32 exec_lo, exec_lo, s0
	s_waitcnt lgkmcnt(0)
	s_waitcnt_vscnt null, 0x0
	s_barrier
	buffer_gl0_inv
	scratch_load_b64 v[110:111], off, off offset:204
	v_mov_b32_e32 v2, 0
	s_mov_b32 s0, exec_lo
	ds_load_b32 v3, v2 offset:432
	s_waitcnt vmcnt(0) lgkmcnt(0)
	v_fma_f32 v3, v111, v3, 0
	s_delay_alu instid0(VALU_DEP_1)
	v_sub_f32_e32 v3, v110, v3
	scratch_store_b32 off, v3, off offset:204
	v_cmpx_lt_u32_e32 50, v0
	s_cbranch_execz .LBB116_225
; %bb.224:
	scratch_load_b32 v3, off, off offset:200
	scratch_store_b32 off, v2, off offset:200
	s_waitcnt vmcnt(0)
	ds_store_b32 v1, v3
.LBB116_225:
	s_or_b32 exec_lo, exec_lo, s0
	s_waitcnt lgkmcnt(0)
	s_waitcnt_vscnt null, 0x0
	s_barrier
	buffer_gl0_inv
	scratch_load_b96 v[110:112], off, off offset:200
	ds_load_2addr_b32 v[2:3], v2 offset0:107 offset1:108
	s_mov_b32 s0, exec_lo
	s_waitcnt vmcnt(0) lgkmcnt(0)
	v_fma_f32 v2, v111, v2, 0
	s_delay_alu instid0(VALU_DEP_1) | instskip(NEXT) | instid1(VALU_DEP_1)
	v_fmac_f32_e32 v2, v112, v3
	v_sub_f32_e32 v2, v110, v2
	scratch_store_b32 off, v2, off offset:200
	v_cmpx_lt_u32_e32 49, v0
	s_cbranch_execz .LBB116_227
; %bb.226:
	scratch_load_b32 v2, off, off offset:196
	v_mov_b32_e32 v3, 0
	scratch_store_b32 off, v3, off offset:196
	s_waitcnt vmcnt(0)
	ds_store_b32 v1, v2
.LBB116_227:
	s_or_b32 exec_lo, exec_lo, s0
	s_waitcnt lgkmcnt(0)
	s_waitcnt_vscnt null, 0x0
	s_barrier
	buffer_gl0_inv
	scratch_load_b128 v[110:113], off, off offset:196
	v_mov_b32_e32 v2, 0
	ds_load_b64 v[114:115], v2 offset:424
	ds_load_b32 v3, v2 offset:432
	s_mov_b32 s0, exec_lo
	s_waitcnt vmcnt(0) lgkmcnt(1)
	v_fma_f32 v111, v111, v114, 0
	s_delay_alu instid0(VALU_DEP_1) | instskip(SKIP_1) | instid1(VALU_DEP_1)
	v_fmac_f32_e32 v111, v112, v115
	s_waitcnt lgkmcnt(0)
	v_fmac_f32_e32 v111, v113, v3
	s_delay_alu instid0(VALU_DEP_1)
	v_sub_f32_e32 v3, v110, v111
	scratch_store_b32 off, v3, off offset:196
	v_cmpx_lt_u32_e32 48, v0
	s_cbranch_execz .LBB116_229
; %bb.228:
	scratch_load_b32 v3, off, off offset:192
	scratch_store_b32 off, v2, off offset:192
	s_waitcnt vmcnt(0)
	ds_store_b32 v1, v3
.LBB116_229:
	s_or_b32 exec_lo, exec_lo, s0
	s_waitcnt lgkmcnt(0)
	s_waitcnt_vscnt null, 0x0
	s_barrier
	buffer_gl0_inv
	s_clause 0x1
	scratch_load_b128 v[110:113], off, off offset:192
	scratch_load_b32 v116, off, off offset:208
	ds_load_2addr_b32 v[114:115], v2 offset0:105 offset1:106
	ds_load_2addr_b32 v[2:3], v2 offset0:107 offset1:108
	s_mov_b32 s0, exec_lo
	s_waitcnt vmcnt(1) lgkmcnt(1)
	v_fma_f32 v111, v111, v114, 0
	s_delay_alu instid0(VALU_DEP_1) | instskip(SKIP_1) | instid1(VALU_DEP_1)
	v_fmac_f32_e32 v111, v112, v115
	s_waitcnt lgkmcnt(0)
	v_fmac_f32_e32 v111, v113, v2
	s_waitcnt vmcnt(0)
	s_delay_alu instid0(VALU_DEP_1) | instskip(NEXT) | instid1(VALU_DEP_1)
	v_fmac_f32_e32 v111, v116, v3
	v_sub_f32_e32 v2, v110, v111
	scratch_store_b32 off, v2, off offset:192
	v_cmpx_lt_u32_e32 47, v0
	s_cbranch_execz .LBB116_231
; %bb.230:
	scratch_load_b32 v2, off, off offset:188
	v_mov_b32_e32 v3, 0
	scratch_store_b32 off, v3, off offset:188
	s_waitcnt vmcnt(0)
	ds_store_b32 v1, v2
.LBB116_231:
	s_or_b32 exec_lo, exec_lo, s0
	s_waitcnt lgkmcnt(0)
	s_waitcnt_vscnt null, 0x0
	s_barrier
	buffer_gl0_inv
	s_clause 0x1
	scratch_load_b128 v[110:113], off, off offset:188
	scratch_load_b64 v[118:119], off, off offset:204
	v_mov_b32_e32 v2, 0
	ds_load_b128 v[114:117], v2 offset:416
	ds_load_b32 v3, v2 offset:432
	s_mov_b32 s0, exec_lo
	s_waitcnt vmcnt(1) lgkmcnt(1)
	v_fma_f32 v111, v111, v114, 0
	s_delay_alu instid0(VALU_DEP_1) | instskip(NEXT) | instid1(VALU_DEP_1)
	v_fmac_f32_e32 v111, v112, v115
	v_fmac_f32_e32 v111, v113, v116
	s_waitcnt vmcnt(0)
	s_delay_alu instid0(VALU_DEP_1) | instskip(SKIP_1) | instid1(VALU_DEP_1)
	v_fmac_f32_e32 v111, v118, v117
	s_waitcnt lgkmcnt(0)
	v_fmac_f32_e32 v111, v119, v3
	s_delay_alu instid0(VALU_DEP_1)
	v_sub_f32_e32 v3, v110, v111
	scratch_store_b32 off, v3, off offset:188
	v_cmpx_lt_u32_e32 46, v0
	s_cbranch_execz .LBB116_233
; %bb.232:
	scratch_load_b32 v3, off, off offset:184
	scratch_store_b32 off, v2, off offset:184
	s_waitcnt vmcnt(0)
	ds_store_b32 v1, v3
.LBB116_233:
	s_or_b32 exec_lo, exec_lo, s0
	s_waitcnt lgkmcnt(0)
	s_waitcnt_vscnt null, 0x0
	s_barrier
	buffer_gl0_inv
	s_clause 0x1
	scratch_load_b128 v[110:113], off, off offset:184
	scratch_load_b96 v[114:116], off, off offset:200
	ds_load_2addr_b32 v[117:118], v2 offset0:103 offset1:104
	ds_load_2addr_b32 v[119:120], v2 offset0:105 offset1:106
	;; [unrolled: 1-line block ×3, first 2 shown]
	s_mov_b32 s0, exec_lo
	s_waitcnt vmcnt(1) lgkmcnt(2)
	v_fma_f32 v111, v111, v117, 0
	s_delay_alu instid0(VALU_DEP_1) | instskip(SKIP_1) | instid1(VALU_DEP_1)
	v_fmac_f32_e32 v111, v112, v118
	s_waitcnt lgkmcnt(1)
	v_fmac_f32_e32 v111, v113, v119
	s_waitcnt vmcnt(0)
	s_delay_alu instid0(VALU_DEP_1) | instskip(SKIP_1) | instid1(VALU_DEP_1)
	v_fmac_f32_e32 v111, v114, v120
	s_waitcnt lgkmcnt(0)
	v_fmac_f32_e32 v111, v115, v2
	s_delay_alu instid0(VALU_DEP_1) | instskip(NEXT) | instid1(VALU_DEP_1)
	v_fmac_f32_e32 v111, v116, v3
	v_sub_f32_e32 v2, v110, v111
	scratch_store_b32 off, v2, off offset:184
	v_cmpx_lt_u32_e32 45, v0
	s_cbranch_execz .LBB116_235
; %bb.234:
	scratch_load_b32 v2, off, off offset:180
	v_mov_b32_e32 v3, 0
	scratch_store_b32 off, v3, off offset:180
	s_waitcnt vmcnt(0)
	ds_store_b32 v1, v2
.LBB116_235:
	s_or_b32 exec_lo, exec_lo, s0
	s_waitcnt lgkmcnt(0)
	s_waitcnt_vscnt null, 0x0
	s_barrier
	buffer_gl0_inv
	s_clause 0x1
	scratch_load_b128 v[110:113], off, off offset:180
	scratch_load_b128 v[114:117], off, off offset:196
	v_mov_b32_e32 v2, 0
	ds_load_2addr_b64 v[118:121], v2 offset0:51 offset1:52
	ds_load_b64 v[122:123], v2 offset:424
	s_mov_b32 s0, exec_lo
	s_waitcnt vmcnt(1) lgkmcnt(1)
	v_fma_f32 v3, v111, v118, 0
	s_delay_alu instid0(VALU_DEP_1) | instskip(SKIP_3) | instid1(VALU_DEP_1)
	v_fmac_f32_e32 v3, v112, v119
	ds_load_b32 v111, v2 offset:432
	v_fmac_f32_e32 v3, v113, v120
	s_waitcnt vmcnt(0)
	v_fmac_f32_e32 v3, v114, v121
	s_waitcnt lgkmcnt(1)
	s_delay_alu instid0(VALU_DEP_1) | instskip(NEXT) | instid1(VALU_DEP_1)
	v_fmac_f32_e32 v3, v115, v122
	v_fmac_f32_e32 v3, v116, v123
	s_waitcnt lgkmcnt(0)
	s_delay_alu instid0(VALU_DEP_1) | instskip(NEXT) | instid1(VALU_DEP_1)
	v_fmac_f32_e32 v3, v117, v111
	v_sub_f32_e32 v3, v110, v3
	scratch_store_b32 off, v3, off offset:180
	v_cmpx_lt_u32_e32 44, v0
	s_cbranch_execz .LBB116_237
; %bb.236:
	scratch_load_b32 v3, off, off offset:176
	scratch_store_b32 off, v2, off offset:176
	s_waitcnt vmcnt(0)
	ds_store_b32 v1, v3
.LBB116_237:
	s_or_b32 exec_lo, exec_lo, s0
	s_waitcnt lgkmcnt(0)
	s_waitcnt_vscnt null, 0x0
	s_barrier
	buffer_gl0_inv
	s_clause 0x2
	scratch_load_b128 v[110:113], off, off offset:176
	scratch_load_b128 v[114:117], off, off offset:192
	scratch_load_b32 v124, off, off offset:208
	ds_load_2addr_b32 v[118:119], v2 offset0:101 offset1:102
	ds_load_2addr_b32 v[120:121], v2 offset0:103 offset1:104
	;; [unrolled: 1-line block ×4, first 2 shown]
	s_mov_b32 s0, exec_lo
	s_waitcnt vmcnt(2) lgkmcnt(3)
	v_fma_f32 v111, v111, v118, 0
	s_delay_alu instid0(VALU_DEP_1) | instskip(SKIP_1) | instid1(VALU_DEP_1)
	v_fmac_f32_e32 v111, v112, v119
	s_waitcnt lgkmcnt(2)
	v_fmac_f32_e32 v111, v113, v120
	s_waitcnt vmcnt(1)
	s_delay_alu instid0(VALU_DEP_1) | instskip(SKIP_1) | instid1(VALU_DEP_1)
	v_fmac_f32_e32 v111, v114, v121
	s_waitcnt lgkmcnt(1)
	v_fmac_f32_e32 v111, v115, v122
	s_delay_alu instid0(VALU_DEP_1) | instskip(SKIP_1) | instid1(VALU_DEP_1)
	v_fmac_f32_e32 v111, v116, v123
	s_waitcnt lgkmcnt(0)
	v_fmac_f32_e32 v111, v117, v2
	s_waitcnt vmcnt(0)
	s_delay_alu instid0(VALU_DEP_1) | instskip(NEXT) | instid1(VALU_DEP_1)
	v_fmac_f32_e32 v111, v124, v3
	v_sub_f32_e32 v2, v110, v111
	scratch_store_b32 off, v2, off offset:176
	v_cmpx_lt_u32_e32 43, v0
	s_cbranch_execz .LBB116_239
; %bb.238:
	scratch_load_b32 v2, off, off offset:172
	v_mov_b32_e32 v3, 0
	scratch_store_b32 off, v3, off offset:172
	s_waitcnt vmcnt(0)
	ds_store_b32 v1, v2
.LBB116_239:
	s_or_b32 exec_lo, exec_lo, s0
	s_waitcnt lgkmcnt(0)
	s_waitcnt_vscnt null, 0x0
	s_barrier
	buffer_gl0_inv
	s_clause 0x2
	scratch_load_b128 v[110:113], off, off offset:172
	scratch_load_b128 v[114:117], off, off offset:188
	scratch_load_b64 v[126:127], off, off offset:204
	v_mov_b32_e32 v2, 0
	ds_load_b128 v[118:121], v2 offset:400
	ds_load_b128 v[122:125], v2 offset:416
	s_mov_b32 s0, exec_lo
	s_waitcnt vmcnt(2) lgkmcnt(1)
	v_fma_f32 v3, v111, v118, 0
	s_delay_alu instid0(VALU_DEP_1) | instskip(SKIP_3) | instid1(VALU_DEP_1)
	v_fmac_f32_e32 v3, v112, v119
	ds_load_b32 v111, v2 offset:432
	v_fmac_f32_e32 v3, v113, v120
	s_waitcnt vmcnt(1)
	v_fmac_f32_e32 v3, v114, v121
	s_waitcnt lgkmcnt(1)
	s_delay_alu instid0(VALU_DEP_1) | instskip(NEXT) | instid1(VALU_DEP_1)
	v_fmac_f32_e32 v3, v115, v122
	v_fmac_f32_e32 v3, v116, v123
	s_delay_alu instid0(VALU_DEP_1) | instskip(SKIP_1) | instid1(VALU_DEP_1)
	v_fmac_f32_e32 v3, v117, v124
	s_waitcnt vmcnt(0)
	v_fmac_f32_e32 v3, v126, v125
	s_waitcnt lgkmcnt(0)
	s_delay_alu instid0(VALU_DEP_1) | instskip(NEXT) | instid1(VALU_DEP_1)
	v_fmac_f32_e32 v3, v127, v111
	v_sub_f32_e32 v3, v110, v3
	scratch_store_b32 off, v3, off offset:172
	v_cmpx_lt_u32_e32 42, v0
	s_cbranch_execz .LBB116_241
; %bb.240:
	scratch_load_b32 v3, off, off offset:168
	scratch_store_b32 off, v2, off offset:168
	s_waitcnt vmcnt(0)
	ds_store_b32 v1, v3
.LBB116_241:
	s_or_b32 exec_lo, exec_lo, s0
	s_waitcnt lgkmcnt(0)
	s_waitcnt_vscnt null, 0x0
	s_barrier
	buffer_gl0_inv
	s_clause 0x2
	scratch_load_b128 v[110:113], off, off offset:168
	scratch_load_b128 v[114:117], off, off offset:184
	scratch_load_b96 v[118:120], off, off offset:200
	ds_load_2addr_b32 v[121:122], v2 offset0:99 offset1:100
	ds_load_2addr_b32 v[123:124], v2 offset0:101 offset1:102
	;; [unrolled: 1-line block ×5, first 2 shown]
	s_mov_b32 s0, exec_lo
	s_waitcnt vmcnt(2) lgkmcnt(4)
	v_fma_f32 v111, v111, v121, 0
	s_delay_alu instid0(VALU_DEP_1) | instskip(SKIP_1) | instid1(VALU_DEP_1)
	v_fmac_f32_e32 v111, v112, v122
	s_waitcnt lgkmcnt(3)
	v_fmac_f32_e32 v111, v113, v123
	s_waitcnt vmcnt(1)
	s_delay_alu instid0(VALU_DEP_1) | instskip(SKIP_1) | instid1(VALU_DEP_1)
	v_fmac_f32_e32 v111, v114, v124
	s_waitcnt lgkmcnt(2)
	v_fmac_f32_e32 v111, v115, v125
	s_delay_alu instid0(VALU_DEP_1) | instskip(SKIP_1) | instid1(VALU_DEP_1)
	v_fmac_f32_e32 v111, v116, v126
	s_waitcnt lgkmcnt(1)
	v_fmac_f32_e32 v111, v117, v127
	s_waitcnt vmcnt(0)
	s_delay_alu instid0(VALU_DEP_1) | instskip(SKIP_1) | instid1(VALU_DEP_1)
	v_fmac_f32_e32 v111, v118, v128
	s_waitcnt lgkmcnt(0)
	v_fmac_f32_e32 v111, v119, v2
	s_delay_alu instid0(VALU_DEP_1) | instskip(NEXT) | instid1(VALU_DEP_1)
	v_fmac_f32_e32 v111, v120, v3
	v_sub_f32_e32 v2, v110, v111
	scratch_store_b32 off, v2, off offset:168
	v_cmpx_lt_u32_e32 41, v0
	s_cbranch_execz .LBB116_243
; %bb.242:
	scratch_load_b32 v2, off, off offset:164
	v_mov_b32_e32 v3, 0
	scratch_store_b32 off, v3, off offset:164
	s_waitcnt vmcnt(0)
	ds_store_b32 v1, v2
.LBB116_243:
	s_or_b32 exec_lo, exec_lo, s0
	s_waitcnt lgkmcnt(0)
	s_waitcnt_vscnt null, 0x0
	s_barrier
	buffer_gl0_inv
	s_clause 0x2
	scratch_load_b128 v[110:113], off, off offset:164
	scratch_load_b128 v[114:117], off, off offset:180
	;; [unrolled: 1-line block ×3, first 2 shown]
	v_mov_b32_e32 v2, 0
	ds_load_2addr_b64 v[122:125], v2 offset0:49 offset1:50
	ds_load_2addr_b64 v[126:129], v2 offset0:51 offset1:52
	s_mov_b32 s0, exec_lo
	s_waitcnt vmcnt(2) lgkmcnt(1)
	v_fma_f32 v3, v111, v122, 0
	s_delay_alu instid0(VALU_DEP_1)
	v_fmac_f32_e32 v3, v112, v123
	ds_load_b64 v[111:112], v2 offset:424
	v_fmac_f32_e32 v3, v113, v124
	ds_load_b32 v113, v2 offset:432
	s_waitcnt vmcnt(1)
	v_fmac_f32_e32 v3, v114, v125
	s_waitcnt lgkmcnt(2)
	s_delay_alu instid0(VALU_DEP_1) | instskip(NEXT) | instid1(VALU_DEP_1)
	v_fmac_f32_e32 v3, v115, v126
	v_fmac_f32_e32 v3, v116, v127
	s_delay_alu instid0(VALU_DEP_1) | instskip(SKIP_1) | instid1(VALU_DEP_1)
	v_fmac_f32_e32 v3, v117, v128
	s_waitcnt vmcnt(0)
	v_fmac_f32_e32 v3, v118, v129
	s_waitcnt lgkmcnt(1)
	s_delay_alu instid0(VALU_DEP_1) | instskip(NEXT) | instid1(VALU_DEP_1)
	v_fmac_f32_e32 v3, v119, v111
	v_fmac_f32_e32 v3, v120, v112
	s_waitcnt lgkmcnt(0)
	s_delay_alu instid0(VALU_DEP_1) | instskip(NEXT) | instid1(VALU_DEP_1)
	v_fmac_f32_e32 v3, v121, v113
	v_sub_f32_e32 v3, v110, v3
	scratch_store_b32 off, v3, off offset:164
	v_cmpx_lt_u32_e32 40, v0
	s_cbranch_execz .LBB116_245
; %bb.244:
	scratch_load_b32 v3, off, off offset:160
	scratch_store_b32 off, v2, off offset:160
	s_waitcnt vmcnt(0)
	ds_store_b32 v1, v3
.LBB116_245:
	s_or_b32 exec_lo, exec_lo, s0
	s_waitcnt lgkmcnt(0)
	s_waitcnt_vscnt null, 0x0
	s_barrier
	buffer_gl0_inv
	s_clause 0x3
	scratch_load_b128 v[110:113], off, off offset:160
	scratch_load_b128 v[114:117], off, off offset:176
	;; [unrolled: 1-line block ×3, first 2 shown]
	scratch_load_b32 v130, off, off offset:208
	ds_load_2addr_b32 v[122:123], v2 offset0:97 offset1:98
	ds_load_2addr_b32 v[124:125], v2 offset0:99 offset1:100
	;; [unrolled: 1-line block ×4, first 2 shown]
	s_mov_b32 s0, exec_lo
	s_waitcnt vmcnt(3) lgkmcnt(3)
	v_fma_f32 v122, v111, v122, 0
	s_delay_alu instid0(VALU_DEP_1)
	v_fmac_f32_e32 v122, v112, v123
	ds_load_2addr_b32 v[111:112], v2 offset0:105 offset1:106
	ds_load_2addr_b32 v[2:3], v2 offset0:107 offset1:108
	s_waitcnt lgkmcnt(4)
	v_fmac_f32_e32 v122, v113, v124
	s_waitcnt vmcnt(2)
	s_delay_alu instid0(VALU_DEP_1) | instskip(SKIP_1) | instid1(VALU_DEP_1)
	v_fmac_f32_e32 v122, v114, v125
	s_waitcnt lgkmcnt(3)
	v_fmac_f32_e32 v122, v115, v126
	s_delay_alu instid0(VALU_DEP_1) | instskip(SKIP_1) | instid1(VALU_DEP_1)
	v_fmac_f32_e32 v122, v116, v127
	s_waitcnt lgkmcnt(2)
	v_fmac_f32_e32 v122, v117, v128
	s_waitcnt vmcnt(1)
	s_delay_alu instid0(VALU_DEP_1) | instskip(SKIP_1) | instid1(VALU_DEP_1)
	v_fmac_f32_e32 v122, v118, v129
	s_waitcnt lgkmcnt(1)
	v_fmac_f32_e32 v122, v119, v111
	s_delay_alu instid0(VALU_DEP_1) | instskip(SKIP_1) | instid1(VALU_DEP_1)
	v_fmac_f32_e32 v122, v120, v112
	s_waitcnt lgkmcnt(0)
	v_fmac_f32_e32 v122, v121, v2
	s_waitcnt vmcnt(0)
	s_delay_alu instid0(VALU_DEP_1) | instskip(NEXT) | instid1(VALU_DEP_1)
	v_fmac_f32_e32 v122, v130, v3
	v_sub_f32_e32 v2, v110, v122
	scratch_store_b32 off, v2, off offset:160
	v_cmpx_lt_u32_e32 39, v0
	s_cbranch_execz .LBB116_247
; %bb.246:
	scratch_load_b32 v2, off, off offset:156
	v_mov_b32_e32 v3, 0
	scratch_store_b32 off, v3, off offset:156
	s_waitcnt vmcnt(0)
	ds_store_b32 v1, v2
.LBB116_247:
	s_or_b32 exec_lo, exec_lo, s0
	s_waitcnt lgkmcnt(0)
	s_waitcnt_vscnt null, 0x0
	s_barrier
	buffer_gl0_inv
	s_clause 0x3
	scratch_load_b128 v[110:113], off, off offset:156
	scratch_load_b128 v[114:117], off, off offset:172
	;; [unrolled: 1-line block ×3, first 2 shown]
	scratch_load_b64 v[130:131], off, off offset:204
	v_mov_b32_e32 v2, 0
	ds_load_b128 v[122:125], v2 offset:384
	ds_load_b128 v[126:129], v2 offset:400
	s_mov_b32 s0, exec_lo
	s_waitcnt vmcnt(3) lgkmcnt(1)
	v_fma_f32 v3, v111, v122, 0
	s_delay_alu instid0(VALU_DEP_1) | instskip(NEXT) | instid1(VALU_DEP_1)
	v_fmac_f32_e32 v3, v112, v123
	v_fmac_f32_e32 v3, v113, v124
	s_waitcnt vmcnt(2)
	s_delay_alu instid0(VALU_DEP_1)
	v_fmac_f32_e32 v3, v114, v125
	ds_load_b128 v[111:114], v2 offset:416
	s_waitcnt lgkmcnt(1)
	v_fmac_f32_e32 v3, v115, v126
	ds_load_b32 v115, v2 offset:432
	v_fmac_f32_e32 v3, v116, v127
	s_delay_alu instid0(VALU_DEP_1) | instskip(SKIP_1) | instid1(VALU_DEP_1)
	v_fmac_f32_e32 v3, v117, v128
	s_waitcnt vmcnt(1)
	v_fmac_f32_e32 v3, v118, v129
	s_waitcnt lgkmcnt(1)
	s_delay_alu instid0(VALU_DEP_1) | instskip(NEXT) | instid1(VALU_DEP_1)
	v_fmac_f32_e32 v3, v119, v111
	v_fmac_f32_e32 v3, v120, v112
	s_delay_alu instid0(VALU_DEP_1) | instskip(SKIP_1) | instid1(VALU_DEP_1)
	v_fmac_f32_e32 v3, v121, v113
	s_waitcnt vmcnt(0)
	v_fmac_f32_e32 v3, v130, v114
	s_waitcnt lgkmcnt(0)
	s_delay_alu instid0(VALU_DEP_1) | instskip(NEXT) | instid1(VALU_DEP_1)
	v_fmac_f32_e32 v3, v131, v115
	v_sub_f32_e32 v3, v110, v3
	scratch_store_b32 off, v3, off offset:156
	v_cmpx_lt_u32_e32 38, v0
	s_cbranch_execz .LBB116_249
; %bb.248:
	scratch_load_b32 v3, off, off offset:152
	scratch_store_b32 off, v2, off offset:152
	s_waitcnt vmcnt(0)
	ds_store_b32 v1, v3
.LBB116_249:
	s_or_b32 exec_lo, exec_lo, s0
	s_waitcnt lgkmcnt(0)
	s_waitcnt_vscnt null, 0x0
	s_barrier
	buffer_gl0_inv
	s_clause 0x3
	scratch_load_b128 v[110:113], off, off offset:152
	scratch_load_b128 v[114:117], off, off offset:168
	;; [unrolled: 1-line block ×3, first 2 shown]
	scratch_load_b96 v[122:124], off, off offset:200
	ds_load_2addr_b32 v[125:126], v2 offset0:95 offset1:96
	ds_load_2addr_b32 v[127:128], v2 offset0:97 offset1:98
	;; [unrolled: 1-line block ×4, first 2 shown]
	s_mov_b32 s0, exec_lo
	s_waitcnt vmcnt(3) lgkmcnt(3)
	v_fma_f32 v125, v111, v125, 0
	s_delay_alu instid0(VALU_DEP_1) | instskip(SKIP_4) | instid1(VALU_DEP_1)
	v_fmac_f32_e32 v125, v112, v126
	ds_load_2addr_b32 v[111:112], v2 offset0:103 offset1:104
	s_waitcnt lgkmcnt(3)
	v_fmac_f32_e32 v125, v113, v127
	s_waitcnt vmcnt(2)
	v_fmac_f32_e32 v125, v114, v128
	ds_load_2addr_b32 v[113:114], v2 offset0:105 offset1:106
	ds_load_2addr_b32 v[2:3], v2 offset0:107 offset1:108
	s_waitcnt lgkmcnt(4)
	v_fmac_f32_e32 v125, v115, v129
	s_delay_alu instid0(VALU_DEP_1) | instskip(SKIP_1) | instid1(VALU_DEP_1)
	v_fmac_f32_e32 v125, v116, v130
	s_waitcnt lgkmcnt(3)
	v_fmac_f32_e32 v125, v117, v131
	s_waitcnt vmcnt(1)
	s_delay_alu instid0(VALU_DEP_1) | instskip(SKIP_1) | instid1(VALU_DEP_1)
	v_fmac_f32_e32 v125, v118, v132
	s_waitcnt lgkmcnt(2)
	v_fmac_f32_e32 v125, v119, v111
	s_delay_alu instid0(VALU_DEP_1) | instskip(SKIP_1) | instid1(VALU_DEP_1)
	v_fmac_f32_e32 v125, v120, v112
	s_waitcnt lgkmcnt(1)
	v_fmac_f32_e32 v125, v121, v113
	s_waitcnt vmcnt(0)
	s_delay_alu instid0(VALU_DEP_1) | instskip(SKIP_1) | instid1(VALU_DEP_1)
	v_fmac_f32_e32 v125, v122, v114
	s_waitcnt lgkmcnt(0)
	v_fmac_f32_e32 v125, v123, v2
	s_delay_alu instid0(VALU_DEP_1) | instskip(NEXT) | instid1(VALU_DEP_1)
	v_fmac_f32_e32 v125, v124, v3
	v_sub_f32_e32 v2, v110, v125
	scratch_store_b32 off, v2, off offset:152
	v_cmpx_lt_u32_e32 37, v0
	s_cbranch_execz .LBB116_251
; %bb.250:
	scratch_load_b32 v2, off, off offset:148
	v_mov_b32_e32 v3, 0
	scratch_store_b32 off, v3, off offset:148
	s_waitcnt vmcnt(0)
	ds_store_b32 v1, v2
.LBB116_251:
	s_or_b32 exec_lo, exec_lo, s0
	s_waitcnt lgkmcnt(0)
	s_waitcnt_vscnt null, 0x0
	s_barrier
	buffer_gl0_inv
	s_clause 0x3
	scratch_load_b128 v[110:113], off, off offset:148
	scratch_load_b128 v[114:117], off, off offset:164
	;; [unrolled: 1-line block ×4, first 2 shown]
	v_mov_b32_e32 v2, 0
	ds_load_2addr_b64 v[126:129], v2 offset0:47 offset1:48
	ds_load_2addr_b64 v[130:133], v2 offset0:49 offset1:50
	s_mov_b32 s0, exec_lo
	s_waitcnt vmcnt(3) lgkmcnt(1)
	v_fma_f32 v3, v111, v126, 0
	s_delay_alu instid0(VALU_DEP_1) | instskip(NEXT) | instid1(VALU_DEP_1)
	v_fmac_f32_e32 v3, v112, v127
	v_fmac_f32_e32 v3, v113, v128
	s_waitcnt vmcnt(2)
	s_delay_alu instid0(VALU_DEP_1) | instskip(SKIP_3) | instid1(VALU_DEP_1)
	v_fmac_f32_e32 v3, v114, v129
	ds_load_2addr_b64 v[111:114], v2 offset0:51 offset1:52
	s_waitcnt lgkmcnt(1)
	v_fmac_f32_e32 v3, v115, v130
	v_fmac_f32_e32 v3, v116, v131
	ds_load_b64 v[115:116], v2 offset:424
	v_fmac_f32_e32 v3, v117, v132
	s_waitcnt vmcnt(1)
	s_delay_alu instid0(VALU_DEP_1) | instskip(SKIP_1) | instid1(VALU_DEP_1)
	v_fmac_f32_e32 v3, v118, v133
	s_waitcnt lgkmcnt(1)
	v_fmac_f32_e32 v3, v119, v111
	ds_load_b32 v111, v2 offset:432
	v_fmac_f32_e32 v3, v120, v112
	s_delay_alu instid0(VALU_DEP_1) | instskip(SKIP_1) | instid1(VALU_DEP_1)
	v_fmac_f32_e32 v3, v121, v113
	s_waitcnt vmcnt(0)
	v_fmac_f32_e32 v3, v122, v114
	s_waitcnt lgkmcnt(1)
	s_delay_alu instid0(VALU_DEP_1) | instskip(NEXT) | instid1(VALU_DEP_1)
	v_fmac_f32_e32 v3, v123, v115
	v_fmac_f32_e32 v3, v124, v116
	s_waitcnt lgkmcnt(0)
	s_delay_alu instid0(VALU_DEP_1) | instskip(NEXT) | instid1(VALU_DEP_1)
	v_fmac_f32_e32 v3, v125, v111
	v_sub_f32_e32 v3, v110, v3
	scratch_store_b32 off, v3, off offset:148
	v_cmpx_lt_u32_e32 36, v0
	s_cbranch_execz .LBB116_253
; %bb.252:
	scratch_load_b32 v3, off, off offset:144
	scratch_store_b32 off, v2, off offset:144
	s_waitcnt vmcnt(0)
	ds_store_b32 v1, v3
.LBB116_253:
	s_or_b32 exec_lo, exec_lo, s0
	s_waitcnt lgkmcnt(0)
	s_waitcnt_vscnt null, 0x0
	s_barrier
	buffer_gl0_inv
	s_clause 0x4
	scratch_load_b128 v[110:113], off, off offset:144
	scratch_load_b128 v[114:117], off, off offset:160
	;; [unrolled: 1-line block ×4, first 2 shown]
	scratch_load_b32 v134, off, off offset:208
	ds_load_2addr_b32 v[126:127], v2 offset0:93 offset1:94
	ds_load_2addr_b32 v[128:129], v2 offset0:95 offset1:96
	;; [unrolled: 1-line block ×4, first 2 shown]
	s_mov_b32 s0, exec_lo
	s_waitcnt vmcnt(4) lgkmcnt(3)
	v_fma_f32 v126, v111, v126, 0
	s_delay_alu instid0(VALU_DEP_1) | instskip(SKIP_4) | instid1(VALU_DEP_1)
	v_fmac_f32_e32 v126, v112, v127
	ds_load_2addr_b32 v[111:112], v2 offset0:101 offset1:102
	s_waitcnt lgkmcnt(3)
	v_fmac_f32_e32 v126, v113, v128
	s_waitcnt vmcnt(3)
	v_fmac_f32_e32 v126, v114, v129
	ds_load_2addr_b32 v[113:114], v2 offset0:103 offset1:104
	s_waitcnt lgkmcnt(3)
	v_fmac_f32_e32 v126, v115, v130
	s_delay_alu instid0(VALU_DEP_1)
	v_fmac_f32_e32 v126, v116, v131
	ds_load_2addr_b32 v[115:116], v2 offset0:105 offset1:106
	ds_load_2addr_b32 v[2:3], v2 offset0:107 offset1:108
	s_waitcnt lgkmcnt(4)
	v_fmac_f32_e32 v126, v117, v132
	s_waitcnt vmcnt(2)
	s_delay_alu instid0(VALU_DEP_1) | instskip(SKIP_1) | instid1(VALU_DEP_1)
	v_fmac_f32_e32 v126, v118, v133
	s_waitcnt lgkmcnt(3)
	v_fmac_f32_e32 v126, v119, v111
	s_delay_alu instid0(VALU_DEP_1) | instskip(SKIP_1) | instid1(VALU_DEP_1)
	v_fmac_f32_e32 v126, v120, v112
	s_waitcnt lgkmcnt(2)
	v_fmac_f32_e32 v126, v121, v113
	s_waitcnt vmcnt(1)
	s_delay_alu instid0(VALU_DEP_1) | instskip(SKIP_1) | instid1(VALU_DEP_1)
	v_fmac_f32_e32 v126, v122, v114
	s_waitcnt lgkmcnt(1)
	v_fmac_f32_e32 v126, v123, v115
	s_delay_alu instid0(VALU_DEP_1) | instskip(SKIP_1) | instid1(VALU_DEP_1)
	v_fmac_f32_e32 v126, v124, v116
	s_waitcnt lgkmcnt(0)
	v_fmac_f32_e32 v126, v125, v2
	s_waitcnt vmcnt(0)
	s_delay_alu instid0(VALU_DEP_1) | instskip(NEXT) | instid1(VALU_DEP_1)
	v_fmac_f32_e32 v126, v134, v3
	v_sub_f32_e32 v2, v110, v126
	scratch_store_b32 off, v2, off offset:144
	v_cmpx_lt_u32_e32 35, v0
	s_cbranch_execz .LBB116_255
; %bb.254:
	scratch_load_b32 v2, off, off offset:140
	v_mov_b32_e32 v3, 0
	scratch_store_b32 off, v3, off offset:140
	s_waitcnt vmcnt(0)
	ds_store_b32 v1, v2
.LBB116_255:
	s_or_b32 exec_lo, exec_lo, s0
	s_waitcnt lgkmcnt(0)
	s_waitcnt_vscnt null, 0x0
	s_barrier
	buffer_gl0_inv
	s_clause 0x4
	scratch_load_b128 v[110:113], off, off offset:140
	scratch_load_b128 v[114:117], off, off offset:156
	;; [unrolled: 1-line block ×4, first 2 shown]
	scratch_load_b64 v[134:135], off, off offset:204
	v_mov_b32_e32 v2, 0
	ds_load_b128 v[126:129], v2 offset:368
	ds_load_b128 v[130:133], v2 offset:384
	s_mov_b32 s0, exec_lo
	s_waitcnt vmcnt(4) lgkmcnt(1)
	v_fma_f32 v3, v111, v126, 0
	s_delay_alu instid0(VALU_DEP_1) | instskip(NEXT) | instid1(VALU_DEP_1)
	v_fmac_f32_e32 v3, v112, v127
	v_fmac_f32_e32 v3, v113, v128
	s_waitcnt vmcnt(3)
	s_delay_alu instid0(VALU_DEP_1) | instskip(SKIP_3) | instid1(VALU_DEP_1)
	v_fmac_f32_e32 v3, v114, v129
	ds_load_b128 v[111:114], v2 offset:400
	s_waitcnt lgkmcnt(1)
	v_fmac_f32_e32 v3, v115, v130
	v_fmac_f32_e32 v3, v116, v131
	s_delay_alu instid0(VALU_DEP_1) | instskip(SKIP_1) | instid1(VALU_DEP_1)
	v_fmac_f32_e32 v3, v117, v132
	s_waitcnt vmcnt(2)
	v_fmac_f32_e32 v3, v118, v133
	ds_load_b128 v[115:118], v2 offset:416
	s_waitcnt lgkmcnt(1)
	v_fmac_f32_e32 v3, v119, v111
	ds_load_b32 v111, v2 offset:432
	v_fmac_f32_e32 v3, v120, v112
	s_delay_alu instid0(VALU_DEP_1) | instskip(SKIP_1) | instid1(VALU_DEP_1)
	v_fmac_f32_e32 v3, v121, v113
	s_waitcnt vmcnt(1)
	v_fmac_f32_e32 v3, v122, v114
	s_waitcnt lgkmcnt(1)
	s_delay_alu instid0(VALU_DEP_1) | instskip(NEXT) | instid1(VALU_DEP_1)
	v_fmac_f32_e32 v3, v123, v115
	v_fmac_f32_e32 v3, v124, v116
	s_delay_alu instid0(VALU_DEP_1) | instskip(SKIP_1) | instid1(VALU_DEP_1)
	v_fmac_f32_e32 v3, v125, v117
	s_waitcnt vmcnt(0)
	v_fmac_f32_e32 v3, v134, v118
	s_waitcnt lgkmcnt(0)
	s_delay_alu instid0(VALU_DEP_1) | instskip(NEXT) | instid1(VALU_DEP_1)
	v_fmac_f32_e32 v3, v135, v111
	v_sub_f32_e32 v3, v110, v3
	scratch_store_b32 off, v3, off offset:140
	v_cmpx_lt_u32_e32 34, v0
	s_cbranch_execz .LBB116_257
; %bb.256:
	scratch_load_b32 v3, off, off offset:136
	scratch_store_b32 off, v2, off offset:136
	s_waitcnt vmcnt(0)
	ds_store_b32 v1, v3
.LBB116_257:
	s_or_b32 exec_lo, exec_lo, s0
	s_waitcnt lgkmcnt(0)
	s_waitcnt_vscnt null, 0x0
	s_barrier
	buffer_gl0_inv
	s_clause 0x4
	scratch_load_b128 v[110:113], off, off offset:136
	scratch_load_b128 v[114:117], off, off offset:152
	;; [unrolled: 1-line block ×4, first 2 shown]
	scratch_load_b96 v[126:128], off, off offset:200
	ds_load_2addr_b32 v[129:130], v2 offset0:91 offset1:92
	ds_load_2addr_b32 v[131:132], v2 offset0:93 offset1:94
	;; [unrolled: 1-line block ×4, first 2 shown]
	s_mov_b32 s0, exec_lo
	s_waitcnt vmcnt(4) lgkmcnt(3)
	v_fma_f32 v129, v111, v129, 0
	s_delay_alu instid0(VALU_DEP_1) | instskip(SKIP_4) | instid1(VALU_DEP_1)
	v_fmac_f32_e32 v129, v112, v130
	ds_load_2addr_b32 v[111:112], v2 offset0:99 offset1:100
	s_waitcnt lgkmcnt(3)
	v_fmac_f32_e32 v129, v113, v131
	s_waitcnt vmcnt(3)
	v_fmac_f32_e32 v129, v114, v132
	ds_load_2addr_b32 v[113:114], v2 offset0:101 offset1:102
	s_waitcnt lgkmcnt(3)
	v_fmac_f32_e32 v129, v115, v133
	s_delay_alu instid0(VALU_DEP_1) | instskip(SKIP_1) | instid1(VALU_DEP_1)
	v_fmac_f32_e32 v129, v116, v134
	s_waitcnt lgkmcnt(2)
	v_fmac_f32_e32 v129, v117, v135
	s_waitcnt vmcnt(2)
	s_delay_alu instid0(VALU_DEP_1)
	v_fmac_f32_e32 v129, v118, v136
	ds_load_2addr_b32 v[115:116], v2 offset0:103 offset1:104
	ds_load_2addr_b32 v[117:118], v2 offset0:105 offset1:106
	ds_load_2addr_b32 v[2:3], v2 offset0:107 offset1:108
	s_waitcnt lgkmcnt(4)
	v_fmac_f32_e32 v129, v119, v111
	s_delay_alu instid0(VALU_DEP_1) | instskip(SKIP_1) | instid1(VALU_DEP_1)
	v_fmac_f32_e32 v129, v120, v112
	s_waitcnt lgkmcnt(3)
	v_fmac_f32_e32 v129, v121, v113
	s_waitcnt vmcnt(1)
	s_delay_alu instid0(VALU_DEP_1) | instskip(SKIP_1) | instid1(VALU_DEP_1)
	v_fmac_f32_e32 v129, v122, v114
	s_waitcnt lgkmcnt(2)
	v_fmac_f32_e32 v129, v123, v115
	s_delay_alu instid0(VALU_DEP_1) | instskip(SKIP_1) | instid1(VALU_DEP_1)
	v_fmac_f32_e32 v129, v124, v116
	s_waitcnt lgkmcnt(1)
	v_fmac_f32_e32 v129, v125, v117
	s_waitcnt vmcnt(0)
	s_delay_alu instid0(VALU_DEP_1) | instskip(SKIP_1) | instid1(VALU_DEP_1)
	v_fmac_f32_e32 v129, v126, v118
	s_waitcnt lgkmcnt(0)
	v_fmac_f32_e32 v129, v127, v2
	s_delay_alu instid0(VALU_DEP_1) | instskip(NEXT) | instid1(VALU_DEP_1)
	v_fmac_f32_e32 v129, v128, v3
	v_sub_f32_e32 v2, v110, v129
	scratch_store_b32 off, v2, off offset:136
	v_cmpx_lt_u32_e32 33, v0
	s_cbranch_execz .LBB116_259
; %bb.258:
	scratch_load_b32 v2, off, off offset:132
	v_mov_b32_e32 v3, 0
	scratch_store_b32 off, v3, off offset:132
	s_waitcnt vmcnt(0)
	ds_store_b32 v1, v2
.LBB116_259:
	s_or_b32 exec_lo, exec_lo, s0
	s_waitcnt lgkmcnt(0)
	s_waitcnt_vscnt null, 0x0
	s_barrier
	buffer_gl0_inv
	s_clause 0x4
	scratch_load_b128 v[110:113], off, off offset:132
	scratch_load_b128 v[114:117], off, off offset:148
	scratch_load_b128 v[118:121], off, off offset:164
	scratch_load_b128 v[122:125], off, off offset:180
	scratch_load_b128 v[126:129], off, off offset:196
	v_mov_b32_e32 v2, 0
	ds_load_2addr_b64 v[130:133], v2 offset0:45 offset1:46
	ds_load_2addr_b64 v[134:137], v2 offset0:47 offset1:48
	s_mov_b32 s0, exec_lo
	s_waitcnt vmcnt(4) lgkmcnt(1)
	v_fma_f32 v3, v111, v130, 0
	s_delay_alu instid0(VALU_DEP_1) | instskip(NEXT) | instid1(VALU_DEP_1)
	v_fmac_f32_e32 v3, v112, v131
	v_fmac_f32_e32 v3, v113, v132
	s_waitcnt vmcnt(3)
	s_delay_alu instid0(VALU_DEP_1) | instskip(SKIP_3) | instid1(VALU_DEP_1)
	v_fmac_f32_e32 v3, v114, v133
	ds_load_2addr_b64 v[111:114], v2 offset0:49 offset1:50
	s_waitcnt lgkmcnt(1)
	v_fmac_f32_e32 v3, v115, v134
	v_fmac_f32_e32 v3, v116, v135
	s_delay_alu instid0(VALU_DEP_1) | instskip(SKIP_1) | instid1(VALU_DEP_1)
	v_fmac_f32_e32 v3, v117, v136
	s_waitcnt vmcnt(2)
	v_fmac_f32_e32 v3, v118, v137
	ds_load_2addr_b64 v[115:118], v2 offset0:51 offset1:52
	s_waitcnt lgkmcnt(1)
	v_fmac_f32_e32 v3, v119, v111
	s_delay_alu instid0(VALU_DEP_1)
	v_fmac_f32_e32 v3, v120, v112
	ds_load_b64 v[111:112], v2 offset:424
	v_fmac_f32_e32 v3, v121, v113
	ds_load_b32 v113, v2 offset:432
	s_waitcnt vmcnt(1)
	v_fmac_f32_e32 v3, v122, v114
	s_waitcnt lgkmcnt(2)
	s_delay_alu instid0(VALU_DEP_1) | instskip(NEXT) | instid1(VALU_DEP_1)
	v_fmac_f32_e32 v3, v123, v115
	v_fmac_f32_e32 v3, v124, v116
	s_delay_alu instid0(VALU_DEP_1) | instskip(SKIP_1) | instid1(VALU_DEP_1)
	v_fmac_f32_e32 v3, v125, v117
	s_waitcnt vmcnt(0)
	v_fmac_f32_e32 v3, v126, v118
	s_waitcnt lgkmcnt(1)
	s_delay_alu instid0(VALU_DEP_1) | instskip(NEXT) | instid1(VALU_DEP_1)
	v_fmac_f32_e32 v3, v127, v111
	v_fmac_f32_e32 v3, v128, v112
	s_waitcnt lgkmcnt(0)
	s_delay_alu instid0(VALU_DEP_1) | instskip(NEXT) | instid1(VALU_DEP_1)
	v_fmac_f32_e32 v3, v129, v113
	v_sub_f32_e32 v3, v110, v3
	scratch_store_b32 off, v3, off offset:132
	v_cmpx_lt_u32_e32 32, v0
	s_cbranch_execz .LBB116_261
; %bb.260:
	scratch_load_b32 v3, off, off offset:128
	scratch_store_b32 off, v2, off offset:128
	s_waitcnt vmcnt(0)
	ds_store_b32 v1, v3
.LBB116_261:
	s_or_b32 exec_lo, exec_lo, s0
	s_waitcnt lgkmcnt(0)
	s_waitcnt_vscnt null, 0x0
	s_barrier
	buffer_gl0_inv
	s_clause 0x5
	scratch_load_b128 v[110:113], off, off offset:128
	scratch_load_b128 v[114:117], off, off offset:144
	scratch_load_b128 v[118:121], off, off offset:160
	scratch_load_b128 v[122:125], off, off offset:176
	scratch_load_b128 v[126:129], off, off offset:192
	scratch_load_b32 v138, off, off offset:208
	ds_load_2addr_b32 v[130:131], v2 offset0:89 offset1:90
	ds_load_2addr_b32 v[132:133], v2 offset0:91 offset1:92
	;; [unrolled: 1-line block ×4, first 2 shown]
	s_mov_b32 s0, exec_lo
	s_waitcnt vmcnt(5) lgkmcnt(3)
	v_fma_f32 v130, v111, v130, 0
	s_delay_alu instid0(VALU_DEP_1) | instskip(SKIP_4) | instid1(VALU_DEP_1)
	v_fmac_f32_e32 v130, v112, v131
	ds_load_2addr_b32 v[111:112], v2 offset0:97 offset1:98
	s_waitcnt lgkmcnt(3)
	v_fmac_f32_e32 v130, v113, v132
	s_waitcnt vmcnt(4)
	v_fmac_f32_e32 v130, v114, v133
	ds_load_2addr_b32 v[113:114], v2 offset0:99 offset1:100
	s_waitcnt lgkmcnt(3)
	v_fmac_f32_e32 v130, v115, v134
	s_delay_alu instid0(VALU_DEP_1) | instskip(SKIP_1) | instid1(VALU_DEP_1)
	v_fmac_f32_e32 v130, v116, v135
	s_waitcnt lgkmcnt(2)
	v_fmac_f32_e32 v130, v117, v136
	s_waitcnt vmcnt(3)
	s_delay_alu instid0(VALU_DEP_1) | instskip(SKIP_4) | instid1(VALU_DEP_1)
	v_fmac_f32_e32 v130, v118, v137
	ds_load_2addr_b32 v[115:116], v2 offset0:101 offset1:102
	ds_load_2addr_b32 v[117:118], v2 offset0:103 offset1:104
	s_waitcnt lgkmcnt(3)
	v_fmac_f32_e32 v130, v119, v111
	v_fmac_f32_e32 v130, v120, v112
	ds_load_2addr_b32 v[111:112], v2 offset0:105 offset1:106
	ds_load_2addr_b32 v[2:3], v2 offset0:107 offset1:108
	s_waitcnt lgkmcnt(4)
	v_fmac_f32_e32 v130, v121, v113
	s_waitcnt vmcnt(2)
	s_delay_alu instid0(VALU_DEP_1) | instskip(SKIP_1) | instid1(VALU_DEP_1)
	v_fmac_f32_e32 v130, v122, v114
	s_waitcnt lgkmcnt(3)
	v_fmac_f32_e32 v130, v123, v115
	s_delay_alu instid0(VALU_DEP_1) | instskip(SKIP_1) | instid1(VALU_DEP_1)
	v_fmac_f32_e32 v130, v124, v116
	s_waitcnt lgkmcnt(2)
	v_fmac_f32_e32 v130, v125, v117
	s_waitcnt vmcnt(1)
	s_delay_alu instid0(VALU_DEP_1) | instskip(SKIP_1) | instid1(VALU_DEP_1)
	v_fmac_f32_e32 v130, v126, v118
	s_waitcnt lgkmcnt(1)
	v_fmac_f32_e32 v130, v127, v111
	s_delay_alu instid0(VALU_DEP_1) | instskip(SKIP_1) | instid1(VALU_DEP_1)
	v_fmac_f32_e32 v130, v128, v112
	s_waitcnt lgkmcnt(0)
	v_fmac_f32_e32 v130, v129, v2
	s_waitcnt vmcnt(0)
	s_delay_alu instid0(VALU_DEP_1) | instskip(NEXT) | instid1(VALU_DEP_1)
	v_fmac_f32_e32 v130, v138, v3
	v_sub_f32_e32 v2, v110, v130
	scratch_store_b32 off, v2, off offset:128
	v_cmpx_lt_u32_e32 31, v0
	s_cbranch_execz .LBB116_263
; %bb.262:
	scratch_load_b32 v2, off, off offset:124
	v_mov_b32_e32 v3, 0
	scratch_store_b32 off, v3, off offset:124
	s_waitcnt vmcnt(0)
	ds_store_b32 v1, v2
.LBB116_263:
	s_or_b32 exec_lo, exec_lo, s0
	s_waitcnt lgkmcnt(0)
	s_waitcnt_vscnt null, 0x0
	s_barrier
	buffer_gl0_inv
	s_clause 0x5
	scratch_load_b128 v[110:113], off, off offset:124
	scratch_load_b128 v[114:117], off, off offset:140
	;; [unrolled: 1-line block ×5, first 2 shown]
	scratch_load_b64 v[138:139], off, off offset:204
	v_mov_b32_e32 v2, 0
	ds_load_b128 v[130:133], v2 offset:352
	ds_load_b128 v[134:137], v2 offset:368
	s_mov_b32 s0, exec_lo
	s_waitcnt vmcnt(5) lgkmcnt(1)
	v_fma_f32 v3, v111, v130, 0
	s_delay_alu instid0(VALU_DEP_1) | instskip(NEXT) | instid1(VALU_DEP_1)
	v_fmac_f32_e32 v3, v112, v131
	v_fmac_f32_e32 v3, v113, v132
	s_waitcnt vmcnt(4)
	s_delay_alu instid0(VALU_DEP_1) | instskip(SKIP_3) | instid1(VALU_DEP_1)
	v_fmac_f32_e32 v3, v114, v133
	ds_load_b128 v[111:114], v2 offset:384
	s_waitcnt lgkmcnt(1)
	v_fmac_f32_e32 v3, v115, v134
	v_fmac_f32_e32 v3, v116, v135
	s_delay_alu instid0(VALU_DEP_1) | instskip(SKIP_1) | instid1(VALU_DEP_1)
	v_fmac_f32_e32 v3, v117, v136
	s_waitcnt vmcnt(3)
	v_fmac_f32_e32 v3, v118, v137
	ds_load_b128 v[115:118], v2 offset:400
	s_waitcnt lgkmcnt(1)
	v_fmac_f32_e32 v3, v119, v111
	s_delay_alu instid0(VALU_DEP_1) | instskip(NEXT) | instid1(VALU_DEP_1)
	v_fmac_f32_e32 v3, v120, v112
	v_fmac_f32_e32 v3, v121, v113
	s_waitcnt vmcnt(2)
	s_delay_alu instid0(VALU_DEP_1)
	v_fmac_f32_e32 v3, v122, v114
	ds_load_b128 v[111:114], v2 offset:416
	s_waitcnt lgkmcnt(1)
	v_fmac_f32_e32 v3, v123, v115
	ds_load_b32 v115, v2 offset:432
	v_fmac_f32_e32 v3, v124, v116
	s_delay_alu instid0(VALU_DEP_1) | instskip(SKIP_1) | instid1(VALU_DEP_1)
	v_fmac_f32_e32 v3, v125, v117
	s_waitcnt vmcnt(1)
	v_fmac_f32_e32 v3, v126, v118
	s_waitcnt lgkmcnt(1)
	s_delay_alu instid0(VALU_DEP_1) | instskip(NEXT) | instid1(VALU_DEP_1)
	v_fmac_f32_e32 v3, v127, v111
	v_fmac_f32_e32 v3, v128, v112
	s_delay_alu instid0(VALU_DEP_1) | instskip(SKIP_1) | instid1(VALU_DEP_1)
	v_fmac_f32_e32 v3, v129, v113
	s_waitcnt vmcnt(0)
	v_fmac_f32_e32 v3, v138, v114
	s_waitcnt lgkmcnt(0)
	s_delay_alu instid0(VALU_DEP_1) | instskip(NEXT) | instid1(VALU_DEP_1)
	v_fmac_f32_e32 v3, v139, v115
	v_sub_f32_e32 v3, v110, v3
	scratch_store_b32 off, v3, off offset:124
	v_cmpx_lt_u32_e32 30, v0
	s_cbranch_execz .LBB116_265
; %bb.264:
	scratch_load_b32 v3, off, off offset:120
	scratch_store_b32 off, v2, off offset:120
	s_waitcnt vmcnt(0)
	ds_store_b32 v1, v3
.LBB116_265:
	s_or_b32 exec_lo, exec_lo, s0
	s_waitcnt lgkmcnt(0)
	s_waitcnt_vscnt null, 0x0
	s_barrier
	buffer_gl0_inv
	s_clause 0x5
	scratch_load_b128 v[110:113], off, off offset:120
	scratch_load_b128 v[114:117], off, off offset:136
	;; [unrolled: 1-line block ×5, first 2 shown]
	scratch_load_b96 v[130:132], off, off offset:200
	ds_load_2addr_b32 v[133:134], v2 offset0:87 offset1:88
	ds_load_2addr_b32 v[135:136], v2 offset0:89 offset1:90
	;; [unrolled: 1-line block ×4, first 2 shown]
	s_mov_b32 s0, exec_lo
	s_waitcnt vmcnt(5) lgkmcnt(3)
	v_fma_f32 v133, v111, v133, 0
	s_delay_alu instid0(VALU_DEP_1) | instskip(SKIP_4) | instid1(VALU_DEP_1)
	v_fmac_f32_e32 v133, v112, v134
	ds_load_2addr_b32 v[111:112], v2 offset0:95 offset1:96
	s_waitcnt lgkmcnt(3)
	v_fmac_f32_e32 v133, v113, v135
	s_waitcnt vmcnt(4)
	v_fmac_f32_e32 v133, v114, v136
	ds_load_2addr_b32 v[113:114], v2 offset0:97 offset1:98
	s_waitcnt lgkmcnt(3)
	v_fmac_f32_e32 v133, v115, v137
	s_delay_alu instid0(VALU_DEP_1) | instskip(SKIP_1) | instid1(VALU_DEP_1)
	v_fmac_f32_e32 v133, v116, v138
	s_waitcnt lgkmcnt(2)
	v_fmac_f32_e32 v133, v117, v139
	s_waitcnt vmcnt(3)
	s_delay_alu instid0(VALU_DEP_1) | instskip(SKIP_4) | instid1(VALU_DEP_1)
	v_fmac_f32_e32 v133, v118, v140
	ds_load_2addr_b32 v[115:116], v2 offset0:99 offset1:100
	ds_load_2addr_b32 v[117:118], v2 offset0:101 offset1:102
	s_waitcnt lgkmcnt(3)
	v_fmac_f32_e32 v133, v119, v111
	v_fmac_f32_e32 v133, v120, v112
	ds_load_2addr_b32 v[111:112], v2 offset0:103 offset1:104
	s_waitcnt lgkmcnt(3)
	v_fmac_f32_e32 v133, v121, v113
	s_waitcnt vmcnt(2)
	s_delay_alu instid0(VALU_DEP_1) | instskip(SKIP_4) | instid1(VALU_DEP_1)
	v_fmac_f32_e32 v133, v122, v114
	ds_load_2addr_b32 v[113:114], v2 offset0:105 offset1:106
	ds_load_2addr_b32 v[2:3], v2 offset0:107 offset1:108
	s_waitcnt lgkmcnt(4)
	v_fmac_f32_e32 v133, v123, v115
	v_fmac_f32_e32 v133, v124, v116
	s_waitcnt lgkmcnt(3)
	s_delay_alu instid0(VALU_DEP_1) | instskip(SKIP_1) | instid1(VALU_DEP_1)
	v_fmac_f32_e32 v133, v125, v117
	s_waitcnt vmcnt(1)
	v_fmac_f32_e32 v133, v126, v118
	s_waitcnt lgkmcnt(2)
	s_delay_alu instid0(VALU_DEP_1) | instskip(NEXT) | instid1(VALU_DEP_1)
	v_fmac_f32_e32 v133, v127, v111
	v_fmac_f32_e32 v133, v128, v112
	s_waitcnt lgkmcnt(1)
	s_delay_alu instid0(VALU_DEP_1) | instskip(SKIP_1) | instid1(VALU_DEP_1)
	v_fmac_f32_e32 v133, v129, v113
	s_waitcnt vmcnt(0)
	v_fmac_f32_e32 v133, v130, v114
	s_waitcnt lgkmcnt(0)
	s_delay_alu instid0(VALU_DEP_1) | instskip(NEXT) | instid1(VALU_DEP_1)
	v_fmac_f32_e32 v133, v131, v2
	v_fmac_f32_e32 v133, v132, v3
	s_delay_alu instid0(VALU_DEP_1)
	v_sub_f32_e32 v2, v110, v133
	scratch_store_b32 off, v2, off offset:120
	v_cmpx_lt_u32_e32 29, v0
	s_cbranch_execz .LBB116_267
; %bb.266:
	scratch_load_b32 v2, off, off offset:116
	v_mov_b32_e32 v3, 0
	scratch_store_b32 off, v3, off offset:116
	s_waitcnt vmcnt(0)
	ds_store_b32 v1, v2
.LBB116_267:
	s_or_b32 exec_lo, exec_lo, s0
	s_waitcnt lgkmcnt(0)
	s_waitcnt_vscnt null, 0x0
	s_barrier
	buffer_gl0_inv
	s_clause 0x5
	scratch_load_b128 v[110:113], off, off offset:116
	scratch_load_b128 v[114:117], off, off offset:132
	;; [unrolled: 1-line block ×6, first 2 shown]
	v_mov_b32_e32 v2, 0
	ds_load_2addr_b64 v[134:137], v2 offset0:43 offset1:44
	ds_load_2addr_b64 v[138:141], v2 offset0:45 offset1:46
	s_mov_b32 s0, exec_lo
	s_waitcnt vmcnt(5) lgkmcnt(1)
	v_fma_f32 v3, v111, v134, 0
	s_delay_alu instid0(VALU_DEP_1) | instskip(NEXT) | instid1(VALU_DEP_1)
	v_fmac_f32_e32 v3, v112, v135
	v_fmac_f32_e32 v3, v113, v136
	s_waitcnt vmcnt(4)
	s_delay_alu instid0(VALU_DEP_1) | instskip(SKIP_3) | instid1(VALU_DEP_1)
	v_fmac_f32_e32 v3, v114, v137
	ds_load_2addr_b64 v[111:114], v2 offset0:47 offset1:48
	s_waitcnt lgkmcnt(1)
	v_fmac_f32_e32 v3, v115, v138
	v_fmac_f32_e32 v3, v116, v139
	s_delay_alu instid0(VALU_DEP_1) | instskip(SKIP_1) | instid1(VALU_DEP_1)
	v_fmac_f32_e32 v3, v117, v140
	s_waitcnt vmcnt(3)
	v_fmac_f32_e32 v3, v118, v141
	ds_load_2addr_b64 v[115:118], v2 offset0:49 offset1:50
	s_waitcnt lgkmcnt(1)
	v_fmac_f32_e32 v3, v119, v111
	s_delay_alu instid0(VALU_DEP_1) | instskip(NEXT) | instid1(VALU_DEP_1)
	v_fmac_f32_e32 v3, v120, v112
	v_fmac_f32_e32 v3, v121, v113
	s_waitcnt vmcnt(2)
	s_delay_alu instid0(VALU_DEP_1) | instskip(SKIP_3) | instid1(VALU_DEP_1)
	v_fmac_f32_e32 v3, v122, v114
	ds_load_2addr_b64 v[111:114], v2 offset0:51 offset1:52
	s_waitcnt lgkmcnt(1)
	v_fmac_f32_e32 v3, v123, v115
	v_fmac_f32_e32 v3, v124, v116
	ds_load_b64 v[115:116], v2 offset:424
	v_fmac_f32_e32 v3, v125, v117
	s_waitcnt vmcnt(1)
	s_delay_alu instid0(VALU_DEP_1) | instskip(SKIP_1) | instid1(VALU_DEP_1)
	v_fmac_f32_e32 v3, v126, v118
	s_waitcnt lgkmcnt(1)
	v_fmac_f32_e32 v3, v127, v111
	ds_load_b32 v111, v2 offset:432
	v_fmac_f32_e32 v3, v128, v112
	s_delay_alu instid0(VALU_DEP_1) | instskip(SKIP_1) | instid1(VALU_DEP_1)
	v_fmac_f32_e32 v3, v129, v113
	s_waitcnt vmcnt(0)
	v_fmac_f32_e32 v3, v130, v114
	s_waitcnt lgkmcnt(1)
	s_delay_alu instid0(VALU_DEP_1) | instskip(NEXT) | instid1(VALU_DEP_1)
	v_fmac_f32_e32 v3, v131, v115
	v_fmac_f32_e32 v3, v132, v116
	s_waitcnt lgkmcnt(0)
	s_delay_alu instid0(VALU_DEP_1) | instskip(NEXT) | instid1(VALU_DEP_1)
	v_fmac_f32_e32 v3, v133, v111
	v_sub_f32_e32 v3, v110, v3
	scratch_store_b32 off, v3, off offset:116
	v_cmpx_lt_u32_e32 28, v0
	s_cbranch_execz .LBB116_269
; %bb.268:
	scratch_load_b32 v3, off, off offset:112
	scratch_store_b32 off, v2, off offset:112
	s_waitcnt vmcnt(0)
	ds_store_b32 v1, v3
.LBB116_269:
	s_or_b32 exec_lo, exec_lo, s0
	s_waitcnt lgkmcnt(0)
	s_waitcnt_vscnt null, 0x0
	s_barrier
	buffer_gl0_inv
	s_clause 0x6
	scratch_load_b128 v[110:113], off, off offset:112
	scratch_load_b128 v[114:117], off, off offset:128
	;; [unrolled: 1-line block ×6, first 2 shown]
	scratch_load_b32 v142, off, off offset:208
	ds_load_2addr_b32 v[134:135], v2 offset0:85 offset1:86
	ds_load_2addr_b32 v[136:137], v2 offset0:87 offset1:88
	ds_load_2addr_b32 v[138:139], v2 offset0:89 offset1:90
	ds_load_2addr_b32 v[140:141], v2 offset0:91 offset1:92
	s_mov_b32 s0, exec_lo
	s_waitcnt vmcnt(6) lgkmcnt(3)
	v_fma_f32 v134, v111, v134, 0
	s_delay_alu instid0(VALU_DEP_1) | instskip(SKIP_4) | instid1(VALU_DEP_1)
	v_fmac_f32_e32 v134, v112, v135
	ds_load_2addr_b32 v[111:112], v2 offset0:93 offset1:94
	s_waitcnt lgkmcnt(3)
	v_fmac_f32_e32 v134, v113, v136
	s_waitcnt vmcnt(5)
	v_fmac_f32_e32 v134, v114, v137
	ds_load_2addr_b32 v[113:114], v2 offset0:95 offset1:96
	s_waitcnt lgkmcnt(3)
	v_fmac_f32_e32 v134, v115, v138
	s_delay_alu instid0(VALU_DEP_1) | instskip(SKIP_1) | instid1(VALU_DEP_1)
	v_fmac_f32_e32 v134, v116, v139
	s_waitcnt lgkmcnt(2)
	v_fmac_f32_e32 v134, v117, v140
	s_waitcnt vmcnt(4)
	s_delay_alu instid0(VALU_DEP_1) | instskip(SKIP_4) | instid1(VALU_DEP_1)
	v_fmac_f32_e32 v134, v118, v141
	ds_load_2addr_b32 v[115:116], v2 offset0:97 offset1:98
	ds_load_2addr_b32 v[117:118], v2 offset0:99 offset1:100
	s_waitcnt lgkmcnt(3)
	v_fmac_f32_e32 v134, v119, v111
	v_fmac_f32_e32 v134, v120, v112
	ds_load_2addr_b32 v[111:112], v2 offset0:101 offset1:102
	s_waitcnt lgkmcnt(3)
	v_fmac_f32_e32 v134, v121, v113
	s_waitcnt vmcnt(3)
	s_delay_alu instid0(VALU_DEP_1) | instskip(SKIP_3) | instid1(VALU_DEP_1)
	v_fmac_f32_e32 v134, v122, v114
	ds_load_2addr_b32 v[113:114], v2 offset0:103 offset1:104
	s_waitcnt lgkmcnt(3)
	v_fmac_f32_e32 v134, v123, v115
	v_fmac_f32_e32 v134, v124, v116
	ds_load_2addr_b32 v[115:116], v2 offset0:105 offset1:106
	ds_load_2addr_b32 v[2:3], v2 offset0:107 offset1:108
	s_waitcnt lgkmcnt(4)
	v_fmac_f32_e32 v134, v125, v117
	s_waitcnt vmcnt(2)
	s_delay_alu instid0(VALU_DEP_1) | instskip(SKIP_1) | instid1(VALU_DEP_1)
	v_fmac_f32_e32 v134, v126, v118
	s_waitcnt lgkmcnt(3)
	v_fmac_f32_e32 v134, v127, v111
	s_delay_alu instid0(VALU_DEP_1) | instskip(SKIP_1) | instid1(VALU_DEP_1)
	v_fmac_f32_e32 v134, v128, v112
	s_waitcnt lgkmcnt(2)
	v_fmac_f32_e32 v134, v129, v113
	s_waitcnt vmcnt(1)
	s_delay_alu instid0(VALU_DEP_1) | instskip(SKIP_1) | instid1(VALU_DEP_1)
	v_fmac_f32_e32 v134, v130, v114
	s_waitcnt lgkmcnt(1)
	v_fmac_f32_e32 v134, v131, v115
	s_delay_alu instid0(VALU_DEP_1) | instskip(SKIP_1) | instid1(VALU_DEP_1)
	v_fmac_f32_e32 v134, v132, v116
	s_waitcnt lgkmcnt(0)
	v_fmac_f32_e32 v134, v133, v2
	s_waitcnt vmcnt(0)
	s_delay_alu instid0(VALU_DEP_1) | instskip(NEXT) | instid1(VALU_DEP_1)
	v_fmac_f32_e32 v134, v142, v3
	v_sub_f32_e32 v2, v110, v134
	scratch_store_b32 off, v2, off offset:112
	v_cmpx_lt_u32_e32 27, v0
	s_cbranch_execz .LBB116_271
; %bb.270:
	scratch_load_b32 v2, off, off offset:108
	v_mov_b32_e32 v3, 0
	scratch_store_b32 off, v3, off offset:108
	s_waitcnt vmcnt(0)
	ds_store_b32 v1, v2
.LBB116_271:
	s_or_b32 exec_lo, exec_lo, s0
	s_waitcnt lgkmcnt(0)
	s_waitcnt_vscnt null, 0x0
	s_barrier
	buffer_gl0_inv
	s_clause 0x6
	scratch_load_b128 v[110:113], off, off offset:108
	scratch_load_b128 v[114:117], off, off offset:124
	scratch_load_b128 v[118:121], off, off offset:140
	scratch_load_b128 v[122:125], off, off offset:156
	scratch_load_b128 v[126:129], off, off offset:172
	scratch_load_b128 v[130:133], off, off offset:188
	scratch_load_b64 v[142:143], off, off offset:204
	v_mov_b32_e32 v2, 0
	ds_load_b128 v[134:137], v2 offset:336
	ds_load_b128 v[138:141], v2 offset:352
	s_mov_b32 s0, exec_lo
	s_waitcnt vmcnt(6) lgkmcnt(1)
	v_fma_f32 v3, v111, v134, 0
	s_delay_alu instid0(VALU_DEP_1) | instskip(NEXT) | instid1(VALU_DEP_1)
	v_fmac_f32_e32 v3, v112, v135
	v_fmac_f32_e32 v3, v113, v136
	s_waitcnt vmcnt(5)
	s_delay_alu instid0(VALU_DEP_1) | instskip(SKIP_3) | instid1(VALU_DEP_1)
	v_fmac_f32_e32 v3, v114, v137
	ds_load_b128 v[111:114], v2 offset:368
	s_waitcnt lgkmcnt(1)
	v_fmac_f32_e32 v3, v115, v138
	v_fmac_f32_e32 v3, v116, v139
	s_delay_alu instid0(VALU_DEP_1) | instskip(SKIP_1) | instid1(VALU_DEP_1)
	v_fmac_f32_e32 v3, v117, v140
	s_waitcnt vmcnt(4)
	v_fmac_f32_e32 v3, v118, v141
	ds_load_b128 v[115:118], v2 offset:384
	s_waitcnt lgkmcnt(1)
	v_fmac_f32_e32 v3, v119, v111
	s_delay_alu instid0(VALU_DEP_1) | instskip(NEXT) | instid1(VALU_DEP_1)
	v_fmac_f32_e32 v3, v120, v112
	v_fmac_f32_e32 v3, v121, v113
	s_waitcnt vmcnt(3)
	s_delay_alu instid0(VALU_DEP_1) | instskip(SKIP_3) | instid1(VALU_DEP_1)
	v_fmac_f32_e32 v3, v122, v114
	ds_load_b128 v[111:114], v2 offset:400
	s_waitcnt lgkmcnt(1)
	v_fmac_f32_e32 v3, v123, v115
	v_fmac_f32_e32 v3, v124, v116
	s_delay_alu instid0(VALU_DEP_1) | instskip(SKIP_1) | instid1(VALU_DEP_1)
	v_fmac_f32_e32 v3, v125, v117
	s_waitcnt vmcnt(2)
	v_fmac_f32_e32 v3, v126, v118
	ds_load_b128 v[115:118], v2 offset:416
	s_waitcnt lgkmcnt(1)
	v_fmac_f32_e32 v3, v127, v111
	ds_load_b32 v111, v2 offset:432
	v_fmac_f32_e32 v3, v128, v112
	s_delay_alu instid0(VALU_DEP_1) | instskip(SKIP_1) | instid1(VALU_DEP_1)
	v_fmac_f32_e32 v3, v129, v113
	s_waitcnt vmcnt(1)
	v_fmac_f32_e32 v3, v130, v114
	s_waitcnt lgkmcnt(1)
	s_delay_alu instid0(VALU_DEP_1) | instskip(NEXT) | instid1(VALU_DEP_1)
	v_fmac_f32_e32 v3, v131, v115
	v_fmac_f32_e32 v3, v132, v116
	s_delay_alu instid0(VALU_DEP_1) | instskip(SKIP_1) | instid1(VALU_DEP_1)
	v_fmac_f32_e32 v3, v133, v117
	s_waitcnt vmcnt(0)
	v_fmac_f32_e32 v3, v142, v118
	s_waitcnt lgkmcnt(0)
	s_delay_alu instid0(VALU_DEP_1) | instskip(NEXT) | instid1(VALU_DEP_1)
	v_fmac_f32_e32 v3, v143, v111
	v_sub_f32_e32 v3, v110, v3
	scratch_store_b32 off, v3, off offset:108
	v_cmpx_lt_u32_e32 26, v0
	s_cbranch_execz .LBB116_273
; %bb.272:
	scratch_load_b32 v3, off, off offset:104
	scratch_store_b32 off, v2, off offset:104
	s_waitcnt vmcnt(0)
	ds_store_b32 v1, v3
.LBB116_273:
	s_or_b32 exec_lo, exec_lo, s0
	s_waitcnt lgkmcnt(0)
	s_waitcnt_vscnt null, 0x0
	s_barrier
	buffer_gl0_inv
	s_clause 0x6
	scratch_load_b128 v[110:113], off, off offset:104
	scratch_load_b128 v[114:117], off, off offset:120
	;; [unrolled: 1-line block ×6, first 2 shown]
	scratch_load_b96 v[134:136], off, off offset:200
	ds_load_2addr_b32 v[137:138], v2 offset0:83 offset1:84
	ds_load_2addr_b32 v[139:140], v2 offset0:85 offset1:86
	;; [unrolled: 1-line block ×4, first 2 shown]
	s_mov_b32 s0, exec_lo
	s_waitcnt vmcnt(6) lgkmcnt(3)
	v_fma_f32 v137, v111, v137, 0
	s_delay_alu instid0(VALU_DEP_1) | instskip(SKIP_4) | instid1(VALU_DEP_1)
	v_fmac_f32_e32 v137, v112, v138
	ds_load_2addr_b32 v[111:112], v2 offset0:91 offset1:92
	s_waitcnt lgkmcnt(3)
	v_fmac_f32_e32 v137, v113, v139
	s_waitcnt vmcnt(5)
	v_fmac_f32_e32 v137, v114, v140
	ds_load_2addr_b32 v[113:114], v2 offset0:93 offset1:94
	s_waitcnt lgkmcnt(3)
	v_fmac_f32_e32 v137, v115, v141
	s_delay_alu instid0(VALU_DEP_1) | instskip(SKIP_1) | instid1(VALU_DEP_1)
	v_fmac_f32_e32 v137, v116, v142
	s_waitcnt lgkmcnt(2)
	v_fmac_f32_e32 v137, v117, v143
	s_waitcnt vmcnt(4)
	s_delay_alu instid0(VALU_DEP_1) | instskip(SKIP_4) | instid1(VALU_DEP_1)
	v_fmac_f32_e32 v137, v118, v144
	ds_load_2addr_b32 v[115:116], v2 offset0:95 offset1:96
	ds_load_2addr_b32 v[117:118], v2 offset0:97 offset1:98
	s_waitcnt lgkmcnt(3)
	v_fmac_f32_e32 v137, v119, v111
	v_fmac_f32_e32 v137, v120, v112
	ds_load_2addr_b32 v[111:112], v2 offset0:99 offset1:100
	s_waitcnt lgkmcnt(3)
	v_fmac_f32_e32 v137, v121, v113
	s_waitcnt vmcnt(3)
	s_delay_alu instid0(VALU_DEP_1) | instskip(SKIP_3) | instid1(VALU_DEP_1)
	v_fmac_f32_e32 v137, v122, v114
	ds_load_2addr_b32 v[113:114], v2 offset0:101 offset1:102
	s_waitcnt lgkmcnt(3)
	v_fmac_f32_e32 v137, v123, v115
	v_fmac_f32_e32 v137, v124, v116
	s_waitcnt lgkmcnt(2)
	s_delay_alu instid0(VALU_DEP_1) | instskip(SKIP_1) | instid1(VALU_DEP_1)
	v_fmac_f32_e32 v137, v125, v117
	s_waitcnt vmcnt(2)
	v_fmac_f32_e32 v137, v126, v118
	ds_load_2addr_b32 v[115:116], v2 offset0:103 offset1:104
	ds_load_2addr_b32 v[117:118], v2 offset0:105 offset1:106
	;; [unrolled: 1-line block ×3, first 2 shown]
	s_waitcnt lgkmcnt(4)
	v_fmac_f32_e32 v137, v127, v111
	s_delay_alu instid0(VALU_DEP_1) | instskip(SKIP_1) | instid1(VALU_DEP_1)
	v_fmac_f32_e32 v137, v128, v112
	s_waitcnt lgkmcnt(3)
	v_fmac_f32_e32 v137, v129, v113
	s_waitcnt vmcnt(1)
	s_delay_alu instid0(VALU_DEP_1) | instskip(SKIP_1) | instid1(VALU_DEP_1)
	v_fmac_f32_e32 v137, v130, v114
	s_waitcnt lgkmcnt(2)
	v_fmac_f32_e32 v137, v131, v115
	s_delay_alu instid0(VALU_DEP_1) | instskip(SKIP_1) | instid1(VALU_DEP_1)
	v_fmac_f32_e32 v137, v132, v116
	s_waitcnt lgkmcnt(1)
	v_fmac_f32_e32 v137, v133, v117
	s_waitcnt vmcnt(0)
	s_delay_alu instid0(VALU_DEP_1) | instskip(SKIP_1) | instid1(VALU_DEP_1)
	v_fmac_f32_e32 v137, v134, v118
	s_waitcnt lgkmcnt(0)
	v_fmac_f32_e32 v137, v135, v2
	s_delay_alu instid0(VALU_DEP_1) | instskip(NEXT) | instid1(VALU_DEP_1)
	v_fmac_f32_e32 v137, v136, v3
	v_sub_f32_e32 v2, v110, v137
	scratch_store_b32 off, v2, off offset:104
	v_cmpx_lt_u32_e32 25, v0
	s_cbranch_execz .LBB116_275
; %bb.274:
	scratch_load_b32 v2, off, off offset:100
	v_mov_b32_e32 v3, 0
	scratch_store_b32 off, v3, off offset:100
	s_waitcnt vmcnt(0)
	ds_store_b32 v1, v2
.LBB116_275:
	s_or_b32 exec_lo, exec_lo, s0
	s_waitcnt lgkmcnt(0)
	s_waitcnt_vscnt null, 0x0
	s_barrier
	buffer_gl0_inv
	s_clause 0x6
	scratch_load_b128 v[110:113], off, off offset:100
	scratch_load_b128 v[114:117], off, off offset:116
	;; [unrolled: 1-line block ×7, first 2 shown]
	v_mov_b32_e32 v2, 0
	ds_load_2addr_b64 v[138:141], v2 offset0:41 offset1:42
	ds_load_2addr_b64 v[142:145], v2 offset0:43 offset1:44
	s_mov_b32 s0, exec_lo
	s_waitcnt vmcnt(6) lgkmcnt(1)
	v_fma_f32 v3, v111, v138, 0
	s_delay_alu instid0(VALU_DEP_1) | instskip(NEXT) | instid1(VALU_DEP_1)
	v_fmac_f32_e32 v3, v112, v139
	v_fmac_f32_e32 v3, v113, v140
	s_waitcnt vmcnt(5)
	s_delay_alu instid0(VALU_DEP_1) | instskip(SKIP_3) | instid1(VALU_DEP_1)
	v_fmac_f32_e32 v3, v114, v141
	ds_load_2addr_b64 v[111:114], v2 offset0:45 offset1:46
	s_waitcnt lgkmcnt(1)
	v_fmac_f32_e32 v3, v115, v142
	v_fmac_f32_e32 v3, v116, v143
	s_delay_alu instid0(VALU_DEP_1) | instskip(SKIP_1) | instid1(VALU_DEP_1)
	v_fmac_f32_e32 v3, v117, v144
	s_waitcnt vmcnt(4)
	v_fmac_f32_e32 v3, v118, v145
	ds_load_2addr_b64 v[115:118], v2 offset0:47 offset1:48
	s_waitcnt lgkmcnt(1)
	v_fmac_f32_e32 v3, v119, v111
	s_delay_alu instid0(VALU_DEP_1) | instskip(NEXT) | instid1(VALU_DEP_1)
	v_fmac_f32_e32 v3, v120, v112
	v_fmac_f32_e32 v3, v121, v113
	s_waitcnt vmcnt(3)
	s_delay_alu instid0(VALU_DEP_1) | instskip(SKIP_3) | instid1(VALU_DEP_1)
	v_fmac_f32_e32 v3, v122, v114
	ds_load_2addr_b64 v[111:114], v2 offset0:49 offset1:50
	s_waitcnt lgkmcnt(1)
	v_fmac_f32_e32 v3, v123, v115
	v_fmac_f32_e32 v3, v124, v116
	s_delay_alu instid0(VALU_DEP_1) | instskip(SKIP_1) | instid1(VALU_DEP_1)
	v_fmac_f32_e32 v3, v125, v117
	s_waitcnt vmcnt(2)
	v_fmac_f32_e32 v3, v126, v118
	ds_load_2addr_b64 v[115:118], v2 offset0:51 offset1:52
	s_waitcnt lgkmcnt(1)
	v_fmac_f32_e32 v3, v127, v111
	s_delay_alu instid0(VALU_DEP_1)
	v_fmac_f32_e32 v3, v128, v112
	ds_load_b64 v[111:112], v2 offset:424
	v_fmac_f32_e32 v3, v129, v113
	ds_load_b32 v113, v2 offset:432
	s_waitcnt vmcnt(1)
	v_fmac_f32_e32 v3, v130, v114
	s_waitcnt lgkmcnt(2)
	s_delay_alu instid0(VALU_DEP_1) | instskip(NEXT) | instid1(VALU_DEP_1)
	v_fmac_f32_e32 v3, v131, v115
	v_fmac_f32_e32 v3, v132, v116
	s_delay_alu instid0(VALU_DEP_1) | instskip(SKIP_1) | instid1(VALU_DEP_1)
	v_fmac_f32_e32 v3, v133, v117
	s_waitcnt vmcnt(0)
	v_fmac_f32_e32 v3, v134, v118
	s_waitcnt lgkmcnt(1)
	s_delay_alu instid0(VALU_DEP_1) | instskip(NEXT) | instid1(VALU_DEP_1)
	v_fmac_f32_e32 v3, v135, v111
	v_fmac_f32_e32 v3, v136, v112
	s_waitcnt lgkmcnt(0)
	s_delay_alu instid0(VALU_DEP_1) | instskip(NEXT) | instid1(VALU_DEP_1)
	v_fmac_f32_e32 v3, v137, v113
	v_sub_f32_e32 v3, v110, v3
	scratch_store_b32 off, v3, off offset:100
	v_cmpx_lt_u32_e32 24, v0
	s_cbranch_execz .LBB116_277
; %bb.276:
	scratch_load_b32 v3, off, off offset:96
	scratch_store_b32 off, v2, off offset:96
	s_waitcnt vmcnt(0)
	ds_store_b32 v1, v3
.LBB116_277:
	s_or_b32 exec_lo, exec_lo, s0
	s_waitcnt lgkmcnt(0)
	s_waitcnt_vscnt null, 0x0
	s_barrier
	buffer_gl0_inv
	s_clause 0x7
	scratch_load_b128 v[110:113], off, off offset:96
	scratch_load_b128 v[114:117], off, off offset:112
	;; [unrolled: 1-line block ×7, first 2 shown]
	scratch_load_b32 v146, off, off offset:208
	ds_load_2addr_b32 v[138:139], v2 offset0:81 offset1:82
	ds_load_2addr_b32 v[140:141], v2 offset0:83 offset1:84
	;; [unrolled: 1-line block ×4, first 2 shown]
	s_mov_b32 s0, exec_lo
	s_waitcnt vmcnt(7) lgkmcnt(3)
	v_fma_f32 v138, v111, v138, 0
	s_delay_alu instid0(VALU_DEP_1) | instskip(SKIP_4) | instid1(VALU_DEP_1)
	v_fmac_f32_e32 v138, v112, v139
	ds_load_2addr_b32 v[111:112], v2 offset0:89 offset1:90
	s_waitcnt lgkmcnt(3)
	v_fmac_f32_e32 v138, v113, v140
	s_waitcnt vmcnt(6)
	v_fmac_f32_e32 v138, v114, v141
	ds_load_2addr_b32 v[113:114], v2 offset0:91 offset1:92
	s_waitcnt lgkmcnt(3)
	v_fmac_f32_e32 v138, v115, v142
	s_delay_alu instid0(VALU_DEP_1) | instskip(SKIP_1) | instid1(VALU_DEP_1)
	v_fmac_f32_e32 v138, v116, v143
	s_waitcnt lgkmcnt(2)
	v_fmac_f32_e32 v138, v117, v144
	s_waitcnt vmcnt(5)
	s_delay_alu instid0(VALU_DEP_1) | instskip(SKIP_4) | instid1(VALU_DEP_1)
	v_fmac_f32_e32 v138, v118, v145
	ds_load_2addr_b32 v[115:116], v2 offset0:93 offset1:94
	ds_load_2addr_b32 v[117:118], v2 offset0:95 offset1:96
	s_waitcnt lgkmcnt(3)
	v_fmac_f32_e32 v138, v119, v111
	v_fmac_f32_e32 v138, v120, v112
	ds_load_2addr_b32 v[111:112], v2 offset0:97 offset1:98
	s_waitcnt lgkmcnt(3)
	v_fmac_f32_e32 v138, v121, v113
	s_waitcnt vmcnt(4)
	s_delay_alu instid0(VALU_DEP_1) | instskip(SKIP_3) | instid1(VALU_DEP_1)
	v_fmac_f32_e32 v138, v122, v114
	ds_load_2addr_b32 v[113:114], v2 offset0:99 offset1:100
	s_waitcnt lgkmcnt(3)
	v_fmac_f32_e32 v138, v123, v115
	v_fmac_f32_e32 v138, v124, v116
	s_waitcnt lgkmcnt(2)
	s_delay_alu instid0(VALU_DEP_1) | instskip(SKIP_1) | instid1(VALU_DEP_1)
	v_fmac_f32_e32 v138, v125, v117
	s_waitcnt vmcnt(3)
	v_fmac_f32_e32 v138, v126, v118
	ds_load_2addr_b32 v[115:116], v2 offset0:101 offset1:102
	ds_load_2addr_b32 v[117:118], v2 offset0:103 offset1:104
	s_waitcnt lgkmcnt(3)
	v_fmac_f32_e32 v138, v127, v111
	s_delay_alu instid0(VALU_DEP_1)
	v_fmac_f32_e32 v138, v128, v112
	ds_load_2addr_b32 v[111:112], v2 offset0:105 offset1:106
	ds_load_2addr_b32 v[2:3], v2 offset0:107 offset1:108
	s_waitcnt lgkmcnt(4)
	v_fmac_f32_e32 v138, v129, v113
	s_waitcnt vmcnt(2)
	s_delay_alu instid0(VALU_DEP_1) | instskip(SKIP_1) | instid1(VALU_DEP_1)
	v_fmac_f32_e32 v138, v130, v114
	s_waitcnt lgkmcnt(3)
	v_fmac_f32_e32 v138, v131, v115
	s_delay_alu instid0(VALU_DEP_1) | instskip(SKIP_1) | instid1(VALU_DEP_1)
	v_fmac_f32_e32 v138, v132, v116
	s_waitcnt lgkmcnt(2)
	v_fmac_f32_e32 v138, v133, v117
	s_waitcnt vmcnt(1)
	s_delay_alu instid0(VALU_DEP_1) | instskip(SKIP_1) | instid1(VALU_DEP_1)
	v_fmac_f32_e32 v138, v134, v118
	s_waitcnt lgkmcnt(1)
	v_fmac_f32_e32 v138, v135, v111
	s_delay_alu instid0(VALU_DEP_1) | instskip(SKIP_1) | instid1(VALU_DEP_1)
	v_fmac_f32_e32 v138, v136, v112
	s_waitcnt lgkmcnt(0)
	v_fmac_f32_e32 v138, v137, v2
	s_waitcnt vmcnt(0)
	s_delay_alu instid0(VALU_DEP_1) | instskip(NEXT) | instid1(VALU_DEP_1)
	v_fmac_f32_e32 v138, v146, v3
	v_sub_f32_e32 v2, v110, v138
	scratch_store_b32 off, v2, off offset:96
	v_cmpx_lt_u32_e32 23, v0
	s_cbranch_execz .LBB116_279
; %bb.278:
	scratch_load_b32 v2, off, off offset:92
	v_mov_b32_e32 v3, 0
	scratch_store_b32 off, v3, off offset:92
	s_waitcnt vmcnt(0)
	ds_store_b32 v1, v2
.LBB116_279:
	s_or_b32 exec_lo, exec_lo, s0
	s_waitcnt lgkmcnt(0)
	s_waitcnt_vscnt null, 0x0
	s_barrier
	buffer_gl0_inv
	s_clause 0x7
	scratch_load_b128 v[110:113], off, off offset:92
	scratch_load_b128 v[114:117], off, off offset:108
	;; [unrolled: 1-line block ×7, first 2 shown]
	scratch_load_b64 v[146:147], off, off offset:204
	v_mov_b32_e32 v2, 0
	ds_load_b128 v[138:141], v2 offset:320
	ds_load_b128 v[142:145], v2 offset:336
	s_mov_b32 s0, exec_lo
	s_waitcnt vmcnt(7) lgkmcnt(1)
	v_fma_f32 v3, v111, v138, 0
	s_delay_alu instid0(VALU_DEP_1) | instskip(NEXT) | instid1(VALU_DEP_1)
	v_fmac_f32_e32 v3, v112, v139
	v_fmac_f32_e32 v3, v113, v140
	s_waitcnt vmcnt(6)
	s_delay_alu instid0(VALU_DEP_1) | instskip(SKIP_3) | instid1(VALU_DEP_1)
	v_fmac_f32_e32 v3, v114, v141
	ds_load_b128 v[111:114], v2 offset:352
	s_waitcnt lgkmcnt(1)
	v_fmac_f32_e32 v3, v115, v142
	v_fmac_f32_e32 v3, v116, v143
	s_delay_alu instid0(VALU_DEP_1) | instskip(SKIP_1) | instid1(VALU_DEP_1)
	v_fmac_f32_e32 v3, v117, v144
	s_waitcnt vmcnt(5)
	v_fmac_f32_e32 v3, v118, v145
	ds_load_b128 v[115:118], v2 offset:368
	s_waitcnt lgkmcnt(1)
	v_fmac_f32_e32 v3, v119, v111
	s_delay_alu instid0(VALU_DEP_1) | instskip(NEXT) | instid1(VALU_DEP_1)
	v_fmac_f32_e32 v3, v120, v112
	v_fmac_f32_e32 v3, v121, v113
	s_waitcnt vmcnt(4)
	s_delay_alu instid0(VALU_DEP_1) | instskip(SKIP_3) | instid1(VALU_DEP_1)
	v_fmac_f32_e32 v3, v122, v114
	ds_load_b128 v[111:114], v2 offset:384
	s_waitcnt lgkmcnt(1)
	v_fmac_f32_e32 v3, v123, v115
	v_fmac_f32_e32 v3, v124, v116
	s_delay_alu instid0(VALU_DEP_1) | instskip(SKIP_1) | instid1(VALU_DEP_1)
	v_fmac_f32_e32 v3, v125, v117
	s_waitcnt vmcnt(3)
	v_fmac_f32_e32 v3, v126, v118
	ds_load_b128 v[115:118], v2 offset:400
	s_waitcnt lgkmcnt(1)
	v_fmac_f32_e32 v3, v127, v111
	s_delay_alu instid0(VALU_DEP_1) | instskip(NEXT) | instid1(VALU_DEP_1)
	v_fmac_f32_e32 v3, v128, v112
	v_fmac_f32_e32 v3, v129, v113
	s_waitcnt vmcnt(2)
	s_delay_alu instid0(VALU_DEP_1)
	v_fmac_f32_e32 v3, v130, v114
	ds_load_b128 v[111:114], v2 offset:416
	s_waitcnt lgkmcnt(1)
	v_fmac_f32_e32 v3, v131, v115
	ds_load_b32 v115, v2 offset:432
	v_fmac_f32_e32 v3, v132, v116
	s_delay_alu instid0(VALU_DEP_1) | instskip(SKIP_1) | instid1(VALU_DEP_1)
	v_fmac_f32_e32 v3, v133, v117
	s_waitcnt vmcnt(1)
	v_fmac_f32_e32 v3, v134, v118
	s_waitcnt lgkmcnt(1)
	s_delay_alu instid0(VALU_DEP_1) | instskip(NEXT) | instid1(VALU_DEP_1)
	v_fmac_f32_e32 v3, v135, v111
	v_fmac_f32_e32 v3, v136, v112
	s_delay_alu instid0(VALU_DEP_1) | instskip(SKIP_1) | instid1(VALU_DEP_1)
	v_fmac_f32_e32 v3, v137, v113
	s_waitcnt vmcnt(0)
	v_fmac_f32_e32 v3, v146, v114
	s_waitcnt lgkmcnt(0)
	s_delay_alu instid0(VALU_DEP_1) | instskip(NEXT) | instid1(VALU_DEP_1)
	v_fmac_f32_e32 v3, v147, v115
	v_sub_f32_e32 v3, v110, v3
	scratch_store_b32 off, v3, off offset:92
	v_cmpx_lt_u32_e32 22, v0
	s_cbranch_execz .LBB116_281
; %bb.280:
	scratch_load_b32 v3, off, off offset:88
	scratch_store_b32 off, v2, off offset:88
	s_waitcnt vmcnt(0)
	ds_store_b32 v1, v3
.LBB116_281:
	s_or_b32 exec_lo, exec_lo, s0
	s_waitcnt lgkmcnt(0)
	s_waitcnt_vscnt null, 0x0
	s_barrier
	buffer_gl0_inv
	s_clause 0x7
	scratch_load_b128 v[110:113], off, off offset:88
	scratch_load_b128 v[114:117], off, off offset:104
	;; [unrolled: 1-line block ×7, first 2 shown]
	scratch_load_b96 v[138:140], off, off offset:200
	ds_load_2addr_b32 v[141:142], v2 offset0:79 offset1:80
	ds_load_2addr_b32 v[143:144], v2 offset0:81 offset1:82
	;; [unrolled: 1-line block ×4, first 2 shown]
	s_mov_b32 s0, exec_lo
	s_waitcnt vmcnt(7) lgkmcnt(3)
	v_fma_f32 v141, v111, v141, 0
	s_delay_alu instid0(VALU_DEP_1) | instskip(SKIP_4) | instid1(VALU_DEP_1)
	v_fmac_f32_e32 v141, v112, v142
	ds_load_2addr_b32 v[111:112], v2 offset0:87 offset1:88
	s_waitcnt lgkmcnt(3)
	v_fmac_f32_e32 v141, v113, v143
	s_waitcnt vmcnt(6)
	v_fmac_f32_e32 v141, v114, v144
	ds_load_2addr_b32 v[113:114], v2 offset0:89 offset1:90
	s_waitcnt lgkmcnt(3)
	v_fmac_f32_e32 v141, v115, v145
	s_delay_alu instid0(VALU_DEP_1) | instskip(SKIP_1) | instid1(VALU_DEP_1)
	v_fmac_f32_e32 v141, v116, v146
	s_waitcnt lgkmcnt(2)
	v_fmac_f32_e32 v141, v117, v147
	s_waitcnt vmcnt(5)
	s_delay_alu instid0(VALU_DEP_1) | instskip(SKIP_4) | instid1(VALU_DEP_1)
	v_fmac_f32_e32 v141, v118, v148
	ds_load_2addr_b32 v[115:116], v2 offset0:91 offset1:92
	ds_load_2addr_b32 v[117:118], v2 offset0:93 offset1:94
	s_waitcnt lgkmcnt(3)
	v_fmac_f32_e32 v141, v119, v111
	v_fmac_f32_e32 v141, v120, v112
	ds_load_2addr_b32 v[111:112], v2 offset0:95 offset1:96
	s_waitcnt lgkmcnt(3)
	v_fmac_f32_e32 v141, v121, v113
	s_waitcnt vmcnt(4)
	s_delay_alu instid0(VALU_DEP_1) | instskip(SKIP_3) | instid1(VALU_DEP_1)
	v_fmac_f32_e32 v141, v122, v114
	ds_load_2addr_b32 v[113:114], v2 offset0:97 offset1:98
	s_waitcnt lgkmcnt(3)
	v_fmac_f32_e32 v141, v123, v115
	v_fmac_f32_e32 v141, v124, v116
	s_waitcnt lgkmcnt(2)
	s_delay_alu instid0(VALU_DEP_1) | instskip(SKIP_1) | instid1(VALU_DEP_1)
	v_fmac_f32_e32 v141, v125, v117
	s_waitcnt vmcnt(3)
	v_fmac_f32_e32 v141, v126, v118
	ds_load_2addr_b32 v[115:116], v2 offset0:99 offset1:100
	ds_load_2addr_b32 v[117:118], v2 offset0:101 offset1:102
	s_waitcnt lgkmcnt(3)
	v_fmac_f32_e32 v141, v127, v111
	s_delay_alu instid0(VALU_DEP_1) | instskip(SKIP_4) | instid1(VALU_DEP_1)
	v_fmac_f32_e32 v141, v128, v112
	ds_load_2addr_b32 v[111:112], v2 offset0:103 offset1:104
	s_waitcnt lgkmcnt(3)
	v_fmac_f32_e32 v141, v129, v113
	s_waitcnt vmcnt(2)
	v_fmac_f32_e32 v141, v130, v114
	ds_load_2addr_b32 v[113:114], v2 offset0:105 offset1:106
	ds_load_2addr_b32 v[2:3], v2 offset0:107 offset1:108
	s_waitcnt lgkmcnt(4)
	v_fmac_f32_e32 v141, v131, v115
	s_delay_alu instid0(VALU_DEP_1) | instskip(SKIP_1) | instid1(VALU_DEP_1)
	v_fmac_f32_e32 v141, v132, v116
	s_waitcnt lgkmcnt(3)
	v_fmac_f32_e32 v141, v133, v117
	s_waitcnt vmcnt(1)
	s_delay_alu instid0(VALU_DEP_1) | instskip(SKIP_1) | instid1(VALU_DEP_1)
	v_fmac_f32_e32 v141, v134, v118
	s_waitcnt lgkmcnt(2)
	v_fmac_f32_e32 v141, v135, v111
	s_delay_alu instid0(VALU_DEP_1) | instskip(SKIP_1) | instid1(VALU_DEP_1)
	v_fmac_f32_e32 v141, v136, v112
	s_waitcnt lgkmcnt(1)
	v_fmac_f32_e32 v141, v137, v113
	s_waitcnt vmcnt(0)
	s_delay_alu instid0(VALU_DEP_1) | instskip(SKIP_1) | instid1(VALU_DEP_1)
	v_fmac_f32_e32 v141, v138, v114
	s_waitcnt lgkmcnt(0)
	v_fmac_f32_e32 v141, v139, v2
	s_delay_alu instid0(VALU_DEP_1) | instskip(NEXT) | instid1(VALU_DEP_1)
	v_fmac_f32_e32 v141, v140, v3
	v_sub_f32_e32 v2, v110, v141
	scratch_store_b32 off, v2, off offset:88
	v_cmpx_lt_u32_e32 21, v0
	s_cbranch_execz .LBB116_283
; %bb.282:
	scratch_load_b32 v2, off, off offset:84
	v_mov_b32_e32 v3, 0
	scratch_store_b32 off, v3, off offset:84
	s_waitcnt vmcnt(0)
	ds_store_b32 v1, v2
.LBB116_283:
	s_or_b32 exec_lo, exec_lo, s0
	s_waitcnt lgkmcnt(0)
	s_waitcnt_vscnt null, 0x0
	s_barrier
	buffer_gl0_inv
	s_clause 0x7
	scratch_load_b128 v[110:113], off, off offset:84
	scratch_load_b128 v[114:117], off, off offset:100
	;; [unrolled: 1-line block ×8, first 2 shown]
	v_mov_b32_e32 v2, 0
	ds_load_2addr_b64 v[142:145], v2 offset0:39 offset1:40
	ds_load_2addr_b64 v[146:149], v2 offset0:41 offset1:42
	s_mov_b32 s0, exec_lo
	s_waitcnt vmcnt(7) lgkmcnt(1)
	v_fma_f32 v3, v111, v142, 0
	s_delay_alu instid0(VALU_DEP_1) | instskip(NEXT) | instid1(VALU_DEP_1)
	v_fmac_f32_e32 v3, v112, v143
	v_fmac_f32_e32 v3, v113, v144
	s_waitcnt vmcnt(6)
	s_delay_alu instid0(VALU_DEP_1) | instskip(SKIP_3) | instid1(VALU_DEP_1)
	v_fmac_f32_e32 v3, v114, v145
	ds_load_2addr_b64 v[111:114], v2 offset0:43 offset1:44
	s_waitcnt lgkmcnt(1)
	v_fmac_f32_e32 v3, v115, v146
	v_fmac_f32_e32 v3, v116, v147
	s_delay_alu instid0(VALU_DEP_1) | instskip(SKIP_1) | instid1(VALU_DEP_1)
	v_fmac_f32_e32 v3, v117, v148
	s_waitcnt vmcnt(5)
	v_fmac_f32_e32 v3, v118, v149
	ds_load_2addr_b64 v[115:118], v2 offset0:45 offset1:46
	s_waitcnt lgkmcnt(1)
	v_fmac_f32_e32 v3, v119, v111
	s_delay_alu instid0(VALU_DEP_1) | instskip(NEXT) | instid1(VALU_DEP_1)
	v_fmac_f32_e32 v3, v120, v112
	v_fmac_f32_e32 v3, v121, v113
	s_waitcnt vmcnt(4)
	s_delay_alu instid0(VALU_DEP_1) | instskip(SKIP_3) | instid1(VALU_DEP_1)
	v_fmac_f32_e32 v3, v122, v114
	ds_load_2addr_b64 v[111:114], v2 offset0:47 offset1:48
	s_waitcnt lgkmcnt(1)
	v_fmac_f32_e32 v3, v123, v115
	v_fmac_f32_e32 v3, v124, v116
	s_delay_alu instid0(VALU_DEP_1) | instskip(SKIP_1) | instid1(VALU_DEP_1)
	v_fmac_f32_e32 v3, v125, v117
	s_waitcnt vmcnt(3)
	v_fmac_f32_e32 v3, v126, v118
	ds_load_2addr_b64 v[115:118], v2 offset0:49 offset1:50
	s_waitcnt lgkmcnt(1)
	v_fmac_f32_e32 v3, v127, v111
	s_delay_alu instid0(VALU_DEP_1) | instskip(NEXT) | instid1(VALU_DEP_1)
	v_fmac_f32_e32 v3, v128, v112
	v_fmac_f32_e32 v3, v129, v113
	s_waitcnt vmcnt(2)
	s_delay_alu instid0(VALU_DEP_1) | instskip(SKIP_3) | instid1(VALU_DEP_1)
	v_fmac_f32_e32 v3, v130, v114
	ds_load_2addr_b64 v[111:114], v2 offset0:51 offset1:52
	s_waitcnt lgkmcnt(1)
	v_fmac_f32_e32 v3, v131, v115
	v_fmac_f32_e32 v3, v132, v116
	ds_load_b64 v[115:116], v2 offset:424
	v_fmac_f32_e32 v3, v133, v117
	s_waitcnt vmcnt(1)
	s_delay_alu instid0(VALU_DEP_1) | instskip(SKIP_1) | instid1(VALU_DEP_1)
	v_fmac_f32_e32 v3, v134, v118
	s_waitcnt lgkmcnt(1)
	v_fmac_f32_e32 v3, v135, v111
	ds_load_b32 v111, v2 offset:432
	v_fmac_f32_e32 v3, v136, v112
	s_delay_alu instid0(VALU_DEP_1) | instskip(SKIP_1) | instid1(VALU_DEP_1)
	v_fmac_f32_e32 v3, v137, v113
	s_waitcnt vmcnt(0)
	v_fmac_f32_e32 v3, v138, v114
	s_waitcnt lgkmcnt(1)
	s_delay_alu instid0(VALU_DEP_1) | instskip(NEXT) | instid1(VALU_DEP_1)
	v_fmac_f32_e32 v3, v139, v115
	v_fmac_f32_e32 v3, v140, v116
	s_waitcnt lgkmcnt(0)
	s_delay_alu instid0(VALU_DEP_1) | instskip(NEXT) | instid1(VALU_DEP_1)
	v_fmac_f32_e32 v3, v141, v111
	v_sub_f32_e32 v3, v110, v3
	scratch_store_b32 off, v3, off offset:84
	v_cmpx_lt_u32_e32 20, v0
	s_cbranch_execz .LBB116_285
; %bb.284:
	scratch_load_b32 v3, off, off offset:80
	scratch_store_b32 off, v2, off offset:80
	s_waitcnt vmcnt(0)
	ds_store_b32 v1, v3
.LBB116_285:
	s_or_b32 exec_lo, exec_lo, s0
	s_waitcnt lgkmcnt(0)
	s_waitcnt_vscnt null, 0x0
	s_barrier
	buffer_gl0_inv
	s_clause 0x8
	scratch_load_b128 v[110:113], off, off offset:80
	scratch_load_b128 v[114:117], off, off offset:96
	;; [unrolled: 1-line block ×8, first 2 shown]
	scratch_load_b32 v150, off, off offset:208
	ds_load_2addr_b32 v[142:143], v2 offset0:77 offset1:78
	ds_load_2addr_b32 v[144:145], v2 offset0:79 offset1:80
	;; [unrolled: 1-line block ×4, first 2 shown]
	s_mov_b32 s0, exec_lo
	s_waitcnt vmcnt(8) lgkmcnt(3)
	v_fma_f32 v142, v111, v142, 0
	s_delay_alu instid0(VALU_DEP_1) | instskip(SKIP_4) | instid1(VALU_DEP_1)
	v_fmac_f32_e32 v142, v112, v143
	ds_load_2addr_b32 v[111:112], v2 offset0:85 offset1:86
	s_waitcnt lgkmcnt(3)
	v_fmac_f32_e32 v142, v113, v144
	s_waitcnt vmcnt(7)
	v_fmac_f32_e32 v142, v114, v145
	ds_load_2addr_b32 v[113:114], v2 offset0:87 offset1:88
	s_waitcnt lgkmcnt(3)
	v_fmac_f32_e32 v142, v115, v146
	s_delay_alu instid0(VALU_DEP_1) | instskip(SKIP_1) | instid1(VALU_DEP_1)
	v_fmac_f32_e32 v142, v116, v147
	s_waitcnt lgkmcnt(2)
	v_fmac_f32_e32 v142, v117, v148
	s_waitcnt vmcnt(6)
	s_delay_alu instid0(VALU_DEP_1) | instskip(SKIP_4) | instid1(VALU_DEP_1)
	v_fmac_f32_e32 v142, v118, v149
	ds_load_2addr_b32 v[115:116], v2 offset0:89 offset1:90
	ds_load_2addr_b32 v[117:118], v2 offset0:91 offset1:92
	s_waitcnt lgkmcnt(3)
	v_fmac_f32_e32 v142, v119, v111
	v_fmac_f32_e32 v142, v120, v112
	ds_load_2addr_b32 v[111:112], v2 offset0:93 offset1:94
	s_waitcnt lgkmcnt(3)
	v_fmac_f32_e32 v142, v121, v113
	s_waitcnt vmcnt(5)
	s_delay_alu instid0(VALU_DEP_1) | instskip(SKIP_3) | instid1(VALU_DEP_1)
	v_fmac_f32_e32 v142, v122, v114
	ds_load_2addr_b32 v[113:114], v2 offset0:95 offset1:96
	s_waitcnt lgkmcnt(3)
	v_fmac_f32_e32 v142, v123, v115
	v_fmac_f32_e32 v142, v124, v116
	s_waitcnt lgkmcnt(2)
	s_delay_alu instid0(VALU_DEP_1) | instskip(SKIP_1) | instid1(VALU_DEP_1)
	v_fmac_f32_e32 v142, v125, v117
	s_waitcnt vmcnt(4)
	v_fmac_f32_e32 v142, v126, v118
	ds_load_2addr_b32 v[115:116], v2 offset0:97 offset1:98
	ds_load_2addr_b32 v[117:118], v2 offset0:99 offset1:100
	s_waitcnt lgkmcnt(3)
	v_fmac_f32_e32 v142, v127, v111
	s_delay_alu instid0(VALU_DEP_1) | instskip(SKIP_4) | instid1(VALU_DEP_1)
	v_fmac_f32_e32 v142, v128, v112
	ds_load_2addr_b32 v[111:112], v2 offset0:101 offset1:102
	s_waitcnt lgkmcnt(3)
	v_fmac_f32_e32 v142, v129, v113
	s_waitcnt vmcnt(3)
	v_fmac_f32_e32 v142, v130, v114
	ds_load_2addr_b32 v[113:114], v2 offset0:103 offset1:104
	s_waitcnt lgkmcnt(3)
	v_fmac_f32_e32 v142, v131, v115
	s_delay_alu instid0(VALU_DEP_1)
	v_fmac_f32_e32 v142, v132, v116
	ds_load_2addr_b32 v[115:116], v2 offset0:105 offset1:106
	ds_load_2addr_b32 v[2:3], v2 offset0:107 offset1:108
	s_waitcnt lgkmcnt(4)
	v_fmac_f32_e32 v142, v133, v117
	s_waitcnt vmcnt(2)
	s_delay_alu instid0(VALU_DEP_1) | instskip(SKIP_1) | instid1(VALU_DEP_1)
	v_fmac_f32_e32 v142, v134, v118
	s_waitcnt lgkmcnt(3)
	v_fmac_f32_e32 v142, v135, v111
	s_delay_alu instid0(VALU_DEP_1) | instskip(SKIP_1) | instid1(VALU_DEP_1)
	v_fmac_f32_e32 v142, v136, v112
	s_waitcnt lgkmcnt(2)
	v_fmac_f32_e32 v142, v137, v113
	s_waitcnt vmcnt(1)
	s_delay_alu instid0(VALU_DEP_1) | instskip(SKIP_1) | instid1(VALU_DEP_1)
	v_fmac_f32_e32 v142, v138, v114
	s_waitcnt lgkmcnt(1)
	v_fmac_f32_e32 v142, v139, v115
	s_delay_alu instid0(VALU_DEP_1) | instskip(SKIP_1) | instid1(VALU_DEP_1)
	v_fmac_f32_e32 v142, v140, v116
	s_waitcnt lgkmcnt(0)
	v_fmac_f32_e32 v142, v141, v2
	s_waitcnt vmcnt(0)
	s_delay_alu instid0(VALU_DEP_1) | instskip(NEXT) | instid1(VALU_DEP_1)
	v_fmac_f32_e32 v142, v150, v3
	v_sub_f32_e32 v2, v110, v142
	scratch_store_b32 off, v2, off offset:80
	v_cmpx_lt_u32_e32 19, v0
	s_cbranch_execz .LBB116_287
; %bb.286:
	scratch_load_b32 v2, off, off offset:76
	v_mov_b32_e32 v3, 0
	scratch_store_b32 off, v3, off offset:76
	s_waitcnt vmcnt(0)
	ds_store_b32 v1, v2
.LBB116_287:
	s_or_b32 exec_lo, exec_lo, s0
	s_waitcnt lgkmcnt(0)
	s_waitcnt_vscnt null, 0x0
	s_barrier
	buffer_gl0_inv
	s_clause 0x8
	scratch_load_b128 v[110:113], off, off offset:76
	scratch_load_b128 v[114:117], off, off offset:92
	;; [unrolled: 1-line block ×8, first 2 shown]
	scratch_load_b64 v[150:151], off, off offset:204
	v_mov_b32_e32 v2, 0
	ds_load_b128 v[142:145], v2 offset:304
	ds_load_b128 v[146:149], v2 offset:320
	s_mov_b32 s0, exec_lo
	s_waitcnt vmcnt(8) lgkmcnt(1)
	v_fma_f32 v3, v111, v142, 0
	s_delay_alu instid0(VALU_DEP_1) | instskip(NEXT) | instid1(VALU_DEP_1)
	v_fmac_f32_e32 v3, v112, v143
	v_fmac_f32_e32 v3, v113, v144
	s_waitcnt vmcnt(7)
	s_delay_alu instid0(VALU_DEP_1) | instskip(SKIP_3) | instid1(VALU_DEP_1)
	v_fmac_f32_e32 v3, v114, v145
	ds_load_b128 v[111:114], v2 offset:336
	s_waitcnt lgkmcnt(1)
	v_fmac_f32_e32 v3, v115, v146
	v_fmac_f32_e32 v3, v116, v147
	s_delay_alu instid0(VALU_DEP_1) | instskip(SKIP_1) | instid1(VALU_DEP_1)
	v_fmac_f32_e32 v3, v117, v148
	s_waitcnt vmcnt(6)
	v_fmac_f32_e32 v3, v118, v149
	ds_load_b128 v[115:118], v2 offset:352
	s_waitcnt lgkmcnt(1)
	v_fmac_f32_e32 v3, v119, v111
	s_delay_alu instid0(VALU_DEP_1) | instskip(NEXT) | instid1(VALU_DEP_1)
	v_fmac_f32_e32 v3, v120, v112
	v_fmac_f32_e32 v3, v121, v113
	s_waitcnt vmcnt(5)
	s_delay_alu instid0(VALU_DEP_1) | instskip(SKIP_3) | instid1(VALU_DEP_1)
	v_fmac_f32_e32 v3, v122, v114
	ds_load_b128 v[111:114], v2 offset:368
	s_waitcnt lgkmcnt(1)
	v_fmac_f32_e32 v3, v123, v115
	v_fmac_f32_e32 v3, v124, v116
	s_delay_alu instid0(VALU_DEP_1) | instskip(SKIP_1) | instid1(VALU_DEP_1)
	v_fmac_f32_e32 v3, v125, v117
	s_waitcnt vmcnt(4)
	v_fmac_f32_e32 v3, v126, v118
	ds_load_b128 v[115:118], v2 offset:384
	s_waitcnt lgkmcnt(1)
	v_fmac_f32_e32 v3, v127, v111
	;; [unrolled: 17-line block ×3, first 2 shown]
	ds_load_b32 v111, v2 offset:432
	v_fmac_f32_e32 v3, v136, v112
	s_delay_alu instid0(VALU_DEP_1) | instskip(SKIP_1) | instid1(VALU_DEP_1)
	v_fmac_f32_e32 v3, v137, v113
	s_waitcnt vmcnt(1)
	v_fmac_f32_e32 v3, v138, v114
	s_waitcnt lgkmcnt(1)
	s_delay_alu instid0(VALU_DEP_1) | instskip(NEXT) | instid1(VALU_DEP_1)
	v_fmac_f32_e32 v3, v139, v115
	v_fmac_f32_e32 v3, v140, v116
	s_delay_alu instid0(VALU_DEP_1) | instskip(SKIP_1) | instid1(VALU_DEP_1)
	v_fmac_f32_e32 v3, v141, v117
	s_waitcnt vmcnt(0)
	v_fmac_f32_e32 v3, v150, v118
	s_waitcnt lgkmcnt(0)
	s_delay_alu instid0(VALU_DEP_1) | instskip(NEXT) | instid1(VALU_DEP_1)
	v_fmac_f32_e32 v3, v151, v111
	v_sub_f32_e32 v3, v110, v3
	scratch_store_b32 off, v3, off offset:76
	v_cmpx_lt_u32_e32 18, v0
	s_cbranch_execz .LBB116_289
; %bb.288:
	scratch_load_b32 v3, off, off offset:72
	scratch_store_b32 off, v2, off offset:72
	s_waitcnt vmcnt(0)
	ds_store_b32 v1, v3
.LBB116_289:
	s_or_b32 exec_lo, exec_lo, s0
	s_waitcnt lgkmcnt(0)
	s_waitcnt_vscnt null, 0x0
	s_barrier
	buffer_gl0_inv
	s_clause 0x8
	scratch_load_b128 v[110:113], off, off offset:72
	scratch_load_b128 v[114:117], off, off offset:88
	;; [unrolled: 1-line block ×8, first 2 shown]
	scratch_load_b96 v[142:144], off, off offset:200
	ds_load_2addr_b32 v[145:146], v2 offset0:75 offset1:76
	ds_load_2addr_b32 v[147:148], v2 offset0:77 offset1:78
	;; [unrolled: 1-line block ×4, first 2 shown]
	s_mov_b32 s0, exec_lo
	s_waitcnt vmcnt(8) lgkmcnt(3)
	v_fma_f32 v145, v111, v145, 0
	s_delay_alu instid0(VALU_DEP_1) | instskip(SKIP_4) | instid1(VALU_DEP_1)
	v_fmac_f32_e32 v145, v112, v146
	ds_load_2addr_b32 v[111:112], v2 offset0:83 offset1:84
	s_waitcnt lgkmcnt(3)
	v_fmac_f32_e32 v145, v113, v147
	s_waitcnt vmcnt(7)
	v_fmac_f32_e32 v145, v114, v148
	ds_load_2addr_b32 v[113:114], v2 offset0:85 offset1:86
	s_waitcnt lgkmcnt(3)
	v_fmac_f32_e32 v145, v115, v149
	s_delay_alu instid0(VALU_DEP_1) | instskip(SKIP_1) | instid1(VALU_DEP_1)
	v_fmac_f32_e32 v145, v116, v150
	s_waitcnt lgkmcnt(2)
	v_fmac_f32_e32 v145, v117, v151
	s_waitcnt vmcnt(6)
	s_delay_alu instid0(VALU_DEP_1) | instskip(SKIP_4) | instid1(VALU_DEP_1)
	v_fmac_f32_e32 v145, v118, v152
	ds_load_2addr_b32 v[115:116], v2 offset0:87 offset1:88
	ds_load_2addr_b32 v[117:118], v2 offset0:89 offset1:90
	s_waitcnt lgkmcnt(3)
	v_fmac_f32_e32 v145, v119, v111
	v_fmac_f32_e32 v145, v120, v112
	ds_load_2addr_b32 v[111:112], v2 offset0:91 offset1:92
	s_waitcnt lgkmcnt(3)
	v_fmac_f32_e32 v145, v121, v113
	s_waitcnt vmcnt(5)
	s_delay_alu instid0(VALU_DEP_1) | instskip(SKIP_3) | instid1(VALU_DEP_1)
	v_fmac_f32_e32 v145, v122, v114
	ds_load_2addr_b32 v[113:114], v2 offset0:93 offset1:94
	s_waitcnt lgkmcnt(3)
	v_fmac_f32_e32 v145, v123, v115
	v_fmac_f32_e32 v145, v124, v116
	s_waitcnt lgkmcnt(2)
	s_delay_alu instid0(VALU_DEP_1) | instskip(SKIP_1) | instid1(VALU_DEP_1)
	v_fmac_f32_e32 v145, v125, v117
	s_waitcnt vmcnt(4)
	v_fmac_f32_e32 v145, v126, v118
	ds_load_2addr_b32 v[115:116], v2 offset0:95 offset1:96
	ds_load_2addr_b32 v[117:118], v2 offset0:97 offset1:98
	s_waitcnt lgkmcnt(3)
	v_fmac_f32_e32 v145, v127, v111
	s_delay_alu instid0(VALU_DEP_1) | instskip(SKIP_4) | instid1(VALU_DEP_1)
	v_fmac_f32_e32 v145, v128, v112
	ds_load_2addr_b32 v[111:112], v2 offset0:99 offset1:100
	s_waitcnt lgkmcnt(3)
	v_fmac_f32_e32 v145, v129, v113
	s_waitcnt vmcnt(3)
	v_fmac_f32_e32 v145, v130, v114
	ds_load_2addr_b32 v[113:114], v2 offset0:101 offset1:102
	s_waitcnt lgkmcnt(3)
	v_fmac_f32_e32 v145, v131, v115
	s_delay_alu instid0(VALU_DEP_1) | instskip(SKIP_1) | instid1(VALU_DEP_1)
	v_fmac_f32_e32 v145, v132, v116
	s_waitcnt lgkmcnt(2)
	v_fmac_f32_e32 v145, v133, v117
	s_waitcnt vmcnt(2)
	s_delay_alu instid0(VALU_DEP_1)
	v_fmac_f32_e32 v145, v134, v118
	ds_load_2addr_b32 v[115:116], v2 offset0:103 offset1:104
	ds_load_2addr_b32 v[117:118], v2 offset0:105 offset1:106
	;; [unrolled: 1-line block ×3, first 2 shown]
	s_waitcnt lgkmcnt(4)
	v_fmac_f32_e32 v145, v135, v111
	s_delay_alu instid0(VALU_DEP_1) | instskip(SKIP_1) | instid1(VALU_DEP_1)
	v_fmac_f32_e32 v145, v136, v112
	s_waitcnt lgkmcnt(3)
	v_fmac_f32_e32 v145, v137, v113
	s_waitcnt vmcnt(1)
	s_delay_alu instid0(VALU_DEP_1) | instskip(SKIP_1) | instid1(VALU_DEP_1)
	v_fmac_f32_e32 v145, v138, v114
	s_waitcnt lgkmcnt(2)
	v_fmac_f32_e32 v145, v139, v115
	s_delay_alu instid0(VALU_DEP_1) | instskip(SKIP_1) | instid1(VALU_DEP_1)
	v_fmac_f32_e32 v145, v140, v116
	s_waitcnt lgkmcnt(1)
	v_fmac_f32_e32 v145, v141, v117
	s_waitcnt vmcnt(0)
	s_delay_alu instid0(VALU_DEP_1) | instskip(SKIP_1) | instid1(VALU_DEP_1)
	v_fmac_f32_e32 v145, v142, v118
	s_waitcnt lgkmcnt(0)
	v_fmac_f32_e32 v145, v143, v2
	s_delay_alu instid0(VALU_DEP_1) | instskip(NEXT) | instid1(VALU_DEP_1)
	v_fmac_f32_e32 v145, v144, v3
	v_sub_f32_e32 v2, v110, v145
	scratch_store_b32 off, v2, off offset:72
	v_cmpx_lt_u32_e32 17, v0
	s_cbranch_execz .LBB116_291
; %bb.290:
	scratch_load_b32 v2, off, off offset:68
	v_mov_b32_e32 v3, 0
	scratch_store_b32 off, v3, off offset:68
	s_waitcnt vmcnt(0)
	ds_store_b32 v1, v2
.LBB116_291:
	s_or_b32 exec_lo, exec_lo, s0
	s_waitcnt lgkmcnt(0)
	s_waitcnt_vscnt null, 0x0
	s_barrier
	buffer_gl0_inv
	s_clause 0x8
	scratch_load_b128 v[110:113], off, off offset:68
	scratch_load_b128 v[114:117], off, off offset:84
	;; [unrolled: 1-line block ×9, first 2 shown]
	v_mov_b32_e32 v2, 0
	ds_load_2addr_b64 v[146:149], v2 offset0:37 offset1:38
	ds_load_2addr_b64 v[150:153], v2 offset0:39 offset1:40
	s_mov_b32 s0, exec_lo
	s_waitcnt vmcnt(8) lgkmcnt(1)
	v_fma_f32 v3, v111, v146, 0
	s_delay_alu instid0(VALU_DEP_1) | instskip(NEXT) | instid1(VALU_DEP_1)
	v_fmac_f32_e32 v3, v112, v147
	v_fmac_f32_e32 v3, v113, v148
	s_waitcnt vmcnt(7)
	s_delay_alu instid0(VALU_DEP_1) | instskip(SKIP_3) | instid1(VALU_DEP_1)
	v_fmac_f32_e32 v3, v114, v149
	ds_load_2addr_b64 v[111:114], v2 offset0:41 offset1:42
	s_waitcnt lgkmcnt(1)
	v_fmac_f32_e32 v3, v115, v150
	v_fmac_f32_e32 v3, v116, v151
	s_delay_alu instid0(VALU_DEP_1) | instskip(SKIP_1) | instid1(VALU_DEP_1)
	v_fmac_f32_e32 v3, v117, v152
	s_waitcnt vmcnt(6)
	v_fmac_f32_e32 v3, v118, v153
	ds_load_2addr_b64 v[115:118], v2 offset0:43 offset1:44
	s_waitcnt lgkmcnt(1)
	v_fmac_f32_e32 v3, v119, v111
	s_delay_alu instid0(VALU_DEP_1) | instskip(NEXT) | instid1(VALU_DEP_1)
	v_fmac_f32_e32 v3, v120, v112
	v_fmac_f32_e32 v3, v121, v113
	s_waitcnt vmcnt(5)
	s_delay_alu instid0(VALU_DEP_1) | instskip(SKIP_3) | instid1(VALU_DEP_1)
	v_fmac_f32_e32 v3, v122, v114
	ds_load_2addr_b64 v[111:114], v2 offset0:45 offset1:46
	s_waitcnt lgkmcnt(1)
	v_fmac_f32_e32 v3, v123, v115
	v_fmac_f32_e32 v3, v124, v116
	s_delay_alu instid0(VALU_DEP_1) | instskip(SKIP_1) | instid1(VALU_DEP_1)
	v_fmac_f32_e32 v3, v125, v117
	s_waitcnt vmcnt(4)
	v_fmac_f32_e32 v3, v126, v118
	ds_load_2addr_b64 v[115:118], v2 offset0:47 offset1:48
	s_waitcnt lgkmcnt(1)
	v_fmac_f32_e32 v3, v127, v111
	;; [unrolled: 17-line block ×3, first 2 shown]
	s_delay_alu instid0(VALU_DEP_1)
	v_fmac_f32_e32 v3, v136, v112
	ds_load_b64 v[111:112], v2 offset:424
	v_fmac_f32_e32 v3, v137, v113
	ds_load_b32 v113, v2 offset:432
	s_waitcnt vmcnt(1)
	v_fmac_f32_e32 v3, v138, v114
	s_waitcnt lgkmcnt(2)
	s_delay_alu instid0(VALU_DEP_1) | instskip(NEXT) | instid1(VALU_DEP_1)
	v_fmac_f32_e32 v3, v139, v115
	v_fmac_f32_e32 v3, v140, v116
	s_delay_alu instid0(VALU_DEP_1) | instskip(SKIP_1) | instid1(VALU_DEP_1)
	v_fmac_f32_e32 v3, v141, v117
	s_waitcnt vmcnt(0)
	v_fmac_f32_e32 v3, v142, v118
	s_waitcnt lgkmcnt(1)
	s_delay_alu instid0(VALU_DEP_1) | instskip(NEXT) | instid1(VALU_DEP_1)
	v_fmac_f32_e32 v3, v143, v111
	v_fmac_f32_e32 v3, v144, v112
	s_waitcnt lgkmcnt(0)
	s_delay_alu instid0(VALU_DEP_1) | instskip(NEXT) | instid1(VALU_DEP_1)
	v_fmac_f32_e32 v3, v145, v113
	v_sub_f32_e32 v3, v110, v3
	scratch_store_b32 off, v3, off offset:68
	v_cmpx_lt_u32_e32 16, v0
	s_cbranch_execz .LBB116_293
; %bb.292:
	scratch_load_b32 v3, off, off offset:64
	scratch_store_b32 off, v2, off offset:64
	s_waitcnt vmcnt(0)
	ds_store_b32 v1, v3
.LBB116_293:
	s_or_b32 exec_lo, exec_lo, s0
	s_waitcnt lgkmcnt(0)
	s_waitcnt_vscnt null, 0x0
	s_barrier
	buffer_gl0_inv
	s_clause 0x9
	scratch_load_b128 v[110:113], off, off offset:64
	scratch_load_b128 v[114:117], off, off offset:80
	;; [unrolled: 1-line block ×9, first 2 shown]
	scratch_load_b32 v154, off, off offset:208
	ds_load_2addr_b32 v[146:147], v2 offset0:73 offset1:74
	ds_load_2addr_b32 v[148:149], v2 offset0:75 offset1:76
	;; [unrolled: 1-line block ×4, first 2 shown]
	s_mov_b32 s0, exec_lo
	s_waitcnt vmcnt(9) lgkmcnt(3)
	v_fma_f32 v146, v111, v146, 0
	s_delay_alu instid0(VALU_DEP_1) | instskip(SKIP_4) | instid1(VALU_DEP_1)
	v_fmac_f32_e32 v146, v112, v147
	ds_load_2addr_b32 v[111:112], v2 offset0:81 offset1:82
	s_waitcnt lgkmcnt(3)
	v_fmac_f32_e32 v146, v113, v148
	s_waitcnt vmcnt(8)
	v_fmac_f32_e32 v146, v114, v149
	ds_load_2addr_b32 v[113:114], v2 offset0:83 offset1:84
	s_waitcnt lgkmcnt(3)
	v_fmac_f32_e32 v146, v115, v150
	s_delay_alu instid0(VALU_DEP_1) | instskip(SKIP_1) | instid1(VALU_DEP_1)
	v_fmac_f32_e32 v146, v116, v151
	s_waitcnt lgkmcnt(2)
	v_fmac_f32_e32 v146, v117, v152
	s_waitcnt vmcnt(7)
	s_delay_alu instid0(VALU_DEP_1) | instskip(SKIP_4) | instid1(VALU_DEP_1)
	v_fmac_f32_e32 v146, v118, v153
	ds_load_2addr_b32 v[115:116], v2 offset0:85 offset1:86
	ds_load_2addr_b32 v[117:118], v2 offset0:87 offset1:88
	s_waitcnt lgkmcnt(3)
	v_fmac_f32_e32 v146, v119, v111
	v_fmac_f32_e32 v146, v120, v112
	ds_load_2addr_b32 v[111:112], v2 offset0:89 offset1:90
	s_waitcnt lgkmcnt(3)
	v_fmac_f32_e32 v146, v121, v113
	s_waitcnt vmcnt(6)
	s_delay_alu instid0(VALU_DEP_1) | instskip(SKIP_3) | instid1(VALU_DEP_1)
	v_fmac_f32_e32 v146, v122, v114
	ds_load_2addr_b32 v[113:114], v2 offset0:91 offset1:92
	s_waitcnt lgkmcnt(3)
	v_fmac_f32_e32 v146, v123, v115
	v_fmac_f32_e32 v146, v124, v116
	s_waitcnt lgkmcnt(2)
	s_delay_alu instid0(VALU_DEP_1) | instskip(SKIP_1) | instid1(VALU_DEP_1)
	v_fmac_f32_e32 v146, v125, v117
	s_waitcnt vmcnt(5)
	v_fmac_f32_e32 v146, v126, v118
	ds_load_2addr_b32 v[115:116], v2 offset0:93 offset1:94
	ds_load_2addr_b32 v[117:118], v2 offset0:95 offset1:96
	s_waitcnt lgkmcnt(3)
	v_fmac_f32_e32 v146, v127, v111
	s_delay_alu instid0(VALU_DEP_1) | instskip(SKIP_4) | instid1(VALU_DEP_1)
	v_fmac_f32_e32 v146, v128, v112
	ds_load_2addr_b32 v[111:112], v2 offset0:97 offset1:98
	s_waitcnt lgkmcnt(3)
	v_fmac_f32_e32 v146, v129, v113
	s_waitcnt vmcnt(4)
	v_fmac_f32_e32 v146, v130, v114
	ds_load_2addr_b32 v[113:114], v2 offset0:99 offset1:100
	s_waitcnt lgkmcnt(3)
	v_fmac_f32_e32 v146, v131, v115
	s_delay_alu instid0(VALU_DEP_1) | instskip(SKIP_1) | instid1(VALU_DEP_1)
	v_fmac_f32_e32 v146, v132, v116
	s_waitcnt lgkmcnt(2)
	v_fmac_f32_e32 v146, v133, v117
	s_waitcnt vmcnt(3)
	s_delay_alu instid0(VALU_DEP_1) | instskip(SKIP_4) | instid1(VALU_DEP_1)
	v_fmac_f32_e32 v146, v134, v118
	ds_load_2addr_b32 v[115:116], v2 offset0:101 offset1:102
	ds_load_2addr_b32 v[117:118], v2 offset0:103 offset1:104
	s_waitcnt lgkmcnt(3)
	v_fmac_f32_e32 v146, v135, v111
	v_fmac_f32_e32 v146, v136, v112
	ds_load_2addr_b32 v[111:112], v2 offset0:105 offset1:106
	ds_load_2addr_b32 v[2:3], v2 offset0:107 offset1:108
	s_waitcnt lgkmcnt(4)
	v_fmac_f32_e32 v146, v137, v113
	s_waitcnt vmcnt(2)
	s_delay_alu instid0(VALU_DEP_1) | instskip(SKIP_1) | instid1(VALU_DEP_1)
	v_fmac_f32_e32 v146, v138, v114
	s_waitcnt lgkmcnt(3)
	v_fmac_f32_e32 v146, v139, v115
	s_delay_alu instid0(VALU_DEP_1) | instskip(SKIP_1) | instid1(VALU_DEP_1)
	v_fmac_f32_e32 v146, v140, v116
	s_waitcnt lgkmcnt(2)
	v_fmac_f32_e32 v146, v141, v117
	s_waitcnt vmcnt(1)
	s_delay_alu instid0(VALU_DEP_1) | instskip(SKIP_1) | instid1(VALU_DEP_1)
	v_fmac_f32_e32 v146, v142, v118
	s_waitcnt lgkmcnt(1)
	v_fmac_f32_e32 v146, v143, v111
	s_delay_alu instid0(VALU_DEP_1) | instskip(SKIP_1) | instid1(VALU_DEP_1)
	v_fmac_f32_e32 v146, v144, v112
	s_waitcnt lgkmcnt(0)
	v_fmac_f32_e32 v146, v145, v2
	s_waitcnt vmcnt(0)
	s_delay_alu instid0(VALU_DEP_1) | instskip(NEXT) | instid1(VALU_DEP_1)
	v_fmac_f32_e32 v146, v154, v3
	v_sub_f32_e32 v2, v110, v146
	scratch_store_b32 off, v2, off offset:64
	v_cmpx_lt_u32_e32 15, v0
	s_cbranch_execz .LBB116_295
; %bb.294:
	scratch_load_b32 v2, off, off offset:60
	v_mov_b32_e32 v3, 0
	scratch_store_b32 off, v3, off offset:60
	s_waitcnt vmcnt(0)
	ds_store_b32 v1, v2
.LBB116_295:
	s_or_b32 exec_lo, exec_lo, s0
	s_waitcnt lgkmcnt(0)
	s_waitcnt_vscnt null, 0x0
	s_barrier
	buffer_gl0_inv
	s_clause 0x9
	scratch_load_b128 v[110:113], off, off offset:60
	scratch_load_b128 v[114:117], off, off offset:76
	;; [unrolled: 1-line block ×9, first 2 shown]
	scratch_load_b64 v[154:155], off, off offset:204
	v_mov_b32_e32 v2, 0
	ds_load_b128 v[146:149], v2 offset:288
	ds_load_b128 v[150:153], v2 offset:304
	s_mov_b32 s0, exec_lo
	s_waitcnt vmcnt(9) lgkmcnt(1)
	v_fma_f32 v3, v111, v146, 0
	s_delay_alu instid0(VALU_DEP_1) | instskip(NEXT) | instid1(VALU_DEP_1)
	v_fmac_f32_e32 v3, v112, v147
	v_fmac_f32_e32 v3, v113, v148
	s_waitcnt vmcnt(8)
	s_delay_alu instid0(VALU_DEP_1) | instskip(SKIP_3) | instid1(VALU_DEP_1)
	v_fmac_f32_e32 v3, v114, v149
	ds_load_b128 v[111:114], v2 offset:320
	s_waitcnt lgkmcnt(1)
	v_fmac_f32_e32 v3, v115, v150
	v_fmac_f32_e32 v3, v116, v151
	s_delay_alu instid0(VALU_DEP_1) | instskip(SKIP_1) | instid1(VALU_DEP_1)
	v_fmac_f32_e32 v3, v117, v152
	s_waitcnt vmcnt(7)
	v_fmac_f32_e32 v3, v118, v153
	ds_load_b128 v[115:118], v2 offset:336
	s_waitcnt lgkmcnt(1)
	v_fmac_f32_e32 v3, v119, v111
	s_delay_alu instid0(VALU_DEP_1) | instskip(NEXT) | instid1(VALU_DEP_1)
	v_fmac_f32_e32 v3, v120, v112
	v_fmac_f32_e32 v3, v121, v113
	s_waitcnt vmcnt(6)
	s_delay_alu instid0(VALU_DEP_1) | instskip(SKIP_3) | instid1(VALU_DEP_1)
	v_fmac_f32_e32 v3, v122, v114
	ds_load_b128 v[111:114], v2 offset:352
	s_waitcnt lgkmcnt(1)
	v_fmac_f32_e32 v3, v123, v115
	v_fmac_f32_e32 v3, v124, v116
	s_delay_alu instid0(VALU_DEP_1) | instskip(SKIP_1) | instid1(VALU_DEP_1)
	v_fmac_f32_e32 v3, v125, v117
	s_waitcnt vmcnt(5)
	v_fmac_f32_e32 v3, v126, v118
	ds_load_b128 v[115:118], v2 offset:368
	s_waitcnt lgkmcnt(1)
	v_fmac_f32_e32 v3, v127, v111
	;; [unrolled: 17-line block ×3, first 2 shown]
	s_delay_alu instid0(VALU_DEP_1) | instskip(NEXT) | instid1(VALU_DEP_1)
	v_fmac_f32_e32 v3, v136, v112
	v_fmac_f32_e32 v3, v137, v113
	s_waitcnt vmcnt(2)
	s_delay_alu instid0(VALU_DEP_1)
	v_fmac_f32_e32 v3, v138, v114
	ds_load_b128 v[111:114], v2 offset:416
	s_waitcnt lgkmcnt(1)
	v_fmac_f32_e32 v3, v139, v115
	ds_load_b32 v115, v2 offset:432
	v_fmac_f32_e32 v3, v140, v116
	s_delay_alu instid0(VALU_DEP_1) | instskip(SKIP_1) | instid1(VALU_DEP_1)
	v_fmac_f32_e32 v3, v141, v117
	s_waitcnt vmcnt(1)
	v_fmac_f32_e32 v3, v142, v118
	s_waitcnt lgkmcnt(1)
	s_delay_alu instid0(VALU_DEP_1) | instskip(NEXT) | instid1(VALU_DEP_1)
	v_fmac_f32_e32 v3, v143, v111
	v_fmac_f32_e32 v3, v144, v112
	s_delay_alu instid0(VALU_DEP_1) | instskip(SKIP_1) | instid1(VALU_DEP_1)
	v_fmac_f32_e32 v3, v145, v113
	s_waitcnt vmcnt(0)
	v_fmac_f32_e32 v3, v154, v114
	s_waitcnt lgkmcnt(0)
	s_delay_alu instid0(VALU_DEP_1) | instskip(NEXT) | instid1(VALU_DEP_1)
	v_fmac_f32_e32 v3, v155, v115
	v_sub_f32_e32 v3, v110, v3
	scratch_store_b32 off, v3, off offset:60
	v_cmpx_lt_u32_e32 14, v0
	s_cbranch_execz .LBB116_297
; %bb.296:
	scratch_load_b32 v3, off, off offset:56
	scratch_store_b32 off, v2, off offset:56
	s_waitcnt vmcnt(0)
	ds_store_b32 v1, v3
.LBB116_297:
	s_or_b32 exec_lo, exec_lo, s0
	s_waitcnt lgkmcnt(0)
	s_waitcnt_vscnt null, 0x0
	s_barrier
	buffer_gl0_inv
	s_clause 0x9
	scratch_load_b128 v[110:113], off, off offset:56
	scratch_load_b128 v[114:117], off, off offset:72
	;; [unrolled: 1-line block ×9, first 2 shown]
	scratch_load_b96 v[146:148], off, off offset:200
	ds_load_2addr_b32 v[149:150], v2 offset0:71 offset1:72
	ds_load_2addr_b32 v[151:152], v2 offset0:73 offset1:74
	;; [unrolled: 1-line block ×4, first 2 shown]
	s_mov_b32 s0, exec_lo
	s_waitcnt vmcnt(9) lgkmcnt(3)
	v_fma_f32 v149, v111, v149, 0
	s_delay_alu instid0(VALU_DEP_1) | instskip(SKIP_4) | instid1(VALU_DEP_1)
	v_fmac_f32_e32 v149, v112, v150
	ds_load_2addr_b32 v[111:112], v2 offset0:79 offset1:80
	s_waitcnt lgkmcnt(3)
	v_fmac_f32_e32 v149, v113, v151
	s_waitcnt vmcnt(8)
	v_fmac_f32_e32 v149, v114, v152
	ds_load_2addr_b32 v[113:114], v2 offset0:81 offset1:82
	s_waitcnt lgkmcnt(3)
	v_fmac_f32_e32 v149, v115, v153
	s_delay_alu instid0(VALU_DEP_1) | instskip(SKIP_1) | instid1(VALU_DEP_1)
	v_fmac_f32_e32 v149, v116, v154
	s_waitcnt lgkmcnt(2)
	v_fmac_f32_e32 v149, v117, v155
	s_waitcnt vmcnt(7)
	s_delay_alu instid0(VALU_DEP_1) | instskip(SKIP_4) | instid1(VALU_DEP_1)
	v_fmac_f32_e32 v149, v118, v156
	ds_load_2addr_b32 v[115:116], v2 offset0:83 offset1:84
	ds_load_2addr_b32 v[117:118], v2 offset0:85 offset1:86
	s_waitcnt lgkmcnt(3)
	v_fmac_f32_e32 v149, v119, v111
	v_fmac_f32_e32 v149, v120, v112
	ds_load_2addr_b32 v[111:112], v2 offset0:87 offset1:88
	s_waitcnt lgkmcnt(3)
	v_fmac_f32_e32 v149, v121, v113
	s_waitcnt vmcnt(6)
	s_delay_alu instid0(VALU_DEP_1) | instskip(SKIP_3) | instid1(VALU_DEP_1)
	v_fmac_f32_e32 v149, v122, v114
	ds_load_2addr_b32 v[113:114], v2 offset0:89 offset1:90
	s_waitcnt lgkmcnt(3)
	v_fmac_f32_e32 v149, v123, v115
	v_fmac_f32_e32 v149, v124, v116
	s_waitcnt lgkmcnt(2)
	s_delay_alu instid0(VALU_DEP_1) | instskip(SKIP_1) | instid1(VALU_DEP_1)
	v_fmac_f32_e32 v149, v125, v117
	s_waitcnt vmcnt(5)
	v_fmac_f32_e32 v149, v126, v118
	ds_load_2addr_b32 v[115:116], v2 offset0:91 offset1:92
	ds_load_2addr_b32 v[117:118], v2 offset0:93 offset1:94
	s_waitcnt lgkmcnt(3)
	v_fmac_f32_e32 v149, v127, v111
	s_delay_alu instid0(VALU_DEP_1) | instskip(SKIP_4) | instid1(VALU_DEP_1)
	v_fmac_f32_e32 v149, v128, v112
	ds_load_2addr_b32 v[111:112], v2 offset0:95 offset1:96
	s_waitcnt lgkmcnt(3)
	v_fmac_f32_e32 v149, v129, v113
	s_waitcnt vmcnt(4)
	v_fmac_f32_e32 v149, v130, v114
	ds_load_2addr_b32 v[113:114], v2 offset0:97 offset1:98
	s_waitcnt lgkmcnt(3)
	v_fmac_f32_e32 v149, v131, v115
	s_delay_alu instid0(VALU_DEP_1) | instskip(SKIP_1) | instid1(VALU_DEP_1)
	v_fmac_f32_e32 v149, v132, v116
	s_waitcnt lgkmcnt(2)
	v_fmac_f32_e32 v149, v133, v117
	s_waitcnt vmcnt(3)
	s_delay_alu instid0(VALU_DEP_1) | instskip(SKIP_4) | instid1(VALU_DEP_1)
	v_fmac_f32_e32 v149, v134, v118
	ds_load_2addr_b32 v[115:116], v2 offset0:99 offset1:100
	ds_load_2addr_b32 v[117:118], v2 offset0:101 offset1:102
	s_waitcnt lgkmcnt(3)
	v_fmac_f32_e32 v149, v135, v111
	v_fmac_f32_e32 v149, v136, v112
	ds_load_2addr_b32 v[111:112], v2 offset0:103 offset1:104
	s_waitcnt lgkmcnt(3)
	v_fmac_f32_e32 v149, v137, v113
	s_waitcnt vmcnt(2)
	s_delay_alu instid0(VALU_DEP_1) | instskip(SKIP_4) | instid1(VALU_DEP_1)
	v_fmac_f32_e32 v149, v138, v114
	ds_load_2addr_b32 v[113:114], v2 offset0:105 offset1:106
	ds_load_2addr_b32 v[2:3], v2 offset0:107 offset1:108
	s_waitcnt lgkmcnt(4)
	v_fmac_f32_e32 v149, v139, v115
	v_fmac_f32_e32 v149, v140, v116
	s_waitcnt lgkmcnt(3)
	s_delay_alu instid0(VALU_DEP_1) | instskip(SKIP_1) | instid1(VALU_DEP_1)
	v_fmac_f32_e32 v149, v141, v117
	s_waitcnt vmcnt(1)
	v_fmac_f32_e32 v149, v142, v118
	s_waitcnt lgkmcnt(2)
	s_delay_alu instid0(VALU_DEP_1) | instskip(NEXT) | instid1(VALU_DEP_1)
	v_fmac_f32_e32 v149, v143, v111
	v_fmac_f32_e32 v149, v144, v112
	s_waitcnt lgkmcnt(1)
	s_delay_alu instid0(VALU_DEP_1) | instskip(SKIP_1) | instid1(VALU_DEP_1)
	v_fmac_f32_e32 v149, v145, v113
	s_waitcnt vmcnt(0)
	v_fmac_f32_e32 v149, v146, v114
	s_waitcnt lgkmcnt(0)
	s_delay_alu instid0(VALU_DEP_1) | instskip(NEXT) | instid1(VALU_DEP_1)
	v_fmac_f32_e32 v149, v147, v2
	v_fmac_f32_e32 v149, v148, v3
	s_delay_alu instid0(VALU_DEP_1)
	v_sub_f32_e32 v2, v110, v149
	scratch_store_b32 off, v2, off offset:56
	v_cmpx_lt_u32_e32 13, v0
	s_cbranch_execz .LBB116_299
; %bb.298:
	scratch_load_b32 v2, off, off offset:52
	v_mov_b32_e32 v3, 0
	scratch_store_b32 off, v3, off offset:52
	s_waitcnt vmcnt(0)
	ds_store_b32 v1, v2
.LBB116_299:
	s_or_b32 exec_lo, exec_lo, s0
	s_waitcnt lgkmcnt(0)
	s_waitcnt_vscnt null, 0x0
	s_barrier
	buffer_gl0_inv
	s_clause 0x9
	scratch_load_b128 v[110:113], off, off offset:52
	scratch_load_b128 v[114:117], off, off offset:68
	;; [unrolled: 1-line block ×10, first 2 shown]
	v_mov_b32_e32 v2, 0
	ds_load_2addr_b64 v[150:153], v2 offset0:35 offset1:36
	ds_load_2addr_b64 v[154:157], v2 offset0:37 offset1:38
	s_mov_b32 s0, exec_lo
	s_waitcnt vmcnt(9) lgkmcnt(1)
	v_fma_f32 v3, v111, v150, 0
	s_delay_alu instid0(VALU_DEP_1) | instskip(NEXT) | instid1(VALU_DEP_1)
	v_fmac_f32_e32 v3, v112, v151
	v_fmac_f32_e32 v3, v113, v152
	s_waitcnt vmcnt(8)
	s_delay_alu instid0(VALU_DEP_1) | instskip(SKIP_3) | instid1(VALU_DEP_1)
	v_fmac_f32_e32 v3, v114, v153
	ds_load_2addr_b64 v[111:114], v2 offset0:39 offset1:40
	s_waitcnt lgkmcnt(1)
	v_fmac_f32_e32 v3, v115, v154
	v_fmac_f32_e32 v3, v116, v155
	s_delay_alu instid0(VALU_DEP_1) | instskip(SKIP_1) | instid1(VALU_DEP_1)
	v_fmac_f32_e32 v3, v117, v156
	s_waitcnt vmcnt(7)
	v_fmac_f32_e32 v3, v118, v157
	ds_load_2addr_b64 v[115:118], v2 offset0:41 offset1:42
	s_waitcnt lgkmcnt(1)
	v_fmac_f32_e32 v3, v119, v111
	s_delay_alu instid0(VALU_DEP_1) | instskip(NEXT) | instid1(VALU_DEP_1)
	v_fmac_f32_e32 v3, v120, v112
	v_fmac_f32_e32 v3, v121, v113
	s_waitcnt vmcnt(6)
	s_delay_alu instid0(VALU_DEP_1) | instskip(SKIP_3) | instid1(VALU_DEP_1)
	v_fmac_f32_e32 v3, v122, v114
	ds_load_2addr_b64 v[111:114], v2 offset0:43 offset1:44
	s_waitcnt lgkmcnt(1)
	v_fmac_f32_e32 v3, v123, v115
	v_fmac_f32_e32 v3, v124, v116
	s_delay_alu instid0(VALU_DEP_1) | instskip(SKIP_1) | instid1(VALU_DEP_1)
	v_fmac_f32_e32 v3, v125, v117
	s_waitcnt vmcnt(5)
	v_fmac_f32_e32 v3, v126, v118
	ds_load_2addr_b64 v[115:118], v2 offset0:45 offset1:46
	s_waitcnt lgkmcnt(1)
	v_fmac_f32_e32 v3, v127, v111
	;; [unrolled: 17-line block ×3, first 2 shown]
	s_delay_alu instid0(VALU_DEP_1) | instskip(NEXT) | instid1(VALU_DEP_1)
	v_fmac_f32_e32 v3, v136, v112
	v_fmac_f32_e32 v3, v137, v113
	s_waitcnt vmcnt(2)
	s_delay_alu instid0(VALU_DEP_1) | instskip(SKIP_3) | instid1(VALU_DEP_1)
	v_fmac_f32_e32 v3, v138, v114
	ds_load_2addr_b64 v[111:114], v2 offset0:51 offset1:52
	s_waitcnt lgkmcnt(1)
	v_fmac_f32_e32 v3, v139, v115
	v_fmac_f32_e32 v3, v140, v116
	ds_load_b64 v[115:116], v2 offset:424
	v_fmac_f32_e32 v3, v141, v117
	s_waitcnt vmcnt(1)
	s_delay_alu instid0(VALU_DEP_1) | instskip(SKIP_1) | instid1(VALU_DEP_1)
	v_fmac_f32_e32 v3, v142, v118
	s_waitcnt lgkmcnt(1)
	v_fmac_f32_e32 v3, v143, v111
	ds_load_b32 v111, v2 offset:432
	v_fmac_f32_e32 v3, v144, v112
	s_delay_alu instid0(VALU_DEP_1) | instskip(SKIP_1) | instid1(VALU_DEP_1)
	v_fmac_f32_e32 v3, v145, v113
	s_waitcnt vmcnt(0)
	v_fmac_f32_e32 v3, v146, v114
	s_waitcnt lgkmcnt(1)
	s_delay_alu instid0(VALU_DEP_1) | instskip(NEXT) | instid1(VALU_DEP_1)
	v_fmac_f32_e32 v3, v147, v115
	v_fmac_f32_e32 v3, v148, v116
	s_waitcnt lgkmcnt(0)
	s_delay_alu instid0(VALU_DEP_1) | instskip(NEXT) | instid1(VALU_DEP_1)
	v_fmac_f32_e32 v3, v149, v111
	v_sub_f32_e32 v3, v110, v3
	scratch_store_b32 off, v3, off offset:52
	v_cmpx_lt_u32_e32 12, v0
	s_cbranch_execz .LBB116_301
; %bb.300:
	scratch_load_b32 v3, off, off offset:48
	scratch_store_b32 off, v2, off offset:48
	s_waitcnt vmcnt(0)
	ds_store_b32 v1, v3
.LBB116_301:
	s_or_b32 exec_lo, exec_lo, s0
	s_waitcnt lgkmcnt(0)
	s_waitcnt_vscnt null, 0x0
	s_barrier
	buffer_gl0_inv
	s_clause 0xa
	scratch_load_b128 v[110:113], off, off offset:48
	scratch_load_b128 v[114:117], off, off offset:64
	;; [unrolled: 1-line block ×10, first 2 shown]
	scratch_load_b32 v158, off, off offset:208
	ds_load_2addr_b32 v[150:151], v2 offset0:69 offset1:70
	ds_load_2addr_b32 v[152:153], v2 offset0:71 offset1:72
	;; [unrolled: 1-line block ×4, first 2 shown]
	s_mov_b32 s0, exec_lo
	s_waitcnt vmcnt(10) lgkmcnt(3)
	v_fma_f32 v150, v111, v150, 0
	s_delay_alu instid0(VALU_DEP_1) | instskip(SKIP_4) | instid1(VALU_DEP_1)
	v_fmac_f32_e32 v150, v112, v151
	ds_load_2addr_b32 v[111:112], v2 offset0:77 offset1:78
	s_waitcnt lgkmcnt(3)
	v_fmac_f32_e32 v150, v113, v152
	s_waitcnt vmcnt(9)
	v_fmac_f32_e32 v150, v114, v153
	ds_load_2addr_b32 v[113:114], v2 offset0:79 offset1:80
	s_waitcnt lgkmcnt(3)
	v_fmac_f32_e32 v150, v115, v154
	s_delay_alu instid0(VALU_DEP_1) | instskip(SKIP_1) | instid1(VALU_DEP_1)
	v_fmac_f32_e32 v150, v116, v155
	s_waitcnt lgkmcnt(2)
	v_fmac_f32_e32 v150, v117, v156
	s_waitcnt vmcnt(8)
	s_delay_alu instid0(VALU_DEP_1) | instskip(SKIP_4) | instid1(VALU_DEP_1)
	v_fmac_f32_e32 v150, v118, v157
	ds_load_2addr_b32 v[115:116], v2 offset0:81 offset1:82
	ds_load_2addr_b32 v[117:118], v2 offset0:83 offset1:84
	s_waitcnt lgkmcnt(3)
	v_fmac_f32_e32 v150, v119, v111
	v_fmac_f32_e32 v150, v120, v112
	ds_load_2addr_b32 v[111:112], v2 offset0:85 offset1:86
	s_waitcnt lgkmcnt(3)
	v_fmac_f32_e32 v150, v121, v113
	s_waitcnt vmcnt(7)
	s_delay_alu instid0(VALU_DEP_1) | instskip(SKIP_3) | instid1(VALU_DEP_1)
	v_fmac_f32_e32 v150, v122, v114
	ds_load_2addr_b32 v[113:114], v2 offset0:87 offset1:88
	s_waitcnt lgkmcnt(3)
	v_fmac_f32_e32 v150, v123, v115
	v_fmac_f32_e32 v150, v124, v116
	s_waitcnt lgkmcnt(2)
	s_delay_alu instid0(VALU_DEP_1) | instskip(SKIP_1) | instid1(VALU_DEP_1)
	v_fmac_f32_e32 v150, v125, v117
	s_waitcnt vmcnt(6)
	v_fmac_f32_e32 v150, v126, v118
	ds_load_2addr_b32 v[115:116], v2 offset0:89 offset1:90
	ds_load_2addr_b32 v[117:118], v2 offset0:91 offset1:92
	s_waitcnt lgkmcnt(3)
	v_fmac_f32_e32 v150, v127, v111
	s_delay_alu instid0(VALU_DEP_1) | instskip(SKIP_4) | instid1(VALU_DEP_1)
	v_fmac_f32_e32 v150, v128, v112
	ds_load_2addr_b32 v[111:112], v2 offset0:93 offset1:94
	s_waitcnt lgkmcnt(3)
	v_fmac_f32_e32 v150, v129, v113
	s_waitcnt vmcnt(5)
	v_fmac_f32_e32 v150, v130, v114
	ds_load_2addr_b32 v[113:114], v2 offset0:95 offset1:96
	s_waitcnt lgkmcnt(3)
	v_fmac_f32_e32 v150, v131, v115
	s_delay_alu instid0(VALU_DEP_1) | instskip(SKIP_1) | instid1(VALU_DEP_1)
	v_fmac_f32_e32 v150, v132, v116
	s_waitcnt lgkmcnt(2)
	v_fmac_f32_e32 v150, v133, v117
	s_waitcnt vmcnt(4)
	s_delay_alu instid0(VALU_DEP_1) | instskip(SKIP_4) | instid1(VALU_DEP_1)
	v_fmac_f32_e32 v150, v134, v118
	ds_load_2addr_b32 v[115:116], v2 offset0:97 offset1:98
	ds_load_2addr_b32 v[117:118], v2 offset0:99 offset1:100
	s_waitcnt lgkmcnt(3)
	v_fmac_f32_e32 v150, v135, v111
	v_fmac_f32_e32 v150, v136, v112
	ds_load_2addr_b32 v[111:112], v2 offset0:101 offset1:102
	s_waitcnt lgkmcnt(3)
	v_fmac_f32_e32 v150, v137, v113
	s_waitcnt vmcnt(3)
	s_delay_alu instid0(VALU_DEP_1) | instskip(SKIP_3) | instid1(VALU_DEP_1)
	v_fmac_f32_e32 v150, v138, v114
	ds_load_2addr_b32 v[113:114], v2 offset0:103 offset1:104
	s_waitcnt lgkmcnt(3)
	v_fmac_f32_e32 v150, v139, v115
	v_fmac_f32_e32 v150, v140, v116
	ds_load_2addr_b32 v[115:116], v2 offset0:105 offset1:106
	ds_load_2addr_b32 v[2:3], v2 offset0:107 offset1:108
	s_waitcnt lgkmcnt(4)
	v_fmac_f32_e32 v150, v141, v117
	s_waitcnt vmcnt(2)
	s_delay_alu instid0(VALU_DEP_1) | instskip(SKIP_1) | instid1(VALU_DEP_1)
	v_fmac_f32_e32 v150, v142, v118
	s_waitcnt lgkmcnt(3)
	v_fmac_f32_e32 v150, v143, v111
	s_delay_alu instid0(VALU_DEP_1) | instskip(SKIP_1) | instid1(VALU_DEP_1)
	v_fmac_f32_e32 v150, v144, v112
	s_waitcnt lgkmcnt(2)
	v_fmac_f32_e32 v150, v145, v113
	s_waitcnt vmcnt(1)
	s_delay_alu instid0(VALU_DEP_1) | instskip(SKIP_1) | instid1(VALU_DEP_1)
	v_fmac_f32_e32 v150, v146, v114
	s_waitcnt lgkmcnt(1)
	v_fmac_f32_e32 v150, v147, v115
	s_delay_alu instid0(VALU_DEP_1) | instskip(SKIP_1) | instid1(VALU_DEP_1)
	v_fmac_f32_e32 v150, v148, v116
	s_waitcnt lgkmcnt(0)
	v_fmac_f32_e32 v150, v149, v2
	s_waitcnt vmcnt(0)
	s_delay_alu instid0(VALU_DEP_1) | instskip(NEXT) | instid1(VALU_DEP_1)
	v_fmac_f32_e32 v150, v158, v3
	v_sub_f32_e32 v2, v110, v150
	scratch_store_b32 off, v2, off offset:48
	v_cmpx_lt_u32_e32 11, v0
	s_cbranch_execz .LBB116_303
; %bb.302:
	scratch_load_b32 v2, off, off offset:44
	v_mov_b32_e32 v3, 0
	scratch_store_b32 off, v3, off offset:44
	s_waitcnt vmcnt(0)
	ds_store_b32 v1, v2
.LBB116_303:
	s_or_b32 exec_lo, exec_lo, s0
	s_waitcnt lgkmcnt(0)
	s_waitcnt_vscnt null, 0x0
	s_barrier
	buffer_gl0_inv
	s_clause 0xa
	scratch_load_b128 v[110:113], off, off offset:44
	scratch_load_b128 v[114:117], off, off offset:60
	scratch_load_b128 v[118:121], off, off offset:76
	scratch_load_b128 v[122:125], off, off offset:92
	scratch_load_b128 v[126:129], off, off offset:108
	scratch_load_b128 v[130:133], off, off offset:124
	scratch_load_b128 v[134:137], off, off offset:140
	scratch_load_b128 v[138:141], off, off offset:156
	scratch_load_b128 v[142:145], off, off offset:172
	scratch_load_b128 v[146:149], off, off offset:188
	scratch_load_b64 v[158:159], off, off offset:204
	v_mov_b32_e32 v2, 0
	ds_load_b128 v[150:153], v2 offset:272
	ds_load_b128 v[154:157], v2 offset:288
	s_mov_b32 s0, exec_lo
	s_waitcnt vmcnt(10) lgkmcnt(1)
	v_fma_f32 v3, v111, v150, 0
	s_delay_alu instid0(VALU_DEP_1) | instskip(NEXT) | instid1(VALU_DEP_1)
	v_fmac_f32_e32 v3, v112, v151
	v_fmac_f32_e32 v3, v113, v152
	s_waitcnt vmcnt(9)
	s_delay_alu instid0(VALU_DEP_1) | instskip(SKIP_3) | instid1(VALU_DEP_1)
	v_fmac_f32_e32 v3, v114, v153
	ds_load_b128 v[111:114], v2 offset:304
	s_waitcnt lgkmcnt(1)
	v_fmac_f32_e32 v3, v115, v154
	v_fmac_f32_e32 v3, v116, v155
	s_delay_alu instid0(VALU_DEP_1) | instskip(SKIP_1) | instid1(VALU_DEP_1)
	v_fmac_f32_e32 v3, v117, v156
	s_waitcnt vmcnt(8)
	v_fmac_f32_e32 v3, v118, v157
	ds_load_b128 v[115:118], v2 offset:320
	s_waitcnt lgkmcnt(1)
	v_fmac_f32_e32 v3, v119, v111
	s_delay_alu instid0(VALU_DEP_1) | instskip(NEXT) | instid1(VALU_DEP_1)
	v_fmac_f32_e32 v3, v120, v112
	v_fmac_f32_e32 v3, v121, v113
	s_waitcnt vmcnt(7)
	s_delay_alu instid0(VALU_DEP_1) | instskip(SKIP_3) | instid1(VALU_DEP_1)
	v_fmac_f32_e32 v3, v122, v114
	ds_load_b128 v[111:114], v2 offset:336
	s_waitcnt lgkmcnt(1)
	v_fmac_f32_e32 v3, v123, v115
	v_fmac_f32_e32 v3, v124, v116
	s_delay_alu instid0(VALU_DEP_1) | instskip(SKIP_1) | instid1(VALU_DEP_1)
	v_fmac_f32_e32 v3, v125, v117
	s_waitcnt vmcnt(6)
	v_fmac_f32_e32 v3, v126, v118
	ds_load_b128 v[115:118], v2 offset:352
	s_waitcnt lgkmcnt(1)
	v_fmac_f32_e32 v3, v127, v111
	;; [unrolled: 17-line block ×4, first 2 shown]
	ds_load_b32 v111, v2 offset:432
	v_fmac_f32_e32 v3, v144, v112
	s_delay_alu instid0(VALU_DEP_1) | instskip(SKIP_1) | instid1(VALU_DEP_1)
	v_fmac_f32_e32 v3, v145, v113
	s_waitcnt vmcnt(1)
	v_fmac_f32_e32 v3, v146, v114
	s_waitcnt lgkmcnt(1)
	s_delay_alu instid0(VALU_DEP_1) | instskip(NEXT) | instid1(VALU_DEP_1)
	v_fmac_f32_e32 v3, v147, v115
	v_fmac_f32_e32 v3, v148, v116
	s_delay_alu instid0(VALU_DEP_1) | instskip(SKIP_1) | instid1(VALU_DEP_1)
	v_fmac_f32_e32 v3, v149, v117
	s_waitcnt vmcnt(0)
	v_fmac_f32_e32 v3, v158, v118
	s_waitcnt lgkmcnt(0)
	s_delay_alu instid0(VALU_DEP_1) | instskip(NEXT) | instid1(VALU_DEP_1)
	v_fmac_f32_e32 v3, v159, v111
	v_sub_f32_e32 v3, v110, v3
	scratch_store_b32 off, v3, off offset:44
	v_cmpx_lt_u32_e32 10, v0
	s_cbranch_execz .LBB116_305
; %bb.304:
	scratch_load_b32 v3, off, off offset:40
	scratch_store_b32 off, v2, off offset:40
	s_waitcnt vmcnt(0)
	ds_store_b32 v1, v3
.LBB116_305:
	s_or_b32 exec_lo, exec_lo, s0
	s_waitcnt lgkmcnt(0)
	s_waitcnt_vscnt null, 0x0
	s_barrier
	buffer_gl0_inv
	s_clause 0xa
	scratch_load_b128 v[110:113], off, off offset:40
	scratch_load_b128 v[114:117], off, off offset:56
	;; [unrolled: 1-line block ×10, first 2 shown]
	scratch_load_b96 v[150:152], off, off offset:200
	ds_load_2addr_b32 v[153:154], v2 offset0:67 offset1:68
	ds_load_2addr_b32 v[155:156], v2 offset0:69 offset1:70
	ds_load_2addr_b32 v[157:158], v2 offset0:71 offset1:72
	ds_load_2addr_b32 v[159:160], v2 offset0:73 offset1:74
	s_mov_b32 s0, exec_lo
	s_waitcnt vmcnt(10) lgkmcnt(3)
	v_fma_f32 v153, v111, v153, 0
	s_delay_alu instid0(VALU_DEP_1) | instskip(SKIP_4) | instid1(VALU_DEP_1)
	v_fmac_f32_e32 v153, v112, v154
	ds_load_2addr_b32 v[111:112], v2 offset0:75 offset1:76
	s_waitcnt lgkmcnt(3)
	v_fmac_f32_e32 v153, v113, v155
	s_waitcnt vmcnt(9)
	v_fmac_f32_e32 v153, v114, v156
	ds_load_2addr_b32 v[113:114], v2 offset0:77 offset1:78
	s_waitcnt lgkmcnt(3)
	v_fmac_f32_e32 v153, v115, v157
	s_delay_alu instid0(VALU_DEP_1) | instskip(SKIP_1) | instid1(VALU_DEP_1)
	v_fmac_f32_e32 v153, v116, v158
	s_waitcnt lgkmcnt(2)
	v_fmac_f32_e32 v153, v117, v159
	s_waitcnt vmcnt(8)
	s_delay_alu instid0(VALU_DEP_1) | instskip(SKIP_4) | instid1(VALU_DEP_1)
	v_fmac_f32_e32 v153, v118, v160
	ds_load_2addr_b32 v[115:116], v2 offset0:79 offset1:80
	ds_load_2addr_b32 v[117:118], v2 offset0:81 offset1:82
	s_waitcnt lgkmcnt(3)
	v_fmac_f32_e32 v153, v119, v111
	v_fmac_f32_e32 v153, v120, v112
	ds_load_2addr_b32 v[111:112], v2 offset0:83 offset1:84
	s_waitcnt lgkmcnt(3)
	v_fmac_f32_e32 v153, v121, v113
	s_waitcnt vmcnt(7)
	s_delay_alu instid0(VALU_DEP_1) | instskip(SKIP_3) | instid1(VALU_DEP_1)
	v_fmac_f32_e32 v153, v122, v114
	ds_load_2addr_b32 v[113:114], v2 offset0:85 offset1:86
	s_waitcnt lgkmcnt(3)
	v_fmac_f32_e32 v153, v123, v115
	v_fmac_f32_e32 v153, v124, v116
	s_waitcnt lgkmcnt(2)
	s_delay_alu instid0(VALU_DEP_1) | instskip(SKIP_1) | instid1(VALU_DEP_1)
	v_fmac_f32_e32 v153, v125, v117
	s_waitcnt vmcnt(6)
	v_fmac_f32_e32 v153, v126, v118
	ds_load_2addr_b32 v[115:116], v2 offset0:87 offset1:88
	ds_load_2addr_b32 v[117:118], v2 offset0:89 offset1:90
	s_waitcnt lgkmcnt(3)
	v_fmac_f32_e32 v153, v127, v111
	s_delay_alu instid0(VALU_DEP_1) | instskip(SKIP_4) | instid1(VALU_DEP_1)
	v_fmac_f32_e32 v153, v128, v112
	ds_load_2addr_b32 v[111:112], v2 offset0:91 offset1:92
	s_waitcnt lgkmcnt(3)
	v_fmac_f32_e32 v153, v129, v113
	s_waitcnt vmcnt(5)
	v_fmac_f32_e32 v153, v130, v114
	ds_load_2addr_b32 v[113:114], v2 offset0:93 offset1:94
	s_waitcnt lgkmcnt(3)
	v_fmac_f32_e32 v153, v131, v115
	s_delay_alu instid0(VALU_DEP_1) | instskip(SKIP_1) | instid1(VALU_DEP_1)
	v_fmac_f32_e32 v153, v132, v116
	s_waitcnt lgkmcnt(2)
	v_fmac_f32_e32 v153, v133, v117
	s_waitcnt vmcnt(4)
	s_delay_alu instid0(VALU_DEP_1) | instskip(SKIP_4) | instid1(VALU_DEP_1)
	v_fmac_f32_e32 v153, v134, v118
	ds_load_2addr_b32 v[115:116], v2 offset0:95 offset1:96
	ds_load_2addr_b32 v[117:118], v2 offset0:97 offset1:98
	s_waitcnt lgkmcnt(3)
	v_fmac_f32_e32 v153, v135, v111
	v_fmac_f32_e32 v153, v136, v112
	ds_load_2addr_b32 v[111:112], v2 offset0:99 offset1:100
	s_waitcnt lgkmcnt(3)
	v_fmac_f32_e32 v153, v137, v113
	s_waitcnt vmcnt(3)
	s_delay_alu instid0(VALU_DEP_1) | instskip(SKIP_3) | instid1(VALU_DEP_1)
	v_fmac_f32_e32 v153, v138, v114
	ds_load_2addr_b32 v[113:114], v2 offset0:101 offset1:102
	s_waitcnt lgkmcnt(3)
	v_fmac_f32_e32 v153, v139, v115
	v_fmac_f32_e32 v153, v140, v116
	s_waitcnt lgkmcnt(2)
	s_delay_alu instid0(VALU_DEP_1) | instskip(SKIP_1) | instid1(VALU_DEP_1)
	v_fmac_f32_e32 v153, v141, v117
	s_waitcnt vmcnt(2)
	v_fmac_f32_e32 v153, v142, v118
	ds_load_2addr_b32 v[115:116], v2 offset0:103 offset1:104
	ds_load_2addr_b32 v[117:118], v2 offset0:105 offset1:106
	;; [unrolled: 1-line block ×3, first 2 shown]
	s_waitcnt lgkmcnt(4)
	v_fmac_f32_e32 v153, v143, v111
	s_delay_alu instid0(VALU_DEP_1) | instskip(SKIP_1) | instid1(VALU_DEP_1)
	v_fmac_f32_e32 v153, v144, v112
	s_waitcnt lgkmcnt(3)
	v_fmac_f32_e32 v153, v145, v113
	s_waitcnt vmcnt(1)
	s_delay_alu instid0(VALU_DEP_1) | instskip(SKIP_1) | instid1(VALU_DEP_1)
	v_fmac_f32_e32 v153, v146, v114
	s_waitcnt lgkmcnt(2)
	v_fmac_f32_e32 v153, v147, v115
	s_delay_alu instid0(VALU_DEP_1) | instskip(SKIP_1) | instid1(VALU_DEP_1)
	v_fmac_f32_e32 v153, v148, v116
	s_waitcnt lgkmcnt(1)
	v_fmac_f32_e32 v153, v149, v117
	s_waitcnt vmcnt(0)
	s_delay_alu instid0(VALU_DEP_1) | instskip(SKIP_1) | instid1(VALU_DEP_1)
	v_fmac_f32_e32 v153, v150, v118
	s_waitcnt lgkmcnt(0)
	v_fmac_f32_e32 v153, v151, v2
	s_delay_alu instid0(VALU_DEP_1) | instskip(NEXT) | instid1(VALU_DEP_1)
	v_fmac_f32_e32 v153, v152, v3
	v_sub_f32_e32 v2, v110, v153
	scratch_store_b32 off, v2, off offset:40
	v_cmpx_lt_u32_e32 9, v0
	s_cbranch_execz .LBB116_307
; %bb.306:
	scratch_load_b32 v2, off, off offset:36
	v_mov_b32_e32 v3, 0
	scratch_store_b32 off, v3, off offset:36
	s_waitcnt vmcnt(0)
	ds_store_b32 v1, v2
.LBB116_307:
	s_or_b32 exec_lo, exec_lo, s0
	s_waitcnt lgkmcnt(0)
	s_waitcnt_vscnt null, 0x0
	s_barrier
	buffer_gl0_inv
	s_clause 0xa
	scratch_load_b128 v[110:113], off, off offset:36
	scratch_load_b128 v[114:117], off, off offset:52
	scratch_load_b128 v[118:121], off, off offset:68
	scratch_load_b128 v[122:125], off, off offset:84
	scratch_load_b128 v[126:129], off, off offset:100
	scratch_load_b128 v[130:133], off, off offset:116
	scratch_load_b128 v[134:137], off, off offset:132
	scratch_load_b128 v[138:141], off, off offset:148
	scratch_load_b128 v[142:145], off, off offset:164
	scratch_load_b128 v[146:149], off, off offset:180
	scratch_load_b128 v[150:153], off, off offset:196
	v_mov_b32_e32 v2, 0
	ds_load_2addr_b64 v[154:157], v2 offset0:33 offset1:34
	ds_load_2addr_b64 v[158:161], v2 offset0:35 offset1:36
	s_mov_b32 s0, exec_lo
	s_waitcnt vmcnt(10) lgkmcnt(1)
	v_fma_f32 v3, v111, v154, 0
	s_delay_alu instid0(VALU_DEP_1) | instskip(NEXT) | instid1(VALU_DEP_1)
	v_fmac_f32_e32 v3, v112, v155
	v_fmac_f32_e32 v3, v113, v156
	s_waitcnt vmcnt(9)
	s_delay_alu instid0(VALU_DEP_1) | instskip(SKIP_3) | instid1(VALU_DEP_1)
	v_fmac_f32_e32 v3, v114, v157
	ds_load_2addr_b64 v[111:114], v2 offset0:37 offset1:38
	s_waitcnt lgkmcnt(1)
	v_fmac_f32_e32 v3, v115, v158
	v_fmac_f32_e32 v3, v116, v159
	s_delay_alu instid0(VALU_DEP_1) | instskip(SKIP_1) | instid1(VALU_DEP_1)
	v_fmac_f32_e32 v3, v117, v160
	s_waitcnt vmcnt(8)
	v_fmac_f32_e32 v3, v118, v161
	ds_load_2addr_b64 v[115:118], v2 offset0:39 offset1:40
	s_waitcnt lgkmcnt(1)
	v_fmac_f32_e32 v3, v119, v111
	s_delay_alu instid0(VALU_DEP_1) | instskip(NEXT) | instid1(VALU_DEP_1)
	v_fmac_f32_e32 v3, v120, v112
	v_fmac_f32_e32 v3, v121, v113
	s_waitcnt vmcnt(7)
	s_delay_alu instid0(VALU_DEP_1) | instskip(SKIP_3) | instid1(VALU_DEP_1)
	v_fmac_f32_e32 v3, v122, v114
	ds_load_2addr_b64 v[111:114], v2 offset0:41 offset1:42
	s_waitcnt lgkmcnt(1)
	v_fmac_f32_e32 v3, v123, v115
	v_fmac_f32_e32 v3, v124, v116
	s_delay_alu instid0(VALU_DEP_1) | instskip(SKIP_1) | instid1(VALU_DEP_1)
	v_fmac_f32_e32 v3, v125, v117
	s_waitcnt vmcnt(6)
	v_fmac_f32_e32 v3, v126, v118
	ds_load_2addr_b64 v[115:118], v2 offset0:43 offset1:44
	s_waitcnt lgkmcnt(1)
	v_fmac_f32_e32 v3, v127, v111
	;; [unrolled: 17-line block ×4, first 2 shown]
	s_delay_alu instid0(VALU_DEP_1)
	v_fmac_f32_e32 v3, v144, v112
	ds_load_b64 v[111:112], v2 offset:424
	v_fmac_f32_e32 v3, v145, v113
	ds_load_b32 v113, v2 offset:432
	s_waitcnt vmcnt(1)
	v_fmac_f32_e32 v3, v146, v114
	s_waitcnt lgkmcnt(2)
	s_delay_alu instid0(VALU_DEP_1) | instskip(NEXT) | instid1(VALU_DEP_1)
	v_fmac_f32_e32 v3, v147, v115
	v_fmac_f32_e32 v3, v148, v116
	s_delay_alu instid0(VALU_DEP_1) | instskip(SKIP_1) | instid1(VALU_DEP_1)
	v_fmac_f32_e32 v3, v149, v117
	s_waitcnt vmcnt(0)
	v_fmac_f32_e32 v3, v150, v118
	s_waitcnt lgkmcnt(1)
	s_delay_alu instid0(VALU_DEP_1) | instskip(NEXT) | instid1(VALU_DEP_1)
	v_fmac_f32_e32 v3, v151, v111
	v_fmac_f32_e32 v3, v152, v112
	s_waitcnt lgkmcnt(0)
	s_delay_alu instid0(VALU_DEP_1) | instskip(NEXT) | instid1(VALU_DEP_1)
	v_fmac_f32_e32 v3, v153, v113
	v_sub_f32_e32 v3, v110, v3
	scratch_store_b32 off, v3, off offset:36
	v_cmpx_lt_u32_e32 8, v0
	s_cbranch_execz .LBB116_309
; %bb.308:
	scratch_load_b32 v3, off, off offset:32
	scratch_store_b32 off, v2, off offset:32
	s_waitcnt vmcnt(0)
	ds_store_b32 v1, v3
.LBB116_309:
	s_or_b32 exec_lo, exec_lo, s0
	s_waitcnt lgkmcnt(0)
	s_waitcnt_vscnt null, 0x0
	s_barrier
	buffer_gl0_inv
	s_clause 0xb
	scratch_load_b128 v[110:113], off, off offset:32
	scratch_load_b128 v[114:117], off, off offset:48
	;; [unrolled: 1-line block ×11, first 2 shown]
	scratch_load_b32 v162, off, off offset:208
	ds_load_2addr_b32 v[154:155], v2 offset0:65 offset1:66
	ds_load_2addr_b32 v[156:157], v2 offset0:67 offset1:68
	;; [unrolled: 1-line block ×4, first 2 shown]
	s_mov_b32 s0, exec_lo
	s_waitcnt vmcnt(11) lgkmcnt(3)
	v_fma_f32 v154, v111, v154, 0
	s_delay_alu instid0(VALU_DEP_1) | instskip(SKIP_4) | instid1(VALU_DEP_1)
	v_fmac_f32_e32 v154, v112, v155
	ds_load_2addr_b32 v[111:112], v2 offset0:73 offset1:74
	s_waitcnt lgkmcnt(3)
	v_fmac_f32_e32 v154, v113, v156
	s_waitcnt vmcnt(10)
	v_fmac_f32_e32 v154, v114, v157
	ds_load_2addr_b32 v[113:114], v2 offset0:75 offset1:76
	s_waitcnt lgkmcnt(3)
	v_fmac_f32_e32 v154, v115, v158
	s_delay_alu instid0(VALU_DEP_1) | instskip(SKIP_1) | instid1(VALU_DEP_1)
	v_fmac_f32_e32 v154, v116, v159
	s_waitcnt lgkmcnt(2)
	v_fmac_f32_e32 v154, v117, v160
	s_waitcnt vmcnt(9)
	s_delay_alu instid0(VALU_DEP_1) | instskip(SKIP_4) | instid1(VALU_DEP_1)
	v_fmac_f32_e32 v154, v118, v161
	ds_load_2addr_b32 v[115:116], v2 offset0:77 offset1:78
	ds_load_2addr_b32 v[117:118], v2 offset0:79 offset1:80
	s_waitcnt lgkmcnt(3)
	v_fmac_f32_e32 v154, v119, v111
	v_fmac_f32_e32 v154, v120, v112
	ds_load_2addr_b32 v[111:112], v2 offset0:81 offset1:82
	s_waitcnt lgkmcnt(3)
	v_fmac_f32_e32 v154, v121, v113
	s_waitcnt vmcnt(8)
	s_delay_alu instid0(VALU_DEP_1) | instskip(SKIP_3) | instid1(VALU_DEP_1)
	v_fmac_f32_e32 v154, v122, v114
	ds_load_2addr_b32 v[113:114], v2 offset0:83 offset1:84
	s_waitcnt lgkmcnt(3)
	v_fmac_f32_e32 v154, v123, v115
	v_fmac_f32_e32 v154, v124, v116
	s_waitcnt lgkmcnt(2)
	s_delay_alu instid0(VALU_DEP_1) | instskip(SKIP_1) | instid1(VALU_DEP_1)
	v_fmac_f32_e32 v154, v125, v117
	s_waitcnt vmcnt(7)
	v_fmac_f32_e32 v154, v126, v118
	ds_load_2addr_b32 v[115:116], v2 offset0:85 offset1:86
	ds_load_2addr_b32 v[117:118], v2 offset0:87 offset1:88
	s_waitcnt lgkmcnt(3)
	v_fmac_f32_e32 v154, v127, v111
	s_delay_alu instid0(VALU_DEP_1) | instskip(SKIP_4) | instid1(VALU_DEP_1)
	v_fmac_f32_e32 v154, v128, v112
	ds_load_2addr_b32 v[111:112], v2 offset0:89 offset1:90
	s_waitcnt lgkmcnt(3)
	v_fmac_f32_e32 v154, v129, v113
	s_waitcnt vmcnt(6)
	v_fmac_f32_e32 v154, v130, v114
	ds_load_2addr_b32 v[113:114], v2 offset0:91 offset1:92
	s_waitcnt lgkmcnt(3)
	v_fmac_f32_e32 v154, v131, v115
	s_delay_alu instid0(VALU_DEP_1) | instskip(SKIP_1) | instid1(VALU_DEP_1)
	v_fmac_f32_e32 v154, v132, v116
	s_waitcnt lgkmcnt(2)
	v_fmac_f32_e32 v154, v133, v117
	s_waitcnt vmcnt(5)
	s_delay_alu instid0(VALU_DEP_1) | instskip(SKIP_4) | instid1(VALU_DEP_1)
	v_fmac_f32_e32 v154, v134, v118
	ds_load_2addr_b32 v[115:116], v2 offset0:93 offset1:94
	ds_load_2addr_b32 v[117:118], v2 offset0:95 offset1:96
	s_waitcnt lgkmcnt(3)
	v_fmac_f32_e32 v154, v135, v111
	v_fmac_f32_e32 v154, v136, v112
	ds_load_2addr_b32 v[111:112], v2 offset0:97 offset1:98
	s_waitcnt lgkmcnt(3)
	v_fmac_f32_e32 v154, v137, v113
	s_waitcnt vmcnt(4)
	s_delay_alu instid0(VALU_DEP_1) | instskip(SKIP_3) | instid1(VALU_DEP_1)
	v_fmac_f32_e32 v154, v138, v114
	ds_load_2addr_b32 v[113:114], v2 offset0:99 offset1:100
	s_waitcnt lgkmcnt(3)
	v_fmac_f32_e32 v154, v139, v115
	v_fmac_f32_e32 v154, v140, v116
	s_waitcnt lgkmcnt(2)
	s_delay_alu instid0(VALU_DEP_1) | instskip(SKIP_1) | instid1(VALU_DEP_1)
	v_fmac_f32_e32 v154, v141, v117
	s_waitcnt vmcnt(3)
	v_fmac_f32_e32 v154, v142, v118
	ds_load_2addr_b32 v[115:116], v2 offset0:101 offset1:102
	ds_load_2addr_b32 v[117:118], v2 offset0:103 offset1:104
	s_waitcnt lgkmcnt(3)
	v_fmac_f32_e32 v154, v143, v111
	s_delay_alu instid0(VALU_DEP_1)
	v_fmac_f32_e32 v154, v144, v112
	ds_load_2addr_b32 v[111:112], v2 offset0:105 offset1:106
	ds_load_2addr_b32 v[2:3], v2 offset0:107 offset1:108
	s_waitcnt lgkmcnt(4)
	v_fmac_f32_e32 v154, v145, v113
	s_waitcnt vmcnt(2)
	s_delay_alu instid0(VALU_DEP_1) | instskip(SKIP_1) | instid1(VALU_DEP_1)
	v_fmac_f32_e32 v154, v146, v114
	s_waitcnt lgkmcnt(3)
	v_fmac_f32_e32 v154, v147, v115
	s_delay_alu instid0(VALU_DEP_1) | instskip(SKIP_1) | instid1(VALU_DEP_1)
	v_fmac_f32_e32 v154, v148, v116
	s_waitcnt lgkmcnt(2)
	v_fmac_f32_e32 v154, v149, v117
	s_waitcnt vmcnt(1)
	s_delay_alu instid0(VALU_DEP_1) | instskip(SKIP_1) | instid1(VALU_DEP_1)
	v_fmac_f32_e32 v154, v150, v118
	s_waitcnt lgkmcnt(1)
	v_fmac_f32_e32 v154, v151, v111
	s_delay_alu instid0(VALU_DEP_1) | instskip(SKIP_1) | instid1(VALU_DEP_1)
	v_fmac_f32_e32 v154, v152, v112
	s_waitcnt lgkmcnt(0)
	v_fmac_f32_e32 v154, v153, v2
	s_waitcnt vmcnt(0)
	s_delay_alu instid0(VALU_DEP_1) | instskip(NEXT) | instid1(VALU_DEP_1)
	v_fmac_f32_e32 v154, v162, v3
	v_sub_f32_e32 v2, v110, v154
	scratch_store_b32 off, v2, off offset:32
	v_cmpx_lt_u32_e32 7, v0
	s_cbranch_execz .LBB116_311
; %bb.310:
	scratch_load_b32 v2, off, off offset:28
	v_mov_b32_e32 v3, 0
	scratch_store_b32 off, v3, off offset:28
	s_waitcnt vmcnt(0)
	ds_store_b32 v1, v2
.LBB116_311:
	s_or_b32 exec_lo, exec_lo, s0
	s_waitcnt lgkmcnt(0)
	s_waitcnt_vscnt null, 0x0
	s_barrier
	buffer_gl0_inv
	s_clause 0xb
	scratch_load_b128 v[110:113], off, off offset:28
	scratch_load_b128 v[114:117], off, off offset:44
	;; [unrolled: 1-line block ×11, first 2 shown]
	scratch_load_b64 v[162:163], off, off offset:204
	v_mov_b32_e32 v2, 0
	ds_load_b128 v[154:157], v2 offset:256
	ds_load_b128 v[158:161], v2 offset:272
	s_mov_b32 s0, exec_lo
	s_waitcnt vmcnt(11) lgkmcnt(1)
	v_fma_f32 v3, v111, v154, 0
	s_delay_alu instid0(VALU_DEP_1) | instskip(NEXT) | instid1(VALU_DEP_1)
	v_fmac_f32_e32 v3, v112, v155
	v_fmac_f32_e32 v3, v113, v156
	s_waitcnt vmcnt(10)
	s_delay_alu instid0(VALU_DEP_1) | instskip(SKIP_3) | instid1(VALU_DEP_1)
	v_fmac_f32_e32 v3, v114, v157
	ds_load_b128 v[111:114], v2 offset:288
	s_waitcnt lgkmcnt(1)
	v_fmac_f32_e32 v3, v115, v158
	v_fmac_f32_e32 v3, v116, v159
	s_delay_alu instid0(VALU_DEP_1) | instskip(SKIP_1) | instid1(VALU_DEP_1)
	v_fmac_f32_e32 v3, v117, v160
	s_waitcnt vmcnt(9)
	v_fmac_f32_e32 v3, v118, v161
	ds_load_b128 v[115:118], v2 offset:304
	s_waitcnt lgkmcnt(1)
	v_fmac_f32_e32 v3, v119, v111
	s_delay_alu instid0(VALU_DEP_1) | instskip(NEXT) | instid1(VALU_DEP_1)
	v_fmac_f32_e32 v3, v120, v112
	v_fmac_f32_e32 v3, v121, v113
	s_waitcnt vmcnt(8)
	s_delay_alu instid0(VALU_DEP_1) | instskip(SKIP_3) | instid1(VALU_DEP_1)
	v_fmac_f32_e32 v3, v122, v114
	ds_load_b128 v[111:114], v2 offset:320
	s_waitcnt lgkmcnt(1)
	v_fmac_f32_e32 v3, v123, v115
	v_fmac_f32_e32 v3, v124, v116
	s_delay_alu instid0(VALU_DEP_1) | instskip(SKIP_1) | instid1(VALU_DEP_1)
	v_fmac_f32_e32 v3, v125, v117
	s_waitcnt vmcnt(7)
	v_fmac_f32_e32 v3, v126, v118
	ds_load_b128 v[115:118], v2 offset:336
	s_waitcnt lgkmcnt(1)
	v_fmac_f32_e32 v3, v127, v111
	;; [unrolled: 17-line block ×4, first 2 shown]
	s_delay_alu instid0(VALU_DEP_1) | instskip(NEXT) | instid1(VALU_DEP_1)
	v_fmac_f32_e32 v3, v144, v112
	v_fmac_f32_e32 v3, v145, v113
	s_waitcnt vmcnt(2)
	s_delay_alu instid0(VALU_DEP_1)
	v_fmac_f32_e32 v3, v146, v114
	ds_load_b128 v[111:114], v2 offset:416
	s_waitcnt lgkmcnt(1)
	v_fmac_f32_e32 v3, v147, v115
	ds_load_b32 v115, v2 offset:432
	v_fmac_f32_e32 v3, v148, v116
	s_delay_alu instid0(VALU_DEP_1) | instskip(SKIP_1) | instid1(VALU_DEP_1)
	v_fmac_f32_e32 v3, v149, v117
	s_waitcnt vmcnt(1)
	v_fmac_f32_e32 v3, v150, v118
	s_waitcnt lgkmcnt(1)
	s_delay_alu instid0(VALU_DEP_1) | instskip(NEXT) | instid1(VALU_DEP_1)
	v_fmac_f32_e32 v3, v151, v111
	v_fmac_f32_e32 v3, v152, v112
	s_delay_alu instid0(VALU_DEP_1) | instskip(SKIP_1) | instid1(VALU_DEP_1)
	v_fmac_f32_e32 v3, v153, v113
	s_waitcnt vmcnt(0)
	v_fmac_f32_e32 v3, v162, v114
	s_waitcnt lgkmcnt(0)
	s_delay_alu instid0(VALU_DEP_1) | instskip(NEXT) | instid1(VALU_DEP_1)
	v_fmac_f32_e32 v3, v163, v115
	v_sub_f32_e32 v3, v110, v3
	scratch_store_b32 off, v3, off offset:28
	v_cmpx_lt_u32_e32 6, v0
	s_cbranch_execz .LBB116_313
; %bb.312:
	scratch_load_b32 v3, off, off offset:24
	scratch_store_b32 off, v2, off offset:24
	s_waitcnt vmcnt(0)
	ds_store_b32 v1, v3
.LBB116_313:
	s_or_b32 exec_lo, exec_lo, s0
	s_waitcnt lgkmcnt(0)
	s_waitcnt_vscnt null, 0x0
	s_barrier
	buffer_gl0_inv
	s_clause 0xb
	scratch_load_b128 v[110:113], off, off offset:24
	scratch_load_b128 v[114:117], off, off offset:40
	;; [unrolled: 1-line block ×11, first 2 shown]
	scratch_load_b96 v[154:156], off, off offset:200
	ds_load_2addr_b32 v[157:158], v2 offset0:63 offset1:64
	ds_load_2addr_b32 v[159:160], v2 offset0:65 offset1:66
	;; [unrolled: 1-line block ×4, first 2 shown]
	s_mov_b32 s0, exec_lo
	s_waitcnt vmcnt(11) lgkmcnt(3)
	v_fma_f32 v157, v111, v157, 0
	s_delay_alu instid0(VALU_DEP_1) | instskip(SKIP_4) | instid1(VALU_DEP_1)
	v_fmac_f32_e32 v157, v112, v158
	ds_load_2addr_b32 v[111:112], v2 offset0:71 offset1:72
	s_waitcnt lgkmcnt(3)
	v_fmac_f32_e32 v157, v113, v159
	s_waitcnt vmcnt(10)
	v_fmac_f32_e32 v157, v114, v160
	ds_load_2addr_b32 v[113:114], v2 offset0:73 offset1:74
	s_waitcnt lgkmcnt(3)
	v_fmac_f32_e32 v157, v115, v161
	s_delay_alu instid0(VALU_DEP_1) | instskip(SKIP_1) | instid1(VALU_DEP_1)
	v_fmac_f32_e32 v157, v116, v162
	s_waitcnt lgkmcnt(2)
	v_fmac_f32_e32 v157, v117, v163
	s_waitcnt vmcnt(9)
	s_delay_alu instid0(VALU_DEP_1) | instskip(SKIP_4) | instid1(VALU_DEP_1)
	v_fmac_f32_e32 v157, v118, v164
	ds_load_2addr_b32 v[115:116], v2 offset0:75 offset1:76
	ds_load_2addr_b32 v[117:118], v2 offset0:77 offset1:78
	s_waitcnt lgkmcnt(3)
	v_fmac_f32_e32 v157, v119, v111
	v_fmac_f32_e32 v157, v120, v112
	ds_load_2addr_b32 v[111:112], v2 offset0:79 offset1:80
	s_waitcnt lgkmcnt(3)
	v_fmac_f32_e32 v157, v121, v113
	s_waitcnt vmcnt(8)
	s_delay_alu instid0(VALU_DEP_1) | instskip(SKIP_3) | instid1(VALU_DEP_1)
	v_fmac_f32_e32 v157, v122, v114
	ds_load_2addr_b32 v[113:114], v2 offset0:81 offset1:82
	s_waitcnt lgkmcnt(3)
	v_fmac_f32_e32 v157, v123, v115
	v_fmac_f32_e32 v157, v124, v116
	s_waitcnt lgkmcnt(2)
	s_delay_alu instid0(VALU_DEP_1) | instskip(SKIP_1) | instid1(VALU_DEP_1)
	v_fmac_f32_e32 v157, v125, v117
	s_waitcnt vmcnt(7)
	v_fmac_f32_e32 v157, v126, v118
	ds_load_2addr_b32 v[115:116], v2 offset0:83 offset1:84
	ds_load_2addr_b32 v[117:118], v2 offset0:85 offset1:86
	s_waitcnt lgkmcnt(3)
	v_fmac_f32_e32 v157, v127, v111
	s_delay_alu instid0(VALU_DEP_1) | instskip(SKIP_4) | instid1(VALU_DEP_1)
	v_fmac_f32_e32 v157, v128, v112
	ds_load_2addr_b32 v[111:112], v2 offset0:87 offset1:88
	s_waitcnt lgkmcnt(3)
	v_fmac_f32_e32 v157, v129, v113
	s_waitcnt vmcnt(6)
	v_fmac_f32_e32 v157, v130, v114
	ds_load_2addr_b32 v[113:114], v2 offset0:89 offset1:90
	s_waitcnt lgkmcnt(3)
	v_fmac_f32_e32 v157, v131, v115
	s_delay_alu instid0(VALU_DEP_1) | instskip(SKIP_1) | instid1(VALU_DEP_1)
	v_fmac_f32_e32 v157, v132, v116
	s_waitcnt lgkmcnt(2)
	v_fmac_f32_e32 v157, v133, v117
	s_waitcnt vmcnt(5)
	s_delay_alu instid0(VALU_DEP_1) | instskip(SKIP_4) | instid1(VALU_DEP_1)
	v_fmac_f32_e32 v157, v134, v118
	ds_load_2addr_b32 v[115:116], v2 offset0:91 offset1:92
	ds_load_2addr_b32 v[117:118], v2 offset0:93 offset1:94
	s_waitcnt lgkmcnt(3)
	v_fmac_f32_e32 v157, v135, v111
	v_fmac_f32_e32 v157, v136, v112
	ds_load_2addr_b32 v[111:112], v2 offset0:95 offset1:96
	s_waitcnt lgkmcnt(3)
	v_fmac_f32_e32 v157, v137, v113
	s_waitcnt vmcnt(4)
	s_delay_alu instid0(VALU_DEP_1) | instskip(SKIP_3) | instid1(VALU_DEP_1)
	v_fmac_f32_e32 v157, v138, v114
	ds_load_2addr_b32 v[113:114], v2 offset0:97 offset1:98
	s_waitcnt lgkmcnt(3)
	v_fmac_f32_e32 v157, v139, v115
	v_fmac_f32_e32 v157, v140, v116
	s_waitcnt lgkmcnt(2)
	s_delay_alu instid0(VALU_DEP_1) | instskip(SKIP_1) | instid1(VALU_DEP_1)
	v_fmac_f32_e32 v157, v141, v117
	s_waitcnt vmcnt(3)
	v_fmac_f32_e32 v157, v142, v118
	ds_load_2addr_b32 v[115:116], v2 offset0:99 offset1:100
	ds_load_2addr_b32 v[117:118], v2 offset0:101 offset1:102
	s_waitcnt lgkmcnt(3)
	v_fmac_f32_e32 v157, v143, v111
	s_delay_alu instid0(VALU_DEP_1) | instskip(SKIP_4) | instid1(VALU_DEP_1)
	v_fmac_f32_e32 v157, v144, v112
	ds_load_2addr_b32 v[111:112], v2 offset0:103 offset1:104
	s_waitcnt lgkmcnt(3)
	v_fmac_f32_e32 v157, v145, v113
	s_waitcnt vmcnt(2)
	v_fmac_f32_e32 v157, v146, v114
	ds_load_2addr_b32 v[113:114], v2 offset0:105 offset1:106
	ds_load_2addr_b32 v[2:3], v2 offset0:107 offset1:108
	s_waitcnt lgkmcnt(4)
	v_fmac_f32_e32 v157, v147, v115
	s_delay_alu instid0(VALU_DEP_1) | instskip(SKIP_1) | instid1(VALU_DEP_1)
	v_fmac_f32_e32 v157, v148, v116
	s_waitcnt lgkmcnt(3)
	v_fmac_f32_e32 v157, v149, v117
	s_waitcnt vmcnt(1)
	s_delay_alu instid0(VALU_DEP_1) | instskip(SKIP_1) | instid1(VALU_DEP_1)
	v_fmac_f32_e32 v157, v150, v118
	s_waitcnt lgkmcnt(2)
	v_fmac_f32_e32 v157, v151, v111
	s_delay_alu instid0(VALU_DEP_1) | instskip(SKIP_1) | instid1(VALU_DEP_1)
	v_fmac_f32_e32 v157, v152, v112
	s_waitcnt lgkmcnt(1)
	v_fmac_f32_e32 v157, v153, v113
	s_waitcnt vmcnt(0)
	s_delay_alu instid0(VALU_DEP_1) | instskip(SKIP_1) | instid1(VALU_DEP_1)
	v_fmac_f32_e32 v157, v154, v114
	s_waitcnt lgkmcnt(0)
	v_fmac_f32_e32 v157, v155, v2
	s_delay_alu instid0(VALU_DEP_1) | instskip(NEXT) | instid1(VALU_DEP_1)
	v_fmac_f32_e32 v157, v156, v3
	v_sub_f32_e32 v2, v110, v157
	scratch_store_b32 off, v2, off offset:24
	v_cmpx_lt_u32_e32 5, v0
	s_cbranch_execz .LBB116_315
; %bb.314:
	scratch_load_b32 v2, off, off offset:20
	v_mov_b32_e32 v3, 0
	scratch_store_b32 off, v3, off offset:20
	s_waitcnt vmcnt(0)
	ds_store_b32 v1, v2
.LBB116_315:
	s_or_b32 exec_lo, exec_lo, s0
	s_waitcnt lgkmcnt(0)
	s_waitcnt_vscnt null, 0x0
	s_barrier
	buffer_gl0_inv
	s_clause 0xb
	scratch_load_b128 v[110:113], off, off offset:20
	scratch_load_b128 v[114:117], off, off offset:36
	;; [unrolled: 1-line block ×12, first 2 shown]
	v_mov_b32_e32 v2, 0
	ds_load_2addr_b64 v[158:161], v2 offset0:31 offset1:32
	ds_load_2addr_b64 v[162:165], v2 offset0:33 offset1:34
	s_mov_b32 s0, exec_lo
	s_waitcnt vmcnt(11) lgkmcnt(1)
	v_fma_f32 v3, v111, v158, 0
	s_delay_alu instid0(VALU_DEP_1) | instskip(NEXT) | instid1(VALU_DEP_1)
	v_fmac_f32_e32 v3, v112, v159
	v_fmac_f32_e32 v3, v113, v160
	s_waitcnt vmcnt(10)
	s_delay_alu instid0(VALU_DEP_1) | instskip(SKIP_3) | instid1(VALU_DEP_1)
	v_fmac_f32_e32 v3, v114, v161
	ds_load_2addr_b64 v[111:114], v2 offset0:35 offset1:36
	s_waitcnt lgkmcnt(1)
	v_fmac_f32_e32 v3, v115, v162
	v_fmac_f32_e32 v3, v116, v163
	s_delay_alu instid0(VALU_DEP_1) | instskip(SKIP_1) | instid1(VALU_DEP_1)
	v_fmac_f32_e32 v3, v117, v164
	s_waitcnt vmcnt(9)
	v_fmac_f32_e32 v3, v118, v165
	ds_load_2addr_b64 v[115:118], v2 offset0:37 offset1:38
	s_waitcnt lgkmcnt(1)
	v_fmac_f32_e32 v3, v119, v111
	s_delay_alu instid0(VALU_DEP_1) | instskip(NEXT) | instid1(VALU_DEP_1)
	v_fmac_f32_e32 v3, v120, v112
	v_fmac_f32_e32 v3, v121, v113
	s_waitcnt vmcnt(8)
	s_delay_alu instid0(VALU_DEP_1) | instskip(SKIP_3) | instid1(VALU_DEP_1)
	v_fmac_f32_e32 v3, v122, v114
	ds_load_2addr_b64 v[111:114], v2 offset0:39 offset1:40
	s_waitcnt lgkmcnt(1)
	v_fmac_f32_e32 v3, v123, v115
	v_fmac_f32_e32 v3, v124, v116
	s_delay_alu instid0(VALU_DEP_1) | instskip(SKIP_1) | instid1(VALU_DEP_1)
	v_fmac_f32_e32 v3, v125, v117
	s_waitcnt vmcnt(7)
	v_fmac_f32_e32 v3, v126, v118
	ds_load_2addr_b64 v[115:118], v2 offset0:41 offset1:42
	s_waitcnt lgkmcnt(1)
	v_fmac_f32_e32 v3, v127, v111
	;; [unrolled: 17-line block ×4, first 2 shown]
	s_delay_alu instid0(VALU_DEP_1) | instskip(NEXT) | instid1(VALU_DEP_1)
	v_fmac_f32_e32 v3, v144, v112
	v_fmac_f32_e32 v3, v145, v113
	s_waitcnt vmcnt(2)
	s_delay_alu instid0(VALU_DEP_1) | instskip(SKIP_3) | instid1(VALU_DEP_1)
	v_fmac_f32_e32 v3, v146, v114
	ds_load_2addr_b64 v[111:114], v2 offset0:51 offset1:52
	s_waitcnt lgkmcnt(1)
	v_fmac_f32_e32 v3, v147, v115
	v_fmac_f32_e32 v3, v148, v116
	ds_load_b64 v[115:116], v2 offset:424
	v_fmac_f32_e32 v3, v149, v117
	s_waitcnt vmcnt(1)
	s_delay_alu instid0(VALU_DEP_1) | instskip(SKIP_1) | instid1(VALU_DEP_1)
	v_fmac_f32_e32 v3, v150, v118
	s_waitcnt lgkmcnt(1)
	v_fmac_f32_e32 v3, v151, v111
	ds_load_b32 v111, v2 offset:432
	v_fmac_f32_e32 v3, v152, v112
	s_delay_alu instid0(VALU_DEP_1) | instskip(SKIP_1) | instid1(VALU_DEP_1)
	v_fmac_f32_e32 v3, v153, v113
	s_waitcnt vmcnt(0)
	v_fmac_f32_e32 v3, v154, v114
	s_waitcnt lgkmcnt(1)
	s_delay_alu instid0(VALU_DEP_1) | instskip(NEXT) | instid1(VALU_DEP_1)
	v_fmac_f32_e32 v3, v155, v115
	v_fmac_f32_e32 v3, v156, v116
	s_waitcnt lgkmcnt(0)
	s_delay_alu instid0(VALU_DEP_1) | instskip(NEXT) | instid1(VALU_DEP_1)
	v_fmac_f32_e32 v3, v157, v111
	v_sub_f32_e32 v3, v110, v3
	scratch_store_b32 off, v3, off offset:20
	v_cmpx_lt_u32_e32 4, v0
	s_cbranch_execz .LBB116_317
; %bb.316:
	scratch_load_b32 v3, off, off offset:16
	scratch_store_b32 off, v2, off offset:16
	s_waitcnt vmcnt(0)
	ds_store_b32 v1, v3
.LBB116_317:
	s_or_b32 exec_lo, exec_lo, s0
	s_waitcnt lgkmcnt(0)
	s_waitcnt_vscnt null, 0x0
	s_barrier
	buffer_gl0_inv
	s_clause 0xc
	scratch_load_b128 v[110:113], off, off offset:16
	scratch_load_b128 v[114:117], off, off offset:32
	;; [unrolled: 1-line block ×12, first 2 shown]
	scratch_load_b32 v166, off, off offset:208
	ds_load_2addr_b32 v[158:159], v2 offset0:61 offset1:62
	ds_load_2addr_b32 v[160:161], v2 offset0:63 offset1:64
	;; [unrolled: 1-line block ×4, first 2 shown]
	s_mov_b32 s0, exec_lo
	s_waitcnt vmcnt(12) lgkmcnt(3)
	v_fma_f32 v158, v111, v158, 0
	s_delay_alu instid0(VALU_DEP_1) | instskip(SKIP_4) | instid1(VALU_DEP_1)
	v_fmac_f32_e32 v158, v112, v159
	ds_load_2addr_b32 v[111:112], v2 offset0:69 offset1:70
	s_waitcnt lgkmcnt(3)
	v_fmac_f32_e32 v158, v113, v160
	s_waitcnt vmcnt(11)
	v_fmac_f32_e32 v158, v114, v161
	ds_load_2addr_b32 v[113:114], v2 offset0:71 offset1:72
	s_waitcnt lgkmcnt(3)
	v_fmac_f32_e32 v158, v115, v162
	s_delay_alu instid0(VALU_DEP_1) | instskip(SKIP_1) | instid1(VALU_DEP_1)
	v_fmac_f32_e32 v158, v116, v163
	s_waitcnt lgkmcnt(2)
	v_fmac_f32_e32 v158, v117, v164
	s_waitcnt vmcnt(10)
	s_delay_alu instid0(VALU_DEP_1) | instskip(SKIP_4) | instid1(VALU_DEP_1)
	v_fmac_f32_e32 v158, v118, v165
	ds_load_2addr_b32 v[115:116], v2 offset0:73 offset1:74
	ds_load_2addr_b32 v[117:118], v2 offset0:75 offset1:76
	s_waitcnt lgkmcnt(3)
	v_fmac_f32_e32 v158, v119, v111
	v_fmac_f32_e32 v158, v120, v112
	ds_load_2addr_b32 v[111:112], v2 offset0:77 offset1:78
	s_waitcnt lgkmcnt(3)
	v_fmac_f32_e32 v158, v121, v113
	s_waitcnt vmcnt(9)
	s_delay_alu instid0(VALU_DEP_1) | instskip(SKIP_3) | instid1(VALU_DEP_1)
	v_fmac_f32_e32 v158, v122, v114
	ds_load_2addr_b32 v[113:114], v2 offset0:79 offset1:80
	s_waitcnt lgkmcnt(3)
	v_fmac_f32_e32 v158, v123, v115
	v_fmac_f32_e32 v158, v124, v116
	s_waitcnt lgkmcnt(2)
	s_delay_alu instid0(VALU_DEP_1) | instskip(SKIP_1) | instid1(VALU_DEP_1)
	v_fmac_f32_e32 v158, v125, v117
	s_waitcnt vmcnt(8)
	v_fmac_f32_e32 v158, v126, v118
	ds_load_2addr_b32 v[115:116], v2 offset0:81 offset1:82
	ds_load_2addr_b32 v[117:118], v2 offset0:83 offset1:84
	s_waitcnt lgkmcnt(3)
	v_fmac_f32_e32 v158, v127, v111
	s_delay_alu instid0(VALU_DEP_1) | instskip(SKIP_4) | instid1(VALU_DEP_1)
	v_fmac_f32_e32 v158, v128, v112
	ds_load_2addr_b32 v[111:112], v2 offset0:85 offset1:86
	s_waitcnt lgkmcnt(3)
	v_fmac_f32_e32 v158, v129, v113
	s_waitcnt vmcnt(7)
	v_fmac_f32_e32 v158, v130, v114
	ds_load_2addr_b32 v[113:114], v2 offset0:87 offset1:88
	s_waitcnt lgkmcnt(3)
	v_fmac_f32_e32 v158, v131, v115
	s_delay_alu instid0(VALU_DEP_1) | instskip(SKIP_1) | instid1(VALU_DEP_1)
	v_fmac_f32_e32 v158, v132, v116
	s_waitcnt lgkmcnt(2)
	v_fmac_f32_e32 v158, v133, v117
	s_waitcnt vmcnt(6)
	s_delay_alu instid0(VALU_DEP_1) | instskip(SKIP_4) | instid1(VALU_DEP_1)
	v_fmac_f32_e32 v158, v134, v118
	ds_load_2addr_b32 v[115:116], v2 offset0:89 offset1:90
	ds_load_2addr_b32 v[117:118], v2 offset0:91 offset1:92
	s_waitcnt lgkmcnt(3)
	v_fmac_f32_e32 v158, v135, v111
	v_fmac_f32_e32 v158, v136, v112
	ds_load_2addr_b32 v[111:112], v2 offset0:93 offset1:94
	s_waitcnt lgkmcnt(3)
	v_fmac_f32_e32 v158, v137, v113
	s_waitcnt vmcnt(5)
	s_delay_alu instid0(VALU_DEP_1) | instskip(SKIP_3) | instid1(VALU_DEP_1)
	v_fmac_f32_e32 v158, v138, v114
	ds_load_2addr_b32 v[113:114], v2 offset0:95 offset1:96
	s_waitcnt lgkmcnt(3)
	v_fmac_f32_e32 v158, v139, v115
	v_fmac_f32_e32 v158, v140, v116
	s_waitcnt lgkmcnt(2)
	s_delay_alu instid0(VALU_DEP_1) | instskip(SKIP_1) | instid1(VALU_DEP_1)
	v_fmac_f32_e32 v158, v141, v117
	s_waitcnt vmcnt(4)
	v_fmac_f32_e32 v158, v142, v118
	ds_load_2addr_b32 v[115:116], v2 offset0:97 offset1:98
	ds_load_2addr_b32 v[117:118], v2 offset0:99 offset1:100
	s_waitcnt lgkmcnt(3)
	v_fmac_f32_e32 v158, v143, v111
	s_delay_alu instid0(VALU_DEP_1) | instskip(SKIP_4) | instid1(VALU_DEP_1)
	v_fmac_f32_e32 v158, v144, v112
	ds_load_2addr_b32 v[111:112], v2 offset0:101 offset1:102
	s_waitcnt lgkmcnt(3)
	v_fmac_f32_e32 v158, v145, v113
	s_waitcnt vmcnt(3)
	v_fmac_f32_e32 v158, v146, v114
	ds_load_2addr_b32 v[113:114], v2 offset0:103 offset1:104
	s_waitcnt lgkmcnt(3)
	v_fmac_f32_e32 v158, v147, v115
	s_delay_alu instid0(VALU_DEP_1)
	v_fmac_f32_e32 v158, v148, v116
	ds_load_2addr_b32 v[115:116], v2 offset0:105 offset1:106
	ds_load_2addr_b32 v[2:3], v2 offset0:107 offset1:108
	s_waitcnt lgkmcnt(4)
	v_fmac_f32_e32 v158, v149, v117
	s_waitcnt vmcnt(2)
	s_delay_alu instid0(VALU_DEP_1) | instskip(SKIP_1) | instid1(VALU_DEP_1)
	v_fmac_f32_e32 v158, v150, v118
	s_waitcnt lgkmcnt(3)
	v_fmac_f32_e32 v158, v151, v111
	s_delay_alu instid0(VALU_DEP_1) | instskip(SKIP_1) | instid1(VALU_DEP_1)
	v_fmac_f32_e32 v158, v152, v112
	s_waitcnt lgkmcnt(2)
	v_fmac_f32_e32 v158, v153, v113
	s_waitcnt vmcnt(1)
	s_delay_alu instid0(VALU_DEP_1) | instskip(SKIP_1) | instid1(VALU_DEP_1)
	v_fmac_f32_e32 v158, v154, v114
	s_waitcnt lgkmcnt(1)
	v_fmac_f32_e32 v158, v155, v115
	s_delay_alu instid0(VALU_DEP_1) | instskip(SKIP_1) | instid1(VALU_DEP_1)
	v_fmac_f32_e32 v158, v156, v116
	s_waitcnt lgkmcnt(0)
	v_fmac_f32_e32 v158, v157, v2
	s_waitcnt vmcnt(0)
	s_delay_alu instid0(VALU_DEP_1) | instskip(NEXT) | instid1(VALU_DEP_1)
	v_fmac_f32_e32 v158, v166, v3
	v_sub_f32_e32 v2, v110, v158
	scratch_store_b32 off, v2, off offset:16
	v_cmpx_lt_u32_e32 3, v0
	s_cbranch_execz .LBB116_319
; %bb.318:
	scratch_load_b32 v2, off, off offset:12
	v_mov_b32_e32 v3, 0
	scratch_store_b32 off, v3, off offset:12
	s_waitcnt vmcnt(0)
	ds_store_b32 v1, v2
.LBB116_319:
	s_or_b32 exec_lo, exec_lo, s0
	s_waitcnt lgkmcnt(0)
	s_waitcnt_vscnt null, 0x0
	s_barrier
	buffer_gl0_inv
	s_clause 0xc
	scratch_load_b128 v[110:113], off, off offset:12
	scratch_load_b128 v[114:117], off, off offset:28
	;; [unrolled: 1-line block ×12, first 2 shown]
	scratch_load_b64 v[166:167], off, off offset:204
	v_mov_b32_e32 v2, 0
	ds_load_b128 v[158:161], v2 offset:240
	ds_load_b128 v[162:165], v2 offset:256
	s_mov_b32 s0, exec_lo
	s_waitcnt vmcnt(12) lgkmcnt(1)
	v_fma_f32 v3, v111, v158, 0
	s_delay_alu instid0(VALU_DEP_1) | instskip(NEXT) | instid1(VALU_DEP_1)
	v_fmac_f32_e32 v3, v112, v159
	v_fmac_f32_e32 v3, v113, v160
	s_waitcnt vmcnt(11)
	s_delay_alu instid0(VALU_DEP_1) | instskip(SKIP_3) | instid1(VALU_DEP_1)
	v_fmac_f32_e32 v3, v114, v161
	ds_load_b128 v[111:114], v2 offset:272
	s_waitcnt lgkmcnt(1)
	v_fmac_f32_e32 v3, v115, v162
	v_fmac_f32_e32 v3, v116, v163
	s_delay_alu instid0(VALU_DEP_1) | instskip(SKIP_1) | instid1(VALU_DEP_1)
	v_fmac_f32_e32 v3, v117, v164
	s_waitcnt vmcnt(10)
	v_fmac_f32_e32 v3, v118, v165
	ds_load_b128 v[115:118], v2 offset:288
	s_waitcnt lgkmcnt(1)
	v_fmac_f32_e32 v3, v119, v111
	s_delay_alu instid0(VALU_DEP_1) | instskip(NEXT) | instid1(VALU_DEP_1)
	v_fmac_f32_e32 v3, v120, v112
	v_fmac_f32_e32 v3, v121, v113
	s_waitcnt vmcnt(9)
	s_delay_alu instid0(VALU_DEP_1) | instskip(SKIP_3) | instid1(VALU_DEP_1)
	v_fmac_f32_e32 v3, v122, v114
	ds_load_b128 v[111:114], v2 offset:304
	s_waitcnt lgkmcnt(1)
	v_fmac_f32_e32 v3, v123, v115
	v_fmac_f32_e32 v3, v124, v116
	s_delay_alu instid0(VALU_DEP_1) | instskip(SKIP_1) | instid1(VALU_DEP_1)
	v_fmac_f32_e32 v3, v125, v117
	s_waitcnt vmcnt(8)
	v_fmac_f32_e32 v3, v126, v118
	ds_load_b128 v[115:118], v2 offset:320
	s_waitcnt lgkmcnt(1)
	v_fmac_f32_e32 v3, v127, v111
	;; [unrolled: 17-line block ×5, first 2 shown]
	ds_load_b32 v111, v2 offset:432
	v_fmac_f32_e32 v3, v152, v112
	s_delay_alu instid0(VALU_DEP_1) | instskip(SKIP_1) | instid1(VALU_DEP_1)
	v_fmac_f32_e32 v3, v153, v113
	s_waitcnt vmcnt(1)
	v_fmac_f32_e32 v3, v154, v114
	s_waitcnt lgkmcnt(1)
	s_delay_alu instid0(VALU_DEP_1) | instskip(NEXT) | instid1(VALU_DEP_1)
	v_fmac_f32_e32 v3, v155, v115
	v_fmac_f32_e32 v3, v156, v116
	s_delay_alu instid0(VALU_DEP_1) | instskip(SKIP_1) | instid1(VALU_DEP_1)
	v_fmac_f32_e32 v3, v157, v117
	s_waitcnt vmcnt(0)
	v_fmac_f32_e32 v3, v166, v118
	s_waitcnt lgkmcnt(0)
	s_delay_alu instid0(VALU_DEP_1) | instskip(NEXT) | instid1(VALU_DEP_1)
	v_fmac_f32_e32 v3, v167, v111
	v_sub_f32_e32 v3, v110, v3
	scratch_store_b32 off, v3, off offset:12
	v_cmpx_lt_u32_e32 2, v0
	s_cbranch_execz .LBB116_321
; %bb.320:
	scratch_load_b32 v3, off, off offset:8
	scratch_store_b32 off, v2, off offset:8
	s_waitcnt vmcnt(0)
	ds_store_b32 v1, v3
.LBB116_321:
	s_or_b32 exec_lo, exec_lo, s0
	s_waitcnt lgkmcnt(0)
	s_waitcnt_vscnt null, 0x0
	s_barrier
	buffer_gl0_inv
	s_clause 0xc
	scratch_load_b128 v[110:113], off, off offset:8
	scratch_load_b128 v[114:117], off, off offset:24
	;; [unrolled: 1-line block ×12, first 2 shown]
	scratch_load_b96 v[158:160], off, off offset:200
	ds_load_2addr_b32 v[161:162], v2 offset0:59 offset1:60
	ds_load_2addr_b32 v[163:164], v2 offset0:61 offset1:62
	;; [unrolled: 1-line block ×3, first 2 shown]
	s_mov_b32 s0, exec_lo
	s_waitcnt vmcnt(12) lgkmcnt(2)
	v_fma_f32 v161, v111, v161, 0
	s_delay_alu instid0(VALU_DEP_1) | instskip(SKIP_4) | instid1(VALU_DEP_1)
	v_fmac_f32_e32 v161, v112, v162
	ds_load_2addr_b32 v[111:112], v2 offset0:65 offset1:66
	s_waitcnt lgkmcnt(2)
	v_fmac_f32_e32 v161, v113, v163
	s_waitcnt vmcnt(11)
	v_fmac_f32_e32 v161, v114, v164
	ds_load_2addr_b32 v[113:114], v2 offset0:67 offset1:68
	s_waitcnt lgkmcnt(2)
	v_fmac_f32_e32 v161, v115, v165
	s_delay_alu instid0(VALU_DEP_1) | instskip(SKIP_4) | instid1(VALU_DEP_1)
	v_fmac_f32_e32 v161, v116, v166
	ds_load_2addr_b32 v[115:116], v2 offset0:69 offset1:70
	s_waitcnt lgkmcnt(2)
	v_fmac_f32_e32 v161, v117, v111
	s_waitcnt vmcnt(10)
	v_fmac_f32_e32 v161, v118, v112
	ds_load_2addr_b32 v[111:112], v2 offset0:71 offset1:72
	s_waitcnt lgkmcnt(2)
	v_fmac_f32_e32 v161, v119, v113
	;; [unrolled: 10-line block ×10, first 2 shown]
	s_delay_alu instid0(VALU_DEP_1)
	v_fmac_f32_e32 v161, v152, v116
	ds_load_2addr_b32 v[115:116], v2 offset0:105 offset1:106
	ds_load_2addr_b32 v[2:3], v2 offset0:107 offset1:108
	s_waitcnt lgkmcnt(3)
	v_fmac_f32_e32 v161, v153, v111
	s_waitcnt vmcnt(1)
	s_delay_alu instid0(VALU_DEP_1) | instskip(SKIP_1) | instid1(VALU_DEP_1)
	v_fmac_f32_e32 v161, v154, v112
	s_waitcnt lgkmcnt(2)
	v_fmac_f32_e32 v161, v155, v113
	s_delay_alu instid0(VALU_DEP_1) | instskip(SKIP_1) | instid1(VALU_DEP_1)
	v_fmac_f32_e32 v161, v156, v114
	s_waitcnt lgkmcnt(1)
	v_fmac_f32_e32 v161, v157, v115
	s_waitcnt vmcnt(0)
	s_delay_alu instid0(VALU_DEP_1) | instskip(SKIP_1) | instid1(VALU_DEP_1)
	v_fmac_f32_e32 v161, v158, v116
	s_waitcnt lgkmcnt(0)
	v_fmac_f32_e32 v161, v159, v2
	s_delay_alu instid0(VALU_DEP_1) | instskip(NEXT) | instid1(VALU_DEP_1)
	v_fmac_f32_e32 v161, v160, v3
	v_sub_f32_e32 v2, v110, v161
	scratch_store_b32 off, v2, off offset:8
	v_cmpx_lt_u32_e32 1, v0
	s_cbranch_execz .LBB116_323
; %bb.322:
	scratch_load_b32 v2, off, off offset:4
	v_mov_b32_e32 v3, 0
	scratch_store_b32 off, v3, off offset:4
	s_waitcnt vmcnt(0)
	ds_store_b32 v1, v2
.LBB116_323:
	s_or_b32 exec_lo, exec_lo, s0
	s_waitcnt lgkmcnt(0)
	s_waitcnt_vscnt null, 0x0
	s_barrier
	buffer_gl0_inv
	s_clause 0xc
	scratch_load_b128 v[111:114], off, off offset:4
	scratch_load_b128 v[115:118], off, off offset:20
	;; [unrolled: 1-line block ×13, first 2 shown]
	v_mov_b32_e32 v110, 0
	ds_load_2addr_b64 v[163:166], v110 offset0:29 offset1:30
	ds_load_2addr_b64 v[167:170], v110 offset0:31 offset1:32
	s_mov_b32 s0, exec_lo
	s_waitcnt vmcnt(12) lgkmcnt(1)
	v_fma_f32 v163, v112, v163, 0
	s_delay_alu instid0(VALU_DEP_1) | instskip(SKIP_3) | instid1(VALU_DEP_1)
	v_fmac_f32_e32 v163, v113, v164
	ds_load_b64 v[2:3], v110 offset:424
	v_fmac_f32_e32 v163, v114, v165
	s_waitcnt vmcnt(11)
	v_fmac_f32_e32 v163, v115, v166
	ds_load_2addr_b64 v[112:115], v110 offset0:33 offset1:34
	s_waitcnt lgkmcnt(2)
	v_fmac_f32_e32 v163, v116, v167
	s_delay_alu instid0(VALU_DEP_1) | instskip(NEXT) | instid1(VALU_DEP_1)
	v_fmac_f32_e32 v163, v117, v168
	v_fmac_f32_e32 v163, v118, v169
	s_waitcnt vmcnt(10)
	s_delay_alu instid0(VALU_DEP_1) | instskip(SKIP_3) | instid1(VALU_DEP_1)
	v_fmac_f32_e32 v163, v119, v170
	ds_load_2addr_b64 v[116:119], v110 offset0:35 offset1:36
	s_waitcnt lgkmcnt(1)
	v_fmac_f32_e32 v163, v120, v112
	v_fmac_f32_e32 v163, v121, v113
	s_delay_alu instid0(VALU_DEP_1) | instskip(SKIP_1) | instid1(VALU_DEP_1)
	v_fmac_f32_e32 v163, v122, v114
	s_waitcnt vmcnt(9)
	v_fmac_f32_e32 v163, v123, v115
	ds_load_2addr_b64 v[112:115], v110 offset0:37 offset1:38
	s_waitcnt lgkmcnt(1)
	v_fmac_f32_e32 v163, v124, v116
	s_delay_alu instid0(VALU_DEP_1) | instskip(NEXT) | instid1(VALU_DEP_1)
	v_fmac_f32_e32 v163, v125, v117
	v_fmac_f32_e32 v163, v126, v118
	s_waitcnt vmcnt(8)
	s_delay_alu instid0(VALU_DEP_1) | instskip(SKIP_3) | instid1(VALU_DEP_1)
	v_fmac_f32_e32 v163, v127, v119
	ds_load_2addr_b64 v[116:119], v110 offset0:39 offset1:40
	s_waitcnt lgkmcnt(1)
	v_fmac_f32_e32 v163, v128, v112
	v_fmac_f32_e32 v163, v129, v113
	s_delay_alu instid0(VALU_DEP_1) | instskip(SKIP_1) | instid1(VALU_DEP_1)
	;; [unrolled: 17-line block ×4, first 2 shown]
	v_fmac_f32_e32 v163, v146, v114
	s_waitcnt vmcnt(3)
	v_fmac_f32_e32 v163, v147, v115
	ds_load_2addr_b64 v[112:115], v110 offset0:49 offset1:50
	s_waitcnt lgkmcnt(1)
	v_fmac_f32_e32 v163, v148, v116
	s_delay_alu instid0(VALU_DEP_1) | instskip(NEXT) | instid1(VALU_DEP_1)
	v_fmac_f32_e32 v163, v149, v117
	v_fmac_f32_e32 v163, v150, v118
	s_waitcnt vmcnt(2)
	s_delay_alu instid0(VALU_DEP_1)
	v_fmac_f32_e32 v163, v151, v119
	ds_load_2addr_b64 v[116:119], v110 offset0:51 offset1:52
	s_waitcnt lgkmcnt(1)
	v_fmac_f32_e32 v163, v152, v112
	ds_load_b32 v112, v110 offset:432
	v_fmac_f32_e32 v163, v153, v113
	s_delay_alu instid0(VALU_DEP_1) | instskip(SKIP_1) | instid1(VALU_DEP_1)
	v_fmac_f32_e32 v163, v154, v114
	s_waitcnt vmcnt(1)
	v_fmac_f32_e32 v163, v155, v115
	s_waitcnt lgkmcnt(1)
	s_delay_alu instid0(VALU_DEP_1) | instskip(NEXT) | instid1(VALU_DEP_1)
	v_fmac_f32_e32 v163, v156, v116
	v_fmac_f32_e32 v163, v157, v117
	s_delay_alu instid0(VALU_DEP_1) | instskip(SKIP_1) | instid1(VALU_DEP_1)
	v_fmac_f32_e32 v163, v158, v118
	s_waitcnt vmcnt(0)
	v_fmac_f32_e32 v163, v159, v119
	s_delay_alu instid0(VALU_DEP_1) | instskip(NEXT) | instid1(VALU_DEP_1)
	v_fmac_f32_e32 v163, v160, v2
	v_fmac_f32_e32 v163, v161, v3
	s_waitcnt lgkmcnt(0)
	s_delay_alu instid0(VALU_DEP_1) | instskip(NEXT) | instid1(VALU_DEP_1)
	v_fmac_f32_e32 v163, v162, v112
	v_sub_f32_e32 v2, v111, v163
	scratch_store_b32 off, v2, off offset:4
	v_cmpx_ne_u32_e32 0, v0
	s_cbranch_execz .LBB116_325
; %bb.324:
	scratch_load_b32 v0, off, off
	scratch_store_b32 off, v110, off
	s_waitcnt vmcnt(0)
	ds_store_b32 v1, v0
.LBB116_325:
	s_or_b32 exec_lo, exec_lo, s0
	s_waitcnt lgkmcnt(0)
	s_waitcnt_vscnt null, 0x0
	s_barrier
	buffer_gl0_inv
	s_clause 0xd
	scratch_load_b128 v[111:114], off, off
	scratch_load_b128 v[115:118], off, off offset:16
	scratch_load_b128 v[119:122], off, off offset:32
	;; [unrolled: 1-line block ×12, first 2 shown]
	scratch_load_b32 v167, off, off offset:208
	ds_load_2addr_b32 v[159:160], v110 offset0:57 offset1:58
	ds_load_2addr_b32 v[161:162], v110 offset0:59 offset1:60
	;; [unrolled: 1-line block ×4, first 2 shown]
	s_and_b32 vcc_lo, exec_lo, s12
	s_waitcnt vmcnt(13) lgkmcnt(3)
	v_fma_f32 v159, v112, v159, 0
	s_delay_alu instid0(VALU_DEP_1) | instskip(SKIP_4) | instid1(VALU_DEP_1)
	v_fmac_f32_e32 v159, v113, v160
	ds_load_2addr_b32 v[112:113], v110 offset0:65 offset1:66
	s_waitcnt lgkmcnt(3)
	v_fmac_f32_e32 v159, v114, v161
	s_waitcnt vmcnt(12)
	v_fmac_f32_e32 v159, v115, v162
	ds_load_2addr_b32 v[114:115], v110 offset0:67 offset1:68
	s_waitcnt lgkmcnt(3)
	v_fmac_f32_e32 v159, v116, v163
	s_delay_alu instid0(VALU_DEP_1) | instskip(SKIP_1) | instid1(VALU_DEP_1)
	v_fmac_f32_e32 v159, v117, v164
	s_waitcnt lgkmcnt(2)
	v_fmac_f32_e32 v159, v118, v165
	s_waitcnt vmcnt(11)
	s_delay_alu instid0(VALU_DEP_1) | instskip(SKIP_4) | instid1(VALU_DEP_1)
	v_fmac_f32_e32 v159, v119, v166
	ds_load_2addr_b32 v[116:117], v110 offset0:69 offset1:70
	ds_load_2addr_b32 v[118:119], v110 offset0:71 offset1:72
	s_waitcnt lgkmcnt(3)
	v_fmac_f32_e32 v159, v120, v112
	v_fmac_f32_e32 v159, v121, v113
	ds_load_2addr_b32 v[112:113], v110 offset0:73 offset1:74
	s_waitcnt lgkmcnt(3)
	v_fmac_f32_e32 v159, v122, v114
	s_waitcnt vmcnt(10)
	s_delay_alu instid0(VALU_DEP_1) | instskip(SKIP_3) | instid1(VALU_DEP_1)
	v_fmac_f32_e32 v159, v123, v115
	ds_load_2addr_b32 v[114:115], v110 offset0:75 offset1:76
	s_waitcnt lgkmcnt(3)
	v_fmac_f32_e32 v159, v124, v116
	v_fmac_f32_e32 v159, v125, v117
	s_waitcnt lgkmcnt(2)
	s_delay_alu instid0(VALU_DEP_1) | instskip(SKIP_1) | instid1(VALU_DEP_1)
	v_fmac_f32_e32 v159, v126, v118
	s_waitcnt vmcnt(9)
	v_fmac_f32_e32 v159, v127, v119
	ds_load_2addr_b32 v[116:117], v110 offset0:77 offset1:78
	ds_load_2addr_b32 v[118:119], v110 offset0:79 offset1:80
	s_waitcnt lgkmcnt(3)
	v_fmac_f32_e32 v159, v128, v112
	s_delay_alu instid0(VALU_DEP_1) | instskip(SKIP_4) | instid1(VALU_DEP_1)
	v_fmac_f32_e32 v159, v129, v113
	ds_load_2addr_b32 v[112:113], v110 offset0:81 offset1:82
	s_waitcnt lgkmcnt(3)
	v_fmac_f32_e32 v159, v130, v114
	s_waitcnt vmcnt(8)
	v_fmac_f32_e32 v159, v131, v115
	ds_load_2addr_b32 v[114:115], v110 offset0:83 offset1:84
	s_waitcnt lgkmcnt(3)
	v_fmac_f32_e32 v159, v132, v116
	s_delay_alu instid0(VALU_DEP_1) | instskip(SKIP_1) | instid1(VALU_DEP_1)
	v_fmac_f32_e32 v159, v133, v117
	s_waitcnt lgkmcnt(2)
	v_fmac_f32_e32 v159, v134, v118
	s_waitcnt vmcnt(7)
	s_delay_alu instid0(VALU_DEP_1) | instskip(SKIP_4) | instid1(VALU_DEP_1)
	v_fmac_f32_e32 v159, v135, v119
	ds_load_2addr_b32 v[116:117], v110 offset0:85 offset1:86
	ds_load_2addr_b32 v[118:119], v110 offset0:87 offset1:88
	s_waitcnt lgkmcnt(3)
	v_fmac_f32_e32 v159, v136, v112
	v_fmac_f32_e32 v159, v137, v113
	ds_load_2addr_b32 v[112:113], v110 offset0:89 offset1:90
	s_waitcnt lgkmcnt(3)
	v_fmac_f32_e32 v159, v138, v114
	s_waitcnt vmcnt(6)
	s_delay_alu instid0(VALU_DEP_1) | instskip(SKIP_3) | instid1(VALU_DEP_1)
	v_fmac_f32_e32 v159, v139, v115
	ds_load_2addr_b32 v[114:115], v110 offset0:91 offset1:92
	s_waitcnt lgkmcnt(3)
	v_fmac_f32_e32 v159, v140, v116
	v_fmac_f32_e32 v159, v141, v117
	s_waitcnt lgkmcnt(2)
	s_delay_alu instid0(VALU_DEP_1) | instskip(SKIP_1) | instid1(VALU_DEP_1)
	v_fmac_f32_e32 v159, v142, v118
	s_waitcnt vmcnt(5)
	v_fmac_f32_e32 v159, v143, v119
	ds_load_2addr_b32 v[116:117], v110 offset0:93 offset1:94
	ds_load_2addr_b32 v[118:119], v110 offset0:95 offset1:96
	s_waitcnt lgkmcnt(3)
	v_fmac_f32_e32 v159, v144, v112
	s_delay_alu instid0(VALU_DEP_1) | instskip(SKIP_4) | instid1(VALU_DEP_1)
	v_fmac_f32_e32 v159, v145, v113
	ds_load_2addr_b32 v[112:113], v110 offset0:97 offset1:98
	s_waitcnt lgkmcnt(3)
	v_fmac_f32_e32 v159, v146, v114
	s_waitcnt vmcnt(4)
	v_fmac_f32_e32 v159, v147, v115
	ds_load_2addr_b32 v[114:115], v110 offset0:99 offset1:100
	s_waitcnt lgkmcnt(3)
	v_fmac_f32_e32 v159, v148, v116
	s_delay_alu instid0(VALU_DEP_1) | instskip(SKIP_1) | instid1(VALU_DEP_1)
	v_fmac_f32_e32 v159, v149, v117
	s_waitcnt lgkmcnt(2)
	v_fmac_f32_e32 v159, v150, v118
	s_waitcnt vmcnt(3)
	s_delay_alu instid0(VALU_DEP_1) | instskip(SKIP_4) | instid1(VALU_DEP_1)
	v_fmac_f32_e32 v159, v151, v119
	ds_load_2addr_b32 v[116:117], v110 offset0:101 offset1:102
	ds_load_2addr_b32 v[118:119], v110 offset0:103 offset1:104
	s_waitcnt lgkmcnt(3)
	v_fmac_f32_e32 v159, v152, v112
	v_fmac_f32_e32 v159, v153, v113
	ds_load_2addr_b32 v[112:113], v110 offset0:105 offset1:106
	s_waitcnt lgkmcnt(3)
	v_fmac_f32_e32 v159, v154, v114
	s_waitcnt vmcnt(2)
	s_delay_alu instid0(VALU_DEP_1) | instskip(SKIP_3) | instid1(VALU_DEP_1)
	v_fmac_f32_e32 v159, v155, v115
	ds_load_2addr_b32 v[114:115], v110 offset0:107 offset1:108
	s_waitcnt lgkmcnt(3)
	v_fmac_f32_e32 v159, v156, v116
	v_fmac_f32_e32 v159, v157, v117
	s_waitcnt lgkmcnt(2)
	s_delay_alu instid0(VALU_DEP_1) | instskip(SKIP_1) | instid1(VALU_DEP_1)
	v_fmac_f32_e32 v159, v158, v118
	s_waitcnt vmcnt(1)
	v_fmac_f32_e32 v159, v0, v119
	s_waitcnt lgkmcnt(1)
	s_delay_alu instid0(VALU_DEP_1) | instskip(NEXT) | instid1(VALU_DEP_1)
	v_fmac_f32_e32 v159, v1, v112
	v_fmac_f32_e32 v159, v2, v113
	s_waitcnt lgkmcnt(0)
	s_delay_alu instid0(VALU_DEP_1) | instskip(SKIP_1) | instid1(VALU_DEP_1)
	v_fmac_f32_e32 v159, v3, v114
	s_waitcnt vmcnt(0)
	v_fmac_f32_e32 v159, v167, v115
	s_delay_alu instid0(VALU_DEP_1)
	v_sub_f32_e32 v0, v111, v159
	scratch_store_b32 off, v0, off
	s_cbranch_vccz .LBB116_431
; %bb.326:
	v_dual_mov_b32 v0, s2 :: v_dual_mov_b32 v1, s3
	s_mov_b32 s0, exec_lo
	flat_load_b32 v0, v[0:1] offset:204
	s_waitcnt vmcnt(0) lgkmcnt(0)
	v_cmpx_ne_u32_e32 52, v0
	s_cbranch_execz .LBB116_328
; %bb.327:
	v_lshl_add_u32 v0, v0, 2, 0
	scratch_load_b32 v1, v0, off offset:-4
	s_waitcnt vmcnt(0)
	scratch_store_b32 off, v1, off offset:204
	scratch_store_b32 v0, v3, off offset:-4
.LBB116_328:
	s_or_b32 exec_lo, exec_lo, s0
	v_dual_mov_b32 v0, s2 :: v_dual_mov_b32 v1, s3
	s_mov_b32 s0, exec_lo
	flat_load_b32 v0, v[0:1] offset:200
	s_waitcnt vmcnt(0) lgkmcnt(0)
	v_cmpx_ne_u32_e32 51, v0
	s_cbranch_execz .LBB116_330
; %bb.329:
	v_lshl_add_u32 v0, v0, 2, 0
	scratch_load_b32 v1, v0, off offset:-4
	scratch_load_b32 v2, off, off offset:200
	s_waitcnt vmcnt(1)
	scratch_store_b32 off, v1, off offset:200
	s_waitcnt vmcnt(0)
	scratch_store_b32 v0, v2, off offset:-4
.LBB116_330:
	s_or_b32 exec_lo, exec_lo, s0
	v_dual_mov_b32 v0, s2 :: v_dual_mov_b32 v1, s3
	s_mov_b32 s0, exec_lo
	flat_load_b32 v0, v[0:1] offset:196
	s_waitcnt vmcnt(0) lgkmcnt(0)
	v_cmpx_ne_u32_e32 50, v0
	s_cbranch_execz .LBB116_332
; %bb.331:
	v_lshl_add_u32 v0, v0, 2, 0
	scratch_load_b32 v1, v0, off offset:-4
	scratch_load_b32 v2, off, off offset:196
	s_waitcnt vmcnt(1)
	scratch_store_b32 off, v1, off offset:196
	s_waitcnt vmcnt(0)
	scratch_store_b32 v0, v2, off offset:-4
.LBB116_332:
	;; [unrolled: 16-line block ×50, first 2 shown]
	s_or_b32 exec_lo, exec_lo, s0
	v_dual_mov_b32 v0, s2 :: v_dual_mov_b32 v1, s3
	s_mov_b32 s0, exec_lo
	flat_load_b32 v1, v[0:1]
	scratch_load_b32 v0, off, off
	s_waitcnt vmcnt(1) lgkmcnt(0)
	v_cmpx_ne_u32_e32 1, v1
	s_cbranch_execz .LBB116_430
; %bb.429:
	v_lshl_add_u32 v1, v1, 2, 0
	scratch_load_b32 v2, v1, off offset:-4
	s_waitcnt vmcnt(0)
	scratch_store_b32 off, v2, off
	scratch_store_b32 v1, v0, off offset:-4
	scratch_load_b32 v0, off, off
.LBB116_430:
	s_or_b32 exec_lo, exec_lo, s0
.LBB116_431:
	s_clause 0xc
	scratch_load_b128 v[110:113], off, off offset:4
	scratch_load_b128 v[114:117], off, off offset:20
	;; [unrolled: 1-line block ×13, first 2 shown]
	s_waitcnt vmcnt(13)
	global_store_b32 v[4:5], v0, off
	s_waitcnt vmcnt(12)
	s_clause 0x3
	global_store_b32 v[6:7], v110, off
	global_store_b32 v[8:9], v111, off
	global_store_b32 v[10:11], v112, off
	global_store_b32 v[12:13], v113, off
	s_waitcnt vmcnt(11)
	s_clause 0x3
	global_store_b32 v[14:15], v114, off
	global_store_b32 v[16:17], v115, off
	global_store_b32 v[18:19], v116, off
	;; [unrolled: 6-line block ×13, first 2 shown]
	global_store_b32 v[66:67], v161, off
	s_endpgm
	.section	.rodata,"a",@progbits
	.p2align	6, 0x0
	.amdhsa_kernel _ZN9rocsolver6v33100L18getri_kernel_smallILi53EfPKPfEEvT1_iilPiilS6_bb
		.amdhsa_group_segment_fixed_size 436
		.amdhsa_private_segment_fixed_size 224
		.amdhsa_kernarg_size 60
		.amdhsa_user_sgpr_count 15
		.amdhsa_user_sgpr_dispatch_ptr 0
		.amdhsa_user_sgpr_queue_ptr 0
		.amdhsa_user_sgpr_kernarg_segment_ptr 1
		.amdhsa_user_sgpr_dispatch_id 0
		.amdhsa_user_sgpr_private_segment_size 0
		.amdhsa_wavefront_size32 1
		.amdhsa_uses_dynamic_stack 0
		.amdhsa_enable_private_segment 1
		.amdhsa_system_sgpr_workgroup_id_x 1
		.amdhsa_system_sgpr_workgroup_id_y 0
		.amdhsa_system_sgpr_workgroup_id_z 0
		.amdhsa_system_sgpr_workgroup_info 0
		.amdhsa_system_vgpr_workitem_id 0
		.amdhsa_next_free_vgpr 171
		.amdhsa_next_free_sgpr 17
		.amdhsa_reserve_vcc 1
		.amdhsa_float_round_mode_32 0
		.amdhsa_float_round_mode_16_64 0
		.amdhsa_float_denorm_mode_32 3
		.amdhsa_float_denorm_mode_16_64 3
		.amdhsa_dx10_clamp 1
		.amdhsa_ieee_mode 1
		.amdhsa_fp16_overflow 0
		.amdhsa_workgroup_processor_mode 1
		.amdhsa_memory_ordered 1
		.amdhsa_forward_progress 0
		.amdhsa_shared_vgpr_count 0
		.amdhsa_exception_fp_ieee_invalid_op 0
		.amdhsa_exception_fp_denorm_src 0
		.amdhsa_exception_fp_ieee_div_zero 0
		.amdhsa_exception_fp_ieee_overflow 0
		.amdhsa_exception_fp_ieee_underflow 0
		.amdhsa_exception_fp_ieee_inexact 0
		.amdhsa_exception_int_div_zero 0
	.end_amdhsa_kernel
	.section	.text._ZN9rocsolver6v33100L18getri_kernel_smallILi53EfPKPfEEvT1_iilPiilS6_bb,"axG",@progbits,_ZN9rocsolver6v33100L18getri_kernel_smallILi53EfPKPfEEvT1_iilPiilS6_bb,comdat
.Lfunc_end116:
	.size	_ZN9rocsolver6v33100L18getri_kernel_smallILi53EfPKPfEEvT1_iilPiilS6_bb, .Lfunc_end116-_ZN9rocsolver6v33100L18getri_kernel_smallILi53EfPKPfEEvT1_iilPiilS6_bb
                                        ; -- End function
	.section	.AMDGPU.csdata,"",@progbits
; Kernel info:
; codeLenInByte = 40280
; NumSgprs: 19
; NumVgprs: 171
; ScratchSize: 224
; MemoryBound: 0
; FloatMode: 240
; IeeeMode: 1
; LDSByteSize: 436 bytes/workgroup (compile time only)
; SGPRBlocks: 2
; VGPRBlocks: 21
; NumSGPRsForWavesPerEU: 19
; NumVGPRsForWavesPerEU: 171
; Occupancy: 8
; WaveLimiterHint : 1
; COMPUTE_PGM_RSRC2:SCRATCH_EN: 1
; COMPUTE_PGM_RSRC2:USER_SGPR: 15
; COMPUTE_PGM_RSRC2:TRAP_HANDLER: 0
; COMPUTE_PGM_RSRC2:TGID_X_EN: 1
; COMPUTE_PGM_RSRC2:TGID_Y_EN: 0
; COMPUTE_PGM_RSRC2:TGID_Z_EN: 0
; COMPUTE_PGM_RSRC2:TIDIG_COMP_CNT: 0
	.section	.text._ZN9rocsolver6v33100L18getri_kernel_smallILi54EfPKPfEEvT1_iilPiilS6_bb,"axG",@progbits,_ZN9rocsolver6v33100L18getri_kernel_smallILi54EfPKPfEEvT1_iilPiilS6_bb,comdat
	.globl	_ZN9rocsolver6v33100L18getri_kernel_smallILi54EfPKPfEEvT1_iilPiilS6_bb ; -- Begin function _ZN9rocsolver6v33100L18getri_kernel_smallILi54EfPKPfEEvT1_iilPiilS6_bb
	.p2align	8
	.type	_ZN9rocsolver6v33100L18getri_kernel_smallILi54EfPKPfEEvT1_iilPiilS6_bb,@function
_ZN9rocsolver6v33100L18getri_kernel_smallILi54EfPKPfEEvT1_iilPiilS6_bb: ; @_ZN9rocsolver6v33100L18getri_kernel_smallILi54EfPKPfEEvT1_iilPiilS6_bb
; %bb.0:
	s_mov_b32 s2, exec_lo
	v_cmpx_gt_u32_e32 54, v0
	s_cbranch_execz .LBB117_224
; %bb.1:
	s_clause 0x1
	s_load_b32 s13, s[0:1], 0x38
	s_load_b64 s[2:3], s[0:1], 0x0
	s_mov_b32 s8, s15
	s_load_b128 s[4:7], s[0:1], 0x28
	s_waitcnt lgkmcnt(0)
	s_bitcmp1_b32 s13, 8
	s_cselect_b32 s12, -1, 0
	s_ashr_i32 s9, s15, 31
	s_delay_alu instid0(SALU_CYCLE_1) | instskip(NEXT) | instid1(SALU_CYCLE_1)
	s_lshl_b64 s[10:11], s[8:9], 3
	s_add_u32 s2, s2, s10
	s_addc_u32 s3, s3, s11
	s_load_b64 s[10:11], s[2:3], 0x0
	s_bfe_u32 s2, s13, 0x10008
	s_delay_alu instid0(SALU_CYCLE_1)
	s_cmp_eq_u32 s2, 0
                                        ; implicit-def: $sgpr2_sgpr3
	s_cbranch_scc1 .LBB117_3
; %bb.2:
	s_clause 0x1
	s_load_b32 s2, s[0:1], 0x20
	s_load_b64 s[14:15], s[0:1], 0x18
	s_mul_i32 s3, s8, s5
	s_mul_hi_u32 s5, s8, s4
	s_mul_i32 s16, s9, s4
	s_add_i32 s3, s5, s3
	s_mul_i32 s4, s8, s4
	s_add_i32 s5, s3, s16
	s_delay_alu instid0(SALU_CYCLE_1)
	s_lshl_b64 s[4:5], s[4:5], 2
	s_waitcnt lgkmcnt(0)
	s_ashr_i32 s3, s2, 31
	s_add_u32 s4, s14, s4
	s_addc_u32 s5, s15, s5
	s_lshl_b64 s[2:3], s[2:3], 2
	s_delay_alu instid0(SALU_CYCLE_1)
	s_add_u32 s2, s4, s2
	s_addc_u32 s3, s5, s3
.LBB117_3:
	s_load_b64 s[0:1], s[0:1], 0x8
	v_lshlrev_b32_e32 v109, 2, v0
	s_waitcnt lgkmcnt(0)
	v_add3_u32 v3, s1, s1, v0
	s_ashr_i32 s5, s0, 31
	s_mov_b32 s4, s0
	s_mov_b32 s14, s1
	s_lshl_b64 s[4:5], s[4:5], 2
	v_add_nc_u32_e32 v5, s1, v3
	v_ashrrev_i32_e32 v4, 31, v3
	s_add_u32 s4, s10, s4
	s_addc_u32 s5, s11, s5
	v_add_co_u32 v1, s0, s4, v109
	v_add_nc_u32_e32 v7, s1, v5
	v_ashrrev_i32_e32 v6, 31, v5
	s_ashr_i32 s15, s1, 31
	v_add_co_ci_u32_e64 v2, null, s5, 0, s0
	s_delay_alu instid0(VALU_DEP_3)
	v_add_nc_u32_e32 v9, s1, v7
	v_lshlrev_b64 v[40:41], 2, v[3:4]
	s_lshl_b64 s[10:11], s[14:15], 2
	v_lshlrev_b64 v[43:44], 2, v[5:6]
	v_add_co_u32 v3, vcc_lo, v1, s10
	v_add_nc_u32_e32 v11, s1, v9
	v_ashrrev_i32_e32 v8, 31, v7
	v_add_co_ci_u32_e32 v4, vcc_lo, s11, v2, vcc_lo
	v_add_co_u32 v5, vcc_lo, s4, v40
	s_delay_alu instid0(VALU_DEP_4) | instskip(SKIP_3) | instid1(VALU_DEP_4)
	v_add_nc_u32_e32 v13, s1, v11
	v_ashrrev_i32_e32 v10, 31, v9
	v_add_co_ci_u32_e32 v6, vcc_lo, s5, v41, vcc_lo
	v_lshlrev_b64 v[40:41], 2, v[7:8]
	v_add_nc_u32_e32 v15, s1, v13
	v_add_co_u32 v7, vcc_lo, s4, v43
	v_add_co_ci_u32_e32 v8, vcc_lo, s5, v44, vcc_lo
	s_delay_alu instid0(VALU_DEP_3) | instskip(SKIP_3) | instid1(VALU_DEP_4)
	v_add_nc_u32_e32 v17, s1, v15
	v_lshlrev_b64 v[43:44], 2, v[9:10]
	v_ashrrev_i32_e32 v12, 31, v11
	v_add_co_u32 v9, vcc_lo, s4, v40
	v_add_nc_u32_e32 v19, s1, v17
	v_ashrrev_i32_e32 v14, 31, v13
	v_add_co_ci_u32_e32 v10, vcc_lo, s5, v41, vcc_lo
	v_lshlrev_b64 v[40:41], 2, v[11:12]
	s_delay_alu instid0(VALU_DEP_4) | instskip(SKIP_2) | instid1(VALU_DEP_3)
	v_add_nc_u32_e32 v21, s1, v19
	v_add_co_u32 v11, vcc_lo, s4, v43
	v_add_co_ci_u32_e32 v12, vcc_lo, s5, v44, vcc_lo
	v_add_nc_u32_e32 v23, s1, v21
	v_lshlrev_b64 v[43:44], 2, v[13:14]
	v_ashrrev_i32_e32 v16, 31, v15
	v_add_co_u32 v13, vcc_lo, s4, v40
	s_delay_alu instid0(VALU_DEP_4) | instskip(SKIP_3) | instid1(VALU_DEP_4)
	v_add_nc_u32_e32 v25, s1, v23
	v_ashrrev_i32_e32 v18, 31, v17
	v_add_co_ci_u32_e32 v14, vcc_lo, s5, v41, vcc_lo
	v_lshlrev_b64 v[40:41], 2, v[15:16]
	v_add_nc_u32_e32 v27, s1, v25
	v_add_co_u32 v15, vcc_lo, s4, v43
	v_add_co_ci_u32_e32 v16, vcc_lo, s5, v44, vcc_lo
	s_delay_alu instid0(VALU_DEP_3) | instskip(SKIP_3) | instid1(VALU_DEP_4)
	v_add_nc_u32_e32 v29, s1, v27
	v_lshlrev_b64 v[43:44], 2, v[17:18]
	v_ashrrev_i32_e32 v20, 31, v19
	v_add_co_u32 v17, vcc_lo, s4, v40
	v_add_nc_u32_e32 v31, s1, v29
	v_ashrrev_i32_e32 v22, 31, v21
	v_add_co_ci_u32_e32 v18, vcc_lo, s5, v41, vcc_lo
	v_lshlrev_b64 v[40:41], 2, v[19:20]
	s_delay_alu instid0(VALU_DEP_4) | instskip(SKIP_2) | instid1(VALU_DEP_3)
	v_add_nc_u32_e32 v33, s1, v31
	v_add_co_u32 v19, vcc_lo, s4, v43
	v_add_co_ci_u32_e32 v20, vcc_lo, s5, v44, vcc_lo
	v_add_nc_u32_e32 v35, s1, v33
	v_lshlrev_b64 v[43:44], 2, v[21:22]
	v_ashrrev_i32_e32 v24, 31, v23
	;; [unrolled: 25-line block ×3, first 2 shown]
	v_add_co_u32 v29, vcc_lo, s4, v40
	s_delay_alu instid0(VALU_DEP_4) | instskip(SKIP_3) | instid1(VALU_DEP_4)
	v_add_nc_u32_e32 v51, s1, v49
	v_ashrrev_i32_e32 v34, 31, v33
	v_add_co_ci_u32_e32 v30, vcc_lo, s5, v41, vcc_lo
	v_lshlrev_b64 v[40:41], 2, v[31:32]
	v_add_nc_u32_e32 v53, s1, v51
	v_add_co_u32 v31, vcc_lo, s4, v43
	v_ashrrev_i32_e32 v36, 31, v35
	v_add_co_ci_u32_e32 v32, vcc_lo, s5, v44, vcc_lo
	s_delay_alu instid0(VALU_DEP_4) | instskip(SKIP_3) | instid1(VALU_DEP_4)
	v_add_nc_u32_e32 v55, s1, v53
	v_lshlrev_b64 v[43:44], 2, v[33:34]
	v_add_co_u32 v33, vcc_lo, s4, v40
	v_lshlrev_b64 v[76:77], 2, v[35:36]
	v_add_nc_u32_e32 v57, s1, v55
	v_ashrrev_i32_e32 v38, 31, v37
	v_add_co_ci_u32_e32 v34, vcc_lo, s5, v41, vcc_lo
	v_add_co_u32 v35, vcc_lo, s4, v43
	s_delay_alu instid0(VALU_DEP_4) | instskip(SKIP_3) | instid1(VALU_DEP_4)
	v_add_nc_u32_e32 v59, s1, v57
	v_ashrrev_i32_e32 v40, 31, v39
	v_add_co_ci_u32_e32 v36, vcc_lo, s5, v44, vcc_lo
	v_lshlrev_b64 v[81:82], 2, v[37:38]
	v_add_nc_u32_e32 v61, s1, v59
	v_add_co_u32 v37, vcc_lo, s4, v76
	v_ashrrev_i32_e32 v43, 31, v42
	v_add_co_ci_u32_e32 v38, vcc_lo, s5, v77, vcc_lo
	s_delay_alu instid0(VALU_DEP_4) | instskip(SKIP_3) | instid1(VALU_DEP_4)
	v_add_nc_u32_e32 v63, s1, v61
	v_lshlrev_b64 v[76:77], 2, v[39:40]
	v_ashrrev_i32_e32 v46, 31, v45
	v_add_co_u32 v39, vcc_lo, s4, v81
	v_add_nc_u32_e32 v65, s1, v63
	v_lshlrev_b64 v[43:44], 2, v[42:43]
	v_ashrrev_i32_e32 v48, 31, v47
	v_add_co_ci_u32_e32 v40, vcc_lo, s5, v82, vcc_lo
	s_delay_alu instid0(VALU_DEP_4) | instskip(SKIP_3) | instid1(VALU_DEP_4)
	v_add_nc_u32_e32 v67, s1, v65
	v_add_co_u32 v41, vcc_lo, s4, v76
	v_lshlrev_b64 v[45:46], 2, v[45:46]
	v_ashrrev_i32_e32 v50, 31, v49
	v_add_nc_u32_e32 v69, s1, v67
	v_add_co_ci_u32_e32 v42, vcc_lo, s5, v77, vcc_lo
	v_add_co_u32 v43, vcc_lo, s4, v43
	s_delay_alu instid0(VALU_DEP_3) | instskip(SKIP_3) | instid1(VALU_DEP_4)
	v_add_nc_u32_e32 v71, s1, v69
	v_lshlrev_b64 v[47:48], 2, v[47:48]
	v_ashrrev_i32_e32 v52, 31, v51
	v_add_co_ci_u32_e32 v44, vcc_lo, s5, v44, vcc_lo
	v_add_nc_u32_e32 v73, s1, v71
	v_add_co_u32 v45, vcc_lo, s4, v45
	v_lshlrev_b64 v[49:50], 2, v[49:50]
	v_ashrrev_i32_e32 v54, 31, v53
	s_delay_alu instid0(VALU_DEP_4) | instskip(SKIP_2) | instid1(VALU_DEP_3)
	v_add_nc_u32_e32 v75, s1, v73
	v_add_co_ci_u32_e32 v46, vcc_lo, s5, v46, vcc_lo
	v_add_co_u32 v47, vcc_lo, s4, v47
	v_add_nc_u32_e32 v78, s1, v75
	v_lshlrev_b64 v[51:52], 2, v[51:52]
	v_ashrrev_i32_e32 v56, 31, v55
	v_add_co_ci_u32_e32 v48, vcc_lo, s5, v48, vcc_lo
	s_delay_alu instid0(VALU_DEP_4) | instskip(SKIP_3) | instid1(VALU_DEP_4)
	v_add_nc_u32_e32 v80, s1, v78
	v_add_co_u32 v49, vcc_lo, s4, v49
	v_lshlrev_b64 v[53:54], 2, v[53:54]
	v_ashrrev_i32_e32 v58, 31, v57
	v_add_nc_u32_e32 v83, s1, v80
	v_add_co_ci_u32_e32 v50, vcc_lo, s5, v50, vcc_lo
	v_add_co_u32 v51, vcc_lo, s4, v51
	s_delay_alu instid0(VALU_DEP_3) | instskip(SKIP_3) | instid1(VALU_DEP_4)
	v_add_nc_u32_e32 v85, s1, v83
	v_lshlrev_b64 v[55:56], 2, v[55:56]
	v_ashrrev_i32_e32 v60, 31, v59
	v_add_co_ci_u32_e32 v52, vcc_lo, s5, v52, vcc_lo
	v_add_nc_u32_e32 v87, s1, v85
	v_add_co_u32 v53, vcc_lo, s4, v53
	v_lshlrev_b64 v[57:58], 2, v[57:58]
	v_ashrrev_i32_e32 v62, 31, v61
	s_delay_alu instid0(VALU_DEP_4) | instskip(SKIP_2) | instid1(VALU_DEP_3)
	v_add_nc_u32_e32 v89, s1, v87
	v_add_co_ci_u32_e32 v54, vcc_lo, s5, v54, vcc_lo
	v_add_co_u32 v55, vcc_lo, s4, v55
	v_add_nc_u32_e32 v91, s1, v89
	v_lshlrev_b64 v[59:60], 2, v[59:60]
	v_ashrrev_i32_e32 v64, 31, v63
	v_add_co_ci_u32_e32 v56, vcc_lo, s5, v56, vcc_lo
	s_delay_alu instid0(VALU_DEP_4) | instskip(SKIP_3) | instid1(VALU_DEP_4)
	v_add_nc_u32_e32 v93, s1, v91
	v_add_co_u32 v57, vcc_lo, s4, v57
	v_lshlrev_b64 v[61:62], 2, v[61:62]
	v_add_co_ci_u32_e32 v58, vcc_lo, s5, v58, vcc_lo
	v_add_nc_u32_e32 v95, s1, v93
	v_add_co_u32 v59, vcc_lo, s4, v59
	v_lshlrev_b64 v[63:64], 2, v[63:64]
	v_ashrrev_i32_e32 v66, 31, v65
	s_delay_alu instid0(VALU_DEP_4) | instskip(SKIP_2) | instid1(VALU_DEP_3)
	v_add_nc_u32_e32 v97, s1, v95
	v_add_co_ci_u32_e32 v60, vcc_lo, s5, v60, vcc_lo
	v_add_co_u32 v61, vcc_lo, s4, v61
	v_add_nc_u32_e32 v99, s1, v97
	v_add_co_ci_u32_e32 v62, vcc_lo, s5, v62, vcc_lo
	v_lshlrev_b64 v[81:82], 2, v[65:66]
	v_ashrrev_i32_e32 v68, 31, v67
	s_delay_alu instid0(VALU_DEP_4) | instskip(SKIP_2) | instid1(VALU_DEP_3)
	v_add_nc_u32_e32 v101, s1, v99
	v_add_co_u32 v65, vcc_lo, s4, v63
	v_add_co_ci_u32_e32 v66, vcc_lo, s5, v64, vcc_lo
	v_add_nc_u32_e32 v103, s1, v101
	v_ashrrev_i32_e32 v70, 31, v69
	v_lshlrev_b64 v[143:144], 2, v[67:68]
	v_add_co_u32 v67, vcc_lo, s4, v81
	s_delay_alu instid0(VALU_DEP_4) | instskip(SKIP_3) | instid1(VALU_DEP_4)
	v_add_nc_u32_e32 v105, s1, v103
	v_ashrrev_i32_e32 v72, 31, v71
	v_add_co_ci_u32_e32 v68, vcc_lo, s5, v82, vcc_lo
	v_ashrrev_i32_e32 v74, 31, v73
	v_add_nc_u32_e32 v107, s1, v105
	s_delay_alu instid0(VALU_DEP_4)
	v_lshlrev_b64 v[81:82], 2, v[71:72]
	v_ashrrev_i32_e32 v79, 31, v78
	v_ashrrev_i32_e32 v84, 31, v83
	;; [unrolled: 1-line block ×3, first 2 shown]
	v_add_nc_u32_e32 v76, s1, v107
	v_ashrrev_i32_e32 v88, 31, v87
	v_ashrrev_i32_e32 v90, 31, v89
	v_lshlrev_b64 v[83:84], 2, v[83:84]
	v_lshlrev_b64 v[85:86], 2, v[85:86]
	v_ashrrev_i32_e32 v77, 31, v76
	v_lshlrev_b64 v[87:88], 2, v[87:88]
	v_ashrrev_i32_e32 v92, 31, v91
	;; [unrolled: 2-line block ×3, first 2 shown]
	v_lshlrev_b64 v[63:64], 2, v[76:77]
	v_lshlrev_b64 v[76:77], 2, v[69:70]
	;; [unrolled: 1-line block ×3, first 2 shown]
	v_ashrrev_i32_e32 v96, 31, v95
	v_lshlrev_b64 v[93:94], 2, v[93:94]
	v_ashrrev_i32_e32 v98, 31, v97
	v_add_co_u32 v63, vcc_lo, s4, v63
	v_add_co_ci_u32_e32 v64, vcc_lo, s5, v64, vcc_lo
	v_add_co_u32 v69, vcc_lo, s4, v143
	v_add_co_ci_u32_e32 v70, vcc_lo, s5, v144, vcc_lo
	v_add_co_u32 v71, vcc_lo, s4, v76
	v_lshlrev_b64 v[143:144], 2, v[73:74]
	v_ashrrev_i32_e32 v76, 31, v75
	v_add_co_ci_u32_e32 v72, vcc_lo, s5, v77, vcc_lo
	v_add_co_u32 v73, vcc_lo, s4, v81
	v_add_co_ci_u32_e32 v74, vcc_lo, s5, v82, vcc_lo
	s_delay_alu instid0(VALU_DEP_4)
	v_lshlrev_b64 v[145:146], 2, v[75:76]
	v_add_co_u32 v75, vcc_lo, s4, v143
	v_ashrrev_i32_e32 v81, 31, v80
	v_add_co_ci_u32_e32 v76, vcc_lo, s5, v144, vcc_lo
	v_lshlrev_b64 v[143:144], 2, v[78:79]
	v_add_co_u32 v77, vcc_lo, s4, v145
	s_delay_alu instid0(VALU_DEP_4) | instskip(SKIP_1) | instid1(VALU_DEP_4)
	v_lshlrev_b64 v[81:82], 2, v[80:81]
	v_add_co_ci_u32_e32 v78, vcc_lo, s5, v146, vcc_lo
	v_add_co_u32 v79, vcc_lo, s4, v143
	v_add_co_ci_u32_e32 v80, vcc_lo, s5, v144, vcc_lo
	s_delay_alu instid0(VALU_DEP_4)
	v_add_co_u32 v81, vcc_lo, s4, v81
	v_add_co_ci_u32_e32 v82, vcc_lo, s5, v82, vcc_lo
	v_add_co_u32 v83, vcc_lo, s4, v83
	v_add_co_ci_u32_e32 v84, vcc_lo, s5, v84, vcc_lo
	;; [unrolled: 2-line block ×5, first 2 shown]
	v_add_co_u32 v91, vcc_lo, s4, v91
	v_lshlrev_b64 v[95:96], 2, v[95:96]
	v_ashrrev_i32_e32 v100, 31, v99
	v_add_co_ci_u32_e32 v92, vcc_lo, s5, v92, vcc_lo
	v_add_co_u32 v93, vcc_lo, s4, v93
	v_lshlrev_b64 v[97:98], 2, v[97:98]
	v_ashrrev_i32_e32 v102, 31, v101
	v_add_co_ci_u32_e32 v94, vcc_lo, s5, v94, vcc_lo
	;; [unrolled: 4-line block ×5, first 2 shown]
	v_add_co_u32 v101, vcc_lo, s4, v101
	v_lshlrev_b64 v[105:106], 2, v[105:106]
	v_add_co_ci_u32_e32 v102, vcc_lo, s5, v102, vcc_lo
	v_add_co_u32 v103, vcc_lo, s4, v103
	v_lshlrev_b64 v[107:108], 2, v[107:108]
	v_add_co_ci_u32_e32 v104, vcc_lo, s5, v104, vcc_lo
	v_add_co_u32 v105, vcc_lo, s4, v105
	v_add_co_ci_u32_e32 v106, vcc_lo, s5, v106, vcc_lo
	s_delay_alu instid0(VALU_DEP_4)
	v_add_co_u32 v107, vcc_lo, s4, v107
	v_add_co_ci_u32_e32 v108, vcc_lo, s5, v108, vcc_lo
	s_clause 0x1f
	global_load_b32 v110, v109, s[4:5]
	global_load_b32 v111, v[3:4], off
	global_load_b32 v112, v[5:6], off
	;; [unrolled: 1-line block ×31, first 2 shown]
	s_clause 0x15
	global_load_b32 v142, v[67:68], off
	global_load_b32 v143, v[69:70], off
	;; [unrolled: 1-line block ×22, first 2 shown]
	s_bitcmp0_b32 s13, 0
	s_mov_b32 s1, -1
	s_waitcnt vmcnt(50)
	scratch_store_b128 off, v[110:113], off
	s_waitcnt vmcnt(46)
	scratch_store_b128 off, v[114:117], off offset:16
	s_waitcnt vmcnt(42)
	scratch_store_b128 off, v[118:121], off offset:32
	s_waitcnt vmcnt(38)
	scratch_store_b128 off, v[122:125], off offset:48
	s_waitcnt vmcnt(34)
	scratch_store_b128 off, v[126:129], off offset:64
	s_waitcnt vmcnt(30)
	scratch_store_b128 off, v[130:133], off offset:80
	s_waitcnt vmcnt(26)
	scratch_store_b128 off, v[134:137], off offset:96
	s_waitcnt vmcnt(22)
	scratch_store_b128 off, v[138:141], off offset:112
	s_waitcnt vmcnt(18)
	scratch_store_b128 off, v[142:145], off offset:128
	s_waitcnt vmcnt(14)
	scratch_store_b128 off, v[146:149], off offset:144
	s_waitcnt vmcnt(10)
	scratch_store_b128 off, v[150:153], off offset:160
	s_waitcnt vmcnt(6)
	scratch_store_b128 off, v[154:157], off offset:176
	s_waitcnt vmcnt(2)
	scratch_store_b128 off, v[158:161], off offset:192
	s_waitcnt vmcnt(0)
	scratch_store_b64 off, v[162:163], off offset:208
	s_cbranch_scc1 .LBB117_222
; %bb.4:
	v_cmp_eq_u32_e64 s0, 0, v0
	s_delay_alu instid0(VALU_DEP_1)
	s_and_saveexec_b32 s1, s0
	s_cbranch_execz .LBB117_6
; %bb.5:
	v_mov_b32_e32 v110, 0
	ds_store_b32 v110, v110 offset:216
.LBB117_6:
	s_or_b32 exec_lo, exec_lo, s1
	s_waitcnt lgkmcnt(0)
	s_waitcnt_vscnt null, 0x0
	s_barrier
	buffer_gl0_inv
	scratch_load_b32 v110, v109, off
	s_mov_b32 s4, exec_lo
	s_waitcnt vmcnt(0)
	v_cmpx_eq_f32_e32 0, v110
	s_cbranch_execz .LBB117_10
; %bb.7:
	v_mov_b32_e32 v110, 0
	s_mov_b32 s5, 0
	ds_load_b32 v111, v110 offset:216
	s_waitcnt lgkmcnt(0)
	v_readfirstlane_b32 s1, v111
	v_add_nc_u32_e32 v111, 1, v0
	s_delay_alu instid0(VALU_DEP_2) | instskip(NEXT) | instid1(VALU_DEP_1)
	s_cmp_eq_u32 s1, 0
	v_cmp_gt_i32_e32 vcc_lo, s1, v111
	s_cselect_b32 s10, -1, 0
	s_delay_alu instid0(SALU_CYCLE_1) | instskip(NEXT) | instid1(SALU_CYCLE_1)
	s_or_b32 s10, s10, vcc_lo
	s_and_b32 exec_lo, exec_lo, s10
	s_cbranch_execz .LBB117_10
; %bb.8:
	v_mov_b32_e32 v112, s1
.LBB117_9:                              ; =>This Inner Loop Header: Depth=1
	ds_cmpstore_rtn_b32 v112, v110, v111, v112 offset:216
	s_waitcnt lgkmcnt(0)
	v_cmp_ne_u32_e32 vcc_lo, 0, v112
	v_cmp_le_i32_e64 s1, v112, v111
	s_delay_alu instid0(VALU_DEP_1) | instskip(NEXT) | instid1(SALU_CYCLE_1)
	s_and_b32 s1, vcc_lo, s1
	s_and_b32 s1, exec_lo, s1
	s_delay_alu instid0(SALU_CYCLE_1) | instskip(NEXT) | instid1(SALU_CYCLE_1)
	s_or_b32 s5, s1, s5
	s_and_not1_b32 exec_lo, exec_lo, s5
	s_cbranch_execnz .LBB117_9
.LBB117_10:
	s_or_b32 exec_lo, exec_lo, s4
	v_mov_b32_e32 v110, 0
	s_barrier
	buffer_gl0_inv
	ds_load_b32 v111, v110 offset:216
	s_and_saveexec_b32 s1, s0
	s_cbranch_execz .LBB117_12
; %bb.11:
	s_lshl_b64 s[4:5], s[8:9], 2
	s_delay_alu instid0(SALU_CYCLE_1)
	s_add_u32 s4, s6, s4
	s_addc_u32 s5, s7, s5
	s_waitcnt lgkmcnt(0)
	global_store_b32 v110, v111, s[4:5]
.LBB117_12:
	s_or_b32 exec_lo, exec_lo, s1
	s_waitcnt lgkmcnt(0)
	v_cmp_ne_u32_e32 vcc_lo, 0, v111
	s_mov_b32 s1, 0
	s_cbranch_vccnz .LBB117_222
; %bb.13:
	v_add_nc_u32_e32 v110, 0, v109
	scratch_load_b32 v111, v110, off
	s_waitcnt vmcnt(0)
	v_div_scale_f32 v112, null, v111, v111, 1.0
	v_div_scale_f32 v115, vcc_lo, 1.0, v111, 1.0
	s_delay_alu instid0(VALU_DEP_2) | instskip(SKIP_2) | instid1(VALU_DEP_1)
	v_rcp_f32_e32 v113, v112
	s_waitcnt_depctr 0xfff
	v_fma_f32 v114, -v112, v113, 1.0
	v_fmac_f32_e32 v113, v114, v113
	s_delay_alu instid0(VALU_DEP_1) | instskip(NEXT) | instid1(VALU_DEP_1)
	v_mul_f32_e32 v114, v115, v113
	v_fma_f32 v116, -v112, v114, v115
	s_delay_alu instid0(VALU_DEP_1) | instskip(NEXT) | instid1(VALU_DEP_1)
	v_fmac_f32_e32 v114, v116, v113
	v_fma_f32 v112, -v112, v114, v115
	s_delay_alu instid0(VALU_DEP_1) | instskip(NEXT) | instid1(VALU_DEP_1)
	v_div_fmas_f32 v112, v112, v113, v114
	v_div_fixup_f32 v111, v112, v111, 1.0
	scratch_store_b32 v110, v111, off
	scratch_load_b32 v112, off, off offset:4
	v_xor_b32_e32 v113, 0x80000000, v111
	v_add_nc_u32_e32 v111, 0xe0, v109
	s_waitcnt vmcnt(0)
	ds_store_2addr_b32 v109, v113, v112 offset1:56
	s_waitcnt lgkmcnt(0)
	s_waitcnt_vscnt null, 0x0
	s_barrier
	buffer_gl0_inv
	s_and_saveexec_b32 s1, s0
	s_cbranch_execz .LBB117_15
; %bb.14:
	scratch_load_b32 v112, v110, off
	ds_load_b32 v113, v111
	v_mov_b32_e32 v114, 0
	ds_load_b32 v114, v114 offset:4
	s_waitcnt vmcnt(0) lgkmcnt(1)
	v_fma_f32 v112, v112, v113, 0
	s_waitcnt lgkmcnt(0)
	s_delay_alu instid0(VALU_DEP_1)
	v_mul_f32_e32 v112, v112, v114
	scratch_store_b32 off, v112, off offset:4
.LBB117_15:
	s_or_b32 exec_lo, exec_lo, s1
	s_waitcnt_vscnt null, 0x0
	s_barrier
	buffer_gl0_inv
	scratch_load_b32 v112, off, off offset:8
	s_mov_b32 s1, exec_lo
	s_waitcnt vmcnt(0)
	ds_store_b32 v111, v112
	s_waitcnt lgkmcnt(0)
	s_barrier
	buffer_gl0_inv
	v_cmpx_gt_u32_e32 2, v0
	s_cbranch_execz .LBB117_17
; %bb.16:
	scratch_load_b32 v114, v110, off
	scratch_load_b32 v115, off, off offset:4
	ds_load_b32 v116, v111
	v_mov_b32_e32 v112, 0
	ds_load_2addr_b32 v[112:113], v112 offset0:2 offset1:57
	s_waitcnt vmcnt(1) lgkmcnt(1)
	v_fma_f32 v114, v114, v116, 0
	s_waitcnt vmcnt(0) lgkmcnt(0)
	s_delay_alu instid0(VALU_DEP_1) | instskip(NEXT) | instid1(VALU_DEP_1)
	v_fma_f32 v113, v115, v113, v114
	v_cndmask_b32_e64 v113, v114, v113, s0
	s_delay_alu instid0(VALU_DEP_1)
	v_mul_f32_e32 v112, v113, v112
	scratch_store_b32 off, v112, off offset:8
.LBB117_17:
	s_or_b32 exec_lo, exec_lo, s1
	s_waitcnt_vscnt null, 0x0
	s_barrier
	buffer_gl0_inv
	scratch_load_b32 v113, off, off offset:12
	v_add_nc_u32_e32 v112, -1, v0
	s_mov_b32 s0, exec_lo
	s_waitcnt vmcnt(0)
	ds_store_b32 v111, v113
	s_waitcnt lgkmcnt(0)
	s_barrier
	buffer_gl0_inv
	v_cmpx_gt_u32_e32 3, v0
	s_cbranch_execz .LBB117_21
; %bb.18:
	v_dual_mov_b32 v113, 0 :: v_dual_add_nc_u32 v114, -1, v0
	v_add_nc_u32_e32 v115, 0xe0, v109
	v_add_nc_u32_e32 v116, 0, v109
	s_mov_b32 s1, 0
.LBB117_19:                             ; =>This Inner Loop Header: Depth=1
	scratch_load_b32 v117, v116, off
	ds_load_b32 v118, v115
	v_add_nc_u32_e32 v114, 1, v114
	v_add_nc_u32_e32 v115, 4, v115
	v_add_nc_u32_e32 v116, 4, v116
	s_delay_alu instid0(VALU_DEP_3)
	v_cmp_lt_u32_e32 vcc_lo, 1, v114
	s_or_b32 s1, vcc_lo, s1
	s_waitcnt vmcnt(0) lgkmcnt(0)
	v_fmac_f32_e32 v113, v117, v118
	s_and_not1_b32 exec_lo, exec_lo, s1
	s_cbranch_execnz .LBB117_19
; %bb.20:
	s_or_b32 exec_lo, exec_lo, s1
	v_mov_b32_e32 v114, 0
	ds_load_b32 v114, v114 offset:12
	s_waitcnt lgkmcnt(0)
	v_mul_f32_e32 v113, v113, v114
	scratch_store_b32 off, v113, off offset:12
.LBB117_21:
	s_or_b32 exec_lo, exec_lo, s0
	s_waitcnt_vscnt null, 0x0
	s_barrier
	buffer_gl0_inv
	scratch_load_b32 v113, off, off offset:16
	s_mov_b32 s0, exec_lo
	s_waitcnt vmcnt(0)
	ds_store_b32 v111, v113
	s_waitcnt lgkmcnt(0)
	s_barrier
	buffer_gl0_inv
	v_cmpx_gt_u32_e32 4, v0
	s_cbranch_execz .LBB117_25
; %bb.22:
	v_dual_mov_b32 v113, 0 :: v_dual_add_nc_u32 v114, -1, v0
	v_add_nc_u32_e32 v115, 0xe0, v109
	v_add_nc_u32_e32 v116, 0, v109
	s_mov_b32 s1, 0
.LBB117_23:                             ; =>This Inner Loop Header: Depth=1
	scratch_load_b32 v117, v116, off
	ds_load_b32 v118, v115
	v_add_nc_u32_e32 v114, 1, v114
	v_add_nc_u32_e32 v115, 4, v115
	v_add_nc_u32_e32 v116, 4, v116
	s_delay_alu instid0(VALU_DEP_3)
	v_cmp_lt_u32_e32 vcc_lo, 2, v114
	s_or_b32 s1, vcc_lo, s1
	s_waitcnt vmcnt(0) lgkmcnt(0)
	v_fmac_f32_e32 v113, v117, v118
	s_and_not1_b32 exec_lo, exec_lo, s1
	s_cbranch_execnz .LBB117_23
; %bb.24:
	s_or_b32 exec_lo, exec_lo, s1
	v_mov_b32_e32 v114, 0
	ds_load_b32 v114, v114 offset:16
	s_waitcnt lgkmcnt(0)
	v_mul_f32_e32 v113, v113, v114
	scratch_store_b32 off, v113, off offset:16
.LBB117_25:
	s_or_b32 exec_lo, exec_lo, s0
	s_waitcnt_vscnt null, 0x0
	s_barrier
	buffer_gl0_inv
	scratch_load_b32 v113, off, off offset:20
	;; [unrolled: 39-line block ×21, first 2 shown]
	s_mov_b32 s0, exec_lo
	s_waitcnt vmcnt(0)
	ds_store_b32 v111, v113
	s_waitcnt lgkmcnt(0)
	s_barrier
	buffer_gl0_inv
	v_cmpx_gt_u32_e32 24, v0
	s_cbranch_execz .LBB117_105
; %bb.102:
	v_dual_mov_b32 v113, 0 :: v_dual_add_nc_u32 v114, -1, v0
	v_add_nc_u32_e32 v115, 0xe0, v109
	v_add_nc_u32_e32 v116, 0, v109
	s_mov_b32 s1, 0
.LBB117_103:                            ; =>This Inner Loop Header: Depth=1
	scratch_load_b32 v117, v116, off
	ds_load_b32 v118, v115
	v_add_nc_u32_e32 v114, 1, v114
	v_add_nc_u32_e32 v115, 4, v115
	v_add_nc_u32_e32 v116, 4, v116
	s_delay_alu instid0(VALU_DEP_3)
	v_cmp_lt_u32_e32 vcc_lo, 22, v114
	s_or_b32 s1, vcc_lo, s1
	s_waitcnt vmcnt(0) lgkmcnt(0)
	v_fmac_f32_e32 v113, v117, v118
	s_and_not1_b32 exec_lo, exec_lo, s1
	s_cbranch_execnz .LBB117_103
; %bb.104:
	s_or_b32 exec_lo, exec_lo, s1
	v_mov_b32_e32 v114, 0
	ds_load_b32 v114, v114 offset:96
	s_waitcnt lgkmcnt(0)
	v_mul_f32_e32 v113, v113, v114
	scratch_store_b32 off, v113, off offset:96
.LBB117_105:
	s_or_b32 exec_lo, exec_lo, s0
	s_waitcnt_vscnt null, 0x0
	s_barrier
	buffer_gl0_inv
	scratch_load_b32 v113, off, off offset:100
	s_mov_b32 s0, exec_lo
	s_waitcnt vmcnt(0)
	ds_store_b32 v111, v113
	s_waitcnt lgkmcnt(0)
	s_barrier
	buffer_gl0_inv
	v_cmpx_gt_u32_e32 25, v0
	s_cbranch_execz .LBB117_109
; %bb.106:
	v_dual_mov_b32 v113, 0 :: v_dual_add_nc_u32 v114, -1, v0
	v_add_nc_u32_e32 v115, 0xe0, v109
	v_add_nc_u32_e32 v116, 0, v109
	s_mov_b32 s1, 0
.LBB117_107:                            ; =>This Inner Loop Header: Depth=1
	scratch_load_b32 v117, v116, off
	ds_load_b32 v118, v115
	v_add_nc_u32_e32 v114, 1, v114
	v_add_nc_u32_e32 v115, 4, v115
	v_add_nc_u32_e32 v116, 4, v116
	s_delay_alu instid0(VALU_DEP_3)
	v_cmp_lt_u32_e32 vcc_lo, 23, v114
	s_or_b32 s1, vcc_lo, s1
	s_waitcnt vmcnt(0) lgkmcnt(0)
	v_fmac_f32_e32 v113, v117, v118
	s_and_not1_b32 exec_lo, exec_lo, s1
	s_cbranch_execnz .LBB117_107
; %bb.108:
	s_or_b32 exec_lo, exec_lo, s1
	v_mov_b32_e32 v114, 0
	ds_load_b32 v114, v114 offset:100
	s_waitcnt lgkmcnt(0)
	v_mul_f32_e32 v113, v113, v114
	scratch_store_b32 off, v113, off offset:100
.LBB117_109:
	s_or_b32 exec_lo, exec_lo, s0
	s_waitcnt_vscnt null, 0x0
	s_barrier
	buffer_gl0_inv
	scratch_load_b32 v113, off, off offset:104
	;; [unrolled: 39-line block ×28, first 2 shown]
	s_mov_b32 s0, exec_lo
	s_waitcnt vmcnt(0)
	ds_store_b32 v111, v113
	s_waitcnt lgkmcnt(0)
	s_barrier
	buffer_gl0_inv
	v_cmpx_gt_u32_e32 52, v0
	s_cbranch_execz .LBB117_217
; %bb.214:
	v_add_nc_u32_e32 v113, -1, v0
	v_add_nc_u32_e32 v114, 0xe0, v109
	v_add_nc_u32_e32 v115, 0, v109
	v_mov_b32_e32 v109, 0
	s_mov_b32 s1, 0
.LBB117_215:                            ; =>This Inner Loop Header: Depth=1
	scratch_load_b32 v116, v115, off
	ds_load_b32 v117, v114
	v_add_nc_u32_e32 v113, 1, v113
	v_add_nc_u32_e32 v114, 4, v114
	;; [unrolled: 1-line block ×3, first 2 shown]
	s_delay_alu instid0(VALU_DEP_3)
	v_cmp_lt_u32_e32 vcc_lo, 50, v113
	s_or_b32 s1, vcc_lo, s1
	s_waitcnt vmcnt(0) lgkmcnt(0)
	v_fmac_f32_e32 v109, v116, v117
	s_and_not1_b32 exec_lo, exec_lo, s1
	s_cbranch_execnz .LBB117_215
; %bb.216:
	s_or_b32 exec_lo, exec_lo, s1
	v_mov_b32_e32 v113, 0
	ds_load_b32 v113, v113 offset:208
	s_waitcnt lgkmcnt(0)
	v_mul_f32_e32 v109, v109, v113
	scratch_store_b32 off, v109, off offset:208
.LBB117_217:
	s_or_b32 exec_lo, exec_lo, s0
	s_waitcnt_vscnt null, 0x0
	s_barrier
	buffer_gl0_inv
	scratch_load_b32 v109, off, off offset:212
	s_mov_b32 s0, exec_lo
	s_waitcnt vmcnt(0)
	ds_store_b32 v111, v109
	s_waitcnt lgkmcnt(0)
	s_barrier
	buffer_gl0_inv
	v_cmpx_ne_u32_e32 53, v0
	s_cbranch_execz .LBB117_221
; %bb.218:
	v_mov_b32_e32 v109, 0
	s_mov_b32 s1, 0
.LBB117_219:                            ; =>This Inner Loop Header: Depth=1
	scratch_load_b32 v113, v110, off
	ds_load_b32 v114, v111
	v_add_nc_u32_e32 v112, 1, v112
	v_add_nc_u32_e32 v111, 4, v111
	;; [unrolled: 1-line block ×3, first 2 shown]
	s_waitcnt vmcnt(0) lgkmcnt(0)
	v_fmac_f32_e32 v109, v113, v114
	v_cmp_lt_u32_e32 vcc_lo, 51, v112
	s_or_b32 s1, vcc_lo, s1
	s_delay_alu instid0(SALU_CYCLE_1)
	s_and_not1_b32 exec_lo, exec_lo, s1
	s_cbranch_execnz .LBB117_219
; %bb.220:
	s_or_b32 exec_lo, exec_lo, s1
	v_mov_b32_e32 v110, 0
	ds_load_b32 v110, v110 offset:212
	s_waitcnt lgkmcnt(0)
	v_mul_f32_e32 v109, v109, v110
	scratch_store_b32 off, v109, off offset:212
.LBB117_221:
	s_or_b32 exec_lo, exec_lo, s0
	s_mov_b32 s1, -1
	s_waitcnt_vscnt null, 0x0
	s_barrier
	buffer_gl0_inv
.LBB117_222:
	s_and_b32 vcc_lo, exec_lo, s1
	s_cbranch_vccz .LBB117_224
; %bb.223:
	s_lshl_b64 s[0:1], s[8:9], 2
	v_mov_b32_e32 v109, 0
	s_add_u32 s0, s6, s0
	s_addc_u32 s1, s7, s1
	global_load_b32 v109, v109, s[0:1]
	s_waitcnt vmcnt(0)
	v_cmp_ne_u32_e32 vcc_lo, 0, v109
	s_cbranch_vccz .LBB117_225
.LBB117_224:
	s_endpgm
.LBB117_225:
	v_lshl_add_u32 v109, v0, 2, 0xe0
	s_mov_b32 s0, exec_lo
	v_cmpx_eq_u32_e32 53, v0
	s_cbranch_execz .LBB117_227
; %bb.226:
	scratch_load_b32 v110, off, off offset:208
	v_mov_b32_e32 v111, 0
	scratch_store_b32 off, v111, off offset:208
	s_waitcnt vmcnt(0)
	ds_store_b32 v109, v110
.LBB117_227:
	s_or_b32 exec_lo, exec_lo, s0
	s_waitcnt lgkmcnt(0)
	s_waitcnt_vscnt null, 0x0
	s_barrier
	buffer_gl0_inv
	scratch_load_b64 v[111:112], off, off offset:208
	v_mov_b32_e32 v110, 0
	s_mov_b32 s0, exec_lo
	ds_load_b32 v113, v110 offset:436
	s_waitcnt vmcnt(0) lgkmcnt(0)
	v_fma_f32 v112, v112, v113, 0
	s_delay_alu instid0(VALU_DEP_1)
	v_sub_f32_e32 v111, v111, v112
	scratch_store_b32 off, v111, off offset:208
	v_cmpx_lt_u32_e32 51, v0
	s_cbranch_execz .LBB117_229
; %bb.228:
	scratch_load_b32 v111, off, off offset:204
	scratch_store_b32 off, v110, off offset:204
	s_waitcnt vmcnt(0)
	ds_store_b32 v109, v111
.LBB117_229:
	s_or_b32 exec_lo, exec_lo, s0
	s_waitcnt lgkmcnt(0)
	s_waitcnt_vscnt null, 0x0
	s_barrier
	buffer_gl0_inv
	scratch_load_b96 v[111:113], off, off offset:204
	ds_load_b64 v[114:115], v110 offset:432
	s_mov_b32 s0, exec_lo
	s_waitcnt vmcnt(0) lgkmcnt(0)
	v_fma_f32 v110, v112, v114, 0
	s_delay_alu instid0(VALU_DEP_1) | instskip(NEXT) | instid1(VALU_DEP_1)
	v_fmac_f32_e32 v110, v113, v115
	v_sub_f32_e32 v110, v111, v110
	scratch_store_b32 off, v110, off offset:204
	v_cmpx_lt_u32_e32 50, v0
	s_cbranch_execz .LBB117_231
; %bb.230:
	scratch_load_b32 v110, off, off offset:200
	v_mov_b32_e32 v111, 0
	scratch_store_b32 off, v111, off offset:200
	s_waitcnt vmcnt(0)
	ds_store_b32 v109, v110
.LBB117_231:
	s_or_b32 exec_lo, exec_lo, s0
	s_waitcnt lgkmcnt(0)
	s_waitcnt_vscnt null, 0x0
	s_barrier
	buffer_gl0_inv
	scratch_load_b128 v[111:114], off, off offset:200
	v_mov_b32_e32 v110, 0
	ds_load_2addr_b32 v[115:116], v110 offset0:107 offset1:108
	ds_load_b32 v117, v110 offset:436
	s_mov_b32 s0, exec_lo
	s_waitcnt vmcnt(0) lgkmcnt(1)
	v_fma_f32 v112, v112, v115, 0
	s_delay_alu instid0(VALU_DEP_1) | instskip(SKIP_1) | instid1(VALU_DEP_1)
	v_fmac_f32_e32 v112, v113, v116
	s_waitcnt lgkmcnt(0)
	v_fmac_f32_e32 v112, v114, v117
	s_delay_alu instid0(VALU_DEP_1)
	v_sub_f32_e32 v111, v111, v112
	scratch_store_b32 off, v111, off offset:200
	v_cmpx_lt_u32_e32 49, v0
	s_cbranch_execz .LBB117_233
; %bb.232:
	scratch_load_b32 v111, off, off offset:196
	scratch_store_b32 off, v110, off offset:196
	s_waitcnt vmcnt(0)
	ds_store_b32 v109, v111
.LBB117_233:
	s_or_b32 exec_lo, exec_lo, s0
	s_waitcnt lgkmcnt(0)
	s_waitcnt_vscnt null, 0x0
	s_barrier
	buffer_gl0_inv
	s_clause 0x1
	scratch_load_b128 v[111:114], off, off offset:196
	scratch_load_b32 v119, off, off offset:212
	ds_load_2addr_b64 v[115:118], v110 offset0:53 offset1:54
	s_mov_b32 s0, exec_lo
	s_waitcnt vmcnt(1) lgkmcnt(0)
	v_fma_f32 v110, v112, v115, 0
	s_delay_alu instid0(VALU_DEP_1) | instskip(NEXT) | instid1(VALU_DEP_1)
	v_fmac_f32_e32 v110, v113, v116
	v_fmac_f32_e32 v110, v114, v117
	s_waitcnt vmcnt(0)
	s_delay_alu instid0(VALU_DEP_1) | instskip(NEXT) | instid1(VALU_DEP_1)
	v_fmac_f32_e32 v110, v119, v118
	v_sub_f32_e32 v110, v111, v110
	scratch_store_b32 off, v110, off offset:196
	v_cmpx_lt_u32_e32 48, v0
	s_cbranch_execz .LBB117_235
; %bb.234:
	scratch_load_b32 v110, off, off offset:192
	v_mov_b32_e32 v111, 0
	scratch_store_b32 off, v111, off offset:192
	s_waitcnt vmcnt(0)
	ds_store_b32 v109, v110
.LBB117_235:
	s_or_b32 exec_lo, exec_lo, s0
	s_waitcnt lgkmcnt(0)
	s_waitcnt_vscnt null, 0x0
	s_barrier
	buffer_gl0_inv
	s_clause 0x1
	scratch_load_b128 v[111:114], off, off offset:192
	scratch_load_b64 v[115:116], off, off offset:208
	v_mov_b32_e32 v110, 0
	ds_load_2addr_b32 v[117:118], v110 offset0:105 offset1:106
	ds_load_2addr_b32 v[119:120], v110 offset0:107 offset1:108
	ds_load_b32 v121, v110 offset:436
	s_mov_b32 s0, exec_lo
	s_waitcnt vmcnt(1) lgkmcnt(2)
	v_fma_f32 v112, v112, v117, 0
	s_delay_alu instid0(VALU_DEP_1) | instskip(SKIP_1) | instid1(VALU_DEP_1)
	v_fmac_f32_e32 v112, v113, v118
	s_waitcnt lgkmcnt(1)
	v_fmac_f32_e32 v112, v114, v119
	s_waitcnt vmcnt(0)
	s_delay_alu instid0(VALU_DEP_1) | instskip(SKIP_1) | instid1(VALU_DEP_1)
	v_fmac_f32_e32 v112, v115, v120
	s_waitcnt lgkmcnt(0)
	v_fmac_f32_e32 v112, v116, v121
	s_delay_alu instid0(VALU_DEP_1)
	v_sub_f32_e32 v111, v111, v112
	scratch_store_b32 off, v111, off offset:192
	v_cmpx_lt_u32_e32 47, v0
	s_cbranch_execz .LBB117_237
; %bb.236:
	scratch_load_b32 v111, off, off offset:188
	scratch_store_b32 off, v110, off offset:188
	s_waitcnt vmcnt(0)
	ds_store_b32 v109, v111
.LBB117_237:
	s_or_b32 exec_lo, exec_lo, s0
	s_waitcnt lgkmcnt(0)
	s_waitcnt_vscnt null, 0x0
	s_barrier
	buffer_gl0_inv
	s_clause 0x1
	scratch_load_b128 v[111:114], off, off offset:188
	scratch_load_b96 v[119:121], off, off offset:204
	ds_load_b128 v[115:118], v110 offset:416
	ds_load_b64 v[122:123], v110 offset:432
	s_mov_b32 s0, exec_lo
	s_waitcnt vmcnt(1) lgkmcnt(1)
	v_fma_f32 v110, v112, v115, 0
	s_delay_alu instid0(VALU_DEP_1) | instskip(NEXT) | instid1(VALU_DEP_1)
	v_fmac_f32_e32 v110, v113, v116
	v_fmac_f32_e32 v110, v114, v117
	s_waitcnt vmcnt(0)
	s_delay_alu instid0(VALU_DEP_1) | instskip(SKIP_1) | instid1(VALU_DEP_1)
	v_fmac_f32_e32 v110, v119, v118
	s_waitcnt lgkmcnt(0)
	v_fmac_f32_e32 v110, v120, v122
	s_delay_alu instid0(VALU_DEP_1) | instskip(NEXT) | instid1(VALU_DEP_1)
	v_fmac_f32_e32 v110, v121, v123
	v_sub_f32_e32 v110, v111, v110
	scratch_store_b32 off, v110, off offset:188
	v_cmpx_lt_u32_e32 46, v0
	s_cbranch_execz .LBB117_239
; %bb.238:
	scratch_load_b32 v110, off, off offset:184
	v_mov_b32_e32 v111, 0
	scratch_store_b32 off, v111, off offset:184
	s_waitcnt vmcnt(0)
	ds_store_b32 v109, v110
.LBB117_239:
	s_or_b32 exec_lo, exec_lo, s0
	s_waitcnt lgkmcnt(0)
	s_waitcnt_vscnt null, 0x0
	s_barrier
	buffer_gl0_inv
	s_clause 0x1
	scratch_load_b128 v[111:114], off, off offset:184
	scratch_load_b128 v[115:118], off, off offset:200
	v_mov_b32_e32 v110, 0
	ds_load_2addr_b32 v[119:120], v110 offset0:103 offset1:104
	ds_load_2addr_b32 v[121:122], v110 offset0:105 offset1:106
	;; [unrolled: 1-line block ×3, first 2 shown]
	ds_load_b32 v125, v110 offset:436
	s_mov_b32 s0, exec_lo
	s_waitcnt vmcnt(1) lgkmcnt(3)
	v_fma_f32 v112, v112, v119, 0
	s_delay_alu instid0(VALU_DEP_1) | instskip(SKIP_1) | instid1(VALU_DEP_1)
	v_fmac_f32_e32 v112, v113, v120
	s_waitcnt lgkmcnt(2)
	v_fmac_f32_e32 v112, v114, v121
	s_waitcnt vmcnt(0)
	s_delay_alu instid0(VALU_DEP_1) | instskip(SKIP_1) | instid1(VALU_DEP_1)
	v_fmac_f32_e32 v112, v115, v122
	s_waitcnt lgkmcnt(1)
	v_fmac_f32_e32 v112, v116, v123
	s_delay_alu instid0(VALU_DEP_1) | instskip(SKIP_1) | instid1(VALU_DEP_1)
	v_fmac_f32_e32 v112, v117, v124
	s_waitcnt lgkmcnt(0)
	v_fmac_f32_e32 v112, v118, v125
	s_delay_alu instid0(VALU_DEP_1)
	v_sub_f32_e32 v111, v111, v112
	scratch_store_b32 off, v111, off offset:184
	v_cmpx_lt_u32_e32 45, v0
	s_cbranch_execz .LBB117_241
; %bb.240:
	scratch_load_b32 v111, off, off offset:180
	scratch_store_b32 off, v110, off offset:180
	s_waitcnt vmcnt(0)
	ds_store_b32 v109, v111
.LBB117_241:
	s_or_b32 exec_lo, exec_lo, s0
	s_waitcnt lgkmcnt(0)
	s_waitcnt_vscnt null, 0x0
	s_barrier
	buffer_gl0_inv
	s_clause 0x2
	scratch_load_b128 v[111:114], off, off offset:180
	scratch_load_b128 v[115:118], off, off offset:196
	scratch_load_b32 v127, off, off offset:212
	ds_load_2addr_b64 v[119:122], v110 offset0:51 offset1:52
	ds_load_2addr_b64 v[123:126], v110 offset0:53 offset1:54
	s_mov_b32 s0, exec_lo
	s_waitcnt vmcnt(2) lgkmcnt(1)
	v_fma_f32 v110, v112, v119, 0
	s_delay_alu instid0(VALU_DEP_1) | instskip(NEXT) | instid1(VALU_DEP_1)
	v_fmac_f32_e32 v110, v113, v120
	v_fmac_f32_e32 v110, v114, v121
	s_waitcnt vmcnt(1)
	s_delay_alu instid0(VALU_DEP_1) | instskip(SKIP_1) | instid1(VALU_DEP_1)
	v_fmac_f32_e32 v110, v115, v122
	s_waitcnt lgkmcnt(0)
	v_fmac_f32_e32 v110, v116, v123
	s_delay_alu instid0(VALU_DEP_1) | instskip(NEXT) | instid1(VALU_DEP_1)
	v_fmac_f32_e32 v110, v117, v124
	v_fmac_f32_e32 v110, v118, v125
	s_waitcnt vmcnt(0)
	s_delay_alu instid0(VALU_DEP_1) | instskip(NEXT) | instid1(VALU_DEP_1)
	v_fmac_f32_e32 v110, v127, v126
	v_sub_f32_e32 v110, v111, v110
	scratch_store_b32 off, v110, off offset:180
	v_cmpx_lt_u32_e32 44, v0
	s_cbranch_execz .LBB117_243
; %bb.242:
	scratch_load_b32 v110, off, off offset:176
	v_mov_b32_e32 v111, 0
	scratch_store_b32 off, v111, off offset:176
	s_waitcnt vmcnt(0)
	ds_store_b32 v109, v110
.LBB117_243:
	s_or_b32 exec_lo, exec_lo, s0
	s_waitcnt lgkmcnt(0)
	s_waitcnt_vscnt null, 0x0
	s_barrier
	buffer_gl0_inv
	s_clause 0x2
	scratch_load_b128 v[111:114], off, off offset:176
	scratch_load_b128 v[115:118], off, off offset:192
	scratch_load_b64 v[119:120], off, off offset:208
	v_mov_b32_e32 v110, 0
	ds_load_2addr_b32 v[121:122], v110 offset0:101 offset1:102
	ds_load_2addr_b32 v[123:124], v110 offset0:103 offset1:104
	;; [unrolled: 1-line block ×4, first 2 shown]
	s_mov_b32 s0, exec_lo
	s_waitcnt vmcnt(2) lgkmcnt(3)
	v_fma_f32 v112, v112, v121, 0
	s_delay_alu instid0(VALU_DEP_1) | instskip(SKIP_4) | instid1(VALU_DEP_1)
	v_fmac_f32_e32 v112, v113, v122
	ds_load_b32 v113, v110 offset:436
	s_waitcnt lgkmcnt(3)
	v_fmac_f32_e32 v112, v114, v123
	s_waitcnt vmcnt(1)
	v_fmac_f32_e32 v112, v115, v124
	s_waitcnt lgkmcnt(2)
	s_delay_alu instid0(VALU_DEP_1) | instskip(NEXT) | instid1(VALU_DEP_1)
	v_fmac_f32_e32 v112, v116, v125
	v_fmac_f32_e32 v112, v117, v126
	s_waitcnt lgkmcnt(1)
	s_delay_alu instid0(VALU_DEP_1) | instskip(SKIP_1) | instid1(VALU_DEP_1)
	v_fmac_f32_e32 v112, v118, v127
	s_waitcnt vmcnt(0)
	v_fmac_f32_e32 v112, v119, v128
	s_waitcnt lgkmcnt(0)
	s_delay_alu instid0(VALU_DEP_1) | instskip(NEXT) | instid1(VALU_DEP_1)
	v_fmac_f32_e32 v112, v120, v113
	v_sub_f32_e32 v111, v111, v112
	scratch_store_b32 off, v111, off offset:176
	v_cmpx_lt_u32_e32 43, v0
	s_cbranch_execz .LBB117_245
; %bb.244:
	scratch_load_b32 v111, off, off offset:172
	scratch_store_b32 off, v110, off offset:172
	s_waitcnt vmcnt(0)
	ds_store_b32 v109, v111
.LBB117_245:
	s_or_b32 exec_lo, exec_lo, s0
	s_waitcnt lgkmcnt(0)
	s_waitcnt_vscnt null, 0x0
	s_barrier
	buffer_gl0_inv
	s_clause 0x2
	scratch_load_b128 v[111:114], off, off offset:172
	scratch_load_b128 v[115:118], off, off offset:188
	scratch_load_b96 v[127:129], off, off offset:204
	ds_load_b128 v[119:122], v110 offset:400
	ds_load_b128 v[123:126], v110 offset:416
	s_mov_b32 s0, exec_lo
	s_waitcnt vmcnt(2) lgkmcnt(1)
	v_fma_f32 v119, v112, v119, 0
	s_delay_alu instid0(VALU_DEP_1) | instskip(SKIP_3) | instid1(VALU_DEP_1)
	v_fmac_f32_e32 v119, v113, v120
	ds_load_b64 v[112:113], v110 offset:432
	v_fmac_f32_e32 v119, v114, v121
	s_waitcnt vmcnt(1)
	v_fmac_f32_e32 v119, v115, v122
	s_waitcnt lgkmcnt(1)
	s_delay_alu instid0(VALU_DEP_1) | instskip(NEXT) | instid1(VALU_DEP_1)
	v_fmac_f32_e32 v119, v116, v123
	v_fmac_f32_e32 v119, v117, v124
	s_delay_alu instid0(VALU_DEP_1) | instskip(SKIP_1) | instid1(VALU_DEP_1)
	v_fmac_f32_e32 v119, v118, v125
	s_waitcnt vmcnt(0)
	v_fmac_f32_e32 v119, v127, v126
	s_waitcnt lgkmcnt(0)
	s_delay_alu instid0(VALU_DEP_1) | instskip(NEXT) | instid1(VALU_DEP_1)
	v_fmac_f32_e32 v119, v128, v112
	v_fmac_f32_e32 v119, v129, v113
	s_delay_alu instid0(VALU_DEP_1)
	v_sub_f32_e32 v110, v111, v119
	scratch_store_b32 off, v110, off offset:172
	v_cmpx_lt_u32_e32 42, v0
	s_cbranch_execz .LBB117_247
; %bb.246:
	scratch_load_b32 v110, off, off offset:168
	v_mov_b32_e32 v111, 0
	scratch_store_b32 off, v111, off offset:168
	s_waitcnt vmcnt(0)
	ds_store_b32 v109, v110
.LBB117_247:
	s_or_b32 exec_lo, exec_lo, s0
	s_waitcnt lgkmcnt(0)
	s_waitcnt_vscnt null, 0x0
	s_barrier
	buffer_gl0_inv
	s_clause 0x2
	scratch_load_b128 v[111:114], off, off offset:168
	scratch_load_b128 v[115:118], off, off offset:184
	;; [unrolled: 1-line block ×3, first 2 shown]
	v_mov_b32_e32 v110, 0
	ds_load_2addr_b32 v[123:124], v110 offset0:99 offset1:100
	ds_load_2addr_b32 v[125:126], v110 offset0:101 offset1:102
	ds_load_2addr_b32 v[127:128], v110 offset0:103 offset1:104
	ds_load_2addr_b32 v[129:130], v110 offset0:105 offset1:106
	s_mov_b32 s0, exec_lo
	s_waitcnt vmcnt(2) lgkmcnt(3)
	v_fma_f32 v123, v112, v123, 0
	s_delay_alu instid0(VALU_DEP_1)
	v_fmac_f32_e32 v123, v113, v124
	ds_load_2addr_b32 v[112:113], v110 offset0:107 offset1:108
	s_waitcnt lgkmcnt(3)
	v_fmac_f32_e32 v123, v114, v125
	ds_load_b32 v114, v110 offset:436
	s_waitcnt vmcnt(1)
	v_fmac_f32_e32 v123, v115, v126
	s_waitcnt lgkmcnt(3)
	s_delay_alu instid0(VALU_DEP_1) | instskip(NEXT) | instid1(VALU_DEP_1)
	v_fmac_f32_e32 v123, v116, v127
	v_fmac_f32_e32 v123, v117, v128
	s_waitcnt lgkmcnt(2)
	s_delay_alu instid0(VALU_DEP_1) | instskip(SKIP_1) | instid1(VALU_DEP_1)
	v_fmac_f32_e32 v123, v118, v129
	s_waitcnt vmcnt(0)
	v_fmac_f32_e32 v123, v119, v130
	s_waitcnt lgkmcnt(1)
	s_delay_alu instid0(VALU_DEP_1) | instskip(NEXT) | instid1(VALU_DEP_1)
	v_fmac_f32_e32 v123, v120, v112
	v_fmac_f32_e32 v123, v121, v113
	s_waitcnt lgkmcnt(0)
	s_delay_alu instid0(VALU_DEP_1) | instskip(NEXT) | instid1(VALU_DEP_1)
	v_fmac_f32_e32 v123, v122, v114
	v_sub_f32_e32 v111, v111, v123
	scratch_store_b32 off, v111, off offset:168
	v_cmpx_lt_u32_e32 41, v0
	s_cbranch_execz .LBB117_249
; %bb.248:
	scratch_load_b32 v111, off, off offset:164
	scratch_store_b32 off, v110, off offset:164
	s_waitcnt vmcnt(0)
	ds_store_b32 v109, v111
.LBB117_249:
	s_or_b32 exec_lo, exec_lo, s0
	s_waitcnt lgkmcnt(0)
	s_waitcnt_vscnt null, 0x0
	s_barrier
	buffer_gl0_inv
	s_clause 0x3
	scratch_load_b128 v[111:114], off, off offset:164
	scratch_load_b128 v[115:118], off, off offset:180
	;; [unrolled: 1-line block ×3, first 2 shown]
	scratch_load_b32 v131, off, off offset:212
	ds_load_2addr_b64 v[123:126], v110 offset0:49 offset1:50
	ds_load_2addr_b64 v[127:130], v110 offset0:51 offset1:52
	s_mov_b32 s0, exec_lo
	s_waitcnt vmcnt(3) lgkmcnt(1)
	v_fma_f32 v123, v112, v123, 0
	s_delay_alu instid0(VALU_DEP_1) | instskip(NEXT) | instid1(VALU_DEP_1)
	v_fmac_f32_e32 v123, v113, v124
	v_fmac_f32_e32 v123, v114, v125
	s_waitcnt vmcnt(2)
	s_delay_alu instid0(VALU_DEP_1) | instskip(SKIP_3) | instid1(VALU_DEP_1)
	v_fmac_f32_e32 v123, v115, v126
	ds_load_2addr_b64 v[112:115], v110 offset0:53 offset1:54
	s_waitcnt lgkmcnt(1)
	v_fmac_f32_e32 v123, v116, v127
	v_fmac_f32_e32 v123, v117, v128
	s_delay_alu instid0(VALU_DEP_1) | instskip(SKIP_1) | instid1(VALU_DEP_1)
	v_fmac_f32_e32 v123, v118, v129
	s_waitcnt vmcnt(1)
	v_fmac_f32_e32 v123, v119, v130
	s_waitcnt lgkmcnt(0)
	s_delay_alu instid0(VALU_DEP_1) | instskip(NEXT) | instid1(VALU_DEP_1)
	v_fmac_f32_e32 v123, v120, v112
	v_fmac_f32_e32 v123, v121, v113
	s_delay_alu instid0(VALU_DEP_1) | instskip(SKIP_1) | instid1(VALU_DEP_1)
	v_fmac_f32_e32 v123, v122, v114
	s_waitcnt vmcnt(0)
	v_fmac_f32_e32 v123, v131, v115
	s_delay_alu instid0(VALU_DEP_1)
	v_sub_f32_e32 v110, v111, v123
	scratch_store_b32 off, v110, off offset:164
	v_cmpx_lt_u32_e32 40, v0
	s_cbranch_execz .LBB117_251
; %bb.250:
	scratch_load_b32 v110, off, off offset:160
	v_mov_b32_e32 v111, 0
	scratch_store_b32 off, v111, off offset:160
	s_waitcnt vmcnt(0)
	ds_store_b32 v109, v110
.LBB117_251:
	s_or_b32 exec_lo, exec_lo, s0
	s_waitcnt lgkmcnt(0)
	s_waitcnt_vscnt null, 0x0
	s_barrier
	buffer_gl0_inv
	s_clause 0x3
	scratch_load_b128 v[111:114], off, off offset:160
	scratch_load_b128 v[115:118], off, off offset:176
	;; [unrolled: 1-line block ×3, first 2 shown]
	scratch_load_b64 v[123:124], off, off offset:208
	v_mov_b32_e32 v110, 0
	ds_load_2addr_b32 v[125:126], v110 offset0:97 offset1:98
	ds_load_2addr_b32 v[127:128], v110 offset0:99 offset1:100
	ds_load_2addr_b32 v[129:130], v110 offset0:101 offset1:102
	ds_load_2addr_b32 v[131:132], v110 offset0:103 offset1:104
	s_mov_b32 s0, exec_lo
	s_waitcnt vmcnt(3) lgkmcnt(3)
	v_fma_f32 v125, v112, v125, 0
	s_delay_alu instid0(VALU_DEP_1) | instskip(SKIP_4) | instid1(VALU_DEP_1)
	v_fmac_f32_e32 v125, v113, v126
	ds_load_2addr_b32 v[112:113], v110 offset0:105 offset1:106
	s_waitcnt lgkmcnt(3)
	v_fmac_f32_e32 v125, v114, v127
	s_waitcnt vmcnt(2)
	v_fmac_f32_e32 v125, v115, v128
	ds_load_2addr_b32 v[114:115], v110 offset0:107 offset1:108
	s_waitcnt lgkmcnt(3)
	v_fmac_f32_e32 v125, v116, v129
	ds_load_b32 v116, v110 offset:436
	v_fmac_f32_e32 v125, v117, v130
	s_waitcnt lgkmcnt(3)
	s_delay_alu instid0(VALU_DEP_1) | instskip(SKIP_1) | instid1(VALU_DEP_1)
	v_fmac_f32_e32 v125, v118, v131
	s_waitcnt vmcnt(1)
	v_fmac_f32_e32 v125, v119, v132
	s_waitcnt lgkmcnt(2)
	s_delay_alu instid0(VALU_DEP_1) | instskip(NEXT) | instid1(VALU_DEP_1)
	v_fmac_f32_e32 v125, v120, v112
	v_fmac_f32_e32 v125, v121, v113
	s_waitcnt lgkmcnt(1)
	s_delay_alu instid0(VALU_DEP_1) | instskip(SKIP_1) | instid1(VALU_DEP_1)
	v_fmac_f32_e32 v125, v122, v114
	s_waitcnt vmcnt(0)
	v_fmac_f32_e32 v125, v123, v115
	s_waitcnt lgkmcnt(0)
	s_delay_alu instid0(VALU_DEP_1) | instskip(NEXT) | instid1(VALU_DEP_1)
	v_fmac_f32_e32 v125, v124, v116
	v_sub_f32_e32 v111, v111, v125
	scratch_store_b32 off, v111, off offset:160
	v_cmpx_lt_u32_e32 39, v0
	s_cbranch_execz .LBB117_253
; %bb.252:
	scratch_load_b32 v111, off, off offset:156
	scratch_store_b32 off, v110, off offset:156
	s_waitcnt vmcnt(0)
	ds_store_b32 v109, v111
.LBB117_253:
	s_or_b32 exec_lo, exec_lo, s0
	s_waitcnt lgkmcnt(0)
	s_waitcnt_vscnt null, 0x0
	s_barrier
	buffer_gl0_inv
	s_clause 0x3
	scratch_load_b128 v[111:114], off, off offset:156
	scratch_load_b128 v[115:118], off, off offset:172
	;; [unrolled: 1-line block ×3, first 2 shown]
	scratch_load_b96 v[131:133], off, off offset:204
	ds_load_b128 v[123:126], v110 offset:384
	ds_load_b128 v[127:130], v110 offset:400
	s_mov_b32 s0, exec_lo
	s_waitcnt vmcnt(3) lgkmcnt(1)
	v_fma_f32 v123, v112, v123, 0
	s_delay_alu instid0(VALU_DEP_1) | instskip(NEXT) | instid1(VALU_DEP_1)
	v_fmac_f32_e32 v123, v113, v124
	v_fmac_f32_e32 v123, v114, v125
	s_waitcnt vmcnt(2)
	s_delay_alu instid0(VALU_DEP_1) | instskip(SKIP_3) | instid1(VALU_DEP_1)
	v_fmac_f32_e32 v123, v115, v126
	ds_load_b128 v[112:115], v110 offset:416
	s_waitcnt lgkmcnt(1)
	v_fmac_f32_e32 v123, v116, v127
	v_fmac_f32_e32 v123, v117, v128
	ds_load_b64 v[116:117], v110 offset:432
	v_fmac_f32_e32 v123, v118, v129
	s_waitcnt vmcnt(1)
	s_delay_alu instid0(VALU_DEP_1) | instskip(SKIP_1) | instid1(VALU_DEP_1)
	v_fmac_f32_e32 v123, v119, v130
	s_waitcnt lgkmcnt(1)
	v_fmac_f32_e32 v123, v120, v112
	s_delay_alu instid0(VALU_DEP_1) | instskip(NEXT) | instid1(VALU_DEP_1)
	v_fmac_f32_e32 v123, v121, v113
	v_fmac_f32_e32 v123, v122, v114
	s_waitcnt vmcnt(0)
	s_delay_alu instid0(VALU_DEP_1) | instskip(SKIP_1) | instid1(VALU_DEP_1)
	v_fmac_f32_e32 v123, v131, v115
	s_waitcnt lgkmcnt(0)
	v_fmac_f32_e32 v123, v132, v116
	s_delay_alu instid0(VALU_DEP_1) | instskip(NEXT) | instid1(VALU_DEP_1)
	v_fmac_f32_e32 v123, v133, v117
	v_sub_f32_e32 v110, v111, v123
	scratch_store_b32 off, v110, off offset:156
	v_cmpx_lt_u32_e32 38, v0
	s_cbranch_execz .LBB117_255
; %bb.254:
	scratch_load_b32 v110, off, off offset:152
	v_mov_b32_e32 v111, 0
	scratch_store_b32 off, v111, off offset:152
	s_waitcnt vmcnt(0)
	ds_store_b32 v109, v110
.LBB117_255:
	s_or_b32 exec_lo, exec_lo, s0
	s_waitcnt lgkmcnt(0)
	s_waitcnt_vscnt null, 0x0
	s_barrier
	buffer_gl0_inv
	s_clause 0x3
	scratch_load_b128 v[111:114], off, off offset:152
	scratch_load_b128 v[115:118], off, off offset:168
	;; [unrolled: 1-line block ×4, first 2 shown]
	v_mov_b32_e32 v110, 0
	ds_load_2addr_b32 v[127:128], v110 offset0:95 offset1:96
	ds_load_2addr_b32 v[129:130], v110 offset0:97 offset1:98
	;; [unrolled: 1-line block ×4, first 2 shown]
	s_mov_b32 s0, exec_lo
	s_waitcnt vmcnt(3) lgkmcnt(3)
	v_fma_f32 v127, v112, v127, 0
	s_delay_alu instid0(VALU_DEP_1) | instskip(SKIP_4) | instid1(VALU_DEP_1)
	v_fmac_f32_e32 v127, v113, v128
	ds_load_2addr_b32 v[112:113], v110 offset0:103 offset1:104
	s_waitcnt lgkmcnt(3)
	v_fmac_f32_e32 v127, v114, v129
	s_waitcnt vmcnt(2)
	v_fmac_f32_e32 v127, v115, v130
	ds_load_2addr_b32 v[114:115], v110 offset0:105 offset1:106
	s_waitcnt lgkmcnt(3)
	v_fmac_f32_e32 v127, v116, v131
	s_delay_alu instid0(VALU_DEP_1) | instskip(SKIP_1) | instid1(VALU_DEP_1)
	v_fmac_f32_e32 v127, v117, v132
	s_waitcnt lgkmcnt(2)
	v_fmac_f32_e32 v127, v118, v133
	ds_load_2addr_b32 v[116:117], v110 offset0:107 offset1:108
	ds_load_b32 v118, v110 offset:436
	s_waitcnt vmcnt(1)
	v_fmac_f32_e32 v127, v119, v134
	s_waitcnt lgkmcnt(3)
	s_delay_alu instid0(VALU_DEP_1) | instskip(NEXT) | instid1(VALU_DEP_1)
	v_fmac_f32_e32 v127, v120, v112
	v_fmac_f32_e32 v127, v121, v113
	s_waitcnt lgkmcnt(2)
	s_delay_alu instid0(VALU_DEP_1) | instskip(SKIP_1) | instid1(VALU_DEP_1)
	v_fmac_f32_e32 v127, v122, v114
	s_waitcnt vmcnt(0)
	v_fmac_f32_e32 v127, v123, v115
	s_waitcnt lgkmcnt(1)
	s_delay_alu instid0(VALU_DEP_1) | instskip(NEXT) | instid1(VALU_DEP_1)
	v_fmac_f32_e32 v127, v124, v116
	v_fmac_f32_e32 v127, v125, v117
	s_waitcnt lgkmcnt(0)
	s_delay_alu instid0(VALU_DEP_1) | instskip(NEXT) | instid1(VALU_DEP_1)
	v_fmac_f32_e32 v127, v126, v118
	v_sub_f32_e32 v111, v111, v127
	scratch_store_b32 off, v111, off offset:152
	v_cmpx_lt_u32_e32 37, v0
	s_cbranch_execz .LBB117_257
; %bb.256:
	scratch_load_b32 v111, off, off offset:148
	scratch_store_b32 off, v110, off offset:148
	s_waitcnt vmcnt(0)
	ds_store_b32 v109, v111
.LBB117_257:
	s_or_b32 exec_lo, exec_lo, s0
	s_waitcnt lgkmcnt(0)
	s_waitcnt_vscnt null, 0x0
	s_barrier
	buffer_gl0_inv
	s_clause 0x4
	scratch_load_b128 v[111:114], off, off offset:148
	scratch_load_b128 v[115:118], off, off offset:164
	;; [unrolled: 1-line block ×4, first 2 shown]
	scratch_load_b32 v135, off, off offset:212
	ds_load_2addr_b64 v[127:130], v110 offset0:47 offset1:48
	ds_load_2addr_b64 v[131:134], v110 offset0:49 offset1:50
	s_mov_b32 s0, exec_lo
	s_waitcnt vmcnt(4) lgkmcnt(1)
	v_fma_f32 v127, v112, v127, 0
	s_delay_alu instid0(VALU_DEP_1) | instskip(NEXT) | instid1(VALU_DEP_1)
	v_fmac_f32_e32 v127, v113, v128
	v_fmac_f32_e32 v127, v114, v129
	s_waitcnt vmcnt(3)
	s_delay_alu instid0(VALU_DEP_1) | instskip(SKIP_3) | instid1(VALU_DEP_1)
	v_fmac_f32_e32 v127, v115, v130
	ds_load_2addr_b64 v[112:115], v110 offset0:51 offset1:52
	s_waitcnt lgkmcnt(1)
	v_fmac_f32_e32 v127, v116, v131
	v_fmac_f32_e32 v127, v117, v132
	s_delay_alu instid0(VALU_DEP_1) | instskip(SKIP_1) | instid1(VALU_DEP_1)
	v_fmac_f32_e32 v127, v118, v133
	s_waitcnt vmcnt(2)
	v_fmac_f32_e32 v127, v119, v134
	ds_load_2addr_b64 v[116:119], v110 offset0:53 offset1:54
	s_waitcnt lgkmcnt(1)
	v_fmac_f32_e32 v127, v120, v112
	s_delay_alu instid0(VALU_DEP_1) | instskip(NEXT) | instid1(VALU_DEP_1)
	v_fmac_f32_e32 v127, v121, v113
	v_fmac_f32_e32 v127, v122, v114
	s_waitcnt vmcnt(1)
	s_delay_alu instid0(VALU_DEP_1) | instskip(SKIP_1) | instid1(VALU_DEP_1)
	v_fmac_f32_e32 v127, v123, v115
	s_waitcnt lgkmcnt(0)
	v_fmac_f32_e32 v127, v124, v116
	s_delay_alu instid0(VALU_DEP_1) | instskip(NEXT) | instid1(VALU_DEP_1)
	v_fmac_f32_e32 v127, v125, v117
	v_fmac_f32_e32 v127, v126, v118
	s_waitcnt vmcnt(0)
	s_delay_alu instid0(VALU_DEP_1) | instskip(NEXT) | instid1(VALU_DEP_1)
	v_fmac_f32_e32 v127, v135, v119
	v_sub_f32_e32 v110, v111, v127
	scratch_store_b32 off, v110, off offset:148
	v_cmpx_lt_u32_e32 36, v0
	s_cbranch_execz .LBB117_259
; %bb.258:
	scratch_load_b32 v110, off, off offset:144
	v_mov_b32_e32 v111, 0
	scratch_store_b32 off, v111, off offset:144
	s_waitcnt vmcnt(0)
	ds_store_b32 v109, v110
.LBB117_259:
	s_or_b32 exec_lo, exec_lo, s0
	s_waitcnt lgkmcnt(0)
	s_waitcnt_vscnt null, 0x0
	s_barrier
	buffer_gl0_inv
	s_clause 0x4
	scratch_load_b128 v[111:114], off, off offset:144
	scratch_load_b128 v[115:118], off, off offset:160
	;; [unrolled: 1-line block ×4, first 2 shown]
	scratch_load_b64 v[127:128], off, off offset:208
	v_mov_b32_e32 v110, 0
	ds_load_2addr_b32 v[129:130], v110 offset0:93 offset1:94
	ds_load_2addr_b32 v[131:132], v110 offset0:95 offset1:96
	;; [unrolled: 1-line block ×4, first 2 shown]
	s_mov_b32 s0, exec_lo
	s_waitcnt vmcnt(4) lgkmcnt(3)
	v_fma_f32 v129, v112, v129, 0
	s_delay_alu instid0(VALU_DEP_1) | instskip(SKIP_4) | instid1(VALU_DEP_1)
	v_fmac_f32_e32 v129, v113, v130
	ds_load_2addr_b32 v[112:113], v110 offset0:101 offset1:102
	s_waitcnt lgkmcnt(3)
	v_fmac_f32_e32 v129, v114, v131
	s_waitcnt vmcnt(3)
	v_fmac_f32_e32 v129, v115, v132
	ds_load_2addr_b32 v[114:115], v110 offset0:103 offset1:104
	s_waitcnt lgkmcnt(3)
	v_fmac_f32_e32 v129, v116, v133
	s_delay_alu instid0(VALU_DEP_1) | instskip(SKIP_1) | instid1(VALU_DEP_1)
	v_fmac_f32_e32 v129, v117, v134
	s_waitcnt lgkmcnt(2)
	v_fmac_f32_e32 v129, v118, v135
	s_waitcnt vmcnt(2)
	s_delay_alu instid0(VALU_DEP_1)
	v_fmac_f32_e32 v129, v119, v136
	ds_load_2addr_b32 v[116:117], v110 offset0:105 offset1:106
	ds_load_2addr_b32 v[118:119], v110 offset0:107 offset1:108
	s_waitcnt lgkmcnt(3)
	v_fmac_f32_e32 v129, v120, v112
	ds_load_b32 v112, v110 offset:436
	v_fmac_f32_e32 v129, v121, v113
	s_waitcnt lgkmcnt(3)
	s_delay_alu instid0(VALU_DEP_1) | instskip(SKIP_1) | instid1(VALU_DEP_1)
	v_fmac_f32_e32 v129, v122, v114
	s_waitcnt vmcnt(1)
	v_fmac_f32_e32 v129, v123, v115
	s_waitcnt lgkmcnt(2)
	s_delay_alu instid0(VALU_DEP_1) | instskip(NEXT) | instid1(VALU_DEP_1)
	v_fmac_f32_e32 v129, v124, v116
	v_fmac_f32_e32 v129, v125, v117
	s_waitcnt lgkmcnt(1)
	s_delay_alu instid0(VALU_DEP_1) | instskip(SKIP_1) | instid1(VALU_DEP_1)
	v_fmac_f32_e32 v129, v126, v118
	s_waitcnt vmcnt(0)
	v_fmac_f32_e32 v129, v127, v119
	s_waitcnt lgkmcnt(0)
	s_delay_alu instid0(VALU_DEP_1) | instskip(NEXT) | instid1(VALU_DEP_1)
	v_fmac_f32_e32 v129, v128, v112
	v_sub_f32_e32 v111, v111, v129
	scratch_store_b32 off, v111, off offset:144
	v_cmpx_lt_u32_e32 35, v0
	s_cbranch_execz .LBB117_261
; %bb.260:
	scratch_load_b32 v111, off, off offset:140
	scratch_store_b32 off, v110, off offset:140
	s_waitcnt vmcnt(0)
	ds_store_b32 v109, v111
.LBB117_261:
	s_or_b32 exec_lo, exec_lo, s0
	s_waitcnt lgkmcnt(0)
	s_waitcnt_vscnt null, 0x0
	s_barrier
	buffer_gl0_inv
	s_clause 0x4
	scratch_load_b128 v[111:114], off, off offset:140
	scratch_load_b128 v[115:118], off, off offset:156
	scratch_load_b128 v[119:122], off, off offset:172
	scratch_load_b128 v[123:126], off, off offset:188
	scratch_load_b96 v[135:137], off, off offset:204
	ds_load_b128 v[127:130], v110 offset:368
	ds_load_b128 v[131:134], v110 offset:384
	s_mov_b32 s0, exec_lo
	s_waitcnt vmcnt(4) lgkmcnt(1)
	v_fma_f32 v127, v112, v127, 0
	s_delay_alu instid0(VALU_DEP_1) | instskip(NEXT) | instid1(VALU_DEP_1)
	v_fmac_f32_e32 v127, v113, v128
	v_fmac_f32_e32 v127, v114, v129
	s_waitcnt vmcnt(3)
	s_delay_alu instid0(VALU_DEP_1) | instskip(SKIP_3) | instid1(VALU_DEP_1)
	v_fmac_f32_e32 v127, v115, v130
	ds_load_b128 v[112:115], v110 offset:400
	s_waitcnt lgkmcnt(1)
	v_fmac_f32_e32 v127, v116, v131
	v_fmac_f32_e32 v127, v117, v132
	s_delay_alu instid0(VALU_DEP_1) | instskip(SKIP_1) | instid1(VALU_DEP_1)
	v_fmac_f32_e32 v127, v118, v133
	s_waitcnt vmcnt(2)
	v_fmac_f32_e32 v127, v119, v134
	ds_load_b128 v[116:119], v110 offset:416
	s_waitcnt lgkmcnt(1)
	v_fmac_f32_e32 v127, v120, v112
	s_delay_alu instid0(VALU_DEP_1) | instskip(SKIP_3) | instid1(VALU_DEP_1)
	v_fmac_f32_e32 v127, v121, v113
	ds_load_b64 v[112:113], v110 offset:432
	v_fmac_f32_e32 v127, v122, v114
	s_waitcnt vmcnt(1)
	v_fmac_f32_e32 v127, v123, v115
	s_waitcnt lgkmcnt(1)
	s_delay_alu instid0(VALU_DEP_1) | instskip(NEXT) | instid1(VALU_DEP_1)
	v_fmac_f32_e32 v127, v124, v116
	v_fmac_f32_e32 v127, v125, v117
	s_delay_alu instid0(VALU_DEP_1) | instskip(SKIP_1) | instid1(VALU_DEP_1)
	v_fmac_f32_e32 v127, v126, v118
	s_waitcnt vmcnt(0)
	v_fmac_f32_e32 v127, v135, v119
	s_waitcnt lgkmcnt(0)
	s_delay_alu instid0(VALU_DEP_1) | instskip(NEXT) | instid1(VALU_DEP_1)
	v_fmac_f32_e32 v127, v136, v112
	v_fmac_f32_e32 v127, v137, v113
	s_delay_alu instid0(VALU_DEP_1)
	v_sub_f32_e32 v110, v111, v127
	scratch_store_b32 off, v110, off offset:140
	v_cmpx_lt_u32_e32 34, v0
	s_cbranch_execz .LBB117_263
; %bb.262:
	scratch_load_b32 v110, off, off offset:136
	v_mov_b32_e32 v111, 0
	scratch_store_b32 off, v111, off offset:136
	s_waitcnt vmcnt(0)
	ds_store_b32 v109, v110
.LBB117_263:
	s_or_b32 exec_lo, exec_lo, s0
	s_waitcnt lgkmcnt(0)
	s_waitcnt_vscnt null, 0x0
	s_barrier
	buffer_gl0_inv
	s_clause 0x4
	scratch_load_b128 v[111:114], off, off offset:136
	scratch_load_b128 v[115:118], off, off offset:152
	;; [unrolled: 1-line block ×5, first 2 shown]
	v_mov_b32_e32 v110, 0
	ds_load_2addr_b32 v[131:132], v110 offset0:91 offset1:92
	ds_load_2addr_b32 v[133:134], v110 offset0:93 offset1:94
	;; [unrolled: 1-line block ×4, first 2 shown]
	s_mov_b32 s0, exec_lo
	s_waitcnt vmcnt(4) lgkmcnt(3)
	v_fma_f32 v131, v112, v131, 0
	s_delay_alu instid0(VALU_DEP_1) | instskip(SKIP_4) | instid1(VALU_DEP_1)
	v_fmac_f32_e32 v131, v113, v132
	ds_load_2addr_b32 v[112:113], v110 offset0:99 offset1:100
	s_waitcnt lgkmcnt(3)
	v_fmac_f32_e32 v131, v114, v133
	s_waitcnt vmcnt(3)
	v_fmac_f32_e32 v131, v115, v134
	ds_load_2addr_b32 v[114:115], v110 offset0:101 offset1:102
	s_waitcnt lgkmcnt(3)
	v_fmac_f32_e32 v131, v116, v135
	s_delay_alu instid0(VALU_DEP_1) | instskip(SKIP_1) | instid1(VALU_DEP_1)
	v_fmac_f32_e32 v131, v117, v136
	s_waitcnt lgkmcnt(2)
	v_fmac_f32_e32 v131, v118, v137
	s_waitcnt vmcnt(2)
	s_delay_alu instid0(VALU_DEP_1) | instskip(SKIP_4) | instid1(VALU_DEP_1)
	v_fmac_f32_e32 v131, v119, v138
	ds_load_2addr_b32 v[116:117], v110 offset0:103 offset1:104
	ds_load_2addr_b32 v[118:119], v110 offset0:105 offset1:106
	s_waitcnt lgkmcnt(3)
	v_fmac_f32_e32 v131, v120, v112
	v_fmac_f32_e32 v131, v121, v113
	ds_load_2addr_b32 v[112:113], v110 offset0:107 offset1:108
	s_waitcnt lgkmcnt(3)
	v_fmac_f32_e32 v131, v122, v114
	ds_load_b32 v114, v110 offset:436
	s_waitcnt vmcnt(1)
	v_fmac_f32_e32 v131, v123, v115
	s_waitcnt lgkmcnt(3)
	s_delay_alu instid0(VALU_DEP_1) | instskip(NEXT) | instid1(VALU_DEP_1)
	v_fmac_f32_e32 v131, v124, v116
	v_fmac_f32_e32 v131, v125, v117
	s_waitcnt lgkmcnt(2)
	s_delay_alu instid0(VALU_DEP_1) | instskip(SKIP_1) | instid1(VALU_DEP_1)
	v_fmac_f32_e32 v131, v126, v118
	s_waitcnt vmcnt(0)
	v_fmac_f32_e32 v131, v127, v119
	s_waitcnt lgkmcnt(1)
	s_delay_alu instid0(VALU_DEP_1) | instskip(NEXT) | instid1(VALU_DEP_1)
	v_fmac_f32_e32 v131, v128, v112
	v_fmac_f32_e32 v131, v129, v113
	s_waitcnt lgkmcnt(0)
	s_delay_alu instid0(VALU_DEP_1) | instskip(NEXT) | instid1(VALU_DEP_1)
	v_fmac_f32_e32 v131, v130, v114
	v_sub_f32_e32 v111, v111, v131
	scratch_store_b32 off, v111, off offset:136
	v_cmpx_lt_u32_e32 33, v0
	s_cbranch_execz .LBB117_265
; %bb.264:
	scratch_load_b32 v111, off, off offset:132
	scratch_store_b32 off, v110, off offset:132
	s_waitcnt vmcnt(0)
	ds_store_b32 v109, v111
.LBB117_265:
	s_or_b32 exec_lo, exec_lo, s0
	s_waitcnt lgkmcnt(0)
	s_waitcnt_vscnt null, 0x0
	s_barrier
	buffer_gl0_inv
	s_clause 0x5
	scratch_load_b128 v[111:114], off, off offset:132
	scratch_load_b128 v[115:118], off, off offset:148
	;; [unrolled: 1-line block ×5, first 2 shown]
	scratch_load_b32 v139, off, off offset:212
	ds_load_2addr_b64 v[131:134], v110 offset0:45 offset1:46
	ds_load_2addr_b64 v[135:138], v110 offset0:47 offset1:48
	s_mov_b32 s0, exec_lo
	s_waitcnt vmcnt(5) lgkmcnt(1)
	v_fma_f32 v131, v112, v131, 0
	s_delay_alu instid0(VALU_DEP_1) | instskip(NEXT) | instid1(VALU_DEP_1)
	v_fmac_f32_e32 v131, v113, v132
	v_fmac_f32_e32 v131, v114, v133
	s_waitcnt vmcnt(4)
	s_delay_alu instid0(VALU_DEP_1) | instskip(SKIP_3) | instid1(VALU_DEP_1)
	v_fmac_f32_e32 v131, v115, v134
	ds_load_2addr_b64 v[112:115], v110 offset0:49 offset1:50
	s_waitcnt lgkmcnt(1)
	v_fmac_f32_e32 v131, v116, v135
	v_fmac_f32_e32 v131, v117, v136
	s_delay_alu instid0(VALU_DEP_1) | instskip(SKIP_1) | instid1(VALU_DEP_1)
	v_fmac_f32_e32 v131, v118, v137
	s_waitcnt vmcnt(3)
	v_fmac_f32_e32 v131, v119, v138
	ds_load_2addr_b64 v[116:119], v110 offset0:51 offset1:52
	s_waitcnt lgkmcnt(1)
	v_fmac_f32_e32 v131, v120, v112
	s_delay_alu instid0(VALU_DEP_1) | instskip(NEXT) | instid1(VALU_DEP_1)
	v_fmac_f32_e32 v131, v121, v113
	v_fmac_f32_e32 v131, v122, v114
	s_waitcnt vmcnt(2)
	s_delay_alu instid0(VALU_DEP_1) | instskip(SKIP_3) | instid1(VALU_DEP_1)
	v_fmac_f32_e32 v131, v123, v115
	ds_load_2addr_b64 v[112:115], v110 offset0:53 offset1:54
	s_waitcnt lgkmcnt(1)
	v_fmac_f32_e32 v131, v124, v116
	v_fmac_f32_e32 v131, v125, v117
	s_delay_alu instid0(VALU_DEP_1) | instskip(SKIP_1) | instid1(VALU_DEP_1)
	v_fmac_f32_e32 v131, v126, v118
	s_waitcnt vmcnt(1)
	v_fmac_f32_e32 v131, v127, v119
	s_waitcnt lgkmcnt(0)
	s_delay_alu instid0(VALU_DEP_1) | instskip(NEXT) | instid1(VALU_DEP_1)
	v_fmac_f32_e32 v131, v128, v112
	v_fmac_f32_e32 v131, v129, v113
	s_delay_alu instid0(VALU_DEP_1) | instskip(SKIP_1) | instid1(VALU_DEP_1)
	v_fmac_f32_e32 v131, v130, v114
	s_waitcnt vmcnt(0)
	v_fmac_f32_e32 v131, v139, v115
	s_delay_alu instid0(VALU_DEP_1)
	v_sub_f32_e32 v110, v111, v131
	scratch_store_b32 off, v110, off offset:132
	v_cmpx_lt_u32_e32 32, v0
	s_cbranch_execz .LBB117_267
; %bb.266:
	scratch_load_b32 v110, off, off offset:128
	v_mov_b32_e32 v111, 0
	scratch_store_b32 off, v111, off offset:128
	s_waitcnt vmcnt(0)
	ds_store_b32 v109, v110
.LBB117_267:
	s_or_b32 exec_lo, exec_lo, s0
	s_waitcnt lgkmcnt(0)
	s_waitcnt_vscnt null, 0x0
	s_barrier
	buffer_gl0_inv
	s_clause 0x5
	scratch_load_b128 v[111:114], off, off offset:128
	scratch_load_b128 v[115:118], off, off offset:144
	;; [unrolled: 1-line block ×5, first 2 shown]
	scratch_load_b64 v[131:132], off, off offset:208
	v_mov_b32_e32 v110, 0
	ds_load_2addr_b32 v[133:134], v110 offset0:89 offset1:90
	ds_load_2addr_b32 v[135:136], v110 offset0:91 offset1:92
	;; [unrolled: 1-line block ×4, first 2 shown]
	s_mov_b32 s0, exec_lo
	s_waitcnt vmcnt(5) lgkmcnt(3)
	v_fma_f32 v133, v112, v133, 0
	s_delay_alu instid0(VALU_DEP_1) | instskip(SKIP_4) | instid1(VALU_DEP_1)
	v_fmac_f32_e32 v133, v113, v134
	ds_load_2addr_b32 v[112:113], v110 offset0:97 offset1:98
	s_waitcnt lgkmcnt(3)
	v_fmac_f32_e32 v133, v114, v135
	s_waitcnt vmcnt(4)
	v_fmac_f32_e32 v133, v115, v136
	ds_load_2addr_b32 v[114:115], v110 offset0:99 offset1:100
	s_waitcnt lgkmcnt(3)
	v_fmac_f32_e32 v133, v116, v137
	s_delay_alu instid0(VALU_DEP_1) | instskip(SKIP_1) | instid1(VALU_DEP_1)
	v_fmac_f32_e32 v133, v117, v138
	s_waitcnt lgkmcnt(2)
	v_fmac_f32_e32 v133, v118, v139
	s_waitcnt vmcnt(3)
	s_delay_alu instid0(VALU_DEP_1) | instskip(SKIP_4) | instid1(VALU_DEP_1)
	v_fmac_f32_e32 v133, v119, v140
	ds_load_2addr_b32 v[116:117], v110 offset0:101 offset1:102
	ds_load_2addr_b32 v[118:119], v110 offset0:103 offset1:104
	s_waitcnt lgkmcnt(3)
	v_fmac_f32_e32 v133, v120, v112
	v_fmac_f32_e32 v133, v121, v113
	ds_load_2addr_b32 v[112:113], v110 offset0:105 offset1:106
	s_waitcnt lgkmcnt(3)
	v_fmac_f32_e32 v133, v122, v114
	s_waitcnt vmcnt(2)
	s_delay_alu instid0(VALU_DEP_1)
	v_fmac_f32_e32 v133, v123, v115
	ds_load_2addr_b32 v[114:115], v110 offset0:107 offset1:108
	s_waitcnt lgkmcnt(3)
	v_fmac_f32_e32 v133, v124, v116
	ds_load_b32 v116, v110 offset:436
	v_fmac_f32_e32 v133, v125, v117
	s_waitcnt lgkmcnt(3)
	s_delay_alu instid0(VALU_DEP_1) | instskip(SKIP_1) | instid1(VALU_DEP_1)
	v_fmac_f32_e32 v133, v126, v118
	s_waitcnt vmcnt(1)
	v_fmac_f32_e32 v133, v127, v119
	s_waitcnt lgkmcnt(2)
	s_delay_alu instid0(VALU_DEP_1) | instskip(NEXT) | instid1(VALU_DEP_1)
	v_fmac_f32_e32 v133, v128, v112
	v_fmac_f32_e32 v133, v129, v113
	s_waitcnt lgkmcnt(1)
	s_delay_alu instid0(VALU_DEP_1) | instskip(SKIP_1) | instid1(VALU_DEP_1)
	v_fmac_f32_e32 v133, v130, v114
	s_waitcnt vmcnt(0)
	v_fmac_f32_e32 v133, v131, v115
	s_waitcnt lgkmcnt(0)
	s_delay_alu instid0(VALU_DEP_1) | instskip(NEXT) | instid1(VALU_DEP_1)
	v_fmac_f32_e32 v133, v132, v116
	v_sub_f32_e32 v111, v111, v133
	scratch_store_b32 off, v111, off offset:128
	v_cmpx_lt_u32_e32 31, v0
	s_cbranch_execz .LBB117_269
; %bb.268:
	scratch_load_b32 v111, off, off offset:124
	scratch_store_b32 off, v110, off offset:124
	s_waitcnt vmcnt(0)
	ds_store_b32 v109, v111
.LBB117_269:
	s_or_b32 exec_lo, exec_lo, s0
	s_waitcnt lgkmcnt(0)
	s_waitcnt_vscnt null, 0x0
	s_barrier
	buffer_gl0_inv
	s_clause 0x5
	scratch_load_b128 v[111:114], off, off offset:124
	scratch_load_b128 v[115:118], off, off offset:140
	;; [unrolled: 1-line block ×5, first 2 shown]
	scratch_load_b96 v[139:141], off, off offset:204
	ds_load_b128 v[131:134], v110 offset:352
	ds_load_b128 v[135:138], v110 offset:368
	s_mov_b32 s0, exec_lo
	s_waitcnt vmcnt(5) lgkmcnt(1)
	v_fma_f32 v131, v112, v131, 0
	s_delay_alu instid0(VALU_DEP_1) | instskip(NEXT) | instid1(VALU_DEP_1)
	v_fmac_f32_e32 v131, v113, v132
	v_fmac_f32_e32 v131, v114, v133
	s_waitcnt vmcnt(4)
	s_delay_alu instid0(VALU_DEP_1) | instskip(SKIP_3) | instid1(VALU_DEP_1)
	v_fmac_f32_e32 v131, v115, v134
	ds_load_b128 v[112:115], v110 offset:384
	s_waitcnt lgkmcnt(1)
	v_fmac_f32_e32 v131, v116, v135
	v_fmac_f32_e32 v131, v117, v136
	s_delay_alu instid0(VALU_DEP_1) | instskip(SKIP_1) | instid1(VALU_DEP_1)
	v_fmac_f32_e32 v131, v118, v137
	s_waitcnt vmcnt(3)
	v_fmac_f32_e32 v131, v119, v138
	ds_load_b128 v[116:119], v110 offset:400
	s_waitcnt lgkmcnt(1)
	v_fmac_f32_e32 v131, v120, v112
	s_delay_alu instid0(VALU_DEP_1) | instskip(NEXT) | instid1(VALU_DEP_1)
	v_fmac_f32_e32 v131, v121, v113
	v_fmac_f32_e32 v131, v122, v114
	s_waitcnt vmcnt(2)
	s_delay_alu instid0(VALU_DEP_1) | instskip(SKIP_3) | instid1(VALU_DEP_1)
	v_fmac_f32_e32 v131, v123, v115
	ds_load_b128 v[112:115], v110 offset:416
	s_waitcnt lgkmcnt(1)
	v_fmac_f32_e32 v131, v124, v116
	v_fmac_f32_e32 v131, v125, v117
	ds_load_b64 v[116:117], v110 offset:432
	v_fmac_f32_e32 v131, v126, v118
	s_waitcnt vmcnt(1)
	s_delay_alu instid0(VALU_DEP_1) | instskip(SKIP_1) | instid1(VALU_DEP_1)
	v_fmac_f32_e32 v131, v127, v119
	s_waitcnt lgkmcnt(1)
	v_fmac_f32_e32 v131, v128, v112
	s_delay_alu instid0(VALU_DEP_1) | instskip(NEXT) | instid1(VALU_DEP_1)
	v_fmac_f32_e32 v131, v129, v113
	v_fmac_f32_e32 v131, v130, v114
	s_waitcnt vmcnt(0)
	s_delay_alu instid0(VALU_DEP_1) | instskip(SKIP_1) | instid1(VALU_DEP_1)
	v_fmac_f32_e32 v131, v139, v115
	s_waitcnt lgkmcnt(0)
	v_fmac_f32_e32 v131, v140, v116
	s_delay_alu instid0(VALU_DEP_1) | instskip(NEXT) | instid1(VALU_DEP_1)
	v_fmac_f32_e32 v131, v141, v117
	v_sub_f32_e32 v110, v111, v131
	scratch_store_b32 off, v110, off offset:124
	v_cmpx_lt_u32_e32 30, v0
	s_cbranch_execz .LBB117_271
; %bb.270:
	scratch_load_b32 v110, off, off offset:120
	v_mov_b32_e32 v111, 0
	scratch_store_b32 off, v111, off offset:120
	s_waitcnt vmcnt(0)
	ds_store_b32 v109, v110
.LBB117_271:
	s_or_b32 exec_lo, exec_lo, s0
	s_waitcnt lgkmcnt(0)
	s_waitcnt_vscnt null, 0x0
	s_barrier
	buffer_gl0_inv
	s_clause 0x5
	scratch_load_b128 v[111:114], off, off offset:120
	scratch_load_b128 v[115:118], off, off offset:136
	;; [unrolled: 1-line block ×6, first 2 shown]
	v_mov_b32_e32 v110, 0
	ds_load_2addr_b32 v[135:136], v110 offset0:87 offset1:88
	ds_load_2addr_b32 v[137:138], v110 offset0:89 offset1:90
	;; [unrolled: 1-line block ×4, first 2 shown]
	s_mov_b32 s0, exec_lo
	s_waitcnt vmcnt(5) lgkmcnt(3)
	v_fma_f32 v135, v112, v135, 0
	s_delay_alu instid0(VALU_DEP_1) | instskip(SKIP_4) | instid1(VALU_DEP_1)
	v_fmac_f32_e32 v135, v113, v136
	ds_load_2addr_b32 v[112:113], v110 offset0:95 offset1:96
	s_waitcnt lgkmcnt(3)
	v_fmac_f32_e32 v135, v114, v137
	s_waitcnt vmcnt(4)
	v_fmac_f32_e32 v135, v115, v138
	ds_load_2addr_b32 v[114:115], v110 offset0:97 offset1:98
	s_waitcnt lgkmcnt(3)
	v_fmac_f32_e32 v135, v116, v139
	s_delay_alu instid0(VALU_DEP_1) | instskip(SKIP_1) | instid1(VALU_DEP_1)
	v_fmac_f32_e32 v135, v117, v140
	s_waitcnt lgkmcnt(2)
	v_fmac_f32_e32 v135, v118, v141
	s_waitcnt vmcnt(3)
	s_delay_alu instid0(VALU_DEP_1) | instskip(SKIP_4) | instid1(VALU_DEP_1)
	v_fmac_f32_e32 v135, v119, v142
	ds_load_2addr_b32 v[116:117], v110 offset0:99 offset1:100
	ds_load_2addr_b32 v[118:119], v110 offset0:101 offset1:102
	s_waitcnt lgkmcnt(3)
	v_fmac_f32_e32 v135, v120, v112
	v_fmac_f32_e32 v135, v121, v113
	ds_load_2addr_b32 v[112:113], v110 offset0:103 offset1:104
	s_waitcnt lgkmcnt(3)
	v_fmac_f32_e32 v135, v122, v114
	s_waitcnt vmcnt(2)
	s_delay_alu instid0(VALU_DEP_1) | instskip(SKIP_3) | instid1(VALU_DEP_1)
	v_fmac_f32_e32 v135, v123, v115
	ds_load_2addr_b32 v[114:115], v110 offset0:105 offset1:106
	s_waitcnt lgkmcnt(3)
	v_fmac_f32_e32 v135, v124, v116
	v_fmac_f32_e32 v135, v125, v117
	s_waitcnt lgkmcnt(2)
	s_delay_alu instid0(VALU_DEP_1)
	v_fmac_f32_e32 v135, v126, v118
	ds_load_2addr_b32 v[116:117], v110 offset0:107 offset1:108
	ds_load_b32 v118, v110 offset:436
	s_waitcnt vmcnt(1)
	v_fmac_f32_e32 v135, v127, v119
	s_waitcnt lgkmcnt(3)
	s_delay_alu instid0(VALU_DEP_1) | instskip(NEXT) | instid1(VALU_DEP_1)
	v_fmac_f32_e32 v135, v128, v112
	v_fmac_f32_e32 v135, v129, v113
	s_waitcnt lgkmcnt(2)
	s_delay_alu instid0(VALU_DEP_1) | instskip(SKIP_1) | instid1(VALU_DEP_1)
	v_fmac_f32_e32 v135, v130, v114
	s_waitcnt vmcnt(0)
	v_fmac_f32_e32 v135, v131, v115
	s_waitcnt lgkmcnt(1)
	s_delay_alu instid0(VALU_DEP_1) | instskip(NEXT) | instid1(VALU_DEP_1)
	v_fmac_f32_e32 v135, v132, v116
	v_fmac_f32_e32 v135, v133, v117
	s_waitcnt lgkmcnt(0)
	s_delay_alu instid0(VALU_DEP_1) | instskip(NEXT) | instid1(VALU_DEP_1)
	v_fmac_f32_e32 v135, v134, v118
	v_sub_f32_e32 v111, v111, v135
	scratch_store_b32 off, v111, off offset:120
	v_cmpx_lt_u32_e32 29, v0
	s_cbranch_execz .LBB117_273
; %bb.272:
	scratch_load_b32 v111, off, off offset:116
	scratch_store_b32 off, v110, off offset:116
	s_waitcnt vmcnt(0)
	ds_store_b32 v109, v111
.LBB117_273:
	s_or_b32 exec_lo, exec_lo, s0
	s_waitcnt lgkmcnt(0)
	s_waitcnt_vscnt null, 0x0
	s_barrier
	buffer_gl0_inv
	s_clause 0x6
	scratch_load_b128 v[111:114], off, off offset:116
	scratch_load_b128 v[115:118], off, off offset:132
	;; [unrolled: 1-line block ×6, first 2 shown]
	scratch_load_b32 v143, off, off offset:212
	ds_load_2addr_b64 v[135:138], v110 offset0:43 offset1:44
	ds_load_2addr_b64 v[139:142], v110 offset0:45 offset1:46
	s_mov_b32 s0, exec_lo
	s_waitcnt vmcnt(6) lgkmcnt(1)
	v_fma_f32 v135, v112, v135, 0
	s_delay_alu instid0(VALU_DEP_1) | instskip(NEXT) | instid1(VALU_DEP_1)
	v_fmac_f32_e32 v135, v113, v136
	v_fmac_f32_e32 v135, v114, v137
	s_waitcnt vmcnt(5)
	s_delay_alu instid0(VALU_DEP_1) | instskip(SKIP_3) | instid1(VALU_DEP_1)
	v_fmac_f32_e32 v135, v115, v138
	ds_load_2addr_b64 v[112:115], v110 offset0:47 offset1:48
	s_waitcnt lgkmcnt(1)
	v_fmac_f32_e32 v135, v116, v139
	v_fmac_f32_e32 v135, v117, v140
	s_delay_alu instid0(VALU_DEP_1) | instskip(SKIP_1) | instid1(VALU_DEP_1)
	v_fmac_f32_e32 v135, v118, v141
	s_waitcnt vmcnt(4)
	v_fmac_f32_e32 v135, v119, v142
	ds_load_2addr_b64 v[116:119], v110 offset0:49 offset1:50
	s_waitcnt lgkmcnt(1)
	v_fmac_f32_e32 v135, v120, v112
	s_delay_alu instid0(VALU_DEP_1) | instskip(NEXT) | instid1(VALU_DEP_1)
	v_fmac_f32_e32 v135, v121, v113
	v_fmac_f32_e32 v135, v122, v114
	s_waitcnt vmcnt(3)
	s_delay_alu instid0(VALU_DEP_1) | instskip(SKIP_3) | instid1(VALU_DEP_1)
	v_fmac_f32_e32 v135, v123, v115
	ds_load_2addr_b64 v[112:115], v110 offset0:51 offset1:52
	s_waitcnt lgkmcnt(1)
	v_fmac_f32_e32 v135, v124, v116
	v_fmac_f32_e32 v135, v125, v117
	s_delay_alu instid0(VALU_DEP_1) | instskip(SKIP_1) | instid1(VALU_DEP_1)
	v_fmac_f32_e32 v135, v126, v118
	s_waitcnt vmcnt(2)
	v_fmac_f32_e32 v135, v127, v119
	ds_load_2addr_b64 v[116:119], v110 offset0:53 offset1:54
	s_waitcnt lgkmcnt(1)
	v_fmac_f32_e32 v135, v128, v112
	s_delay_alu instid0(VALU_DEP_1) | instskip(NEXT) | instid1(VALU_DEP_1)
	v_fmac_f32_e32 v135, v129, v113
	v_fmac_f32_e32 v135, v130, v114
	s_waitcnt vmcnt(1)
	s_delay_alu instid0(VALU_DEP_1) | instskip(SKIP_1) | instid1(VALU_DEP_1)
	v_fmac_f32_e32 v135, v131, v115
	s_waitcnt lgkmcnt(0)
	v_fmac_f32_e32 v135, v132, v116
	s_delay_alu instid0(VALU_DEP_1) | instskip(NEXT) | instid1(VALU_DEP_1)
	v_fmac_f32_e32 v135, v133, v117
	v_fmac_f32_e32 v135, v134, v118
	s_waitcnt vmcnt(0)
	s_delay_alu instid0(VALU_DEP_1) | instskip(NEXT) | instid1(VALU_DEP_1)
	v_fmac_f32_e32 v135, v143, v119
	v_sub_f32_e32 v110, v111, v135
	scratch_store_b32 off, v110, off offset:116
	v_cmpx_lt_u32_e32 28, v0
	s_cbranch_execz .LBB117_275
; %bb.274:
	scratch_load_b32 v110, off, off offset:112
	v_mov_b32_e32 v111, 0
	scratch_store_b32 off, v111, off offset:112
	s_waitcnt vmcnt(0)
	ds_store_b32 v109, v110
.LBB117_275:
	s_or_b32 exec_lo, exec_lo, s0
	s_waitcnt lgkmcnt(0)
	s_waitcnt_vscnt null, 0x0
	s_barrier
	buffer_gl0_inv
	s_clause 0x6
	scratch_load_b128 v[111:114], off, off offset:112
	scratch_load_b128 v[115:118], off, off offset:128
	;; [unrolled: 1-line block ×6, first 2 shown]
	scratch_load_b64 v[135:136], off, off offset:208
	v_mov_b32_e32 v110, 0
	ds_load_2addr_b32 v[137:138], v110 offset0:85 offset1:86
	ds_load_2addr_b32 v[139:140], v110 offset0:87 offset1:88
	;; [unrolled: 1-line block ×4, first 2 shown]
	s_mov_b32 s0, exec_lo
	s_waitcnt vmcnt(6) lgkmcnt(3)
	v_fma_f32 v137, v112, v137, 0
	s_delay_alu instid0(VALU_DEP_1) | instskip(SKIP_4) | instid1(VALU_DEP_1)
	v_fmac_f32_e32 v137, v113, v138
	ds_load_2addr_b32 v[112:113], v110 offset0:93 offset1:94
	s_waitcnt lgkmcnt(3)
	v_fmac_f32_e32 v137, v114, v139
	s_waitcnt vmcnt(5)
	v_fmac_f32_e32 v137, v115, v140
	ds_load_2addr_b32 v[114:115], v110 offset0:95 offset1:96
	s_waitcnt lgkmcnt(3)
	v_fmac_f32_e32 v137, v116, v141
	s_delay_alu instid0(VALU_DEP_1) | instskip(SKIP_1) | instid1(VALU_DEP_1)
	v_fmac_f32_e32 v137, v117, v142
	s_waitcnt lgkmcnt(2)
	v_fmac_f32_e32 v137, v118, v143
	s_waitcnt vmcnt(4)
	s_delay_alu instid0(VALU_DEP_1) | instskip(SKIP_4) | instid1(VALU_DEP_1)
	v_fmac_f32_e32 v137, v119, v144
	ds_load_2addr_b32 v[116:117], v110 offset0:97 offset1:98
	ds_load_2addr_b32 v[118:119], v110 offset0:99 offset1:100
	s_waitcnt lgkmcnt(3)
	v_fmac_f32_e32 v137, v120, v112
	v_fmac_f32_e32 v137, v121, v113
	ds_load_2addr_b32 v[112:113], v110 offset0:101 offset1:102
	s_waitcnt lgkmcnt(3)
	v_fmac_f32_e32 v137, v122, v114
	s_waitcnt vmcnt(3)
	s_delay_alu instid0(VALU_DEP_1) | instskip(SKIP_3) | instid1(VALU_DEP_1)
	v_fmac_f32_e32 v137, v123, v115
	ds_load_2addr_b32 v[114:115], v110 offset0:103 offset1:104
	s_waitcnt lgkmcnt(3)
	v_fmac_f32_e32 v137, v124, v116
	v_fmac_f32_e32 v137, v125, v117
	s_waitcnt lgkmcnt(2)
	s_delay_alu instid0(VALU_DEP_1) | instskip(SKIP_1) | instid1(VALU_DEP_1)
	v_fmac_f32_e32 v137, v126, v118
	s_waitcnt vmcnt(2)
	v_fmac_f32_e32 v137, v127, v119
	ds_load_2addr_b32 v[116:117], v110 offset0:105 offset1:106
	ds_load_2addr_b32 v[118:119], v110 offset0:107 offset1:108
	s_waitcnt lgkmcnt(3)
	v_fmac_f32_e32 v137, v128, v112
	ds_load_b32 v112, v110 offset:436
	v_fmac_f32_e32 v137, v129, v113
	s_waitcnt lgkmcnt(3)
	s_delay_alu instid0(VALU_DEP_1) | instskip(SKIP_1) | instid1(VALU_DEP_1)
	v_fmac_f32_e32 v137, v130, v114
	s_waitcnt vmcnt(1)
	v_fmac_f32_e32 v137, v131, v115
	s_waitcnt lgkmcnt(2)
	s_delay_alu instid0(VALU_DEP_1) | instskip(NEXT) | instid1(VALU_DEP_1)
	v_fmac_f32_e32 v137, v132, v116
	v_fmac_f32_e32 v137, v133, v117
	s_waitcnt lgkmcnt(1)
	s_delay_alu instid0(VALU_DEP_1) | instskip(SKIP_1) | instid1(VALU_DEP_1)
	v_fmac_f32_e32 v137, v134, v118
	s_waitcnt vmcnt(0)
	v_fmac_f32_e32 v137, v135, v119
	s_waitcnt lgkmcnt(0)
	s_delay_alu instid0(VALU_DEP_1) | instskip(NEXT) | instid1(VALU_DEP_1)
	v_fmac_f32_e32 v137, v136, v112
	v_sub_f32_e32 v111, v111, v137
	scratch_store_b32 off, v111, off offset:112
	v_cmpx_lt_u32_e32 27, v0
	s_cbranch_execz .LBB117_277
; %bb.276:
	scratch_load_b32 v111, off, off offset:108
	scratch_store_b32 off, v110, off offset:108
	s_waitcnt vmcnt(0)
	ds_store_b32 v109, v111
.LBB117_277:
	s_or_b32 exec_lo, exec_lo, s0
	s_waitcnt lgkmcnt(0)
	s_waitcnt_vscnt null, 0x0
	s_barrier
	buffer_gl0_inv
	s_clause 0x6
	scratch_load_b128 v[111:114], off, off offset:108
	scratch_load_b128 v[115:118], off, off offset:124
	;; [unrolled: 1-line block ×6, first 2 shown]
	scratch_load_b96 v[143:145], off, off offset:204
	ds_load_b128 v[135:138], v110 offset:336
	ds_load_b128 v[139:142], v110 offset:352
	s_mov_b32 s0, exec_lo
	s_waitcnt vmcnt(6) lgkmcnt(1)
	v_fma_f32 v135, v112, v135, 0
	s_delay_alu instid0(VALU_DEP_1) | instskip(NEXT) | instid1(VALU_DEP_1)
	v_fmac_f32_e32 v135, v113, v136
	v_fmac_f32_e32 v135, v114, v137
	s_waitcnt vmcnt(5)
	s_delay_alu instid0(VALU_DEP_1) | instskip(SKIP_3) | instid1(VALU_DEP_1)
	v_fmac_f32_e32 v135, v115, v138
	ds_load_b128 v[112:115], v110 offset:368
	s_waitcnt lgkmcnt(1)
	v_fmac_f32_e32 v135, v116, v139
	v_fmac_f32_e32 v135, v117, v140
	s_delay_alu instid0(VALU_DEP_1) | instskip(SKIP_1) | instid1(VALU_DEP_1)
	v_fmac_f32_e32 v135, v118, v141
	s_waitcnt vmcnt(4)
	v_fmac_f32_e32 v135, v119, v142
	ds_load_b128 v[116:119], v110 offset:384
	s_waitcnt lgkmcnt(1)
	v_fmac_f32_e32 v135, v120, v112
	s_delay_alu instid0(VALU_DEP_1) | instskip(NEXT) | instid1(VALU_DEP_1)
	v_fmac_f32_e32 v135, v121, v113
	v_fmac_f32_e32 v135, v122, v114
	s_waitcnt vmcnt(3)
	s_delay_alu instid0(VALU_DEP_1) | instskip(SKIP_3) | instid1(VALU_DEP_1)
	v_fmac_f32_e32 v135, v123, v115
	ds_load_b128 v[112:115], v110 offset:400
	s_waitcnt lgkmcnt(1)
	v_fmac_f32_e32 v135, v124, v116
	v_fmac_f32_e32 v135, v125, v117
	s_delay_alu instid0(VALU_DEP_1) | instskip(SKIP_1) | instid1(VALU_DEP_1)
	v_fmac_f32_e32 v135, v126, v118
	s_waitcnt vmcnt(2)
	v_fmac_f32_e32 v135, v127, v119
	ds_load_b128 v[116:119], v110 offset:416
	s_waitcnt lgkmcnt(1)
	v_fmac_f32_e32 v135, v128, v112
	s_delay_alu instid0(VALU_DEP_1) | instskip(SKIP_3) | instid1(VALU_DEP_1)
	v_fmac_f32_e32 v135, v129, v113
	ds_load_b64 v[112:113], v110 offset:432
	v_fmac_f32_e32 v135, v130, v114
	s_waitcnt vmcnt(1)
	v_fmac_f32_e32 v135, v131, v115
	s_waitcnt lgkmcnt(1)
	s_delay_alu instid0(VALU_DEP_1) | instskip(NEXT) | instid1(VALU_DEP_1)
	v_fmac_f32_e32 v135, v132, v116
	v_fmac_f32_e32 v135, v133, v117
	s_delay_alu instid0(VALU_DEP_1) | instskip(SKIP_1) | instid1(VALU_DEP_1)
	v_fmac_f32_e32 v135, v134, v118
	s_waitcnt vmcnt(0)
	v_fmac_f32_e32 v135, v143, v119
	s_waitcnt lgkmcnt(0)
	s_delay_alu instid0(VALU_DEP_1) | instskip(NEXT) | instid1(VALU_DEP_1)
	v_fmac_f32_e32 v135, v144, v112
	v_fmac_f32_e32 v135, v145, v113
	s_delay_alu instid0(VALU_DEP_1)
	v_sub_f32_e32 v110, v111, v135
	scratch_store_b32 off, v110, off offset:108
	v_cmpx_lt_u32_e32 26, v0
	s_cbranch_execz .LBB117_279
; %bb.278:
	scratch_load_b32 v110, off, off offset:104
	v_mov_b32_e32 v111, 0
	scratch_store_b32 off, v111, off offset:104
	s_waitcnt vmcnt(0)
	ds_store_b32 v109, v110
.LBB117_279:
	s_or_b32 exec_lo, exec_lo, s0
	s_waitcnt lgkmcnt(0)
	s_waitcnt_vscnt null, 0x0
	s_barrier
	buffer_gl0_inv
	s_clause 0x6
	scratch_load_b128 v[111:114], off, off offset:104
	scratch_load_b128 v[115:118], off, off offset:120
	;; [unrolled: 1-line block ×7, first 2 shown]
	v_mov_b32_e32 v110, 0
	ds_load_2addr_b32 v[139:140], v110 offset0:83 offset1:84
	ds_load_2addr_b32 v[141:142], v110 offset0:85 offset1:86
	;; [unrolled: 1-line block ×4, first 2 shown]
	s_mov_b32 s0, exec_lo
	s_waitcnt vmcnt(6) lgkmcnt(3)
	v_fma_f32 v139, v112, v139, 0
	s_delay_alu instid0(VALU_DEP_1) | instskip(SKIP_4) | instid1(VALU_DEP_1)
	v_fmac_f32_e32 v139, v113, v140
	ds_load_2addr_b32 v[112:113], v110 offset0:91 offset1:92
	s_waitcnt lgkmcnt(3)
	v_fmac_f32_e32 v139, v114, v141
	s_waitcnt vmcnt(5)
	v_fmac_f32_e32 v139, v115, v142
	ds_load_2addr_b32 v[114:115], v110 offset0:93 offset1:94
	s_waitcnt lgkmcnt(3)
	v_fmac_f32_e32 v139, v116, v143
	s_delay_alu instid0(VALU_DEP_1) | instskip(SKIP_1) | instid1(VALU_DEP_1)
	v_fmac_f32_e32 v139, v117, v144
	s_waitcnt lgkmcnt(2)
	v_fmac_f32_e32 v139, v118, v145
	s_waitcnt vmcnt(4)
	s_delay_alu instid0(VALU_DEP_1) | instskip(SKIP_4) | instid1(VALU_DEP_1)
	v_fmac_f32_e32 v139, v119, v146
	ds_load_2addr_b32 v[116:117], v110 offset0:95 offset1:96
	ds_load_2addr_b32 v[118:119], v110 offset0:97 offset1:98
	s_waitcnt lgkmcnt(3)
	v_fmac_f32_e32 v139, v120, v112
	v_fmac_f32_e32 v139, v121, v113
	ds_load_2addr_b32 v[112:113], v110 offset0:99 offset1:100
	s_waitcnt lgkmcnt(3)
	v_fmac_f32_e32 v139, v122, v114
	s_waitcnt vmcnt(3)
	s_delay_alu instid0(VALU_DEP_1) | instskip(SKIP_3) | instid1(VALU_DEP_1)
	v_fmac_f32_e32 v139, v123, v115
	ds_load_2addr_b32 v[114:115], v110 offset0:101 offset1:102
	s_waitcnt lgkmcnt(3)
	v_fmac_f32_e32 v139, v124, v116
	v_fmac_f32_e32 v139, v125, v117
	s_waitcnt lgkmcnt(2)
	s_delay_alu instid0(VALU_DEP_1) | instskip(SKIP_1) | instid1(VALU_DEP_1)
	v_fmac_f32_e32 v139, v126, v118
	s_waitcnt vmcnt(2)
	v_fmac_f32_e32 v139, v127, v119
	ds_load_2addr_b32 v[116:117], v110 offset0:103 offset1:104
	ds_load_2addr_b32 v[118:119], v110 offset0:105 offset1:106
	s_waitcnt lgkmcnt(3)
	v_fmac_f32_e32 v139, v128, v112
	s_delay_alu instid0(VALU_DEP_1)
	v_fmac_f32_e32 v139, v129, v113
	ds_load_2addr_b32 v[112:113], v110 offset0:107 offset1:108
	s_waitcnt lgkmcnt(3)
	v_fmac_f32_e32 v139, v130, v114
	ds_load_b32 v114, v110 offset:436
	s_waitcnt vmcnt(1)
	v_fmac_f32_e32 v139, v131, v115
	s_waitcnt lgkmcnt(3)
	s_delay_alu instid0(VALU_DEP_1) | instskip(NEXT) | instid1(VALU_DEP_1)
	v_fmac_f32_e32 v139, v132, v116
	v_fmac_f32_e32 v139, v133, v117
	s_waitcnt lgkmcnt(2)
	s_delay_alu instid0(VALU_DEP_1) | instskip(SKIP_1) | instid1(VALU_DEP_1)
	v_fmac_f32_e32 v139, v134, v118
	s_waitcnt vmcnt(0)
	v_fmac_f32_e32 v139, v135, v119
	s_waitcnt lgkmcnt(1)
	s_delay_alu instid0(VALU_DEP_1) | instskip(NEXT) | instid1(VALU_DEP_1)
	v_fmac_f32_e32 v139, v136, v112
	v_fmac_f32_e32 v139, v137, v113
	s_waitcnt lgkmcnt(0)
	s_delay_alu instid0(VALU_DEP_1) | instskip(NEXT) | instid1(VALU_DEP_1)
	v_fmac_f32_e32 v139, v138, v114
	v_sub_f32_e32 v111, v111, v139
	scratch_store_b32 off, v111, off offset:104
	v_cmpx_lt_u32_e32 25, v0
	s_cbranch_execz .LBB117_281
; %bb.280:
	scratch_load_b32 v111, off, off offset:100
	scratch_store_b32 off, v110, off offset:100
	s_waitcnt vmcnt(0)
	ds_store_b32 v109, v111
.LBB117_281:
	s_or_b32 exec_lo, exec_lo, s0
	s_waitcnt lgkmcnt(0)
	s_waitcnt_vscnt null, 0x0
	s_barrier
	buffer_gl0_inv
	s_clause 0x7
	scratch_load_b128 v[111:114], off, off offset:100
	scratch_load_b128 v[115:118], off, off offset:116
	;; [unrolled: 1-line block ×7, first 2 shown]
	scratch_load_b32 v147, off, off offset:212
	ds_load_2addr_b64 v[139:142], v110 offset0:41 offset1:42
	ds_load_2addr_b64 v[143:146], v110 offset0:43 offset1:44
	s_mov_b32 s0, exec_lo
	s_waitcnt vmcnt(7) lgkmcnt(1)
	v_fma_f32 v139, v112, v139, 0
	s_delay_alu instid0(VALU_DEP_1) | instskip(NEXT) | instid1(VALU_DEP_1)
	v_fmac_f32_e32 v139, v113, v140
	v_fmac_f32_e32 v139, v114, v141
	s_waitcnt vmcnt(6)
	s_delay_alu instid0(VALU_DEP_1) | instskip(SKIP_3) | instid1(VALU_DEP_1)
	v_fmac_f32_e32 v139, v115, v142
	ds_load_2addr_b64 v[112:115], v110 offset0:45 offset1:46
	s_waitcnt lgkmcnt(1)
	v_fmac_f32_e32 v139, v116, v143
	v_fmac_f32_e32 v139, v117, v144
	s_delay_alu instid0(VALU_DEP_1) | instskip(SKIP_1) | instid1(VALU_DEP_1)
	v_fmac_f32_e32 v139, v118, v145
	s_waitcnt vmcnt(5)
	v_fmac_f32_e32 v139, v119, v146
	ds_load_2addr_b64 v[116:119], v110 offset0:47 offset1:48
	s_waitcnt lgkmcnt(1)
	v_fmac_f32_e32 v139, v120, v112
	s_delay_alu instid0(VALU_DEP_1) | instskip(NEXT) | instid1(VALU_DEP_1)
	v_fmac_f32_e32 v139, v121, v113
	v_fmac_f32_e32 v139, v122, v114
	s_waitcnt vmcnt(4)
	s_delay_alu instid0(VALU_DEP_1) | instskip(SKIP_3) | instid1(VALU_DEP_1)
	v_fmac_f32_e32 v139, v123, v115
	ds_load_2addr_b64 v[112:115], v110 offset0:49 offset1:50
	s_waitcnt lgkmcnt(1)
	v_fmac_f32_e32 v139, v124, v116
	v_fmac_f32_e32 v139, v125, v117
	s_delay_alu instid0(VALU_DEP_1) | instskip(SKIP_1) | instid1(VALU_DEP_1)
	v_fmac_f32_e32 v139, v126, v118
	s_waitcnt vmcnt(3)
	v_fmac_f32_e32 v139, v127, v119
	ds_load_2addr_b64 v[116:119], v110 offset0:51 offset1:52
	s_waitcnt lgkmcnt(1)
	v_fmac_f32_e32 v139, v128, v112
	s_delay_alu instid0(VALU_DEP_1) | instskip(NEXT) | instid1(VALU_DEP_1)
	v_fmac_f32_e32 v139, v129, v113
	v_fmac_f32_e32 v139, v130, v114
	s_waitcnt vmcnt(2)
	s_delay_alu instid0(VALU_DEP_1) | instskip(SKIP_3) | instid1(VALU_DEP_1)
	v_fmac_f32_e32 v139, v131, v115
	ds_load_2addr_b64 v[112:115], v110 offset0:53 offset1:54
	s_waitcnt lgkmcnt(1)
	v_fmac_f32_e32 v139, v132, v116
	v_fmac_f32_e32 v139, v133, v117
	s_delay_alu instid0(VALU_DEP_1) | instskip(SKIP_1) | instid1(VALU_DEP_1)
	v_fmac_f32_e32 v139, v134, v118
	s_waitcnt vmcnt(1)
	v_fmac_f32_e32 v139, v135, v119
	s_waitcnt lgkmcnt(0)
	s_delay_alu instid0(VALU_DEP_1) | instskip(NEXT) | instid1(VALU_DEP_1)
	v_fmac_f32_e32 v139, v136, v112
	v_fmac_f32_e32 v139, v137, v113
	s_delay_alu instid0(VALU_DEP_1) | instskip(SKIP_1) | instid1(VALU_DEP_1)
	v_fmac_f32_e32 v139, v138, v114
	s_waitcnt vmcnt(0)
	v_fmac_f32_e32 v139, v147, v115
	s_delay_alu instid0(VALU_DEP_1)
	v_sub_f32_e32 v110, v111, v139
	scratch_store_b32 off, v110, off offset:100
	v_cmpx_lt_u32_e32 24, v0
	s_cbranch_execz .LBB117_283
; %bb.282:
	scratch_load_b32 v110, off, off offset:96
	v_mov_b32_e32 v111, 0
	scratch_store_b32 off, v111, off offset:96
	s_waitcnt vmcnt(0)
	ds_store_b32 v109, v110
.LBB117_283:
	s_or_b32 exec_lo, exec_lo, s0
	s_waitcnt lgkmcnt(0)
	s_waitcnt_vscnt null, 0x0
	s_barrier
	buffer_gl0_inv
	s_clause 0x7
	scratch_load_b128 v[111:114], off, off offset:96
	scratch_load_b128 v[115:118], off, off offset:112
	;; [unrolled: 1-line block ×7, first 2 shown]
	scratch_load_b64 v[139:140], off, off offset:208
	v_mov_b32_e32 v110, 0
	ds_load_2addr_b32 v[141:142], v110 offset0:81 offset1:82
	ds_load_2addr_b32 v[143:144], v110 offset0:83 offset1:84
	;; [unrolled: 1-line block ×4, first 2 shown]
	s_mov_b32 s0, exec_lo
	s_waitcnt vmcnt(7) lgkmcnt(3)
	v_fma_f32 v141, v112, v141, 0
	s_delay_alu instid0(VALU_DEP_1) | instskip(SKIP_4) | instid1(VALU_DEP_1)
	v_fmac_f32_e32 v141, v113, v142
	ds_load_2addr_b32 v[112:113], v110 offset0:89 offset1:90
	s_waitcnt lgkmcnt(3)
	v_fmac_f32_e32 v141, v114, v143
	s_waitcnt vmcnt(6)
	v_fmac_f32_e32 v141, v115, v144
	ds_load_2addr_b32 v[114:115], v110 offset0:91 offset1:92
	s_waitcnt lgkmcnt(3)
	v_fmac_f32_e32 v141, v116, v145
	s_delay_alu instid0(VALU_DEP_1) | instskip(SKIP_1) | instid1(VALU_DEP_1)
	v_fmac_f32_e32 v141, v117, v146
	s_waitcnt lgkmcnt(2)
	v_fmac_f32_e32 v141, v118, v147
	s_waitcnt vmcnt(5)
	s_delay_alu instid0(VALU_DEP_1) | instskip(SKIP_4) | instid1(VALU_DEP_1)
	v_fmac_f32_e32 v141, v119, v148
	ds_load_2addr_b32 v[116:117], v110 offset0:93 offset1:94
	ds_load_2addr_b32 v[118:119], v110 offset0:95 offset1:96
	s_waitcnt lgkmcnt(3)
	v_fmac_f32_e32 v141, v120, v112
	v_fmac_f32_e32 v141, v121, v113
	ds_load_2addr_b32 v[112:113], v110 offset0:97 offset1:98
	s_waitcnt lgkmcnt(3)
	v_fmac_f32_e32 v141, v122, v114
	s_waitcnt vmcnt(4)
	s_delay_alu instid0(VALU_DEP_1) | instskip(SKIP_3) | instid1(VALU_DEP_1)
	v_fmac_f32_e32 v141, v123, v115
	ds_load_2addr_b32 v[114:115], v110 offset0:99 offset1:100
	s_waitcnt lgkmcnt(3)
	v_fmac_f32_e32 v141, v124, v116
	v_fmac_f32_e32 v141, v125, v117
	s_waitcnt lgkmcnt(2)
	s_delay_alu instid0(VALU_DEP_1) | instskip(SKIP_1) | instid1(VALU_DEP_1)
	v_fmac_f32_e32 v141, v126, v118
	s_waitcnt vmcnt(3)
	v_fmac_f32_e32 v141, v127, v119
	ds_load_2addr_b32 v[116:117], v110 offset0:101 offset1:102
	ds_load_2addr_b32 v[118:119], v110 offset0:103 offset1:104
	s_waitcnt lgkmcnt(3)
	v_fmac_f32_e32 v141, v128, v112
	s_delay_alu instid0(VALU_DEP_1) | instskip(SKIP_4) | instid1(VALU_DEP_1)
	v_fmac_f32_e32 v141, v129, v113
	ds_load_2addr_b32 v[112:113], v110 offset0:105 offset1:106
	s_waitcnt lgkmcnt(3)
	v_fmac_f32_e32 v141, v130, v114
	s_waitcnt vmcnt(2)
	v_fmac_f32_e32 v141, v131, v115
	ds_load_2addr_b32 v[114:115], v110 offset0:107 offset1:108
	s_waitcnt lgkmcnt(3)
	v_fmac_f32_e32 v141, v132, v116
	ds_load_b32 v116, v110 offset:436
	v_fmac_f32_e32 v141, v133, v117
	s_waitcnt lgkmcnt(3)
	s_delay_alu instid0(VALU_DEP_1) | instskip(SKIP_1) | instid1(VALU_DEP_1)
	v_fmac_f32_e32 v141, v134, v118
	s_waitcnt vmcnt(1)
	v_fmac_f32_e32 v141, v135, v119
	s_waitcnt lgkmcnt(2)
	s_delay_alu instid0(VALU_DEP_1) | instskip(NEXT) | instid1(VALU_DEP_1)
	v_fmac_f32_e32 v141, v136, v112
	v_fmac_f32_e32 v141, v137, v113
	s_waitcnt lgkmcnt(1)
	s_delay_alu instid0(VALU_DEP_1) | instskip(SKIP_1) | instid1(VALU_DEP_1)
	v_fmac_f32_e32 v141, v138, v114
	s_waitcnt vmcnt(0)
	v_fmac_f32_e32 v141, v139, v115
	s_waitcnt lgkmcnt(0)
	s_delay_alu instid0(VALU_DEP_1) | instskip(NEXT) | instid1(VALU_DEP_1)
	v_fmac_f32_e32 v141, v140, v116
	v_sub_f32_e32 v111, v111, v141
	scratch_store_b32 off, v111, off offset:96
	v_cmpx_lt_u32_e32 23, v0
	s_cbranch_execz .LBB117_285
; %bb.284:
	scratch_load_b32 v111, off, off offset:92
	scratch_store_b32 off, v110, off offset:92
	s_waitcnt vmcnt(0)
	ds_store_b32 v109, v111
.LBB117_285:
	s_or_b32 exec_lo, exec_lo, s0
	s_waitcnt lgkmcnt(0)
	s_waitcnt_vscnt null, 0x0
	s_barrier
	buffer_gl0_inv
	s_clause 0x7
	scratch_load_b128 v[111:114], off, off offset:92
	scratch_load_b128 v[115:118], off, off offset:108
	scratch_load_b128 v[119:122], off, off offset:124
	scratch_load_b128 v[123:126], off, off offset:140
	scratch_load_b128 v[127:130], off, off offset:156
	scratch_load_b128 v[131:134], off, off offset:172
	scratch_load_b128 v[135:138], off, off offset:188
	scratch_load_b96 v[147:149], off, off offset:204
	ds_load_b128 v[139:142], v110 offset:320
	ds_load_b128 v[143:146], v110 offset:336
	s_mov_b32 s0, exec_lo
	s_waitcnt vmcnt(7) lgkmcnt(1)
	v_fma_f32 v139, v112, v139, 0
	s_delay_alu instid0(VALU_DEP_1) | instskip(NEXT) | instid1(VALU_DEP_1)
	v_fmac_f32_e32 v139, v113, v140
	v_fmac_f32_e32 v139, v114, v141
	s_waitcnt vmcnt(6)
	s_delay_alu instid0(VALU_DEP_1) | instskip(SKIP_3) | instid1(VALU_DEP_1)
	v_fmac_f32_e32 v139, v115, v142
	ds_load_b128 v[112:115], v110 offset:352
	s_waitcnt lgkmcnt(1)
	v_fmac_f32_e32 v139, v116, v143
	v_fmac_f32_e32 v139, v117, v144
	s_delay_alu instid0(VALU_DEP_1) | instskip(SKIP_1) | instid1(VALU_DEP_1)
	v_fmac_f32_e32 v139, v118, v145
	s_waitcnt vmcnt(5)
	v_fmac_f32_e32 v139, v119, v146
	ds_load_b128 v[116:119], v110 offset:368
	s_waitcnt lgkmcnt(1)
	v_fmac_f32_e32 v139, v120, v112
	s_delay_alu instid0(VALU_DEP_1) | instskip(NEXT) | instid1(VALU_DEP_1)
	v_fmac_f32_e32 v139, v121, v113
	v_fmac_f32_e32 v139, v122, v114
	s_waitcnt vmcnt(4)
	s_delay_alu instid0(VALU_DEP_1) | instskip(SKIP_3) | instid1(VALU_DEP_1)
	v_fmac_f32_e32 v139, v123, v115
	ds_load_b128 v[112:115], v110 offset:384
	s_waitcnt lgkmcnt(1)
	v_fmac_f32_e32 v139, v124, v116
	v_fmac_f32_e32 v139, v125, v117
	s_delay_alu instid0(VALU_DEP_1) | instskip(SKIP_1) | instid1(VALU_DEP_1)
	v_fmac_f32_e32 v139, v126, v118
	s_waitcnt vmcnt(3)
	v_fmac_f32_e32 v139, v127, v119
	ds_load_b128 v[116:119], v110 offset:400
	s_waitcnt lgkmcnt(1)
	v_fmac_f32_e32 v139, v128, v112
	s_delay_alu instid0(VALU_DEP_1) | instskip(NEXT) | instid1(VALU_DEP_1)
	v_fmac_f32_e32 v139, v129, v113
	v_fmac_f32_e32 v139, v130, v114
	s_waitcnt vmcnt(2)
	s_delay_alu instid0(VALU_DEP_1) | instskip(SKIP_3) | instid1(VALU_DEP_1)
	v_fmac_f32_e32 v139, v131, v115
	ds_load_b128 v[112:115], v110 offset:416
	s_waitcnt lgkmcnt(1)
	v_fmac_f32_e32 v139, v132, v116
	v_fmac_f32_e32 v139, v133, v117
	ds_load_b64 v[116:117], v110 offset:432
	v_fmac_f32_e32 v139, v134, v118
	s_waitcnt vmcnt(1)
	s_delay_alu instid0(VALU_DEP_1) | instskip(SKIP_1) | instid1(VALU_DEP_1)
	v_fmac_f32_e32 v139, v135, v119
	s_waitcnt lgkmcnt(1)
	v_fmac_f32_e32 v139, v136, v112
	s_delay_alu instid0(VALU_DEP_1) | instskip(NEXT) | instid1(VALU_DEP_1)
	v_fmac_f32_e32 v139, v137, v113
	v_fmac_f32_e32 v139, v138, v114
	s_waitcnt vmcnt(0)
	s_delay_alu instid0(VALU_DEP_1) | instskip(SKIP_1) | instid1(VALU_DEP_1)
	v_fmac_f32_e32 v139, v147, v115
	s_waitcnt lgkmcnt(0)
	v_fmac_f32_e32 v139, v148, v116
	s_delay_alu instid0(VALU_DEP_1) | instskip(NEXT) | instid1(VALU_DEP_1)
	v_fmac_f32_e32 v139, v149, v117
	v_sub_f32_e32 v110, v111, v139
	scratch_store_b32 off, v110, off offset:92
	v_cmpx_lt_u32_e32 22, v0
	s_cbranch_execz .LBB117_287
; %bb.286:
	scratch_load_b32 v110, off, off offset:88
	v_mov_b32_e32 v111, 0
	scratch_store_b32 off, v111, off offset:88
	s_waitcnt vmcnt(0)
	ds_store_b32 v109, v110
.LBB117_287:
	s_or_b32 exec_lo, exec_lo, s0
	s_waitcnt lgkmcnt(0)
	s_waitcnt_vscnt null, 0x0
	s_barrier
	buffer_gl0_inv
	s_clause 0x7
	scratch_load_b128 v[111:114], off, off offset:88
	scratch_load_b128 v[115:118], off, off offset:104
	;; [unrolled: 1-line block ×8, first 2 shown]
	v_mov_b32_e32 v110, 0
	ds_load_2addr_b32 v[143:144], v110 offset0:79 offset1:80
	ds_load_2addr_b32 v[145:146], v110 offset0:81 offset1:82
	;; [unrolled: 1-line block ×4, first 2 shown]
	s_mov_b32 s0, exec_lo
	s_waitcnt vmcnt(7) lgkmcnt(3)
	v_fma_f32 v143, v112, v143, 0
	s_delay_alu instid0(VALU_DEP_1) | instskip(SKIP_4) | instid1(VALU_DEP_1)
	v_fmac_f32_e32 v143, v113, v144
	ds_load_2addr_b32 v[112:113], v110 offset0:87 offset1:88
	s_waitcnt lgkmcnt(3)
	v_fmac_f32_e32 v143, v114, v145
	s_waitcnt vmcnt(6)
	v_fmac_f32_e32 v143, v115, v146
	ds_load_2addr_b32 v[114:115], v110 offset0:89 offset1:90
	s_waitcnt lgkmcnt(3)
	v_fmac_f32_e32 v143, v116, v147
	s_delay_alu instid0(VALU_DEP_1) | instskip(SKIP_1) | instid1(VALU_DEP_1)
	v_fmac_f32_e32 v143, v117, v148
	s_waitcnt lgkmcnt(2)
	v_fmac_f32_e32 v143, v118, v149
	s_waitcnt vmcnt(5)
	s_delay_alu instid0(VALU_DEP_1) | instskip(SKIP_4) | instid1(VALU_DEP_1)
	v_fmac_f32_e32 v143, v119, v150
	ds_load_2addr_b32 v[116:117], v110 offset0:91 offset1:92
	ds_load_2addr_b32 v[118:119], v110 offset0:93 offset1:94
	s_waitcnt lgkmcnt(3)
	v_fmac_f32_e32 v143, v120, v112
	v_fmac_f32_e32 v143, v121, v113
	ds_load_2addr_b32 v[112:113], v110 offset0:95 offset1:96
	s_waitcnt lgkmcnt(3)
	v_fmac_f32_e32 v143, v122, v114
	s_waitcnt vmcnt(4)
	s_delay_alu instid0(VALU_DEP_1) | instskip(SKIP_3) | instid1(VALU_DEP_1)
	v_fmac_f32_e32 v143, v123, v115
	ds_load_2addr_b32 v[114:115], v110 offset0:97 offset1:98
	s_waitcnt lgkmcnt(3)
	v_fmac_f32_e32 v143, v124, v116
	v_fmac_f32_e32 v143, v125, v117
	s_waitcnt lgkmcnt(2)
	s_delay_alu instid0(VALU_DEP_1) | instskip(SKIP_1) | instid1(VALU_DEP_1)
	v_fmac_f32_e32 v143, v126, v118
	s_waitcnt vmcnt(3)
	v_fmac_f32_e32 v143, v127, v119
	ds_load_2addr_b32 v[116:117], v110 offset0:99 offset1:100
	ds_load_2addr_b32 v[118:119], v110 offset0:101 offset1:102
	s_waitcnt lgkmcnt(3)
	v_fmac_f32_e32 v143, v128, v112
	s_delay_alu instid0(VALU_DEP_1) | instskip(SKIP_4) | instid1(VALU_DEP_1)
	v_fmac_f32_e32 v143, v129, v113
	ds_load_2addr_b32 v[112:113], v110 offset0:103 offset1:104
	s_waitcnt lgkmcnt(3)
	v_fmac_f32_e32 v143, v130, v114
	s_waitcnt vmcnt(2)
	v_fmac_f32_e32 v143, v131, v115
	ds_load_2addr_b32 v[114:115], v110 offset0:105 offset1:106
	s_waitcnt lgkmcnt(3)
	v_fmac_f32_e32 v143, v132, v116
	s_delay_alu instid0(VALU_DEP_1) | instskip(SKIP_1) | instid1(VALU_DEP_1)
	v_fmac_f32_e32 v143, v133, v117
	s_waitcnt lgkmcnt(2)
	v_fmac_f32_e32 v143, v134, v118
	ds_load_2addr_b32 v[116:117], v110 offset0:107 offset1:108
	ds_load_b32 v118, v110 offset:436
	s_waitcnt vmcnt(1)
	v_fmac_f32_e32 v143, v135, v119
	s_waitcnt lgkmcnt(3)
	s_delay_alu instid0(VALU_DEP_1) | instskip(NEXT) | instid1(VALU_DEP_1)
	v_fmac_f32_e32 v143, v136, v112
	v_fmac_f32_e32 v143, v137, v113
	s_waitcnt lgkmcnt(2)
	s_delay_alu instid0(VALU_DEP_1) | instskip(SKIP_1) | instid1(VALU_DEP_1)
	v_fmac_f32_e32 v143, v138, v114
	s_waitcnt vmcnt(0)
	v_fmac_f32_e32 v143, v139, v115
	s_waitcnt lgkmcnt(1)
	s_delay_alu instid0(VALU_DEP_1) | instskip(NEXT) | instid1(VALU_DEP_1)
	v_fmac_f32_e32 v143, v140, v116
	v_fmac_f32_e32 v143, v141, v117
	s_waitcnt lgkmcnt(0)
	s_delay_alu instid0(VALU_DEP_1) | instskip(NEXT) | instid1(VALU_DEP_1)
	v_fmac_f32_e32 v143, v142, v118
	v_sub_f32_e32 v111, v111, v143
	scratch_store_b32 off, v111, off offset:88
	v_cmpx_lt_u32_e32 21, v0
	s_cbranch_execz .LBB117_289
; %bb.288:
	scratch_load_b32 v111, off, off offset:84
	scratch_store_b32 off, v110, off offset:84
	s_waitcnt vmcnt(0)
	ds_store_b32 v109, v111
.LBB117_289:
	s_or_b32 exec_lo, exec_lo, s0
	s_waitcnt lgkmcnt(0)
	s_waitcnt_vscnt null, 0x0
	s_barrier
	buffer_gl0_inv
	s_clause 0x8
	scratch_load_b128 v[111:114], off, off offset:84
	scratch_load_b128 v[115:118], off, off offset:100
	;; [unrolled: 1-line block ×8, first 2 shown]
	scratch_load_b32 v151, off, off offset:212
	ds_load_2addr_b64 v[143:146], v110 offset0:39 offset1:40
	ds_load_2addr_b64 v[147:150], v110 offset0:41 offset1:42
	s_mov_b32 s0, exec_lo
	s_waitcnt vmcnt(8) lgkmcnt(1)
	v_fma_f32 v143, v112, v143, 0
	s_delay_alu instid0(VALU_DEP_1) | instskip(NEXT) | instid1(VALU_DEP_1)
	v_fmac_f32_e32 v143, v113, v144
	v_fmac_f32_e32 v143, v114, v145
	s_waitcnt vmcnt(7)
	s_delay_alu instid0(VALU_DEP_1) | instskip(SKIP_3) | instid1(VALU_DEP_1)
	v_fmac_f32_e32 v143, v115, v146
	ds_load_2addr_b64 v[112:115], v110 offset0:43 offset1:44
	s_waitcnt lgkmcnt(1)
	v_fmac_f32_e32 v143, v116, v147
	v_fmac_f32_e32 v143, v117, v148
	s_delay_alu instid0(VALU_DEP_1) | instskip(SKIP_1) | instid1(VALU_DEP_1)
	v_fmac_f32_e32 v143, v118, v149
	s_waitcnt vmcnt(6)
	v_fmac_f32_e32 v143, v119, v150
	ds_load_2addr_b64 v[116:119], v110 offset0:45 offset1:46
	s_waitcnt lgkmcnt(1)
	v_fmac_f32_e32 v143, v120, v112
	s_delay_alu instid0(VALU_DEP_1) | instskip(NEXT) | instid1(VALU_DEP_1)
	v_fmac_f32_e32 v143, v121, v113
	v_fmac_f32_e32 v143, v122, v114
	s_waitcnt vmcnt(5)
	s_delay_alu instid0(VALU_DEP_1) | instskip(SKIP_3) | instid1(VALU_DEP_1)
	v_fmac_f32_e32 v143, v123, v115
	ds_load_2addr_b64 v[112:115], v110 offset0:47 offset1:48
	s_waitcnt lgkmcnt(1)
	v_fmac_f32_e32 v143, v124, v116
	v_fmac_f32_e32 v143, v125, v117
	s_delay_alu instid0(VALU_DEP_1) | instskip(SKIP_1) | instid1(VALU_DEP_1)
	v_fmac_f32_e32 v143, v126, v118
	s_waitcnt vmcnt(4)
	v_fmac_f32_e32 v143, v127, v119
	ds_load_2addr_b64 v[116:119], v110 offset0:49 offset1:50
	s_waitcnt lgkmcnt(1)
	v_fmac_f32_e32 v143, v128, v112
	;; [unrolled: 17-line block ×3, first 2 shown]
	s_delay_alu instid0(VALU_DEP_1) | instskip(NEXT) | instid1(VALU_DEP_1)
	v_fmac_f32_e32 v143, v137, v113
	v_fmac_f32_e32 v143, v138, v114
	s_waitcnt vmcnt(1)
	s_delay_alu instid0(VALU_DEP_1) | instskip(SKIP_1) | instid1(VALU_DEP_1)
	v_fmac_f32_e32 v143, v139, v115
	s_waitcnt lgkmcnt(0)
	v_fmac_f32_e32 v143, v140, v116
	s_delay_alu instid0(VALU_DEP_1) | instskip(NEXT) | instid1(VALU_DEP_1)
	v_fmac_f32_e32 v143, v141, v117
	v_fmac_f32_e32 v143, v142, v118
	s_waitcnt vmcnt(0)
	s_delay_alu instid0(VALU_DEP_1) | instskip(NEXT) | instid1(VALU_DEP_1)
	v_fmac_f32_e32 v143, v151, v119
	v_sub_f32_e32 v110, v111, v143
	scratch_store_b32 off, v110, off offset:84
	v_cmpx_lt_u32_e32 20, v0
	s_cbranch_execz .LBB117_291
; %bb.290:
	scratch_load_b32 v110, off, off offset:80
	v_mov_b32_e32 v111, 0
	scratch_store_b32 off, v111, off offset:80
	s_waitcnt vmcnt(0)
	ds_store_b32 v109, v110
.LBB117_291:
	s_or_b32 exec_lo, exec_lo, s0
	s_waitcnt lgkmcnt(0)
	s_waitcnt_vscnt null, 0x0
	s_barrier
	buffer_gl0_inv
	s_clause 0x8
	scratch_load_b128 v[111:114], off, off offset:80
	scratch_load_b128 v[115:118], off, off offset:96
	;; [unrolled: 1-line block ×8, first 2 shown]
	scratch_load_b64 v[143:144], off, off offset:208
	v_mov_b32_e32 v110, 0
	ds_load_2addr_b32 v[145:146], v110 offset0:77 offset1:78
	ds_load_2addr_b32 v[147:148], v110 offset0:79 offset1:80
	;; [unrolled: 1-line block ×4, first 2 shown]
	s_mov_b32 s0, exec_lo
	s_waitcnt vmcnt(8) lgkmcnt(3)
	v_fma_f32 v145, v112, v145, 0
	s_delay_alu instid0(VALU_DEP_1) | instskip(SKIP_4) | instid1(VALU_DEP_1)
	v_fmac_f32_e32 v145, v113, v146
	ds_load_2addr_b32 v[112:113], v110 offset0:85 offset1:86
	s_waitcnt lgkmcnt(3)
	v_fmac_f32_e32 v145, v114, v147
	s_waitcnt vmcnt(7)
	v_fmac_f32_e32 v145, v115, v148
	ds_load_2addr_b32 v[114:115], v110 offset0:87 offset1:88
	s_waitcnt lgkmcnt(3)
	v_fmac_f32_e32 v145, v116, v149
	s_delay_alu instid0(VALU_DEP_1) | instskip(SKIP_1) | instid1(VALU_DEP_1)
	v_fmac_f32_e32 v145, v117, v150
	s_waitcnt lgkmcnt(2)
	v_fmac_f32_e32 v145, v118, v151
	s_waitcnt vmcnt(6)
	s_delay_alu instid0(VALU_DEP_1) | instskip(SKIP_4) | instid1(VALU_DEP_1)
	v_fmac_f32_e32 v145, v119, v152
	ds_load_2addr_b32 v[116:117], v110 offset0:89 offset1:90
	ds_load_2addr_b32 v[118:119], v110 offset0:91 offset1:92
	s_waitcnt lgkmcnt(3)
	v_fmac_f32_e32 v145, v120, v112
	v_fmac_f32_e32 v145, v121, v113
	ds_load_2addr_b32 v[112:113], v110 offset0:93 offset1:94
	s_waitcnt lgkmcnt(3)
	v_fmac_f32_e32 v145, v122, v114
	s_waitcnt vmcnt(5)
	s_delay_alu instid0(VALU_DEP_1) | instskip(SKIP_3) | instid1(VALU_DEP_1)
	v_fmac_f32_e32 v145, v123, v115
	ds_load_2addr_b32 v[114:115], v110 offset0:95 offset1:96
	s_waitcnt lgkmcnt(3)
	v_fmac_f32_e32 v145, v124, v116
	v_fmac_f32_e32 v145, v125, v117
	s_waitcnt lgkmcnt(2)
	s_delay_alu instid0(VALU_DEP_1) | instskip(SKIP_1) | instid1(VALU_DEP_1)
	v_fmac_f32_e32 v145, v126, v118
	s_waitcnt vmcnt(4)
	v_fmac_f32_e32 v145, v127, v119
	ds_load_2addr_b32 v[116:117], v110 offset0:97 offset1:98
	ds_load_2addr_b32 v[118:119], v110 offset0:99 offset1:100
	s_waitcnt lgkmcnt(3)
	v_fmac_f32_e32 v145, v128, v112
	s_delay_alu instid0(VALU_DEP_1) | instskip(SKIP_4) | instid1(VALU_DEP_1)
	v_fmac_f32_e32 v145, v129, v113
	ds_load_2addr_b32 v[112:113], v110 offset0:101 offset1:102
	s_waitcnt lgkmcnt(3)
	v_fmac_f32_e32 v145, v130, v114
	s_waitcnt vmcnt(3)
	v_fmac_f32_e32 v145, v131, v115
	ds_load_2addr_b32 v[114:115], v110 offset0:103 offset1:104
	s_waitcnt lgkmcnt(3)
	v_fmac_f32_e32 v145, v132, v116
	s_delay_alu instid0(VALU_DEP_1) | instskip(SKIP_1) | instid1(VALU_DEP_1)
	v_fmac_f32_e32 v145, v133, v117
	s_waitcnt lgkmcnt(2)
	v_fmac_f32_e32 v145, v134, v118
	s_waitcnt vmcnt(2)
	s_delay_alu instid0(VALU_DEP_1)
	v_fmac_f32_e32 v145, v135, v119
	ds_load_2addr_b32 v[116:117], v110 offset0:105 offset1:106
	ds_load_2addr_b32 v[118:119], v110 offset0:107 offset1:108
	s_waitcnt lgkmcnt(3)
	v_fmac_f32_e32 v145, v136, v112
	ds_load_b32 v112, v110 offset:436
	v_fmac_f32_e32 v145, v137, v113
	s_waitcnt lgkmcnt(3)
	s_delay_alu instid0(VALU_DEP_1) | instskip(SKIP_1) | instid1(VALU_DEP_1)
	v_fmac_f32_e32 v145, v138, v114
	s_waitcnt vmcnt(1)
	v_fmac_f32_e32 v145, v139, v115
	s_waitcnt lgkmcnt(2)
	s_delay_alu instid0(VALU_DEP_1) | instskip(NEXT) | instid1(VALU_DEP_1)
	v_fmac_f32_e32 v145, v140, v116
	v_fmac_f32_e32 v145, v141, v117
	s_waitcnt lgkmcnt(1)
	s_delay_alu instid0(VALU_DEP_1) | instskip(SKIP_1) | instid1(VALU_DEP_1)
	v_fmac_f32_e32 v145, v142, v118
	s_waitcnt vmcnt(0)
	v_fmac_f32_e32 v145, v143, v119
	s_waitcnt lgkmcnt(0)
	s_delay_alu instid0(VALU_DEP_1) | instskip(NEXT) | instid1(VALU_DEP_1)
	v_fmac_f32_e32 v145, v144, v112
	v_sub_f32_e32 v111, v111, v145
	scratch_store_b32 off, v111, off offset:80
	v_cmpx_lt_u32_e32 19, v0
	s_cbranch_execz .LBB117_293
; %bb.292:
	scratch_load_b32 v111, off, off offset:76
	scratch_store_b32 off, v110, off offset:76
	s_waitcnt vmcnt(0)
	ds_store_b32 v109, v111
.LBB117_293:
	s_or_b32 exec_lo, exec_lo, s0
	s_waitcnt lgkmcnt(0)
	s_waitcnt_vscnt null, 0x0
	s_barrier
	buffer_gl0_inv
	s_clause 0x8
	scratch_load_b128 v[111:114], off, off offset:76
	scratch_load_b128 v[115:118], off, off offset:92
	;; [unrolled: 1-line block ×8, first 2 shown]
	scratch_load_b96 v[151:153], off, off offset:204
	ds_load_b128 v[143:146], v110 offset:304
	ds_load_b128 v[147:150], v110 offset:320
	s_mov_b32 s0, exec_lo
	s_waitcnt vmcnt(8) lgkmcnt(1)
	v_fma_f32 v143, v112, v143, 0
	s_delay_alu instid0(VALU_DEP_1) | instskip(NEXT) | instid1(VALU_DEP_1)
	v_fmac_f32_e32 v143, v113, v144
	v_fmac_f32_e32 v143, v114, v145
	s_waitcnt vmcnt(7)
	s_delay_alu instid0(VALU_DEP_1) | instskip(SKIP_3) | instid1(VALU_DEP_1)
	v_fmac_f32_e32 v143, v115, v146
	ds_load_b128 v[112:115], v110 offset:336
	s_waitcnt lgkmcnt(1)
	v_fmac_f32_e32 v143, v116, v147
	v_fmac_f32_e32 v143, v117, v148
	s_delay_alu instid0(VALU_DEP_1) | instskip(SKIP_1) | instid1(VALU_DEP_1)
	v_fmac_f32_e32 v143, v118, v149
	s_waitcnt vmcnt(6)
	v_fmac_f32_e32 v143, v119, v150
	ds_load_b128 v[116:119], v110 offset:352
	s_waitcnt lgkmcnt(1)
	v_fmac_f32_e32 v143, v120, v112
	s_delay_alu instid0(VALU_DEP_1) | instskip(NEXT) | instid1(VALU_DEP_1)
	v_fmac_f32_e32 v143, v121, v113
	v_fmac_f32_e32 v143, v122, v114
	s_waitcnt vmcnt(5)
	s_delay_alu instid0(VALU_DEP_1) | instskip(SKIP_3) | instid1(VALU_DEP_1)
	v_fmac_f32_e32 v143, v123, v115
	ds_load_b128 v[112:115], v110 offset:368
	s_waitcnt lgkmcnt(1)
	v_fmac_f32_e32 v143, v124, v116
	v_fmac_f32_e32 v143, v125, v117
	s_delay_alu instid0(VALU_DEP_1) | instskip(SKIP_1) | instid1(VALU_DEP_1)
	v_fmac_f32_e32 v143, v126, v118
	s_waitcnt vmcnt(4)
	v_fmac_f32_e32 v143, v127, v119
	ds_load_b128 v[116:119], v110 offset:384
	s_waitcnt lgkmcnt(1)
	v_fmac_f32_e32 v143, v128, v112
	;; [unrolled: 17-line block ×3, first 2 shown]
	s_delay_alu instid0(VALU_DEP_1) | instskip(SKIP_3) | instid1(VALU_DEP_1)
	v_fmac_f32_e32 v143, v137, v113
	ds_load_b64 v[112:113], v110 offset:432
	v_fmac_f32_e32 v143, v138, v114
	s_waitcnt vmcnt(1)
	v_fmac_f32_e32 v143, v139, v115
	s_waitcnt lgkmcnt(1)
	s_delay_alu instid0(VALU_DEP_1) | instskip(NEXT) | instid1(VALU_DEP_1)
	v_fmac_f32_e32 v143, v140, v116
	v_fmac_f32_e32 v143, v141, v117
	s_delay_alu instid0(VALU_DEP_1) | instskip(SKIP_1) | instid1(VALU_DEP_1)
	v_fmac_f32_e32 v143, v142, v118
	s_waitcnt vmcnt(0)
	v_fmac_f32_e32 v143, v151, v119
	s_waitcnt lgkmcnt(0)
	s_delay_alu instid0(VALU_DEP_1) | instskip(NEXT) | instid1(VALU_DEP_1)
	v_fmac_f32_e32 v143, v152, v112
	v_fmac_f32_e32 v143, v153, v113
	s_delay_alu instid0(VALU_DEP_1)
	v_sub_f32_e32 v110, v111, v143
	scratch_store_b32 off, v110, off offset:76
	v_cmpx_lt_u32_e32 18, v0
	s_cbranch_execz .LBB117_295
; %bb.294:
	scratch_load_b32 v110, off, off offset:72
	v_mov_b32_e32 v111, 0
	scratch_store_b32 off, v111, off offset:72
	s_waitcnt vmcnt(0)
	ds_store_b32 v109, v110
.LBB117_295:
	s_or_b32 exec_lo, exec_lo, s0
	s_waitcnt lgkmcnt(0)
	s_waitcnt_vscnt null, 0x0
	s_barrier
	buffer_gl0_inv
	s_clause 0x8
	scratch_load_b128 v[111:114], off, off offset:72
	scratch_load_b128 v[115:118], off, off offset:88
	;; [unrolled: 1-line block ×9, first 2 shown]
	v_mov_b32_e32 v110, 0
	ds_load_2addr_b32 v[147:148], v110 offset0:75 offset1:76
	ds_load_2addr_b32 v[149:150], v110 offset0:77 offset1:78
	;; [unrolled: 1-line block ×4, first 2 shown]
	s_mov_b32 s0, exec_lo
	s_waitcnt vmcnt(8) lgkmcnt(3)
	v_fma_f32 v147, v112, v147, 0
	s_delay_alu instid0(VALU_DEP_1) | instskip(SKIP_4) | instid1(VALU_DEP_1)
	v_fmac_f32_e32 v147, v113, v148
	ds_load_2addr_b32 v[112:113], v110 offset0:83 offset1:84
	s_waitcnt lgkmcnt(3)
	v_fmac_f32_e32 v147, v114, v149
	s_waitcnt vmcnt(7)
	v_fmac_f32_e32 v147, v115, v150
	ds_load_2addr_b32 v[114:115], v110 offset0:85 offset1:86
	s_waitcnt lgkmcnt(3)
	v_fmac_f32_e32 v147, v116, v151
	s_delay_alu instid0(VALU_DEP_1) | instskip(SKIP_1) | instid1(VALU_DEP_1)
	v_fmac_f32_e32 v147, v117, v152
	s_waitcnt lgkmcnt(2)
	v_fmac_f32_e32 v147, v118, v153
	s_waitcnt vmcnt(6)
	s_delay_alu instid0(VALU_DEP_1) | instskip(SKIP_4) | instid1(VALU_DEP_1)
	v_fmac_f32_e32 v147, v119, v154
	ds_load_2addr_b32 v[116:117], v110 offset0:87 offset1:88
	ds_load_2addr_b32 v[118:119], v110 offset0:89 offset1:90
	s_waitcnt lgkmcnt(3)
	v_fmac_f32_e32 v147, v120, v112
	v_fmac_f32_e32 v147, v121, v113
	ds_load_2addr_b32 v[112:113], v110 offset0:91 offset1:92
	s_waitcnt lgkmcnt(3)
	v_fmac_f32_e32 v147, v122, v114
	s_waitcnt vmcnt(5)
	s_delay_alu instid0(VALU_DEP_1) | instskip(SKIP_3) | instid1(VALU_DEP_1)
	v_fmac_f32_e32 v147, v123, v115
	ds_load_2addr_b32 v[114:115], v110 offset0:93 offset1:94
	s_waitcnt lgkmcnt(3)
	v_fmac_f32_e32 v147, v124, v116
	v_fmac_f32_e32 v147, v125, v117
	s_waitcnt lgkmcnt(2)
	s_delay_alu instid0(VALU_DEP_1) | instskip(SKIP_1) | instid1(VALU_DEP_1)
	v_fmac_f32_e32 v147, v126, v118
	s_waitcnt vmcnt(4)
	v_fmac_f32_e32 v147, v127, v119
	ds_load_2addr_b32 v[116:117], v110 offset0:95 offset1:96
	ds_load_2addr_b32 v[118:119], v110 offset0:97 offset1:98
	s_waitcnt lgkmcnt(3)
	v_fmac_f32_e32 v147, v128, v112
	s_delay_alu instid0(VALU_DEP_1) | instskip(SKIP_4) | instid1(VALU_DEP_1)
	v_fmac_f32_e32 v147, v129, v113
	ds_load_2addr_b32 v[112:113], v110 offset0:99 offset1:100
	s_waitcnt lgkmcnt(3)
	v_fmac_f32_e32 v147, v130, v114
	s_waitcnt vmcnt(3)
	v_fmac_f32_e32 v147, v131, v115
	ds_load_2addr_b32 v[114:115], v110 offset0:101 offset1:102
	s_waitcnt lgkmcnt(3)
	v_fmac_f32_e32 v147, v132, v116
	s_delay_alu instid0(VALU_DEP_1) | instskip(SKIP_1) | instid1(VALU_DEP_1)
	v_fmac_f32_e32 v147, v133, v117
	s_waitcnt lgkmcnt(2)
	v_fmac_f32_e32 v147, v134, v118
	s_waitcnt vmcnt(2)
	s_delay_alu instid0(VALU_DEP_1) | instskip(SKIP_4) | instid1(VALU_DEP_1)
	v_fmac_f32_e32 v147, v135, v119
	ds_load_2addr_b32 v[116:117], v110 offset0:103 offset1:104
	ds_load_2addr_b32 v[118:119], v110 offset0:105 offset1:106
	s_waitcnt lgkmcnt(3)
	v_fmac_f32_e32 v147, v136, v112
	v_fmac_f32_e32 v147, v137, v113
	ds_load_2addr_b32 v[112:113], v110 offset0:107 offset1:108
	s_waitcnt lgkmcnt(3)
	v_fmac_f32_e32 v147, v138, v114
	ds_load_b32 v114, v110 offset:436
	s_waitcnt vmcnt(1)
	v_fmac_f32_e32 v147, v139, v115
	s_waitcnt lgkmcnt(3)
	s_delay_alu instid0(VALU_DEP_1) | instskip(NEXT) | instid1(VALU_DEP_1)
	v_fmac_f32_e32 v147, v140, v116
	v_fmac_f32_e32 v147, v141, v117
	s_waitcnt lgkmcnt(2)
	s_delay_alu instid0(VALU_DEP_1) | instskip(SKIP_1) | instid1(VALU_DEP_1)
	v_fmac_f32_e32 v147, v142, v118
	s_waitcnt vmcnt(0)
	v_fmac_f32_e32 v147, v143, v119
	s_waitcnt lgkmcnt(1)
	s_delay_alu instid0(VALU_DEP_1) | instskip(NEXT) | instid1(VALU_DEP_1)
	v_fmac_f32_e32 v147, v144, v112
	v_fmac_f32_e32 v147, v145, v113
	s_waitcnt lgkmcnt(0)
	s_delay_alu instid0(VALU_DEP_1) | instskip(NEXT) | instid1(VALU_DEP_1)
	v_fmac_f32_e32 v147, v146, v114
	v_sub_f32_e32 v111, v111, v147
	scratch_store_b32 off, v111, off offset:72
	v_cmpx_lt_u32_e32 17, v0
	s_cbranch_execz .LBB117_297
; %bb.296:
	scratch_load_b32 v111, off, off offset:68
	scratch_store_b32 off, v110, off offset:68
	s_waitcnt vmcnt(0)
	ds_store_b32 v109, v111
.LBB117_297:
	s_or_b32 exec_lo, exec_lo, s0
	s_waitcnt lgkmcnt(0)
	s_waitcnt_vscnt null, 0x0
	s_barrier
	buffer_gl0_inv
	s_clause 0x9
	scratch_load_b128 v[111:114], off, off offset:68
	scratch_load_b128 v[115:118], off, off offset:84
	;; [unrolled: 1-line block ×9, first 2 shown]
	scratch_load_b32 v155, off, off offset:212
	ds_load_2addr_b64 v[147:150], v110 offset0:37 offset1:38
	ds_load_2addr_b64 v[151:154], v110 offset0:39 offset1:40
	s_mov_b32 s0, exec_lo
	s_waitcnt vmcnt(9) lgkmcnt(1)
	v_fma_f32 v147, v112, v147, 0
	s_delay_alu instid0(VALU_DEP_1) | instskip(NEXT) | instid1(VALU_DEP_1)
	v_fmac_f32_e32 v147, v113, v148
	v_fmac_f32_e32 v147, v114, v149
	s_waitcnt vmcnt(8)
	s_delay_alu instid0(VALU_DEP_1) | instskip(SKIP_3) | instid1(VALU_DEP_1)
	v_fmac_f32_e32 v147, v115, v150
	ds_load_2addr_b64 v[112:115], v110 offset0:41 offset1:42
	s_waitcnt lgkmcnt(1)
	v_fmac_f32_e32 v147, v116, v151
	v_fmac_f32_e32 v147, v117, v152
	s_delay_alu instid0(VALU_DEP_1) | instskip(SKIP_1) | instid1(VALU_DEP_1)
	v_fmac_f32_e32 v147, v118, v153
	s_waitcnt vmcnt(7)
	v_fmac_f32_e32 v147, v119, v154
	ds_load_2addr_b64 v[116:119], v110 offset0:43 offset1:44
	s_waitcnt lgkmcnt(1)
	v_fmac_f32_e32 v147, v120, v112
	s_delay_alu instid0(VALU_DEP_1) | instskip(NEXT) | instid1(VALU_DEP_1)
	v_fmac_f32_e32 v147, v121, v113
	v_fmac_f32_e32 v147, v122, v114
	s_waitcnt vmcnt(6)
	s_delay_alu instid0(VALU_DEP_1) | instskip(SKIP_3) | instid1(VALU_DEP_1)
	v_fmac_f32_e32 v147, v123, v115
	ds_load_2addr_b64 v[112:115], v110 offset0:45 offset1:46
	s_waitcnt lgkmcnt(1)
	v_fmac_f32_e32 v147, v124, v116
	v_fmac_f32_e32 v147, v125, v117
	s_delay_alu instid0(VALU_DEP_1) | instskip(SKIP_1) | instid1(VALU_DEP_1)
	v_fmac_f32_e32 v147, v126, v118
	s_waitcnt vmcnt(5)
	v_fmac_f32_e32 v147, v127, v119
	ds_load_2addr_b64 v[116:119], v110 offset0:47 offset1:48
	s_waitcnt lgkmcnt(1)
	v_fmac_f32_e32 v147, v128, v112
	;; [unrolled: 17-line block ×3, first 2 shown]
	s_delay_alu instid0(VALU_DEP_1) | instskip(NEXT) | instid1(VALU_DEP_1)
	v_fmac_f32_e32 v147, v137, v113
	v_fmac_f32_e32 v147, v138, v114
	s_waitcnt vmcnt(2)
	s_delay_alu instid0(VALU_DEP_1) | instskip(SKIP_3) | instid1(VALU_DEP_1)
	v_fmac_f32_e32 v147, v139, v115
	ds_load_2addr_b64 v[112:115], v110 offset0:53 offset1:54
	s_waitcnt lgkmcnt(1)
	v_fmac_f32_e32 v147, v140, v116
	v_fmac_f32_e32 v147, v141, v117
	s_delay_alu instid0(VALU_DEP_1) | instskip(SKIP_1) | instid1(VALU_DEP_1)
	v_fmac_f32_e32 v147, v142, v118
	s_waitcnt vmcnt(1)
	v_fmac_f32_e32 v147, v143, v119
	s_waitcnt lgkmcnt(0)
	s_delay_alu instid0(VALU_DEP_1) | instskip(NEXT) | instid1(VALU_DEP_1)
	v_fmac_f32_e32 v147, v144, v112
	v_fmac_f32_e32 v147, v145, v113
	s_delay_alu instid0(VALU_DEP_1) | instskip(SKIP_1) | instid1(VALU_DEP_1)
	v_fmac_f32_e32 v147, v146, v114
	s_waitcnt vmcnt(0)
	v_fmac_f32_e32 v147, v155, v115
	s_delay_alu instid0(VALU_DEP_1)
	v_sub_f32_e32 v110, v111, v147
	scratch_store_b32 off, v110, off offset:68
	v_cmpx_lt_u32_e32 16, v0
	s_cbranch_execz .LBB117_299
; %bb.298:
	scratch_load_b32 v110, off, off offset:64
	v_mov_b32_e32 v111, 0
	scratch_store_b32 off, v111, off offset:64
	s_waitcnt vmcnt(0)
	ds_store_b32 v109, v110
.LBB117_299:
	s_or_b32 exec_lo, exec_lo, s0
	s_waitcnt lgkmcnt(0)
	s_waitcnt_vscnt null, 0x0
	s_barrier
	buffer_gl0_inv
	s_clause 0x9
	scratch_load_b128 v[111:114], off, off offset:64
	scratch_load_b128 v[115:118], off, off offset:80
	;; [unrolled: 1-line block ×9, first 2 shown]
	scratch_load_b64 v[147:148], off, off offset:208
	v_mov_b32_e32 v110, 0
	ds_load_2addr_b32 v[149:150], v110 offset0:73 offset1:74
	ds_load_2addr_b32 v[151:152], v110 offset0:75 offset1:76
	;; [unrolled: 1-line block ×4, first 2 shown]
	s_mov_b32 s0, exec_lo
	s_waitcnt vmcnt(9) lgkmcnt(3)
	v_fma_f32 v149, v112, v149, 0
	s_delay_alu instid0(VALU_DEP_1) | instskip(SKIP_4) | instid1(VALU_DEP_1)
	v_fmac_f32_e32 v149, v113, v150
	ds_load_2addr_b32 v[112:113], v110 offset0:81 offset1:82
	s_waitcnt lgkmcnt(3)
	v_fmac_f32_e32 v149, v114, v151
	s_waitcnt vmcnt(8)
	v_fmac_f32_e32 v149, v115, v152
	ds_load_2addr_b32 v[114:115], v110 offset0:83 offset1:84
	s_waitcnt lgkmcnt(3)
	v_fmac_f32_e32 v149, v116, v153
	s_delay_alu instid0(VALU_DEP_1) | instskip(SKIP_1) | instid1(VALU_DEP_1)
	v_fmac_f32_e32 v149, v117, v154
	s_waitcnt lgkmcnt(2)
	v_fmac_f32_e32 v149, v118, v155
	s_waitcnt vmcnt(7)
	s_delay_alu instid0(VALU_DEP_1) | instskip(SKIP_4) | instid1(VALU_DEP_1)
	v_fmac_f32_e32 v149, v119, v156
	ds_load_2addr_b32 v[116:117], v110 offset0:85 offset1:86
	ds_load_2addr_b32 v[118:119], v110 offset0:87 offset1:88
	s_waitcnt lgkmcnt(3)
	v_fmac_f32_e32 v149, v120, v112
	v_fmac_f32_e32 v149, v121, v113
	ds_load_2addr_b32 v[112:113], v110 offset0:89 offset1:90
	s_waitcnt lgkmcnt(3)
	v_fmac_f32_e32 v149, v122, v114
	s_waitcnt vmcnt(6)
	s_delay_alu instid0(VALU_DEP_1) | instskip(SKIP_3) | instid1(VALU_DEP_1)
	v_fmac_f32_e32 v149, v123, v115
	ds_load_2addr_b32 v[114:115], v110 offset0:91 offset1:92
	s_waitcnt lgkmcnt(3)
	v_fmac_f32_e32 v149, v124, v116
	v_fmac_f32_e32 v149, v125, v117
	s_waitcnt lgkmcnt(2)
	s_delay_alu instid0(VALU_DEP_1) | instskip(SKIP_1) | instid1(VALU_DEP_1)
	v_fmac_f32_e32 v149, v126, v118
	s_waitcnt vmcnt(5)
	v_fmac_f32_e32 v149, v127, v119
	ds_load_2addr_b32 v[116:117], v110 offset0:93 offset1:94
	ds_load_2addr_b32 v[118:119], v110 offset0:95 offset1:96
	s_waitcnt lgkmcnt(3)
	v_fmac_f32_e32 v149, v128, v112
	s_delay_alu instid0(VALU_DEP_1) | instskip(SKIP_4) | instid1(VALU_DEP_1)
	v_fmac_f32_e32 v149, v129, v113
	ds_load_2addr_b32 v[112:113], v110 offset0:97 offset1:98
	s_waitcnt lgkmcnt(3)
	v_fmac_f32_e32 v149, v130, v114
	s_waitcnt vmcnt(4)
	v_fmac_f32_e32 v149, v131, v115
	ds_load_2addr_b32 v[114:115], v110 offset0:99 offset1:100
	s_waitcnt lgkmcnt(3)
	v_fmac_f32_e32 v149, v132, v116
	s_delay_alu instid0(VALU_DEP_1) | instskip(SKIP_1) | instid1(VALU_DEP_1)
	v_fmac_f32_e32 v149, v133, v117
	s_waitcnt lgkmcnt(2)
	v_fmac_f32_e32 v149, v134, v118
	s_waitcnt vmcnt(3)
	s_delay_alu instid0(VALU_DEP_1) | instskip(SKIP_4) | instid1(VALU_DEP_1)
	v_fmac_f32_e32 v149, v135, v119
	ds_load_2addr_b32 v[116:117], v110 offset0:101 offset1:102
	ds_load_2addr_b32 v[118:119], v110 offset0:103 offset1:104
	s_waitcnt lgkmcnt(3)
	v_fmac_f32_e32 v149, v136, v112
	v_fmac_f32_e32 v149, v137, v113
	ds_load_2addr_b32 v[112:113], v110 offset0:105 offset1:106
	s_waitcnt lgkmcnt(3)
	v_fmac_f32_e32 v149, v138, v114
	s_waitcnt vmcnt(2)
	s_delay_alu instid0(VALU_DEP_1)
	v_fmac_f32_e32 v149, v139, v115
	ds_load_2addr_b32 v[114:115], v110 offset0:107 offset1:108
	s_waitcnt lgkmcnt(3)
	v_fmac_f32_e32 v149, v140, v116
	ds_load_b32 v116, v110 offset:436
	v_fmac_f32_e32 v149, v141, v117
	s_waitcnt lgkmcnt(3)
	s_delay_alu instid0(VALU_DEP_1) | instskip(SKIP_1) | instid1(VALU_DEP_1)
	v_fmac_f32_e32 v149, v142, v118
	s_waitcnt vmcnt(1)
	v_fmac_f32_e32 v149, v143, v119
	s_waitcnt lgkmcnt(2)
	s_delay_alu instid0(VALU_DEP_1) | instskip(NEXT) | instid1(VALU_DEP_1)
	v_fmac_f32_e32 v149, v144, v112
	v_fmac_f32_e32 v149, v145, v113
	s_waitcnt lgkmcnt(1)
	s_delay_alu instid0(VALU_DEP_1) | instskip(SKIP_1) | instid1(VALU_DEP_1)
	v_fmac_f32_e32 v149, v146, v114
	s_waitcnt vmcnt(0)
	v_fmac_f32_e32 v149, v147, v115
	s_waitcnt lgkmcnt(0)
	s_delay_alu instid0(VALU_DEP_1) | instskip(NEXT) | instid1(VALU_DEP_1)
	v_fmac_f32_e32 v149, v148, v116
	v_sub_f32_e32 v111, v111, v149
	scratch_store_b32 off, v111, off offset:64
	v_cmpx_lt_u32_e32 15, v0
	s_cbranch_execz .LBB117_301
; %bb.300:
	scratch_load_b32 v111, off, off offset:60
	scratch_store_b32 off, v110, off offset:60
	s_waitcnt vmcnt(0)
	ds_store_b32 v109, v111
.LBB117_301:
	s_or_b32 exec_lo, exec_lo, s0
	s_waitcnt lgkmcnt(0)
	s_waitcnt_vscnt null, 0x0
	s_barrier
	buffer_gl0_inv
	s_clause 0x9
	scratch_load_b128 v[111:114], off, off offset:60
	scratch_load_b128 v[115:118], off, off offset:76
	;; [unrolled: 1-line block ×9, first 2 shown]
	scratch_load_b96 v[155:157], off, off offset:204
	ds_load_b128 v[147:150], v110 offset:288
	ds_load_b128 v[151:154], v110 offset:304
	s_mov_b32 s0, exec_lo
	s_waitcnt vmcnt(9) lgkmcnt(1)
	v_fma_f32 v147, v112, v147, 0
	s_delay_alu instid0(VALU_DEP_1) | instskip(NEXT) | instid1(VALU_DEP_1)
	v_fmac_f32_e32 v147, v113, v148
	v_fmac_f32_e32 v147, v114, v149
	s_waitcnt vmcnt(8)
	s_delay_alu instid0(VALU_DEP_1) | instskip(SKIP_3) | instid1(VALU_DEP_1)
	v_fmac_f32_e32 v147, v115, v150
	ds_load_b128 v[112:115], v110 offset:320
	s_waitcnt lgkmcnt(1)
	v_fmac_f32_e32 v147, v116, v151
	v_fmac_f32_e32 v147, v117, v152
	s_delay_alu instid0(VALU_DEP_1) | instskip(SKIP_1) | instid1(VALU_DEP_1)
	v_fmac_f32_e32 v147, v118, v153
	s_waitcnt vmcnt(7)
	v_fmac_f32_e32 v147, v119, v154
	ds_load_b128 v[116:119], v110 offset:336
	s_waitcnt lgkmcnt(1)
	v_fmac_f32_e32 v147, v120, v112
	s_delay_alu instid0(VALU_DEP_1) | instskip(NEXT) | instid1(VALU_DEP_1)
	v_fmac_f32_e32 v147, v121, v113
	v_fmac_f32_e32 v147, v122, v114
	s_waitcnt vmcnt(6)
	s_delay_alu instid0(VALU_DEP_1) | instskip(SKIP_3) | instid1(VALU_DEP_1)
	v_fmac_f32_e32 v147, v123, v115
	ds_load_b128 v[112:115], v110 offset:352
	s_waitcnt lgkmcnt(1)
	v_fmac_f32_e32 v147, v124, v116
	v_fmac_f32_e32 v147, v125, v117
	s_delay_alu instid0(VALU_DEP_1) | instskip(SKIP_1) | instid1(VALU_DEP_1)
	v_fmac_f32_e32 v147, v126, v118
	s_waitcnt vmcnt(5)
	v_fmac_f32_e32 v147, v127, v119
	ds_load_b128 v[116:119], v110 offset:368
	s_waitcnt lgkmcnt(1)
	v_fmac_f32_e32 v147, v128, v112
	s_delay_alu instid0(VALU_DEP_1) | instskip(NEXT) | instid1(VALU_DEP_1)
	v_fmac_f32_e32 v147, v129, v113
	v_fmac_f32_e32 v147, v130, v114
	s_waitcnt vmcnt(4)
	s_delay_alu instid0(VALU_DEP_1) | instskip(SKIP_3) | instid1(VALU_DEP_1)
	v_fmac_f32_e32 v147, v131, v115
	ds_load_b128 v[112:115], v110 offset:384
	s_waitcnt lgkmcnt(1)
	v_fmac_f32_e32 v147, v132, v116
	v_fmac_f32_e32 v147, v133, v117
	s_delay_alu instid0(VALU_DEP_1) | instskip(SKIP_1) | instid1(VALU_DEP_1)
	v_fmac_f32_e32 v147, v134, v118
	s_waitcnt vmcnt(3)
	v_fmac_f32_e32 v147, v135, v119
	ds_load_b128 v[116:119], v110 offset:400
	s_waitcnt lgkmcnt(1)
	v_fmac_f32_e32 v147, v136, v112
	s_delay_alu instid0(VALU_DEP_1) | instskip(NEXT) | instid1(VALU_DEP_1)
	v_fmac_f32_e32 v147, v137, v113
	v_fmac_f32_e32 v147, v138, v114
	s_waitcnt vmcnt(2)
	s_delay_alu instid0(VALU_DEP_1) | instskip(SKIP_3) | instid1(VALU_DEP_1)
	v_fmac_f32_e32 v147, v139, v115
	ds_load_b128 v[112:115], v110 offset:416
	s_waitcnt lgkmcnt(1)
	v_fmac_f32_e32 v147, v140, v116
	v_fmac_f32_e32 v147, v141, v117
	ds_load_b64 v[116:117], v110 offset:432
	v_fmac_f32_e32 v147, v142, v118
	s_waitcnt vmcnt(1)
	s_delay_alu instid0(VALU_DEP_1) | instskip(SKIP_1) | instid1(VALU_DEP_1)
	v_fmac_f32_e32 v147, v143, v119
	s_waitcnt lgkmcnt(1)
	v_fmac_f32_e32 v147, v144, v112
	s_delay_alu instid0(VALU_DEP_1) | instskip(NEXT) | instid1(VALU_DEP_1)
	v_fmac_f32_e32 v147, v145, v113
	v_fmac_f32_e32 v147, v146, v114
	s_waitcnt vmcnt(0)
	s_delay_alu instid0(VALU_DEP_1) | instskip(SKIP_1) | instid1(VALU_DEP_1)
	v_fmac_f32_e32 v147, v155, v115
	s_waitcnt lgkmcnt(0)
	v_fmac_f32_e32 v147, v156, v116
	s_delay_alu instid0(VALU_DEP_1) | instskip(NEXT) | instid1(VALU_DEP_1)
	v_fmac_f32_e32 v147, v157, v117
	v_sub_f32_e32 v110, v111, v147
	scratch_store_b32 off, v110, off offset:60
	v_cmpx_lt_u32_e32 14, v0
	s_cbranch_execz .LBB117_303
; %bb.302:
	scratch_load_b32 v110, off, off offset:56
	v_mov_b32_e32 v111, 0
	scratch_store_b32 off, v111, off offset:56
	s_waitcnt vmcnt(0)
	ds_store_b32 v109, v110
.LBB117_303:
	s_or_b32 exec_lo, exec_lo, s0
	s_waitcnt lgkmcnt(0)
	s_waitcnt_vscnt null, 0x0
	s_barrier
	buffer_gl0_inv
	s_clause 0x9
	scratch_load_b128 v[111:114], off, off offset:56
	scratch_load_b128 v[115:118], off, off offset:72
	;; [unrolled: 1-line block ×10, first 2 shown]
	v_mov_b32_e32 v110, 0
	ds_load_2addr_b32 v[151:152], v110 offset0:71 offset1:72
	ds_load_2addr_b32 v[153:154], v110 offset0:73 offset1:74
	;; [unrolled: 1-line block ×4, first 2 shown]
	s_mov_b32 s0, exec_lo
	s_waitcnt vmcnt(9) lgkmcnt(3)
	v_fma_f32 v151, v112, v151, 0
	s_delay_alu instid0(VALU_DEP_1) | instskip(SKIP_4) | instid1(VALU_DEP_1)
	v_fmac_f32_e32 v151, v113, v152
	ds_load_2addr_b32 v[112:113], v110 offset0:79 offset1:80
	s_waitcnt lgkmcnt(3)
	v_fmac_f32_e32 v151, v114, v153
	s_waitcnt vmcnt(8)
	v_fmac_f32_e32 v151, v115, v154
	ds_load_2addr_b32 v[114:115], v110 offset0:81 offset1:82
	s_waitcnt lgkmcnt(3)
	v_fmac_f32_e32 v151, v116, v155
	s_delay_alu instid0(VALU_DEP_1) | instskip(SKIP_1) | instid1(VALU_DEP_1)
	v_fmac_f32_e32 v151, v117, v156
	s_waitcnt lgkmcnt(2)
	v_fmac_f32_e32 v151, v118, v157
	s_waitcnt vmcnt(7)
	s_delay_alu instid0(VALU_DEP_1) | instskip(SKIP_4) | instid1(VALU_DEP_1)
	v_fmac_f32_e32 v151, v119, v158
	ds_load_2addr_b32 v[116:117], v110 offset0:83 offset1:84
	ds_load_2addr_b32 v[118:119], v110 offset0:85 offset1:86
	s_waitcnt lgkmcnt(3)
	v_fmac_f32_e32 v151, v120, v112
	v_fmac_f32_e32 v151, v121, v113
	ds_load_2addr_b32 v[112:113], v110 offset0:87 offset1:88
	s_waitcnt lgkmcnt(3)
	v_fmac_f32_e32 v151, v122, v114
	s_waitcnt vmcnt(6)
	s_delay_alu instid0(VALU_DEP_1) | instskip(SKIP_3) | instid1(VALU_DEP_1)
	v_fmac_f32_e32 v151, v123, v115
	ds_load_2addr_b32 v[114:115], v110 offset0:89 offset1:90
	s_waitcnt lgkmcnt(3)
	v_fmac_f32_e32 v151, v124, v116
	v_fmac_f32_e32 v151, v125, v117
	s_waitcnt lgkmcnt(2)
	s_delay_alu instid0(VALU_DEP_1) | instskip(SKIP_1) | instid1(VALU_DEP_1)
	v_fmac_f32_e32 v151, v126, v118
	s_waitcnt vmcnt(5)
	v_fmac_f32_e32 v151, v127, v119
	ds_load_2addr_b32 v[116:117], v110 offset0:91 offset1:92
	ds_load_2addr_b32 v[118:119], v110 offset0:93 offset1:94
	s_waitcnt lgkmcnt(3)
	v_fmac_f32_e32 v151, v128, v112
	s_delay_alu instid0(VALU_DEP_1) | instskip(SKIP_4) | instid1(VALU_DEP_1)
	v_fmac_f32_e32 v151, v129, v113
	ds_load_2addr_b32 v[112:113], v110 offset0:95 offset1:96
	s_waitcnt lgkmcnt(3)
	v_fmac_f32_e32 v151, v130, v114
	s_waitcnt vmcnt(4)
	v_fmac_f32_e32 v151, v131, v115
	ds_load_2addr_b32 v[114:115], v110 offset0:97 offset1:98
	s_waitcnt lgkmcnt(3)
	v_fmac_f32_e32 v151, v132, v116
	s_delay_alu instid0(VALU_DEP_1) | instskip(SKIP_1) | instid1(VALU_DEP_1)
	v_fmac_f32_e32 v151, v133, v117
	s_waitcnt lgkmcnt(2)
	v_fmac_f32_e32 v151, v134, v118
	s_waitcnt vmcnt(3)
	s_delay_alu instid0(VALU_DEP_1) | instskip(SKIP_4) | instid1(VALU_DEP_1)
	v_fmac_f32_e32 v151, v135, v119
	ds_load_2addr_b32 v[116:117], v110 offset0:99 offset1:100
	ds_load_2addr_b32 v[118:119], v110 offset0:101 offset1:102
	s_waitcnt lgkmcnt(3)
	v_fmac_f32_e32 v151, v136, v112
	v_fmac_f32_e32 v151, v137, v113
	ds_load_2addr_b32 v[112:113], v110 offset0:103 offset1:104
	s_waitcnt lgkmcnt(3)
	v_fmac_f32_e32 v151, v138, v114
	s_waitcnt vmcnt(2)
	s_delay_alu instid0(VALU_DEP_1) | instskip(SKIP_3) | instid1(VALU_DEP_1)
	v_fmac_f32_e32 v151, v139, v115
	ds_load_2addr_b32 v[114:115], v110 offset0:105 offset1:106
	s_waitcnt lgkmcnt(3)
	v_fmac_f32_e32 v151, v140, v116
	v_fmac_f32_e32 v151, v141, v117
	s_waitcnt lgkmcnt(2)
	s_delay_alu instid0(VALU_DEP_1)
	v_fmac_f32_e32 v151, v142, v118
	ds_load_2addr_b32 v[116:117], v110 offset0:107 offset1:108
	ds_load_b32 v118, v110 offset:436
	s_waitcnt vmcnt(1)
	v_fmac_f32_e32 v151, v143, v119
	s_waitcnt lgkmcnt(3)
	s_delay_alu instid0(VALU_DEP_1) | instskip(NEXT) | instid1(VALU_DEP_1)
	v_fmac_f32_e32 v151, v144, v112
	v_fmac_f32_e32 v151, v145, v113
	s_waitcnt lgkmcnt(2)
	s_delay_alu instid0(VALU_DEP_1) | instskip(SKIP_1) | instid1(VALU_DEP_1)
	v_fmac_f32_e32 v151, v146, v114
	s_waitcnt vmcnt(0)
	v_fmac_f32_e32 v151, v147, v115
	s_waitcnt lgkmcnt(1)
	s_delay_alu instid0(VALU_DEP_1) | instskip(NEXT) | instid1(VALU_DEP_1)
	v_fmac_f32_e32 v151, v148, v116
	v_fmac_f32_e32 v151, v149, v117
	s_waitcnt lgkmcnt(0)
	s_delay_alu instid0(VALU_DEP_1) | instskip(NEXT) | instid1(VALU_DEP_1)
	v_fmac_f32_e32 v151, v150, v118
	v_sub_f32_e32 v111, v111, v151
	scratch_store_b32 off, v111, off offset:56
	v_cmpx_lt_u32_e32 13, v0
	s_cbranch_execz .LBB117_305
; %bb.304:
	scratch_load_b32 v111, off, off offset:52
	scratch_store_b32 off, v110, off offset:52
	s_waitcnt vmcnt(0)
	ds_store_b32 v109, v111
.LBB117_305:
	s_or_b32 exec_lo, exec_lo, s0
	s_waitcnt lgkmcnt(0)
	s_waitcnt_vscnt null, 0x0
	s_barrier
	buffer_gl0_inv
	s_clause 0xa
	scratch_load_b128 v[111:114], off, off offset:52
	scratch_load_b128 v[115:118], off, off offset:68
	;; [unrolled: 1-line block ×10, first 2 shown]
	scratch_load_b32 v159, off, off offset:212
	ds_load_2addr_b64 v[151:154], v110 offset0:35 offset1:36
	ds_load_2addr_b64 v[155:158], v110 offset0:37 offset1:38
	s_mov_b32 s0, exec_lo
	s_waitcnt vmcnt(10) lgkmcnt(1)
	v_fma_f32 v151, v112, v151, 0
	s_delay_alu instid0(VALU_DEP_1) | instskip(NEXT) | instid1(VALU_DEP_1)
	v_fmac_f32_e32 v151, v113, v152
	v_fmac_f32_e32 v151, v114, v153
	s_waitcnt vmcnt(9)
	s_delay_alu instid0(VALU_DEP_1) | instskip(SKIP_3) | instid1(VALU_DEP_1)
	v_fmac_f32_e32 v151, v115, v154
	ds_load_2addr_b64 v[112:115], v110 offset0:39 offset1:40
	s_waitcnt lgkmcnt(1)
	v_fmac_f32_e32 v151, v116, v155
	v_fmac_f32_e32 v151, v117, v156
	s_delay_alu instid0(VALU_DEP_1) | instskip(SKIP_1) | instid1(VALU_DEP_1)
	v_fmac_f32_e32 v151, v118, v157
	s_waitcnt vmcnt(8)
	v_fmac_f32_e32 v151, v119, v158
	ds_load_2addr_b64 v[116:119], v110 offset0:41 offset1:42
	s_waitcnt lgkmcnt(1)
	v_fmac_f32_e32 v151, v120, v112
	s_delay_alu instid0(VALU_DEP_1) | instskip(NEXT) | instid1(VALU_DEP_1)
	v_fmac_f32_e32 v151, v121, v113
	v_fmac_f32_e32 v151, v122, v114
	s_waitcnt vmcnt(7)
	s_delay_alu instid0(VALU_DEP_1) | instskip(SKIP_3) | instid1(VALU_DEP_1)
	v_fmac_f32_e32 v151, v123, v115
	ds_load_2addr_b64 v[112:115], v110 offset0:43 offset1:44
	s_waitcnt lgkmcnt(1)
	v_fmac_f32_e32 v151, v124, v116
	v_fmac_f32_e32 v151, v125, v117
	s_delay_alu instid0(VALU_DEP_1) | instskip(SKIP_1) | instid1(VALU_DEP_1)
	v_fmac_f32_e32 v151, v126, v118
	s_waitcnt vmcnt(6)
	v_fmac_f32_e32 v151, v127, v119
	ds_load_2addr_b64 v[116:119], v110 offset0:45 offset1:46
	s_waitcnt lgkmcnt(1)
	v_fmac_f32_e32 v151, v128, v112
	;; [unrolled: 17-line block ×4, first 2 shown]
	s_delay_alu instid0(VALU_DEP_1) | instskip(NEXT) | instid1(VALU_DEP_1)
	v_fmac_f32_e32 v151, v145, v113
	v_fmac_f32_e32 v151, v146, v114
	s_waitcnt vmcnt(1)
	s_delay_alu instid0(VALU_DEP_1) | instskip(SKIP_1) | instid1(VALU_DEP_1)
	v_fmac_f32_e32 v151, v147, v115
	s_waitcnt lgkmcnt(0)
	v_fmac_f32_e32 v151, v148, v116
	s_delay_alu instid0(VALU_DEP_1) | instskip(NEXT) | instid1(VALU_DEP_1)
	v_fmac_f32_e32 v151, v149, v117
	v_fmac_f32_e32 v151, v150, v118
	s_waitcnt vmcnt(0)
	s_delay_alu instid0(VALU_DEP_1) | instskip(NEXT) | instid1(VALU_DEP_1)
	v_fmac_f32_e32 v151, v159, v119
	v_sub_f32_e32 v110, v111, v151
	scratch_store_b32 off, v110, off offset:52
	v_cmpx_lt_u32_e32 12, v0
	s_cbranch_execz .LBB117_307
; %bb.306:
	scratch_load_b32 v110, off, off offset:48
	v_mov_b32_e32 v111, 0
	scratch_store_b32 off, v111, off offset:48
	s_waitcnt vmcnt(0)
	ds_store_b32 v109, v110
.LBB117_307:
	s_or_b32 exec_lo, exec_lo, s0
	s_waitcnt lgkmcnt(0)
	s_waitcnt_vscnt null, 0x0
	s_barrier
	buffer_gl0_inv
	s_clause 0xa
	scratch_load_b128 v[111:114], off, off offset:48
	scratch_load_b128 v[115:118], off, off offset:64
	;; [unrolled: 1-line block ×10, first 2 shown]
	scratch_load_b64 v[151:152], off, off offset:208
	v_mov_b32_e32 v110, 0
	ds_load_2addr_b32 v[153:154], v110 offset0:69 offset1:70
	ds_load_2addr_b32 v[155:156], v110 offset0:71 offset1:72
	;; [unrolled: 1-line block ×4, first 2 shown]
	s_mov_b32 s0, exec_lo
	s_waitcnt vmcnt(10) lgkmcnt(3)
	v_fma_f32 v153, v112, v153, 0
	s_delay_alu instid0(VALU_DEP_1) | instskip(SKIP_4) | instid1(VALU_DEP_1)
	v_fmac_f32_e32 v153, v113, v154
	ds_load_2addr_b32 v[112:113], v110 offset0:77 offset1:78
	s_waitcnt lgkmcnt(3)
	v_fmac_f32_e32 v153, v114, v155
	s_waitcnt vmcnt(9)
	v_fmac_f32_e32 v153, v115, v156
	ds_load_2addr_b32 v[114:115], v110 offset0:79 offset1:80
	s_waitcnt lgkmcnt(3)
	v_fmac_f32_e32 v153, v116, v157
	s_delay_alu instid0(VALU_DEP_1) | instskip(SKIP_1) | instid1(VALU_DEP_1)
	v_fmac_f32_e32 v153, v117, v158
	s_waitcnt lgkmcnt(2)
	v_fmac_f32_e32 v153, v118, v159
	s_waitcnt vmcnt(8)
	s_delay_alu instid0(VALU_DEP_1) | instskip(SKIP_4) | instid1(VALU_DEP_1)
	v_fmac_f32_e32 v153, v119, v160
	ds_load_2addr_b32 v[116:117], v110 offset0:81 offset1:82
	ds_load_2addr_b32 v[118:119], v110 offset0:83 offset1:84
	s_waitcnt lgkmcnt(3)
	v_fmac_f32_e32 v153, v120, v112
	v_fmac_f32_e32 v153, v121, v113
	ds_load_2addr_b32 v[112:113], v110 offset0:85 offset1:86
	s_waitcnt lgkmcnt(3)
	v_fmac_f32_e32 v153, v122, v114
	s_waitcnt vmcnt(7)
	s_delay_alu instid0(VALU_DEP_1) | instskip(SKIP_3) | instid1(VALU_DEP_1)
	v_fmac_f32_e32 v153, v123, v115
	ds_load_2addr_b32 v[114:115], v110 offset0:87 offset1:88
	s_waitcnt lgkmcnt(3)
	v_fmac_f32_e32 v153, v124, v116
	v_fmac_f32_e32 v153, v125, v117
	s_waitcnt lgkmcnt(2)
	s_delay_alu instid0(VALU_DEP_1) | instskip(SKIP_1) | instid1(VALU_DEP_1)
	v_fmac_f32_e32 v153, v126, v118
	s_waitcnt vmcnt(6)
	v_fmac_f32_e32 v153, v127, v119
	ds_load_2addr_b32 v[116:117], v110 offset0:89 offset1:90
	ds_load_2addr_b32 v[118:119], v110 offset0:91 offset1:92
	s_waitcnt lgkmcnt(3)
	v_fmac_f32_e32 v153, v128, v112
	s_delay_alu instid0(VALU_DEP_1) | instskip(SKIP_4) | instid1(VALU_DEP_1)
	v_fmac_f32_e32 v153, v129, v113
	ds_load_2addr_b32 v[112:113], v110 offset0:93 offset1:94
	s_waitcnt lgkmcnt(3)
	v_fmac_f32_e32 v153, v130, v114
	s_waitcnt vmcnt(5)
	v_fmac_f32_e32 v153, v131, v115
	ds_load_2addr_b32 v[114:115], v110 offset0:95 offset1:96
	s_waitcnt lgkmcnt(3)
	v_fmac_f32_e32 v153, v132, v116
	s_delay_alu instid0(VALU_DEP_1) | instskip(SKIP_1) | instid1(VALU_DEP_1)
	v_fmac_f32_e32 v153, v133, v117
	s_waitcnt lgkmcnt(2)
	v_fmac_f32_e32 v153, v134, v118
	s_waitcnt vmcnt(4)
	s_delay_alu instid0(VALU_DEP_1) | instskip(SKIP_4) | instid1(VALU_DEP_1)
	v_fmac_f32_e32 v153, v135, v119
	ds_load_2addr_b32 v[116:117], v110 offset0:97 offset1:98
	ds_load_2addr_b32 v[118:119], v110 offset0:99 offset1:100
	s_waitcnt lgkmcnt(3)
	v_fmac_f32_e32 v153, v136, v112
	v_fmac_f32_e32 v153, v137, v113
	ds_load_2addr_b32 v[112:113], v110 offset0:101 offset1:102
	s_waitcnt lgkmcnt(3)
	v_fmac_f32_e32 v153, v138, v114
	s_waitcnt vmcnt(3)
	s_delay_alu instid0(VALU_DEP_1) | instskip(SKIP_3) | instid1(VALU_DEP_1)
	v_fmac_f32_e32 v153, v139, v115
	ds_load_2addr_b32 v[114:115], v110 offset0:103 offset1:104
	s_waitcnt lgkmcnt(3)
	v_fmac_f32_e32 v153, v140, v116
	v_fmac_f32_e32 v153, v141, v117
	s_waitcnt lgkmcnt(2)
	s_delay_alu instid0(VALU_DEP_1) | instskip(SKIP_1) | instid1(VALU_DEP_1)
	v_fmac_f32_e32 v153, v142, v118
	s_waitcnt vmcnt(2)
	v_fmac_f32_e32 v153, v143, v119
	ds_load_2addr_b32 v[116:117], v110 offset0:105 offset1:106
	ds_load_2addr_b32 v[118:119], v110 offset0:107 offset1:108
	s_waitcnt lgkmcnt(3)
	v_fmac_f32_e32 v153, v144, v112
	ds_load_b32 v112, v110 offset:436
	v_fmac_f32_e32 v153, v145, v113
	s_waitcnt lgkmcnt(3)
	s_delay_alu instid0(VALU_DEP_1) | instskip(SKIP_1) | instid1(VALU_DEP_1)
	v_fmac_f32_e32 v153, v146, v114
	s_waitcnt vmcnt(1)
	v_fmac_f32_e32 v153, v147, v115
	s_waitcnt lgkmcnt(2)
	s_delay_alu instid0(VALU_DEP_1) | instskip(NEXT) | instid1(VALU_DEP_1)
	v_fmac_f32_e32 v153, v148, v116
	v_fmac_f32_e32 v153, v149, v117
	s_waitcnt lgkmcnt(1)
	s_delay_alu instid0(VALU_DEP_1) | instskip(SKIP_1) | instid1(VALU_DEP_1)
	v_fmac_f32_e32 v153, v150, v118
	s_waitcnt vmcnt(0)
	v_fmac_f32_e32 v153, v151, v119
	s_waitcnt lgkmcnt(0)
	s_delay_alu instid0(VALU_DEP_1) | instskip(NEXT) | instid1(VALU_DEP_1)
	v_fmac_f32_e32 v153, v152, v112
	v_sub_f32_e32 v111, v111, v153
	scratch_store_b32 off, v111, off offset:48
	v_cmpx_lt_u32_e32 11, v0
	s_cbranch_execz .LBB117_309
; %bb.308:
	scratch_load_b32 v111, off, off offset:44
	scratch_store_b32 off, v110, off offset:44
	s_waitcnt vmcnt(0)
	ds_store_b32 v109, v111
.LBB117_309:
	s_or_b32 exec_lo, exec_lo, s0
	s_waitcnt lgkmcnt(0)
	s_waitcnt_vscnt null, 0x0
	s_barrier
	buffer_gl0_inv
	s_clause 0xa
	scratch_load_b128 v[111:114], off, off offset:44
	scratch_load_b128 v[115:118], off, off offset:60
	;; [unrolled: 1-line block ×10, first 2 shown]
	scratch_load_b96 v[159:161], off, off offset:204
	ds_load_b128 v[151:154], v110 offset:272
	ds_load_b128 v[155:158], v110 offset:288
	s_mov_b32 s0, exec_lo
	s_waitcnt vmcnt(10) lgkmcnt(1)
	v_fma_f32 v151, v112, v151, 0
	s_delay_alu instid0(VALU_DEP_1) | instskip(NEXT) | instid1(VALU_DEP_1)
	v_fmac_f32_e32 v151, v113, v152
	v_fmac_f32_e32 v151, v114, v153
	s_waitcnt vmcnt(9)
	s_delay_alu instid0(VALU_DEP_1) | instskip(SKIP_3) | instid1(VALU_DEP_1)
	v_fmac_f32_e32 v151, v115, v154
	ds_load_b128 v[112:115], v110 offset:304
	s_waitcnt lgkmcnt(1)
	v_fmac_f32_e32 v151, v116, v155
	v_fmac_f32_e32 v151, v117, v156
	s_delay_alu instid0(VALU_DEP_1) | instskip(SKIP_1) | instid1(VALU_DEP_1)
	v_fmac_f32_e32 v151, v118, v157
	s_waitcnt vmcnt(8)
	v_fmac_f32_e32 v151, v119, v158
	ds_load_b128 v[116:119], v110 offset:320
	s_waitcnt lgkmcnt(1)
	v_fmac_f32_e32 v151, v120, v112
	s_delay_alu instid0(VALU_DEP_1) | instskip(NEXT) | instid1(VALU_DEP_1)
	v_fmac_f32_e32 v151, v121, v113
	v_fmac_f32_e32 v151, v122, v114
	s_waitcnt vmcnt(7)
	s_delay_alu instid0(VALU_DEP_1) | instskip(SKIP_3) | instid1(VALU_DEP_1)
	v_fmac_f32_e32 v151, v123, v115
	ds_load_b128 v[112:115], v110 offset:336
	s_waitcnt lgkmcnt(1)
	v_fmac_f32_e32 v151, v124, v116
	v_fmac_f32_e32 v151, v125, v117
	s_delay_alu instid0(VALU_DEP_1) | instskip(SKIP_1) | instid1(VALU_DEP_1)
	v_fmac_f32_e32 v151, v126, v118
	s_waitcnt vmcnt(6)
	v_fmac_f32_e32 v151, v127, v119
	ds_load_b128 v[116:119], v110 offset:352
	s_waitcnt lgkmcnt(1)
	v_fmac_f32_e32 v151, v128, v112
	;; [unrolled: 17-line block ×4, first 2 shown]
	s_delay_alu instid0(VALU_DEP_1) | instskip(SKIP_3) | instid1(VALU_DEP_1)
	v_fmac_f32_e32 v151, v145, v113
	ds_load_b64 v[112:113], v110 offset:432
	v_fmac_f32_e32 v151, v146, v114
	s_waitcnt vmcnt(1)
	v_fmac_f32_e32 v151, v147, v115
	s_waitcnt lgkmcnt(1)
	s_delay_alu instid0(VALU_DEP_1) | instskip(NEXT) | instid1(VALU_DEP_1)
	v_fmac_f32_e32 v151, v148, v116
	v_fmac_f32_e32 v151, v149, v117
	s_delay_alu instid0(VALU_DEP_1) | instskip(SKIP_1) | instid1(VALU_DEP_1)
	v_fmac_f32_e32 v151, v150, v118
	s_waitcnt vmcnt(0)
	v_fmac_f32_e32 v151, v159, v119
	s_waitcnt lgkmcnt(0)
	s_delay_alu instid0(VALU_DEP_1) | instskip(NEXT) | instid1(VALU_DEP_1)
	v_fmac_f32_e32 v151, v160, v112
	v_fmac_f32_e32 v151, v161, v113
	s_delay_alu instid0(VALU_DEP_1)
	v_sub_f32_e32 v110, v111, v151
	scratch_store_b32 off, v110, off offset:44
	v_cmpx_lt_u32_e32 10, v0
	s_cbranch_execz .LBB117_311
; %bb.310:
	scratch_load_b32 v110, off, off offset:40
	v_mov_b32_e32 v111, 0
	scratch_store_b32 off, v111, off offset:40
	s_waitcnt vmcnt(0)
	ds_store_b32 v109, v110
.LBB117_311:
	s_or_b32 exec_lo, exec_lo, s0
	s_waitcnt lgkmcnt(0)
	s_waitcnt_vscnt null, 0x0
	s_barrier
	buffer_gl0_inv
	s_clause 0xa
	scratch_load_b128 v[111:114], off, off offset:40
	scratch_load_b128 v[115:118], off, off offset:56
	;; [unrolled: 1-line block ×11, first 2 shown]
	v_mov_b32_e32 v110, 0
	ds_load_2addr_b32 v[155:156], v110 offset0:67 offset1:68
	ds_load_2addr_b32 v[157:158], v110 offset0:69 offset1:70
	ds_load_2addr_b32 v[159:160], v110 offset0:71 offset1:72
	ds_load_2addr_b32 v[161:162], v110 offset0:73 offset1:74
	s_mov_b32 s0, exec_lo
	s_waitcnt vmcnt(10) lgkmcnt(3)
	v_fma_f32 v155, v112, v155, 0
	s_delay_alu instid0(VALU_DEP_1) | instskip(SKIP_4) | instid1(VALU_DEP_1)
	v_fmac_f32_e32 v155, v113, v156
	ds_load_2addr_b32 v[112:113], v110 offset0:75 offset1:76
	s_waitcnt lgkmcnt(3)
	v_fmac_f32_e32 v155, v114, v157
	s_waitcnt vmcnt(9)
	v_fmac_f32_e32 v155, v115, v158
	ds_load_2addr_b32 v[114:115], v110 offset0:77 offset1:78
	s_waitcnt lgkmcnt(3)
	v_fmac_f32_e32 v155, v116, v159
	s_delay_alu instid0(VALU_DEP_1) | instskip(SKIP_1) | instid1(VALU_DEP_1)
	v_fmac_f32_e32 v155, v117, v160
	s_waitcnt lgkmcnt(2)
	v_fmac_f32_e32 v155, v118, v161
	s_waitcnt vmcnt(8)
	s_delay_alu instid0(VALU_DEP_1) | instskip(SKIP_4) | instid1(VALU_DEP_1)
	v_fmac_f32_e32 v155, v119, v162
	ds_load_2addr_b32 v[116:117], v110 offset0:79 offset1:80
	ds_load_2addr_b32 v[118:119], v110 offset0:81 offset1:82
	s_waitcnt lgkmcnt(3)
	v_fmac_f32_e32 v155, v120, v112
	v_fmac_f32_e32 v155, v121, v113
	ds_load_2addr_b32 v[112:113], v110 offset0:83 offset1:84
	s_waitcnt lgkmcnt(3)
	v_fmac_f32_e32 v155, v122, v114
	s_waitcnt vmcnt(7)
	s_delay_alu instid0(VALU_DEP_1) | instskip(SKIP_3) | instid1(VALU_DEP_1)
	v_fmac_f32_e32 v155, v123, v115
	ds_load_2addr_b32 v[114:115], v110 offset0:85 offset1:86
	s_waitcnt lgkmcnt(3)
	v_fmac_f32_e32 v155, v124, v116
	v_fmac_f32_e32 v155, v125, v117
	s_waitcnt lgkmcnt(2)
	s_delay_alu instid0(VALU_DEP_1) | instskip(SKIP_1) | instid1(VALU_DEP_1)
	v_fmac_f32_e32 v155, v126, v118
	s_waitcnt vmcnt(6)
	v_fmac_f32_e32 v155, v127, v119
	ds_load_2addr_b32 v[116:117], v110 offset0:87 offset1:88
	ds_load_2addr_b32 v[118:119], v110 offset0:89 offset1:90
	s_waitcnt lgkmcnt(3)
	v_fmac_f32_e32 v155, v128, v112
	s_delay_alu instid0(VALU_DEP_1) | instskip(SKIP_4) | instid1(VALU_DEP_1)
	v_fmac_f32_e32 v155, v129, v113
	ds_load_2addr_b32 v[112:113], v110 offset0:91 offset1:92
	s_waitcnt lgkmcnt(3)
	v_fmac_f32_e32 v155, v130, v114
	s_waitcnt vmcnt(5)
	v_fmac_f32_e32 v155, v131, v115
	ds_load_2addr_b32 v[114:115], v110 offset0:93 offset1:94
	s_waitcnt lgkmcnt(3)
	v_fmac_f32_e32 v155, v132, v116
	s_delay_alu instid0(VALU_DEP_1) | instskip(SKIP_1) | instid1(VALU_DEP_1)
	v_fmac_f32_e32 v155, v133, v117
	s_waitcnt lgkmcnt(2)
	v_fmac_f32_e32 v155, v134, v118
	s_waitcnt vmcnt(4)
	s_delay_alu instid0(VALU_DEP_1) | instskip(SKIP_4) | instid1(VALU_DEP_1)
	v_fmac_f32_e32 v155, v135, v119
	ds_load_2addr_b32 v[116:117], v110 offset0:95 offset1:96
	ds_load_2addr_b32 v[118:119], v110 offset0:97 offset1:98
	s_waitcnt lgkmcnt(3)
	v_fmac_f32_e32 v155, v136, v112
	v_fmac_f32_e32 v155, v137, v113
	ds_load_2addr_b32 v[112:113], v110 offset0:99 offset1:100
	s_waitcnt lgkmcnt(3)
	v_fmac_f32_e32 v155, v138, v114
	s_waitcnt vmcnt(3)
	s_delay_alu instid0(VALU_DEP_1) | instskip(SKIP_3) | instid1(VALU_DEP_1)
	v_fmac_f32_e32 v155, v139, v115
	ds_load_2addr_b32 v[114:115], v110 offset0:101 offset1:102
	s_waitcnt lgkmcnt(3)
	v_fmac_f32_e32 v155, v140, v116
	v_fmac_f32_e32 v155, v141, v117
	s_waitcnt lgkmcnt(2)
	s_delay_alu instid0(VALU_DEP_1) | instskip(SKIP_1) | instid1(VALU_DEP_1)
	v_fmac_f32_e32 v155, v142, v118
	s_waitcnt vmcnt(2)
	v_fmac_f32_e32 v155, v143, v119
	ds_load_2addr_b32 v[116:117], v110 offset0:103 offset1:104
	ds_load_2addr_b32 v[118:119], v110 offset0:105 offset1:106
	s_waitcnt lgkmcnt(3)
	v_fmac_f32_e32 v155, v144, v112
	s_delay_alu instid0(VALU_DEP_1)
	v_fmac_f32_e32 v155, v145, v113
	ds_load_2addr_b32 v[112:113], v110 offset0:107 offset1:108
	s_waitcnt lgkmcnt(3)
	v_fmac_f32_e32 v155, v146, v114
	ds_load_b32 v114, v110 offset:436
	s_waitcnt vmcnt(1)
	v_fmac_f32_e32 v155, v147, v115
	s_waitcnt lgkmcnt(3)
	s_delay_alu instid0(VALU_DEP_1) | instskip(NEXT) | instid1(VALU_DEP_1)
	v_fmac_f32_e32 v155, v148, v116
	v_fmac_f32_e32 v155, v149, v117
	s_waitcnt lgkmcnt(2)
	s_delay_alu instid0(VALU_DEP_1) | instskip(SKIP_1) | instid1(VALU_DEP_1)
	v_fmac_f32_e32 v155, v150, v118
	s_waitcnt vmcnt(0)
	v_fmac_f32_e32 v155, v151, v119
	s_waitcnt lgkmcnt(1)
	s_delay_alu instid0(VALU_DEP_1) | instskip(NEXT) | instid1(VALU_DEP_1)
	v_fmac_f32_e32 v155, v152, v112
	v_fmac_f32_e32 v155, v153, v113
	s_waitcnt lgkmcnt(0)
	s_delay_alu instid0(VALU_DEP_1) | instskip(NEXT) | instid1(VALU_DEP_1)
	v_fmac_f32_e32 v155, v154, v114
	v_sub_f32_e32 v111, v111, v155
	scratch_store_b32 off, v111, off offset:40
	v_cmpx_lt_u32_e32 9, v0
	s_cbranch_execz .LBB117_313
; %bb.312:
	scratch_load_b32 v111, off, off offset:36
	scratch_store_b32 off, v110, off offset:36
	s_waitcnt vmcnt(0)
	ds_store_b32 v109, v111
.LBB117_313:
	s_or_b32 exec_lo, exec_lo, s0
	s_waitcnt lgkmcnt(0)
	s_waitcnt_vscnt null, 0x0
	s_barrier
	buffer_gl0_inv
	s_clause 0xb
	scratch_load_b128 v[111:114], off, off offset:36
	scratch_load_b128 v[115:118], off, off offset:52
	;; [unrolled: 1-line block ×11, first 2 shown]
	scratch_load_b32 v163, off, off offset:212
	ds_load_2addr_b64 v[155:158], v110 offset0:33 offset1:34
	ds_load_2addr_b64 v[159:162], v110 offset0:35 offset1:36
	s_mov_b32 s0, exec_lo
	s_waitcnt vmcnt(11) lgkmcnt(1)
	v_fma_f32 v155, v112, v155, 0
	s_delay_alu instid0(VALU_DEP_1) | instskip(NEXT) | instid1(VALU_DEP_1)
	v_fmac_f32_e32 v155, v113, v156
	v_fmac_f32_e32 v155, v114, v157
	s_waitcnt vmcnt(10)
	s_delay_alu instid0(VALU_DEP_1) | instskip(SKIP_3) | instid1(VALU_DEP_1)
	v_fmac_f32_e32 v155, v115, v158
	ds_load_2addr_b64 v[112:115], v110 offset0:37 offset1:38
	s_waitcnt lgkmcnt(1)
	v_fmac_f32_e32 v155, v116, v159
	v_fmac_f32_e32 v155, v117, v160
	s_delay_alu instid0(VALU_DEP_1) | instskip(SKIP_1) | instid1(VALU_DEP_1)
	v_fmac_f32_e32 v155, v118, v161
	s_waitcnt vmcnt(9)
	v_fmac_f32_e32 v155, v119, v162
	ds_load_2addr_b64 v[116:119], v110 offset0:39 offset1:40
	s_waitcnt lgkmcnt(1)
	v_fmac_f32_e32 v155, v120, v112
	s_delay_alu instid0(VALU_DEP_1) | instskip(NEXT) | instid1(VALU_DEP_1)
	v_fmac_f32_e32 v155, v121, v113
	v_fmac_f32_e32 v155, v122, v114
	s_waitcnt vmcnt(8)
	s_delay_alu instid0(VALU_DEP_1) | instskip(SKIP_3) | instid1(VALU_DEP_1)
	v_fmac_f32_e32 v155, v123, v115
	ds_load_2addr_b64 v[112:115], v110 offset0:41 offset1:42
	s_waitcnt lgkmcnt(1)
	v_fmac_f32_e32 v155, v124, v116
	v_fmac_f32_e32 v155, v125, v117
	s_delay_alu instid0(VALU_DEP_1) | instskip(SKIP_1) | instid1(VALU_DEP_1)
	v_fmac_f32_e32 v155, v126, v118
	s_waitcnt vmcnt(7)
	v_fmac_f32_e32 v155, v127, v119
	ds_load_2addr_b64 v[116:119], v110 offset0:43 offset1:44
	s_waitcnt lgkmcnt(1)
	v_fmac_f32_e32 v155, v128, v112
	;; [unrolled: 17-line block ×4, first 2 shown]
	s_delay_alu instid0(VALU_DEP_1) | instskip(NEXT) | instid1(VALU_DEP_1)
	v_fmac_f32_e32 v155, v145, v113
	v_fmac_f32_e32 v155, v146, v114
	s_waitcnt vmcnt(2)
	s_delay_alu instid0(VALU_DEP_1) | instskip(SKIP_3) | instid1(VALU_DEP_1)
	v_fmac_f32_e32 v155, v147, v115
	ds_load_2addr_b64 v[112:115], v110 offset0:53 offset1:54
	s_waitcnt lgkmcnt(1)
	v_fmac_f32_e32 v155, v148, v116
	v_fmac_f32_e32 v155, v149, v117
	s_delay_alu instid0(VALU_DEP_1) | instskip(SKIP_1) | instid1(VALU_DEP_1)
	v_fmac_f32_e32 v155, v150, v118
	s_waitcnt vmcnt(1)
	v_fmac_f32_e32 v155, v151, v119
	s_waitcnt lgkmcnt(0)
	s_delay_alu instid0(VALU_DEP_1) | instskip(NEXT) | instid1(VALU_DEP_1)
	v_fmac_f32_e32 v155, v152, v112
	v_fmac_f32_e32 v155, v153, v113
	s_delay_alu instid0(VALU_DEP_1) | instskip(SKIP_1) | instid1(VALU_DEP_1)
	v_fmac_f32_e32 v155, v154, v114
	s_waitcnt vmcnt(0)
	v_fmac_f32_e32 v155, v163, v115
	s_delay_alu instid0(VALU_DEP_1)
	v_sub_f32_e32 v110, v111, v155
	scratch_store_b32 off, v110, off offset:36
	v_cmpx_lt_u32_e32 8, v0
	s_cbranch_execz .LBB117_315
; %bb.314:
	scratch_load_b32 v110, off, off offset:32
	v_mov_b32_e32 v111, 0
	scratch_store_b32 off, v111, off offset:32
	s_waitcnt vmcnt(0)
	ds_store_b32 v109, v110
.LBB117_315:
	s_or_b32 exec_lo, exec_lo, s0
	s_waitcnt lgkmcnt(0)
	s_waitcnt_vscnt null, 0x0
	s_barrier
	buffer_gl0_inv
	s_clause 0xb
	scratch_load_b128 v[111:114], off, off offset:32
	scratch_load_b128 v[115:118], off, off offset:48
	;; [unrolled: 1-line block ×11, first 2 shown]
	scratch_load_b64 v[155:156], off, off offset:208
	v_mov_b32_e32 v110, 0
	ds_load_2addr_b32 v[157:158], v110 offset0:65 offset1:66
	ds_load_2addr_b32 v[159:160], v110 offset0:67 offset1:68
	;; [unrolled: 1-line block ×4, first 2 shown]
	s_mov_b32 s0, exec_lo
	s_waitcnt vmcnt(11) lgkmcnt(3)
	v_fma_f32 v157, v112, v157, 0
	s_delay_alu instid0(VALU_DEP_1) | instskip(SKIP_4) | instid1(VALU_DEP_1)
	v_fmac_f32_e32 v157, v113, v158
	ds_load_2addr_b32 v[112:113], v110 offset0:73 offset1:74
	s_waitcnt lgkmcnt(3)
	v_fmac_f32_e32 v157, v114, v159
	s_waitcnt vmcnt(10)
	v_fmac_f32_e32 v157, v115, v160
	ds_load_2addr_b32 v[114:115], v110 offset0:75 offset1:76
	s_waitcnt lgkmcnt(3)
	v_fmac_f32_e32 v157, v116, v161
	s_delay_alu instid0(VALU_DEP_1) | instskip(SKIP_1) | instid1(VALU_DEP_1)
	v_fmac_f32_e32 v157, v117, v162
	s_waitcnt lgkmcnt(2)
	v_fmac_f32_e32 v157, v118, v163
	s_waitcnt vmcnt(9)
	s_delay_alu instid0(VALU_DEP_1) | instskip(SKIP_4) | instid1(VALU_DEP_1)
	v_fmac_f32_e32 v157, v119, v164
	ds_load_2addr_b32 v[116:117], v110 offset0:77 offset1:78
	ds_load_2addr_b32 v[118:119], v110 offset0:79 offset1:80
	s_waitcnt lgkmcnt(3)
	v_fmac_f32_e32 v157, v120, v112
	v_fmac_f32_e32 v157, v121, v113
	ds_load_2addr_b32 v[112:113], v110 offset0:81 offset1:82
	s_waitcnt lgkmcnt(3)
	v_fmac_f32_e32 v157, v122, v114
	s_waitcnt vmcnt(8)
	s_delay_alu instid0(VALU_DEP_1) | instskip(SKIP_3) | instid1(VALU_DEP_1)
	v_fmac_f32_e32 v157, v123, v115
	ds_load_2addr_b32 v[114:115], v110 offset0:83 offset1:84
	s_waitcnt lgkmcnt(3)
	v_fmac_f32_e32 v157, v124, v116
	v_fmac_f32_e32 v157, v125, v117
	s_waitcnt lgkmcnt(2)
	s_delay_alu instid0(VALU_DEP_1) | instskip(SKIP_1) | instid1(VALU_DEP_1)
	v_fmac_f32_e32 v157, v126, v118
	s_waitcnt vmcnt(7)
	v_fmac_f32_e32 v157, v127, v119
	ds_load_2addr_b32 v[116:117], v110 offset0:85 offset1:86
	ds_load_2addr_b32 v[118:119], v110 offset0:87 offset1:88
	s_waitcnt lgkmcnt(3)
	v_fmac_f32_e32 v157, v128, v112
	s_delay_alu instid0(VALU_DEP_1) | instskip(SKIP_4) | instid1(VALU_DEP_1)
	v_fmac_f32_e32 v157, v129, v113
	ds_load_2addr_b32 v[112:113], v110 offset0:89 offset1:90
	s_waitcnt lgkmcnt(3)
	v_fmac_f32_e32 v157, v130, v114
	s_waitcnt vmcnt(6)
	v_fmac_f32_e32 v157, v131, v115
	ds_load_2addr_b32 v[114:115], v110 offset0:91 offset1:92
	s_waitcnt lgkmcnt(3)
	v_fmac_f32_e32 v157, v132, v116
	s_delay_alu instid0(VALU_DEP_1) | instskip(SKIP_1) | instid1(VALU_DEP_1)
	v_fmac_f32_e32 v157, v133, v117
	s_waitcnt lgkmcnt(2)
	v_fmac_f32_e32 v157, v134, v118
	s_waitcnt vmcnt(5)
	s_delay_alu instid0(VALU_DEP_1) | instskip(SKIP_4) | instid1(VALU_DEP_1)
	v_fmac_f32_e32 v157, v135, v119
	ds_load_2addr_b32 v[116:117], v110 offset0:93 offset1:94
	ds_load_2addr_b32 v[118:119], v110 offset0:95 offset1:96
	s_waitcnt lgkmcnt(3)
	v_fmac_f32_e32 v157, v136, v112
	v_fmac_f32_e32 v157, v137, v113
	ds_load_2addr_b32 v[112:113], v110 offset0:97 offset1:98
	s_waitcnt lgkmcnt(3)
	v_fmac_f32_e32 v157, v138, v114
	s_waitcnt vmcnt(4)
	s_delay_alu instid0(VALU_DEP_1) | instskip(SKIP_3) | instid1(VALU_DEP_1)
	v_fmac_f32_e32 v157, v139, v115
	ds_load_2addr_b32 v[114:115], v110 offset0:99 offset1:100
	s_waitcnt lgkmcnt(3)
	v_fmac_f32_e32 v157, v140, v116
	v_fmac_f32_e32 v157, v141, v117
	s_waitcnt lgkmcnt(2)
	s_delay_alu instid0(VALU_DEP_1) | instskip(SKIP_1) | instid1(VALU_DEP_1)
	v_fmac_f32_e32 v157, v142, v118
	s_waitcnt vmcnt(3)
	v_fmac_f32_e32 v157, v143, v119
	ds_load_2addr_b32 v[116:117], v110 offset0:101 offset1:102
	ds_load_2addr_b32 v[118:119], v110 offset0:103 offset1:104
	s_waitcnt lgkmcnt(3)
	v_fmac_f32_e32 v157, v144, v112
	s_delay_alu instid0(VALU_DEP_1) | instskip(SKIP_4) | instid1(VALU_DEP_1)
	v_fmac_f32_e32 v157, v145, v113
	ds_load_2addr_b32 v[112:113], v110 offset0:105 offset1:106
	s_waitcnt lgkmcnt(3)
	v_fmac_f32_e32 v157, v146, v114
	s_waitcnt vmcnt(2)
	v_fmac_f32_e32 v157, v147, v115
	ds_load_2addr_b32 v[114:115], v110 offset0:107 offset1:108
	s_waitcnt lgkmcnt(3)
	v_fmac_f32_e32 v157, v148, v116
	ds_load_b32 v116, v110 offset:436
	v_fmac_f32_e32 v157, v149, v117
	s_waitcnt lgkmcnt(3)
	s_delay_alu instid0(VALU_DEP_1) | instskip(SKIP_1) | instid1(VALU_DEP_1)
	v_fmac_f32_e32 v157, v150, v118
	s_waitcnt vmcnt(1)
	v_fmac_f32_e32 v157, v151, v119
	s_waitcnt lgkmcnt(2)
	s_delay_alu instid0(VALU_DEP_1) | instskip(NEXT) | instid1(VALU_DEP_1)
	v_fmac_f32_e32 v157, v152, v112
	v_fmac_f32_e32 v157, v153, v113
	s_waitcnt lgkmcnt(1)
	s_delay_alu instid0(VALU_DEP_1) | instskip(SKIP_1) | instid1(VALU_DEP_1)
	v_fmac_f32_e32 v157, v154, v114
	s_waitcnt vmcnt(0)
	v_fmac_f32_e32 v157, v155, v115
	s_waitcnt lgkmcnt(0)
	s_delay_alu instid0(VALU_DEP_1) | instskip(NEXT) | instid1(VALU_DEP_1)
	v_fmac_f32_e32 v157, v156, v116
	v_sub_f32_e32 v111, v111, v157
	scratch_store_b32 off, v111, off offset:32
	v_cmpx_lt_u32_e32 7, v0
	s_cbranch_execz .LBB117_317
; %bb.316:
	scratch_load_b32 v111, off, off offset:28
	scratch_store_b32 off, v110, off offset:28
	s_waitcnt vmcnt(0)
	ds_store_b32 v109, v111
.LBB117_317:
	s_or_b32 exec_lo, exec_lo, s0
	s_waitcnt lgkmcnt(0)
	s_waitcnt_vscnt null, 0x0
	s_barrier
	buffer_gl0_inv
	s_clause 0xb
	scratch_load_b128 v[111:114], off, off offset:28
	scratch_load_b128 v[115:118], off, off offset:44
	;; [unrolled: 1-line block ×11, first 2 shown]
	scratch_load_b96 v[163:165], off, off offset:204
	ds_load_b128 v[155:158], v110 offset:256
	ds_load_b128 v[159:162], v110 offset:272
	s_mov_b32 s0, exec_lo
	s_waitcnt vmcnt(11) lgkmcnt(1)
	v_fma_f32 v155, v112, v155, 0
	s_delay_alu instid0(VALU_DEP_1) | instskip(NEXT) | instid1(VALU_DEP_1)
	v_fmac_f32_e32 v155, v113, v156
	v_fmac_f32_e32 v155, v114, v157
	s_waitcnt vmcnt(10)
	s_delay_alu instid0(VALU_DEP_1) | instskip(SKIP_3) | instid1(VALU_DEP_1)
	v_fmac_f32_e32 v155, v115, v158
	ds_load_b128 v[112:115], v110 offset:288
	s_waitcnt lgkmcnt(1)
	v_fmac_f32_e32 v155, v116, v159
	v_fmac_f32_e32 v155, v117, v160
	s_delay_alu instid0(VALU_DEP_1) | instskip(SKIP_1) | instid1(VALU_DEP_1)
	v_fmac_f32_e32 v155, v118, v161
	s_waitcnt vmcnt(9)
	v_fmac_f32_e32 v155, v119, v162
	ds_load_b128 v[116:119], v110 offset:304
	s_waitcnt lgkmcnt(1)
	v_fmac_f32_e32 v155, v120, v112
	s_delay_alu instid0(VALU_DEP_1) | instskip(NEXT) | instid1(VALU_DEP_1)
	v_fmac_f32_e32 v155, v121, v113
	v_fmac_f32_e32 v155, v122, v114
	s_waitcnt vmcnt(8)
	s_delay_alu instid0(VALU_DEP_1) | instskip(SKIP_3) | instid1(VALU_DEP_1)
	v_fmac_f32_e32 v155, v123, v115
	ds_load_b128 v[112:115], v110 offset:320
	s_waitcnt lgkmcnt(1)
	v_fmac_f32_e32 v155, v124, v116
	v_fmac_f32_e32 v155, v125, v117
	s_delay_alu instid0(VALU_DEP_1) | instskip(SKIP_1) | instid1(VALU_DEP_1)
	v_fmac_f32_e32 v155, v126, v118
	s_waitcnt vmcnt(7)
	v_fmac_f32_e32 v155, v127, v119
	ds_load_b128 v[116:119], v110 offset:336
	s_waitcnt lgkmcnt(1)
	v_fmac_f32_e32 v155, v128, v112
	;; [unrolled: 17-line block ×4, first 2 shown]
	s_delay_alu instid0(VALU_DEP_1) | instskip(NEXT) | instid1(VALU_DEP_1)
	v_fmac_f32_e32 v155, v145, v113
	v_fmac_f32_e32 v155, v146, v114
	s_waitcnt vmcnt(2)
	s_delay_alu instid0(VALU_DEP_1) | instskip(SKIP_3) | instid1(VALU_DEP_1)
	v_fmac_f32_e32 v155, v147, v115
	ds_load_b128 v[112:115], v110 offset:416
	s_waitcnt lgkmcnt(1)
	v_fmac_f32_e32 v155, v148, v116
	v_fmac_f32_e32 v155, v149, v117
	ds_load_b64 v[116:117], v110 offset:432
	v_fmac_f32_e32 v155, v150, v118
	s_waitcnt vmcnt(1)
	s_delay_alu instid0(VALU_DEP_1) | instskip(SKIP_1) | instid1(VALU_DEP_1)
	v_fmac_f32_e32 v155, v151, v119
	s_waitcnt lgkmcnt(1)
	v_fmac_f32_e32 v155, v152, v112
	s_delay_alu instid0(VALU_DEP_1) | instskip(NEXT) | instid1(VALU_DEP_1)
	v_fmac_f32_e32 v155, v153, v113
	v_fmac_f32_e32 v155, v154, v114
	s_waitcnt vmcnt(0)
	s_delay_alu instid0(VALU_DEP_1) | instskip(SKIP_1) | instid1(VALU_DEP_1)
	v_fmac_f32_e32 v155, v163, v115
	s_waitcnt lgkmcnt(0)
	v_fmac_f32_e32 v155, v164, v116
	s_delay_alu instid0(VALU_DEP_1) | instskip(NEXT) | instid1(VALU_DEP_1)
	v_fmac_f32_e32 v155, v165, v117
	v_sub_f32_e32 v110, v111, v155
	scratch_store_b32 off, v110, off offset:28
	v_cmpx_lt_u32_e32 6, v0
	s_cbranch_execz .LBB117_319
; %bb.318:
	scratch_load_b32 v110, off, off offset:24
	v_mov_b32_e32 v111, 0
	scratch_store_b32 off, v111, off offset:24
	s_waitcnt vmcnt(0)
	ds_store_b32 v109, v110
.LBB117_319:
	s_or_b32 exec_lo, exec_lo, s0
	s_waitcnt lgkmcnt(0)
	s_waitcnt_vscnt null, 0x0
	s_barrier
	buffer_gl0_inv
	s_clause 0xb
	scratch_load_b128 v[111:114], off, off offset:24
	scratch_load_b128 v[115:118], off, off offset:40
	;; [unrolled: 1-line block ×12, first 2 shown]
	v_mov_b32_e32 v110, 0
	ds_load_2addr_b32 v[159:160], v110 offset0:63 offset1:64
	ds_load_2addr_b32 v[161:162], v110 offset0:65 offset1:66
	;; [unrolled: 1-line block ×4, first 2 shown]
	s_mov_b32 s0, exec_lo
	s_waitcnt vmcnt(11) lgkmcnt(3)
	v_fma_f32 v159, v112, v159, 0
	s_delay_alu instid0(VALU_DEP_1) | instskip(SKIP_4) | instid1(VALU_DEP_1)
	v_fmac_f32_e32 v159, v113, v160
	ds_load_2addr_b32 v[112:113], v110 offset0:71 offset1:72
	s_waitcnt lgkmcnt(3)
	v_fmac_f32_e32 v159, v114, v161
	s_waitcnt vmcnt(10)
	v_fmac_f32_e32 v159, v115, v162
	ds_load_2addr_b32 v[114:115], v110 offset0:73 offset1:74
	s_waitcnt lgkmcnt(3)
	v_fmac_f32_e32 v159, v116, v163
	s_delay_alu instid0(VALU_DEP_1) | instskip(SKIP_1) | instid1(VALU_DEP_1)
	v_fmac_f32_e32 v159, v117, v164
	s_waitcnt lgkmcnt(2)
	v_fmac_f32_e32 v159, v118, v165
	s_waitcnt vmcnt(9)
	s_delay_alu instid0(VALU_DEP_1) | instskip(SKIP_4) | instid1(VALU_DEP_1)
	v_fmac_f32_e32 v159, v119, v166
	ds_load_2addr_b32 v[116:117], v110 offset0:75 offset1:76
	ds_load_2addr_b32 v[118:119], v110 offset0:77 offset1:78
	s_waitcnt lgkmcnt(3)
	v_fmac_f32_e32 v159, v120, v112
	v_fmac_f32_e32 v159, v121, v113
	ds_load_2addr_b32 v[112:113], v110 offset0:79 offset1:80
	s_waitcnt lgkmcnt(3)
	v_fmac_f32_e32 v159, v122, v114
	s_waitcnt vmcnt(8)
	s_delay_alu instid0(VALU_DEP_1) | instskip(SKIP_3) | instid1(VALU_DEP_1)
	v_fmac_f32_e32 v159, v123, v115
	ds_load_2addr_b32 v[114:115], v110 offset0:81 offset1:82
	s_waitcnt lgkmcnt(3)
	v_fmac_f32_e32 v159, v124, v116
	v_fmac_f32_e32 v159, v125, v117
	s_waitcnt lgkmcnt(2)
	s_delay_alu instid0(VALU_DEP_1) | instskip(SKIP_1) | instid1(VALU_DEP_1)
	v_fmac_f32_e32 v159, v126, v118
	s_waitcnt vmcnt(7)
	v_fmac_f32_e32 v159, v127, v119
	ds_load_2addr_b32 v[116:117], v110 offset0:83 offset1:84
	ds_load_2addr_b32 v[118:119], v110 offset0:85 offset1:86
	s_waitcnt lgkmcnt(3)
	v_fmac_f32_e32 v159, v128, v112
	s_delay_alu instid0(VALU_DEP_1) | instskip(SKIP_4) | instid1(VALU_DEP_1)
	v_fmac_f32_e32 v159, v129, v113
	ds_load_2addr_b32 v[112:113], v110 offset0:87 offset1:88
	s_waitcnt lgkmcnt(3)
	v_fmac_f32_e32 v159, v130, v114
	s_waitcnt vmcnt(6)
	v_fmac_f32_e32 v159, v131, v115
	ds_load_2addr_b32 v[114:115], v110 offset0:89 offset1:90
	s_waitcnt lgkmcnt(3)
	v_fmac_f32_e32 v159, v132, v116
	s_delay_alu instid0(VALU_DEP_1) | instskip(SKIP_1) | instid1(VALU_DEP_1)
	v_fmac_f32_e32 v159, v133, v117
	s_waitcnt lgkmcnt(2)
	v_fmac_f32_e32 v159, v134, v118
	s_waitcnt vmcnt(5)
	s_delay_alu instid0(VALU_DEP_1) | instskip(SKIP_4) | instid1(VALU_DEP_1)
	v_fmac_f32_e32 v159, v135, v119
	ds_load_2addr_b32 v[116:117], v110 offset0:91 offset1:92
	ds_load_2addr_b32 v[118:119], v110 offset0:93 offset1:94
	s_waitcnt lgkmcnt(3)
	v_fmac_f32_e32 v159, v136, v112
	v_fmac_f32_e32 v159, v137, v113
	ds_load_2addr_b32 v[112:113], v110 offset0:95 offset1:96
	s_waitcnt lgkmcnt(3)
	v_fmac_f32_e32 v159, v138, v114
	s_waitcnt vmcnt(4)
	s_delay_alu instid0(VALU_DEP_1) | instskip(SKIP_3) | instid1(VALU_DEP_1)
	v_fmac_f32_e32 v159, v139, v115
	ds_load_2addr_b32 v[114:115], v110 offset0:97 offset1:98
	s_waitcnt lgkmcnt(3)
	v_fmac_f32_e32 v159, v140, v116
	v_fmac_f32_e32 v159, v141, v117
	s_waitcnt lgkmcnt(2)
	s_delay_alu instid0(VALU_DEP_1) | instskip(SKIP_1) | instid1(VALU_DEP_1)
	v_fmac_f32_e32 v159, v142, v118
	s_waitcnt vmcnt(3)
	v_fmac_f32_e32 v159, v143, v119
	ds_load_2addr_b32 v[116:117], v110 offset0:99 offset1:100
	ds_load_2addr_b32 v[118:119], v110 offset0:101 offset1:102
	s_waitcnt lgkmcnt(3)
	v_fmac_f32_e32 v159, v144, v112
	s_delay_alu instid0(VALU_DEP_1) | instskip(SKIP_4) | instid1(VALU_DEP_1)
	v_fmac_f32_e32 v159, v145, v113
	ds_load_2addr_b32 v[112:113], v110 offset0:103 offset1:104
	s_waitcnt lgkmcnt(3)
	v_fmac_f32_e32 v159, v146, v114
	s_waitcnt vmcnt(2)
	v_fmac_f32_e32 v159, v147, v115
	ds_load_2addr_b32 v[114:115], v110 offset0:105 offset1:106
	s_waitcnt lgkmcnt(3)
	v_fmac_f32_e32 v159, v148, v116
	s_delay_alu instid0(VALU_DEP_1) | instskip(SKIP_1) | instid1(VALU_DEP_1)
	v_fmac_f32_e32 v159, v149, v117
	s_waitcnt lgkmcnt(2)
	v_fmac_f32_e32 v159, v150, v118
	ds_load_2addr_b32 v[116:117], v110 offset0:107 offset1:108
	ds_load_b32 v118, v110 offset:436
	s_waitcnt vmcnt(1)
	v_fmac_f32_e32 v159, v151, v119
	s_waitcnt lgkmcnt(3)
	s_delay_alu instid0(VALU_DEP_1) | instskip(NEXT) | instid1(VALU_DEP_1)
	v_fmac_f32_e32 v159, v152, v112
	v_fmac_f32_e32 v159, v153, v113
	s_waitcnt lgkmcnt(2)
	s_delay_alu instid0(VALU_DEP_1) | instskip(SKIP_1) | instid1(VALU_DEP_1)
	v_fmac_f32_e32 v159, v154, v114
	s_waitcnt vmcnt(0)
	v_fmac_f32_e32 v159, v155, v115
	s_waitcnt lgkmcnt(1)
	s_delay_alu instid0(VALU_DEP_1) | instskip(NEXT) | instid1(VALU_DEP_1)
	v_fmac_f32_e32 v159, v156, v116
	v_fmac_f32_e32 v159, v157, v117
	s_waitcnt lgkmcnt(0)
	s_delay_alu instid0(VALU_DEP_1) | instskip(NEXT) | instid1(VALU_DEP_1)
	v_fmac_f32_e32 v159, v158, v118
	v_sub_f32_e32 v111, v111, v159
	scratch_store_b32 off, v111, off offset:24
	v_cmpx_lt_u32_e32 5, v0
	s_cbranch_execz .LBB117_321
; %bb.320:
	scratch_load_b32 v111, off, off offset:20
	scratch_store_b32 off, v110, off offset:20
	s_waitcnt vmcnt(0)
	ds_store_b32 v109, v111
.LBB117_321:
	s_or_b32 exec_lo, exec_lo, s0
	s_waitcnt lgkmcnt(0)
	s_waitcnt_vscnt null, 0x0
	s_barrier
	buffer_gl0_inv
	s_clause 0xc
	scratch_load_b128 v[111:114], off, off offset:20
	scratch_load_b128 v[115:118], off, off offset:36
	;; [unrolled: 1-line block ×12, first 2 shown]
	scratch_load_b32 v167, off, off offset:212
	ds_load_2addr_b64 v[159:162], v110 offset0:31 offset1:32
	ds_load_2addr_b64 v[163:166], v110 offset0:33 offset1:34
	s_mov_b32 s0, exec_lo
	s_waitcnt vmcnt(12) lgkmcnt(1)
	v_fma_f32 v159, v112, v159, 0
	s_delay_alu instid0(VALU_DEP_1) | instskip(NEXT) | instid1(VALU_DEP_1)
	v_fmac_f32_e32 v159, v113, v160
	v_fmac_f32_e32 v159, v114, v161
	s_waitcnt vmcnt(11)
	s_delay_alu instid0(VALU_DEP_1) | instskip(SKIP_3) | instid1(VALU_DEP_1)
	v_fmac_f32_e32 v159, v115, v162
	ds_load_2addr_b64 v[112:115], v110 offset0:35 offset1:36
	s_waitcnt lgkmcnt(1)
	v_fmac_f32_e32 v159, v116, v163
	v_fmac_f32_e32 v159, v117, v164
	s_delay_alu instid0(VALU_DEP_1) | instskip(SKIP_1) | instid1(VALU_DEP_1)
	v_fmac_f32_e32 v159, v118, v165
	s_waitcnt vmcnt(10)
	v_fmac_f32_e32 v159, v119, v166
	ds_load_2addr_b64 v[116:119], v110 offset0:37 offset1:38
	s_waitcnt lgkmcnt(1)
	v_fmac_f32_e32 v159, v120, v112
	s_delay_alu instid0(VALU_DEP_1) | instskip(NEXT) | instid1(VALU_DEP_1)
	v_fmac_f32_e32 v159, v121, v113
	v_fmac_f32_e32 v159, v122, v114
	s_waitcnt vmcnt(9)
	s_delay_alu instid0(VALU_DEP_1) | instskip(SKIP_3) | instid1(VALU_DEP_1)
	v_fmac_f32_e32 v159, v123, v115
	ds_load_2addr_b64 v[112:115], v110 offset0:39 offset1:40
	s_waitcnt lgkmcnt(1)
	v_fmac_f32_e32 v159, v124, v116
	v_fmac_f32_e32 v159, v125, v117
	s_delay_alu instid0(VALU_DEP_1) | instskip(SKIP_1) | instid1(VALU_DEP_1)
	v_fmac_f32_e32 v159, v126, v118
	s_waitcnt vmcnt(8)
	v_fmac_f32_e32 v159, v127, v119
	ds_load_2addr_b64 v[116:119], v110 offset0:41 offset1:42
	s_waitcnt lgkmcnt(1)
	v_fmac_f32_e32 v159, v128, v112
	;; [unrolled: 17-line block ×5, first 2 shown]
	s_delay_alu instid0(VALU_DEP_1) | instskip(NEXT) | instid1(VALU_DEP_1)
	v_fmac_f32_e32 v159, v153, v113
	v_fmac_f32_e32 v159, v154, v114
	s_waitcnt vmcnt(1)
	s_delay_alu instid0(VALU_DEP_1) | instskip(SKIP_1) | instid1(VALU_DEP_1)
	v_fmac_f32_e32 v159, v155, v115
	s_waitcnt lgkmcnt(0)
	v_fmac_f32_e32 v159, v156, v116
	s_delay_alu instid0(VALU_DEP_1) | instskip(NEXT) | instid1(VALU_DEP_1)
	v_fmac_f32_e32 v159, v157, v117
	v_fmac_f32_e32 v159, v158, v118
	s_waitcnt vmcnt(0)
	s_delay_alu instid0(VALU_DEP_1) | instskip(NEXT) | instid1(VALU_DEP_1)
	v_fmac_f32_e32 v159, v167, v119
	v_sub_f32_e32 v110, v111, v159
	scratch_store_b32 off, v110, off offset:20
	v_cmpx_lt_u32_e32 4, v0
	s_cbranch_execz .LBB117_323
; %bb.322:
	scratch_load_b32 v110, off, off offset:16
	v_mov_b32_e32 v111, 0
	scratch_store_b32 off, v111, off offset:16
	s_waitcnt vmcnt(0)
	ds_store_b32 v109, v110
.LBB117_323:
	s_or_b32 exec_lo, exec_lo, s0
	s_waitcnt lgkmcnt(0)
	s_waitcnt_vscnt null, 0x0
	s_barrier
	buffer_gl0_inv
	s_clause 0xc
	scratch_load_b128 v[111:114], off, off offset:16
	scratch_load_b128 v[115:118], off, off offset:32
	;; [unrolled: 1-line block ×12, first 2 shown]
	scratch_load_b64 v[159:160], off, off offset:208
	v_mov_b32_e32 v110, 0
	ds_load_2addr_b32 v[161:162], v110 offset0:61 offset1:62
	ds_load_2addr_b32 v[163:164], v110 offset0:63 offset1:64
	;; [unrolled: 1-line block ×4, first 2 shown]
	s_mov_b32 s0, exec_lo
	s_waitcnt vmcnt(12) lgkmcnt(3)
	v_fma_f32 v161, v112, v161, 0
	s_delay_alu instid0(VALU_DEP_1) | instskip(SKIP_4) | instid1(VALU_DEP_1)
	v_fmac_f32_e32 v161, v113, v162
	ds_load_2addr_b32 v[112:113], v110 offset0:69 offset1:70
	s_waitcnt lgkmcnt(3)
	v_fmac_f32_e32 v161, v114, v163
	s_waitcnt vmcnt(11)
	v_fmac_f32_e32 v161, v115, v164
	ds_load_2addr_b32 v[114:115], v110 offset0:71 offset1:72
	s_waitcnt lgkmcnt(3)
	v_fmac_f32_e32 v161, v116, v165
	s_delay_alu instid0(VALU_DEP_1) | instskip(SKIP_1) | instid1(VALU_DEP_1)
	v_fmac_f32_e32 v161, v117, v166
	s_waitcnt lgkmcnt(2)
	v_fmac_f32_e32 v161, v118, v167
	s_waitcnt vmcnt(10)
	s_delay_alu instid0(VALU_DEP_1) | instskip(SKIP_4) | instid1(VALU_DEP_1)
	v_fmac_f32_e32 v161, v119, v168
	ds_load_2addr_b32 v[116:117], v110 offset0:73 offset1:74
	ds_load_2addr_b32 v[118:119], v110 offset0:75 offset1:76
	s_waitcnt lgkmcnt(3)
	v_fmac_f32_e32 v161, v120, v112
	v_fmac_f32_e32 v161, v121, v113
	ds_load_2addr_b32 v[112:113], v110 offset0:77 offset1:78
	s_waitcnt lgkmcnt(3)
	v_fmac_f32_e32 v161, v122, v114
	s_waitcnt vmcnt(9)
	s_delay_alu instid0(VALU_DEP_1) | instskip(SKIP_3) | instid1(VALU_DEP_1)
	v_fmac_f32_e32 v161, v123, v115
	ds_load_2addr_b32 v[114:115], v110 offset0:79 offset1:80
	s_waitcnt lgkmcnt(3)
	v_fmac_f32_e32 v161, v124, v116
	v_fmac_f32_e32 v161, v125, v117
	s_waitcnt lgkmcnt(2)
	s_delay_alu instid0(VALU_DEP_1) | instskip(SKIP_1) | instid1(VALU_DEP_1)
	v_fmac_f32_e32 v161, v126, v118
	s_waitcnt vmcnt(8)
	v_fmac_f32_e32 v161, v127, v119
	ds_load_2addr_b32 v[116:117], v110 offset0:81 offset1:82
	ds_load_2addr_b32 v[118:119], v110 offset0:83 offset1:84
	s_waitcnt lgkmcnt(3)
	v_fmac_f32_e32 v161, v128, v112
	s_delay_alu instid0(VALU_DEP_1) | instskip(SKIP_4) | instid1(VALU_DEP_1)
	v_fmac_f32_e32 v161, v129, v113
	ds_load_2addr_b32 v[112:113], v110 offset0:85 offset1:86
	s_waitcnt lgkmcnt(3)
	v_fmac_f32_e32 v161, v130, v114
	s_waitcnt vmcnt(7)
	v_fmac_f32_e32 v161, v131, v115
	ds_load_2addr_b32 v[114:115], v110 offset0:87 offset1:88
	s_waitcnt lgkmcnt(3)
	v_fmac_f32_e32 v161, v132, v116
	s_delay_alu instid0(VALU_DEP_1) | instskip(SKIP_1) | instid1(VALU_DEP_1)
	v_fmac_f32_e32 v161, v133, v117
	s_waitcnt lgkmcnt(2)
	v_fmac_f32_e32 v161, v134, v118
	s_waitcnt vmcnt(6)
	s_delay_alu instid0(VALU_DEP_1) | instskip(SKIP_4) | instid1(VALU_DEP_1)
	v_fmac_f32_e32 v161, v135, v119
	ds_load_2addr_b32 v[116:117], v110 offset0:89 offset1:90
	ds_load_2addr_b32 v[118:119], v110 offset0:91 offset1:92
	s_waitcnt lgkmcnt(3)
	v_fmac_f32_e32 v161, v136, v112
	v_fmac_f32_e32 v161, v137, v113
	ds_load_2addr_b32 v[112:113], v110 offset0:93 offset1:94
	s_waitcnt lgkmcnt(3)
	v_fmac_f32_e32 v161, v138, v114
	s_waitcnt vmcnt(5)
	s_delay_alu instid0(VALU_DEP_1) | instskip(SKIP_3) | instid1(VALU_DEP_1)
	v_fmac_f32_e32 v161, v139, v115
	ds_load_2addr_b32 v[114:115], v110 offset0:95 offset1:96
	s_waitcnt lgkmcnt(3)
	v_fmac_f32_e32 v161, v140, v116
	v_fmac_f32_e32 v161, v141, v117
	s_waitcnt lgkmcnt(2)
	s_delay_alu instid0(VALU_DEP_1) | instskip(SKIP_1) | instid1(VALU_DEP_1)
	v_fmac_f32_e32 v161, v142, v118
	s_waitcnt vmcnt(4)
	v_fmac_f32_e32 v161, v143, v119
	ds_load_2addr_b32 v[116:117], v110 offset0:97 offset1:98
	ds_load_2addr_b32 v[118:119], v110 offset0:99 offset1:100
	s_waitcnt lgkmcnt(3)
	v_fmac_f32_e32 v161, v144, v112
	s_delay_alu instid0(VALU_DEP_1) | instskip(SKIP_4) | instid1(VALU_DEP_1)
	v_fmac_f32_e32 v161, v145, v113
	ds_load_2addr_b32 v[112:113], v110 offset0:101 offset1:102
	s_waitcnt lgkmcnt(3)
	v_fmac_f32_e32 v161, v146, v114
	s_waitcnt vmcnt(3)
	v_fmac_f32_e32 v161, v147, v115
	ds_load_2addr_b32 v[114:115], v110 offset0:103 offset1:104
	s_waitcnt lgkmcnt(3)
	v_fmac_f32_e32 v161, v148, v116
	s_delay_alu instid0(VALU_DEP_1) | instskip(SKIP_1) | instid1(VALU_DEP_1)
	v_fmac_f32_e32 v161, v149, v117
	s_waitcnt lgkmcnt(2)
	v_fmac_f32_e32 v161, v150, v118
	s_waitcnt vmcnt(2)
	s_delay_alu instid0(VALU_DEP_1)
	v_fmac_f32_e32 v161, v151, v119
	ds_load_2addr_b32 v[116:117], v110 offset0:105 offset1:106
	ds_load_2addr_b32 v[118:119], v110 offset0:107 offset1:108
	s_waitcnt lgkmcnt(3)
	v_fmac_f32_e32 v161, v152, v112
	ds_load_b32 v112, v110 offset:436
	v_fmac_f32_e32 v161, v153, v113
	s_waitcnt lgkmcnt(3)
	s_delay_alu instid0(VALU_DEP_1) | instskip(SKIP_1) | instid1(VALU_DEP_1)
	v_fmac_f32_e32 v161, v154, v114
	s_waitcnt vmcnt(1)
	v_fmac_f32_e32 v161, v155, v115
	s_waitcnt lgkmcnt(2)
	s_delay_alu instid0(VALU_DEP_1) | instskip(NEXT) | instid1(VALU_DEP_1)
	v_fmac_f32_e32 v161, v156, v116
	v_fmac_f32_e32 v161, v157, v117
	s_waitcnt lgkmcnt(1)
	s_delay_alu instid0(VALU_DEP_1) | instskip(SKIP_1) | instid1(VALU_DEP_1)
	v_fmac_f32_e32 v161, v158, v118
	s_waitcnt vmcnt(0)
	v_fmac_f32_e32 v161, v159, v119
	s_waitcnt lgkmcnt(0)
	s_delay_alu instid0(VALU_DEP_1) | instskip(NEXT) | instid1(VALU_DEP_1)
	v_fmac_f32_e32 v161, v160, v112
	v_sub_f32_e32 v111, v111, v161
	scratch_store_b32 off, v111, off offset:16
	v_cmpx_lt_u32_e32 3, v0
	s_cbranch_execz .LBB117_325
; %bb.324:
	scratch_load_b32 v111, off, off offset:12
	scratch_store_b32 off, v110, off offset:12
	s_waitcnt vmcnt(0)
	ds_store_b32 v109, v111
.LBB117_325:
	s_or_b32 exec_lo, exec_lo, s0
	s_waitcnt lgkmcnt(0)
	s_waitcnt_vscnt null, 0x0
	s_barrier
	buffer_gl0_inv
	s_clause 0xc
	scratch_load_b128 v[111:114], off, off offset:12
	scratch_load_b128 v[115:118], off, off offset:28
	;; [unrolled: 1-line block ×12, first 2 shown]
	scratch_load_b96 v[167:169], off, off offset:204
	ds_load_b128 v[159:162], v110 offset:240
	ds_load_b128 v[163:166], v110 offset:256
	s_mov_b32 s0, exec_lo
	s_waitcnt vmcnt(12) lgkmcnt(1)
	v_fma_f32 v159, v112, v159, 0
	s_delay_alu instid0(VALU_DEP_1) | instskip(NEXT) | instid1(VALU_DEP_1)
	v_fmac_f32_e32 v159, v113, v160
	v_fmac_f32_e32 v159, v114, v161
	s_waitcnt vmcnt(11)
	s_delay_alu instid0(VALU_DEP_1) | instskip(SKIP_3) | instid1(VALU_DEP_1)
	v_fmac_f32_e32 v159, v115, v162
	ds_load_b128 v[112:115], v110 offset:272
	s_waitcnt lgkmcnt(1)
	v_fmac_f32_e32 v159, v116, v163
	v_fmac_f32_e32 v159, v117, v164
	s_delay_alu instid0(VALU_DEP_1) | instskip(SKIP_1) | instid1(VALU_DEP_1)
	v_fmac_f32_e32 v159, v118, v165
	s_waitcnt vmcnt(10)
	v_fmac_f32_e32 v159, v119, v166
	ds_load_b128 v[116:119], v110 offset:288
	s_waitcnt lgkmcnt(1)
	v_fmac_f32_e32 v159, v120, v112
	s_delay_alu instid0(VALU_DEP_1) | instskip(NEXT) | instid1(VALU_DEP_1)
	v_fmac_f32_e32 v159, v121, v113
	v_fmac_f32_e32 v159, v122, v114
	s_waitcnt vmcnt(9)
	s_delay_alu instid0(VALU_DEP_1) | instskip(SKIP_3) | instid1(VALU_DEP_1)
	v_fmac_f32_e32 v159, v123, v115
	ds_load_b128 v[112:115], v110 offset:304
	s_waitcnt lgkmcnt(1)
	v_fmac_f32_e32 v159, v124, v116
	v_fmac_f32_e32 v159, v125, v117
	s_delay_alu instid0(VALU_DEP_1) | instskip(SKIP_1) | instid1(VALU_DEP_1)
	v_fmac_f32_e32 v159, v126, v118
	s_waitcnt vmcnt(8)
	v_fmac_f32_e32 v159, v127, v119
	ds_load_b128 v[116:119], v110 offset:320
	s_waitcnt lgkmcnt(1)
	v_fmac_f32_e32 v159, v128, v112
	;; [unrolled: 17-line block ×5, first 2 shown]
	s_delay_alu instid0(VALU_DEP_1) | instskip(SKIP_3) | instid1(VALU_DEP_1)
	v_fmac_f32_e32 v159, v153, v113
	ds_load_b64 v[112:113], v110 offset:432
	v_fmac_f32_e32 v159, v154, v114
	s_waitcnt vmcnt(1)
	v_fmac_f32_e32 v159, v155, v115
	s_waitcnt lgkmcnt(1)
	s_delay_alu instid0(VALU_DEP_1) | instskip(NEXT) | instid1(VALU_DEP_1)
	v_fmac_f32_e32 v159, v156, v116
	v_fmac_f32_e32 v159, v157, v117
	s_delay_alu instid0(VALU_DEP_1) | instskip(SKIP_1) | instid1(VALU_DEP_1)
	v_fmac_f32_e32 v159, v158, v118
	s_waitcnt vmcnt(0)
	v_fmac_f32_e32 v159, v167, v119
	s_waitcnt lgkmcnt(0)
	s_delay_alu instid0(VALU_DEP_1) | instskip(NEXT) | instid1(VALU_DEP_1)
	v_fmac_f32_e32 v159, v168, v112
	v_fmac_f32_e32 v159, v169, v113
	s_delay_alu instid0(VALU_DEP_1)
	v_sub_f32_e32 v110, v111, v159
	scratch_store_b32 off, v110, off offset:12
	v_cmpx_lt_u32_e32 2, v0
	s_cbranch_execz .LBB117_327
; %bb.326:
	scratch_load_b32 v110, off, off offset:8
	v_mov_b32_e32 v111, 0
	scratch_store_b32 off, v111, off offset:8
	s_waitcnt vmcnt(0)
	ds_store_b32 v109, v110
.LBB117_327:
	s_or_b32 exec_lo, exec_lo, s0
	s_waitcnt lgkmcnt(0)
	s_waitcnt_vscnt null, 0x0
	s_barrier
	buffer_gl0_inv
	s_clause 0xc
	scratch_load_b128 v[111:114], off, off offset:8
	scratch_load_b128 v[115:118], off, off offset:24
	;; [unrolled: 1-line block ×13, first 2 shown]
	v_mov_b32_e32 v110, 0
	ds_load_2addr_b32 v[163:164], v110 offset0:59 offset1:60
	ds_load_2addr_b32 v[165:166], v110 offset0:61 offset1:62
	;; [unrolled: 1-line block ×4, first 2 shown]
	s_mov_b32 s0, exec_lo
	s_waitcnt vmcnt(12) lgkmcnt(3)
	v_fma_f32 v163, v112, v163, 0
	s_delay_alu instid0(VALU_DEP_1) | instskip(SKIP_4) | instid1(VALU_DEP_1)
	v_fmac_f32_e32 v163, v113, v164
	ds_load_2addr_b32 v[112:113], v110 offset0:67 offset1:68
	s_waitcnt lgkmcnt(3)
	v_fmac_f32_e32 v163, v114, v165
	s_waitcnt vmcnt(11)
	v_fmac_f32_e32 v163, v115, v166
	ds_load_2addr_b32 v[114:115], v110 offset0:69 offset1:70
	s_waitcnt lgkmcnt(3)
	v_fmac_f32_e32 v163, v116, v167
	s_delay_alu instid0(VALU_DEP_1) | instskip(SKIP_1) | instid1(VALU_DEP_1)
	v_fmac_f32_e32 v163, v117, v168
	s_waitcnt lgkmcnt(2)
	v_fmac_f32_e32 v163, v118, v169
	s_waitcnt vmcnt(10)
	s_delay_alu instid0(VALU_DEP_1) | instskip(SKIP_4) | instid1(VALU_DEP_1)
	v_fmac_f32_e32 v163, v119, v170
	ds_load_2addr_b32 v[116:117], v110 offset0:71 offset1:72
	ds_load_2addr_b32 v[118:119], v110 offset0:73 offset1:74
	s_waitcnt lgkmcnt(3)
	v_fmac_f32_e32 v163, v120, v112
	v_fmac_f32_e32 v163, v121, v113
	ds_load_2addr_b32 v[112:113], v110 offset0:75 offset1:76
	s_waitcnt lgkmcnt(3)
	v_fmac_f32_e32 v163, v122, v114
	s_waitcnt vmcnt(9)
	s_delay_alu instid0(VALU_DEP_1) | instskip(SKIP_3) | instid1(VALU_DEP_1)
	v_fmac_f32_e32 v163, v123, v115
	ds_load_2addr_b32 v[114:115], v110 offset0:77 offset1:78
	s_waitcnt lgkmcnt(3)
	v_fmac_f32_e32 v163, v124, v116
	v_fmac_f32_e32 v163, v125, v117
	s_waitcnt lgkmcnt(2)
	s_delay_alu instid0(VALU_DEP_1) | instskip(SKIP_1) | instid1(VALU_DEP_1)
	v_fmac_f32_e32 v163, v126, v118
	s_waitcnt vmcnt(8)
	v_fmac_f32_e32 v163, v127, v119
	ds_load_2addr_b32 v[116:117], v110 offset0:79 offset1:80
	ds_load_2addr_b32 v[118:119], v110 offset0:81 offset1:82
	s_waitcnt lgkmcnt(3)
	v_fmac_f32_e32 v163, v128, v112
	s_delay_alu instid0(VALU_DEP_1) | instskip(SKIP_4) | instid1(VALU_DEP_1)
	v_fmac_f32_e32 v163, v129, v113
	ds_load_2addr_b32 v[112:113], v110 offset0:83 offset1:84
	s_waitcnt lgkmcnt(3)
	v_fmac_f32_e32 v163, v130, v114
	s_waitcnt vmcnt(7)
	v_fmac_f32_e32 v163, v131, v115
	ds_load_2addr_b32 v[114:115], v110 offset0:85 offset1:86
	s_waitcnt lgkmcnt(3)
	v_fmac_f32_e32 v163, v132, v116
	s_delay_alu instid0(VALU_DEP_1) | instskip(SKIP_1) | instid1(VALU_DEP_1)
	v_fmac_f32_e32 v163, v133, v117
	s_waitcnt lgkmcnt(2)
	v_fmac_f32_e32 v163, v134, v118
	s_waitcnt vmcnt(6)
	s_delay_alu instid0(VALU_DEP_1) | instskip(SKIP_4) | instid1(VALU_DEP_1)
	v_fmac_f32_e32 v163, v135, v119
	ds_load_2addr_b32 v[116:117], v110 offset0:87 offset1:88
	ds_load_2addr_b32 v[118:119], v110 offset0:89 offset1:90
	s_waitcnt lgkmcnt(3)
	v_fmac_f32_e32 v163, v136, v112
	v_fmac_f32_e32 v163, v137, v113
	ds_load_2addr_b32 v[112:113], v110 offset0:91 offset1:92
	s_waitcnt lgkmcnt(3)
	v_fmac_f32_e32 v163, v138, v114
	s_waitcnt vmcnt(5)
	s_delay_alu instid0(VALU_DEP_1) | instskip(SKIP_3) | instid1(VALU_DEP_1)
	v_fmac_f32_e32 v163, v139, v115
	ds_load_2addr_b32 v[114:115], v110 offset0:93 offset1:94
	s_waitcnt lgkmcnt(3)
	v_fmac_f32_e32 v163, v140, v116
	v_fmac_f32_e32 v163, v141, v117
	s_waitcnt lgkmcnt(2)
	s_delay_alu instid0(VALU_DEP_1) | instskip(SKIP_1) | instid1(VALU_DEP_1)
	v_fmac_f32_e32 v163, v142, v118
	s_waitcnt vmcnt(4)
	v_fmac_f32_e32 v163, v143, v119
	ds_load_2addr_b32 v[116:117], v110 offset0:95 offset1:96
	ds_load_2addr_b32 v[118:119], v110 offset0:97 offset1:98
	s_waitcnt lgkmcnt(3)
	v_fmac_f32_e32 v163, v144, v112
	s_delay_alu instid0(VALU_DEP_1) | instskip(SKIP_4) | instid1(VALU_DEP_1)
	v_fmac_f32_e32 v163, v145, v113
	ds_load_2addr_b32 v[112:113], v110 offset0:99 offset1:100
	s_waitcnt lgkmcnt(3)
	v_fmac_f32_e32 v163, v146, v114
	s_waitcnt vmcnt(3)
	v_fmac_f32_e32 v163, v147, v115
	ds_load_2addr_b32 v[114:115], v110 offset0:101 offset1:102
	s_waitcnt lgkmcnt(3)
	v_fmac_f32_e32 v163, v148, v116
	s_delay_alu instid0(VALU_DEP_1) | instskip(SKIP_1) | instid1(VALU_DEP_1)
	v_fmac_f32_e32 v163, v149, v117
	s_waitcnt lgkmcnt(2)
	v_fmac_f32_e32 v163, v150, v118
	s_waitcnt vmcnt(2)
	s_delay_alu instid0(VALU_DEP_1) | instskip(SKIP_4) | instid1(VALU_DEP_1)
	v_fmac_f32_e32 v163, v151, v119
	ds_load_2addr_b32 v[116:117], v110 offset0:103 offset1:104
	ds_load_2addr_b32 v[118:119], v110 offset0:105 offset1:106
	s_waitcnt lgkmcnt(3)
	v_fmac_f32_e32 v163, v152, v112
	v_fmac_f32_e32 v163, v153, v113
	ds_load_2addr_b32 v[112:113], v110 offset0:107 offset1:108
	s_waitcnt lgkmcnt(3)
	v_fmac_f32_e32 v163, v154, v114
	ds_load_b32 v114, v110 offset:436
	s_waitcnt vmcnt(1)
	v_fmac_f32_e32 v163, v155, v115
	s_waitcnt lgkmcnt(3)
	s_delay_alu instid0(VALU_DEP_1) | instskip(NEXT) | instid1(VALU_DEP_1)
	v_fmac_f32_e32 v163, v156, v116
	v_fmac_f32_e32 v163, v157, v117
	s_waitcnt lgkmcnt(2)
	s_delay_alu instid0(VALU_DEP_1) | instskip(SKIP_1) | instid1(VALU_DEP_1)
	v_fmac_f32_e32 v163, v158, v118
	s_waitcnt vmcnt(0)
	v_fmac_f32_e32 v163, v159, v119
	s_waitcnt lgkmcnt(1)
	s_delay_alu instid0(VALU_DEP_1) | instskip(NEXT) | instid1(VALU_DEP_1)
	v_fmac_f32_e32 v163, v160, v112
	v_fmac_f32_e32 v163, v161, v113
	s_waitcnt lgkmcnt(0)
	s_delay_alu instid0(VALU_DEP_1) | instskip(NEXT) | instid1(VALU_DEP_1)
	v_fmac_f32_e32 v163, v162, v114
	v_sub_f32_e32 v111, v111, v163
	scratch_store_b32 off, v111, off offset:8
	v_cmpx_lt_u32_e32 1, v0
	s_cbranch_execz .LBB117_329
; %bb.328:
	scratch_load_b32 v111, off, off offset:4
	scratch_store_b32 off, v110, off offset:4
	s_waitcnt vmcnt(0)
	ds_store_b32 v109, v111
.LBB117_329:
	s_or_b32 exec_lo, exec_lo, s0
	s_waitcnt lgkmcnt(0)
	s_waitcnt_vscnt null, 0x0
	s_barrier
	buffer_gl0_inv
	s_clause 0xd
	scratch_load_b128 v[111:114], off, off offset:4
	scratch_load_b128 v[115:118], off, off offset:20
	;; [unrolled: 1-line block ×13, first 2 shown]
	scratch_load_b32 v171, off, off offset:212
	ds_load_2addr_b64 v[163:166], v110 offset0:29 offset1:30
	ds_load_2addr_b64 v[167:170], v110 offset0:31 offset1:32
	s_mov_b32 s0, exec_lo
	s_waitcnt vmcnt(13) lgkmcnt(1)
	v_fma_f32 v163, v112, v163, 0
	s_delay_alu instid0(VALU_DEP_1) | instskip(NEXT) | instid1(VALU_DEP_1)
	v_fmac_f32_e32 v163, v113, v164
	v_fmac_f32_e32 v163, v114, v165
	s_waitcnt vmcnt(12)
	s_delay_alu instid0(VALU_DEP_1) | instskip(SKIP_3) | instid1(VALU_DEP_1)
	v_fmac_f32_e32 v163, v115, v166
	ds_load_2addr_b64 v[112:115], v110 offset0:33 offset1:34
	s_waitcnt lgkmcnt(1)
	v_fmac_f32_e32 v163, v116, v167
	v_fmac_f32_e32 v163, v117, v168
	s_delay_alu instid0(VALU_DEP_1) | instskip(SKIP_1) | instid1(VALU_DEP_1)
	v_fmac_f32_e32 v163, v118, v169
	s_waitcnt vmcnt(11)
	v_fmac_f32_e32 v163, v119, v170
	ds_load_2addr_b64 v[116:119], v110 offset0:35 offset1:36
	s_waitcnt lgkmcnt(1)
	v_fmac_f32_e32 v163, v120, v112
	s_delay_alu instid0(VALU_DEP_1) | instskip(NEXT) | instid1(VALU_DEP_1)
	v_fmac_f32_e32 v163, v121, v113
	v_fmac_f32_e32 v163, v122, v114
	s_waitcnt vmcnt(10)
	s_delay_alu instid0(VALU_DEP_1) | instskip(SKIP_3) | instid1(VALU_DEP_1)
	v_fmac_f32_e32 v163, v123, v115
	ds_load_2addr_b64 v[112:115], v110 offset0:37 offset1:38
	s_waitcnt lgkmcnt(1)
	v_fmac_f32_e32 v163, v124, v116
	v_fmac_f32_e32 v163, v125, v117
	s_delay_alu instid0(VALU_DEP_1) | instskip(SKIP_1) | instid1(VALU_DEP_1)
	v_fmac_f32_e32 v163, v126, v118
	s_waitcnt vmcnt(9)
	v_fmac_f32_e32 v163, v127, v119
	ds_load_2addr_b64 v[116:119], v110 offset0:39 offset1:40
	s_waitcnt lgkmcnt(1)
	v_fmac_f32_e32 v163, v128, v112
	;; [unrolled: 17-line block ×5, first 2 shown]
	s_delay_alu instid0(VALU_DEP_1) | instskip(NEXT) | instid1(VALU_DEP_1)
	v_fmac_f32_e32 v163, v153, v113
	v_fmac_f32_e32 v163, v154, v114
	s_waitcnt vmcnt(2)
	s_delay_alu instid0(VALU_DEP_1) | instskip(SKIP_3) | instid1(VALU_DEP_1)
	v_fmac_f32_e32 v163, v155, v115
	ds_load_2addr_b64 v[112:115], v110 offset0:53 offset1:54
	s_waitcnt lgkmcnt(1)
	v_fmac_f32_e32 v163, v156, v116
	v_fmac_f32_e32 v163, v157, v117
	s_delay_alu instid0(VALU_DEP_1) | instskip(SKIP_1) | instid1(VALU_DEP_1)
	v_fmac_f32_e32 v163, v158, v118
	s_waitcnt vmcnt(1)
	v_fmac_f32_e32 v163, v159, v119
	s_waitcnt lgkmcnt(0)
	s_delay_alu instid0(VALU_DEP_1) | instskip(NEXT) | instid1(VALU_DEP_1)
	v_fmac_f32_e32 v163, v160, v112
	v_fmac_f32_e32 v163, v161, v113
	s_delay_alu instid0(VALU_DEP_1) | instskip(SKIP_1) | instid1(VALU_DEP_1)
	v_fmac_f32_e32 v163, v162, v114
	s_waitcnt vmcnt(0)
	v_fmac_f32_e32 v163, v171, v115
	s_delay_alu instid0(VALU_DEP_1)
	v_sub_f32_e32 v110, v111, v163
	scratch_store_b32 off, v110, off offset:4
	v_cmpx_ne_u32_e32 0, v0
	s_cbranch_execz .LBB117_331
; %bb.330:
	scratch_load_b32 v0, off, off
	v_mov_b32_e32 v110, 0
	scratch_store_b32 off, v110, off
	s_waitcnt vmcnt(0)
	ds_store_b32 v109, v0
.LBB117_331:
	s_or_b32 exec_lo, exec_lo, s0
	s_waitcnt lgkmcnt(0)
	s_waitcnt_vscnt null, 0x0
	s_barrier
	buffer_gl0_inv
	s_clause 0xd
	scratch_load_b128 v[111:114], off, off
	scratch_load_b128 v[115:118], off, off offset:16
	scratch_load_b128 v[119:122], off, off offset:32
	;; [unrolled: 1-line block ×12, first 2 shown]
	scratch_load_b64 v[109:110], off, off offset:208
	v_mov_b32_e32 v0, 0
	ds_load_2addr_b32 v[163:164], v0 offset0:57 offset1:58
	ds_load_2addr_b32 v[165:166], v0 offset0:59 offset1:60
	;; [unrolled: 1-line block ×4, first 2 shown]
	s_and_b32 vcc_lo, exec_lo, s12
	s_waitcnt vmcnt(13) lgkmcnt(3)
	v_fma_f32 v163, v112, v163, 0
	s_delay_alu instid0(VALU_DEP_1) | instskip(SKIP_4) | instid1(VALU_DEP_1)
	v_fmac_f32_e32 v163, v113, v164
	ds_load_2addr_b32 v[112:113], v0 offset0:65 offset1:66
	s_waitcnt lgkmcnt(3)
	v_fmac_f32_e32 v163, v114, v165
	s_waitcnt vmcnt(12)
	v_fmac_f32_e32 v163, v115, v166
	ds_load_2addr_b32 v[114:115], v0 offset0:67 offset1:68
	s_waitcnt lgkmcnt(3)
	v_fmac_f32_e32 v163, v116, v167
	s_delay_alu instid0(VALU_DEP_1) | instskip(SKIP_1) | instid1(VALU_DEP_1)
	v_fmac_f32_e32 v163, v117, v168
	s_waitcnt lgkmcnt(2)
	v_fmac_f32_e32 v163, v118, v169
	s_waitcnt vmcnt(11)
	s_delay_alu instid0(VALU_DEP_1) | instskip(SKIP_4) | instid1(VALU_DEP_1)
	v_fmac_f32_e32 v163, v119, v170
	ds_load_2addr_b32 v[116:117], v0 offset0:69 offset1:70
	ds_load_2addr_b32 v[118:119], v0 offset0:71 offset1:72
	s_waitcnt lgkmcnt(3)
	v_fmac_f32_e32 v163, v120, v112
	v_fmac_f32_e32 v163, v121, v113
	ds_load_2addr_b32 v[112:113], v0 offset0:73 offset1:74
	s_waitcnt lgkmcnt(3)
	v_fmac_f32_e32 v163, v122, v114
	s_waitcnt vmcnt(10)
	s_delay_alu instid0(VALU_DEP_1) | instskip(SKIP_3) | instid1(VALU_DEP_1)
	v_fmac_f32_e32 v163, v123, v115
	ds_load_2addr_b32 v[114:115], v0 offset0:75 offset1:76
	s_waitcnt lgkmcnt(3)
	v_fmac_f32_e32 v163, v124, v116
	v_fmac_f32_e32 v163, v125, v117
	s_waitcnt lgkmcnt(2)
	s_delay_alu instid0(VALU_DEP_1) | instskip(SKIP_1) | instid1(VALU_DEP_1)
	v_fmac_f32_e32 v163, v126, v118
	s_waitcnt vmcnt(9)
	v_fmac_f32_e32 v163, v127, v119
	ds_load_2addr_b32 v[116:117], v0 offset0:77 offset1:78
	ds_load_2addr_b32 v[118:119], v0 offset0:79 offset1:80
	s_waitcnt lgkmcnt(3)
	v_fmac_f32_e32 v163, v128, v112
	s_delay_alu instid0(VALU_DEP_1) | instskip(SKIP_4) | instid1(VALU_DEP_1)
	v_fmac_f32_e32 v163, v129, v113
	ds_load_2addr_b32 v[112:113], v0 offset0:81 offset1:82
	s_waitcnt lgkmcnt(3)
	v_fmac_f32_e32 v163, v130, v114
	s_waitcnt vmcnt(8)
	v_fmac_f32_e32 v163, v131, v115
	ds_load_2addr_b32 v[114:115], v0 offset0:83 offset1:84
	s_waitcnt lgkmcnt(3)
	v_fmac_f32_e32 v163, v132, v116
	s_delay_alu instid0(VALU_DEP_1) | instskip(SKIP_1) | instid1(VALU_DEP_1)
	v_fmac_f32_e32 v163, v133, v117
	s_waitcnt lgkmcnt(2)
	v_fmac_f32_e32 v163, v134, v118
	s_waitcnt vmcnt(7)
	s_delay_alu instid0(VALU_DEP_1) | instskip(SKIP_4) | instid1(VALU_DEP_1)
	v_fmac_f32_e32 v163, v135, v119
	ds_load_2addr_b32 v[116:117], v0 offset0:85 offset1:86
	ds_load_2addr_b32 v[118:119], v0 offset0:87 offset1:88
	s_waitcnt lgkmcnt(3)
	v_fmac_f32_e32 v163, v136, v112
	v_fmac_f32_e32 v163, v137, v113
	ds_load_2addr_b32 v[112:113], v0 offset0:89 offset1:90
	s_waitcnt lgkmcnt(3)
	v_fmac_f32_e32 v163, v138, v114
	s_waitcnt vmcnt(6)
	s_delay_alu instid0(VALU_DEP_1) | instskip(SKIP_3) | instid1(VALU_DEP_1)
	v_fmac_f32_e32 v163, v139, v115
	ds_load_2addr_b32 v[114:115], v0 offset0:91 offset1:92
	s_waitcnt lgkmcnt(3)
	v_fmac_f32_e32 v163, v140, v116
	v_fmac_f32_e32 v163, v141, v117
	s_waitcnt lgkmcnt(2)
	s_delay_alu instid0(VALU_DEP_1) | instskip(SKIP_1) | instid1(VALU_DEP_1)
	v_fmac_f32_e32 v163, v142, v118
	s_waitcnt vmcnt(5)
	v_fmac_f32_e32 v163, v143, v119
	ds_load_2addr_b32 v[116:117], v0 offset0:93 offset1:94
	ds_load_2addr_b32 v[118:119], v0 offset0:95 offset1:96
	s_waitcnt lgkmcnt(3)
	v_fmac_f32_e32 v163, v144, v112
	s_delay_alu instid0(VALU_DEP_1) | instskip(SKIP_4) | instid1(VALU_DEP_1)
	v_fmac_f32_e32 v163, v145, v113
	ds_load_2addr_b32 v[112:113], v0 offset0:97 offset1:98
	s_waitcnt lgkmcnt(3)
	v_fmac_f32_e32 v163, v146, v114
	s_waitcnt vmcnt(4)
	v_fmac_f32_e32 v163, v147, v115
	ds_load_2addr_b32 v[114:115], v0 offset0:99 offset1:100
	s_waitcnt lgkmcnt(3)
	v_fmac_f32_e32 v163, v148, v116
	s_delay_alu instid0(VALU_DEP_1) | instskip(SKIP_1) | instid1(VALU_DEP_1)
	v_fmac_f32_e32 v163, v149, v117
	s_waitcnt lgkmcnt(2)
	v_fmac_f32_e32 v163, v150, v118
	s_waitcnt vmcnt(3)
	s_delay_alu instid0(VALU_DEP_1) | instskip(SKIP_4) | instid1(VALU_DEP_1)
	v_fmac_f32_e32 v163, v151, v119
	ds_load_2addr_b32 v[116:117], v0 offset0:101 offset1:102
	ds_load_2addr_b32 v[118:119], v0 offset0:103 offset1:104
	s_waitcnt lgkmcnt(3)
	v_fmac_f32_e32 v163, v152, v112
	v_fmac_f32_e32 v163, v153, v113
	ds_load_2addr_b32 v[112:113], v0 offset0:105 offset1:106
	s_waitcnt lgkmcnt(3)
	v_fmac_f32_e32 v163, v154, v114
	s_waitcnt vmcnt(2)
	s_delay_alu instid0(VALU_DEP_1) | instskip(SKIP_4) | instid1(VALU_DEP_1)
	v_fmac_f32_e32 v163, v155, v115
	ds_load_2addr_b32 v[114:115], v0 offset0:107 offset1:108
	ds_load_b32 v0, v0 offset:436
	s_waitcnt lgkmcnt(4)
	v_fmac_f32_e32 v163, v156, v116
	v_fmac_f32_e32 v163, v157, v117
	s_waitcnt lgkmcnt(3)
	s_delay_alu instid0(VALU_DEP_1) | instskip(SKIP_1) | instid1(VALU_DEP_1)
	v_fmac_f32_e32 v163, v158, v118
	s_waitcnt vmcnt(1)
	v_fmac_f32_e32 v163, v159, v119
	s_waitcnt lgkmcnt(2)
	s_delay_alu instid0(VALU_DEP_1) | instskip(NEXT) | instid1(VALU_DEP_1)
	v_fmac_f32_e32 v163, v160, v112
	v_fmac_f32_e32 v163, v161, v113
	s_waitcnt lgkmcnt(1)
	s_delay_alu instid0(VALU_DEP_1) | instskip(SKIP_1) | instid1(VALU_DEP_1)
	v_fmac_f32_e32 v163, v162, v114
	s_waitcnt vmcnt(0)
	v_fmac_f32_e32 v163, v109, v115
	s_waitcnt lgkmcnt(0)
	s_delay_alu instid0(VALU_DEP_1) | instskip(NEXT) | instid1(VALU_DEP_1)
	v_fmac_f32_e32 v163, v110, v0
	v_sub_f32_e32 v0, v111, v163
	scratch_store_b32 off, v0, off
	s_cbranch_vccz .LBB117_439
; %bb.332:
	v_dual_mov_b32 v111, s3 :: v_dual_mov_b32 v110, s2
	s_mov_b32 s0, exec_lo
	flat_load_b32 v0, v[110:111] offset:208
	s_waitcnt vmcnt(0) lgkmcnt(0)
	v_cmpx_ne_u32_e32 53, v0
	s_cbranch_execz .LBB117_334
; %bb.333:
	v_lshl_add_u32 v0, v0, 2, 0
	scratch_load_b32 v110, v0, off offset:-4
	s_waitcnt vmcnt(0)
	scratch_store_b32 off, v110, off offset:208
	scratch_store_b32 v0, v109, off offset:-4
.LBB117_334:
	s_or_b32 exec_lo, exec_lo, s0
	v_dual_mov_b32 v110, s3 :: v_dual_mov_b32 v109, s2
	s_mov_b32 s0, exec_lo
	flat_load_b32 v0, v[109:110] offset:204
	s_waitcnt vmcnt(0) lgkmcnt(0)
	v_cmpx_ne_u32_e32 52, v0
	s_cbranch_execz .LBB117_336
; %bb.335:
	v_lshl_add_u32 v0, v0, 2, 0
	scratch_load_b32 v109, v0, off offset:-4
	scratch_load_b32 v110, off, off offset:204
	s_waitcnt vmcnt(1)
	scratch_store_b32 off, v109, off offset:204
	s_waitcnt vmcnt(0)
	scratch_store_b32 v0, v110, off offset:-4
.LBB117_336:
	s_or_b32 exec_lo, exec_lo, s0
	v_dual_mov_b32 v110, s3 :: v_dual_mov_b32 v109, s2
	s_mov_b32 s0, exec_lo
	flat_load_b32 v0, v[109:110] offset:200
	s_waitcnt vmcnt(0) lgkmcnt(0)
	v_cmpx_ne_u32_e32 51, v0
	s_cbranch_execz .LBB117_338
; %bb.337:
	v_lshl_add_u32 v0, v0, 2, 0
	scratch_load_b32 v109, v0, off offset:-4
	scratch_load_b32 v110, off, off offset:200
	s_waitcnt vmcnt(1)
	scratch_store_b32 off, v109, off offset:200
	s_waitcnt vmcnt(0)
	scratch_store_b32 v0, v110, off offset:-4
.LBB117_338:
	;; [unrolled: 16-line block ×51, first 2 shown]
	s_or_b32 exec_lo, exec_lo, s0
	v_dual_mov_b32 v110, s3 :: v_dual_mov_b32 v109, s2
	s_mov_b32 s0, exec_lo
	flat_load_b32 v109, v[109:110]
	scratch_load_b32 v0, off, off
	s_waitcnt vmcnt(1) lgkmcnt(0)
	v_cmpx_ne_u32_e32 1, v109
	s_cbranch_execz .LBB117_438
; %bb.437:
	v_lshl_add_u32 v109, v109, 2, 0
	scratch_load_b32 v110, v109, off offset:-4
	s_waitcnt vmcnt(0)
	scratch_store_b32 off, v110, off
	scratch_store_b32 v109, v0, off offset:-4
	scratch_load_b32 v0, off, off
.LBB117_438:
	s_or_b32 exec_lo, exec_lo, s0
.LBB117_439:
	s_clause 0xd
	scratch_load_b128 v[109:112], off, off offset:4
	scratch_load_b128 v[113:116], off, off offset:20
	;; [unrolled: 1-line block ×13, first 2 shown]
	scratch_load_b32 v161, off, off offset:212
	s_waitcnt vmcnt(14)
	global_store_b32 v[1:2], v0, off
	s_waitcnt vmcnt(13)
	s_clause 0x3
	global_store_b32 v[3:4], v109, off
	global_store_b32 v[5:6], v110, off
	global_store_b32 v[7:8], v111, off
	global_store_b32 v[9:10], v112, off
	s_waitcnt vmcnt(12)
	s_clause 0x3
	global_store_b32 v[11:12], v113, off
	global_store_b32 v[13:14], v114, off
	global_store_b32 v[15:16], v115, off
	global_store_b32 v[17:18], v116, off
	s_waitcnt vmcnt(11)
	s_clause 0x3
	global_store_b32 v[19:20], v117, off
	global_store_b32 v[21:22], v118, off
	global_store_b32 v[23:24], v119, off
	global_store_b32 v[25:26], v120, off
	s_waitcnt vmcnt(10)
	s_clause 0x3
	global_store_b32 v[27:28], v121, off
	global_store_b32 v[29:30], v122, off
	global_store_b32 v[31:32], v123, off
	global_store_b32 v[33:34], v124, off
	s_waitcnt vmcnt(9)
	s_clause 0x3
	global_store_b32 v[35:36], v125, off
	global_store_b32 v[37:38], v126, off
	global_store_b32 v[39:40], v127, off
	global_store_b32 v[41:42], v128, off
	s_waitcnt vmcnt(8)
	s_clause 0x3
	global_store_b32 v[43:44], v129, off
	global_store_b32 v[45:46], v130, off
	global_store_b32 v[47:48], v131, off
	global_store_b32 v[49:50], v132, off
	s_waitcnt vmcnt(7)
	s_clause 0x3
	global_store_b32 v[51:52], v133, off
	global_store_b32 v[53:54], v134, off
	global_store_b32 v[55:56], v135, off
	global_store_b32 v[57:58], v136, off
	s_waitcnt vmcnt(6)
	s_clause 0x3
	global_store_b32 v[59:60], v137, off
	global_store_b32 v[61:62], v138, off
	global_store_b32 v[65:66], v139, off
	global_store_b32 v[67:68], v140, off
	s_waitcnt vmcnt(5)
	s_clause 0x3
	global_store_b32 v[69:70], v141, off
	global_store_b32 v[71:72], v142, off
	global_store_b32 v[73:74], v143, off
	global_store_b32 v[75:76], v144, off
	s_waitcnt vmcnt(4)
	s_clause 0x3
	global_store_b32 v[77:78], v145, off
	global_store_b32 v[79:80], v146, off
	global_store_b32 v[81:82], v147, off
	global_store_b32 v[83:84], v148, off
	s_waitcnt vmcnt(3)
	s_clause 0x3
	global_store_b32 v[85:86], v149, off
	global_store_b32 v[87:88], v150, off
	global_store_b32 v[89:90], v151, off
	global_store_b32 v[91:92], v152, off
	s_waitcnt vmcnt(2)
	s_clause 0x3
	global_store_b32 v[93:94], v153, off
	global_store_b32 v[95:96], v154, off
	global_store_b32 v[97:98], v155, off
	global_store_b32 v[99:100], v156, off
	s_waitcnt vmcnt(1)
	s_clause 0x3
	global_store_b32 v[101:102], v157, off
	global_store_b32 v[103:104], v158, off
	global_store_b32 v[105:106], v159, off
	global_store_b32 v[107:108], v160, off
	s_waitcnt vmcnt(0)
	global_store_b32 v[63:64], v161, off
	s_endpgm
	.section	.rodata,"a",@progbits
	.p2align	6, 0x0
	.amdhsa_kernel _ZN9rocsolver6v33100L18getri_kernel_smallILi54EfPKPfEEvT1_iilPiilS6_bb
		.amdhsa_group_segment_fixed_size 440
		.amdhsa_private_segment_fixed_size 224
		.amdhsa_kernarg_size 60
		.amdhsa_user_sgpr_count 15
		.amdhsa_user_sgpr_dispatch_ptr 0
		.amdhsa_user_sgpr_queue_ptr 0
		.amdhsa_user_sgpr_kernarg_segment_ptr 1
		.amdhsa_user_sgpr_dispatch_id 0
		.amdhsa_user_sgpr_private_segment_size 0
		.amdhsa_wavefront_size32 1
		.amdhsa_uses_dynamic_stack 0
		.amdhsa_enable_private_segment 1
		.amdhsa_system_sgpr_workgroup_id_x 1
		.amdhsa_system_sgpr_workgroup_id_y 0
		.amdhsa_system_sgpr_workgroup_id_z 0
		.amdhsa_system_sgpr_workgroup_info 0
		.amdhsa_system_vgpr_workitem_id 0
		.amdhsa_next_free_vgpr 172
		.amdhsa_next_free_sgpr 17
		.amdhsa_reserve_vcc 1
		.amdhsa_float_round_mode_32 0
		.amdhsa_float_round_mode_16_64 0
		.amdhsa_float_denorm_mode_32 3
		.amdhsa_float_denorm_mode_16_64 3
		.amdhsa_dx10_clamp 1
		.amdhsa_ieee_mode 1
		.amdhsa_fp16_overflow 0
		.amdhsa_workgroup_processor_mode 1
		.amdhsa_memory_ordered 1
		.amdhsa_forward_progress 0
		.amdhsa_shared_vgpr_count 0
		.amdhsa_exception_fp_ieee_invalid_op 0
		.amdhsa_exception_fp_denorm_src 0
		.amdhsa_exception_fp_ieee_div_zero 0
		.amdhsa_exception_fp_ieee_overflow 0
		.amdhsa_exception_fp_ieee_underflow 0
		.amdhsa_exception_fp_ieee_inexact 0
		.amdhsa_exception_int_div_zero 0
	.end_amdhsa_kernel
	.section	.text._ZN9rocsolver6v33100L18getri_kernel_smallILi54EfPKPfEEvT1_iilPiilS6_bb,"axG",@progbits,_ZN9rocsolver6v33100L18getri_kernel_smallILi54EfPKPfEEvT1_iilPiilS6_bb,comdat
.Lfunc_end117:
	.size	_ZN9rocsolver6v33100L18getri_kernel_smallILi54EfPKPfEEvT1_iilPiilS6_bb, .Lfunc_end117-_ZN9rocsolver6v33100L18getri_kernel_smallILi54EfPKPfEEvT1_iilPiilS6_bb
                                        ; -- End function
	.section	.AMDGPU.csdata,"",@progbits
; Kernel info:
; codeLenInByte = 41304
; NumSgprs: 19
; NumVgprs: 172
; ScratchSize: 224
; MemoryBound: 0
; FloatMode: 240
; IeeeMode: 1
; LDSByteSize: 440 bytes/workgroup (compile time only)
; SGPRBlocks: 2
; VGPRBlocks: 21
; NumSGPRsForWavesPerEU: 19
; NumVGPRsForWavesPerEU: 172
; Occupancy: 8
; WaveLimiterHint : 1
; COMPUTE_PGM_RSRC2:SCRATCH_EN: 1
; COMPUTE_PGM_RSRC2:USER_SGPR: 15
; COMPUTE_PGM_RSRC2:TRAP_HANDLER: 0
; COMPUTE_PGM_RSRC2:TGID_X_EN: 1
; COMPUTE_PGM_RSRC2:TGID_Y_EN: 0
; COMPUTE_PGM_RSRC2:TGID_Z_EN: 0
; COMPUTE_PGM_RSRC2:TIDIG_COMP_CNT: 0
	.section	.text._ZN9rocsolver6v33100L18getri_kernel_smallILi55EfPKPfEEvT1_iilPiilS6_bb,"axG",@progbits,_ZN9rocsolver6v33100L18getri_kernel_smallILi55EfPKPfEEvT1_iilPiilS6_bb,comdat
	.globl	_ZN9rocsolver6v33100L18getri_kernel_smallILi55EfPKPfEEvT1_iilPiilS6_bb ; -- Begin function _ZN9rocsolver6v33100L18getri_kernel_smallILi55EfPKPfEEvT1_iilPiilS6_bb
	.p2align	8
	.type	_ZN9rocsolver6v33100L18getri_kernel_smallILi55EfPKPfEEvT1_iilPiilS6_bb,@function
_ZN9rocsolver6v33100L18getri_kernel_smallILi55EfPKPfEEvT1_iilPiilS6_bb: ; @_ZN9rocsolver6v33100L18getri_kernel_smallILi55EfPKPfEEvT1_iilPiilS6_bb
; %bb.0:
	s_mov_b32 s2, exec_lo
	v_cmpx_gt_u32_e32 55, v0
	s_cbranch_execz .LBB118_228
; %bb.1:
	s_clause 0x1
	s_load_b32 s13, s[0:1], 0x38
	s_load_b64 s[2:3], s[0:1], 0x0
	s_mov_b32 s8, s15
	s_load_b128 s[4:7], s[0:1], 0x28
	s_waitcnt lgkmcnt(0)
	s_bitcmp1_b32 s13, 8
	s_cselect_b32 s12, -1, 0
	s_ashr_i32 s9, s15, 31
	s_delay_alu instid0(SALU_CYCLE_1) | instskip(NEXT) | instid1(SALU_CYCLE_1)
	s_lshl_b64 s[10:11], s[8:9], 3
	s_add_u32 s2, s2, s10
	s_addc_u32 s3, s3, s11
	s_load_b64 s[10:11], s[2:3], 0x0
	s_bfe_u32 s2, s13, 0x10008
	s_delay_alu instid0(SALU_CYCLE_1)
	s_cmp_eq_u32 s2, 0
                                        ; implicit-def: $sgpr2_sgpr3
	s_cbranch_scc1 .LBB118_3
; %bb.2:
	s_clause 0x1
	s_load_b32 s2, s[0:1], 0x20
	s_load_b64 s[14:15], s[0:1], 0x18
	s_mul_i32 s3, s8, s5
	s_mul_hi_u32 s5, s8, s4
	s_mul_i32 s16, s9, s4
	s_add_i32 s3, s5, s3
	s_mul_i32 s4, s8, s4
	s_add_i32 s5, s3, s16
	s_delay_alu instid0(SALU_CYCLE_1)
	s_lshl_b64 s[4:5], s[4:5], 2
	s_waitcnt lgkmcnt(0)
	s_ashr_i32 s3, s2, 31
	s_add_u32 s4, s14, s4
	s_addc_u32 s5, s15, s5
	s_lshl_b64 s[2:3], s[2:3], 2
	s_delay_alu instid0(SALU_CYCLE_1)
	s_add_u32 s2, s4, s2
	s_addc_u32 s3, s5, s3
.LBB118_3:
	s_load_b64 s[0:1], s[0:1], 0x8
	v_lshlrev_b32_e32 v113, 2, v0
	s_waitcnt lgkmcnt(0)
	v_add3_u32 v1, s1, s1, v0
	s_ashr_i32 s5, s0, 31
	s_mov_b32 s4, s0
	s_mov_b32 s14, s1
	s_lshl_b64 s[4:5], s[4:5], 2
	v_add_nc_u32_e32 v7, s1, v1
	v_ashrrev_i32_e32 v2, 31, v1
	s_add_u32 s4, s10, s4
	s_addc_u32 s5, s11, s5
	v_add_co_u32 v3, s0, s4, v113
	v_add_nc_u32_e32 v9, s1, v7
	s_ashr_i32 s15, s1, 31
	v_add_co_ci_u32_e64 v4, null, s5, 0, s0
	v_ashrrev_i32_e32 v8, 31, v7
	s_delay_alu instid0(VALU_DEP_3)
	v_add_nc_u32_e32 v11, s1, v9
	v_lshlrev_b64 v[1:2], 2, v[1:2]
	s_lshl_b64 s[10:11], s[14:15], 2
	v_ashrrev_i32_e32 v10, 31, v9
	v_add_co_u32 v5, vcc_lo, v3, s10
	v_add_nc_u32_e32 v13, s1, v11
	v_add_co_ci_u32_e32 v6, vcc_lo, s11, v4, vcc_lo
	v_lshlrev_b64 v[46:47], 2, v[7:8]
	v_add_co_u32 v7, vcc_lo, s4, v1
	s_delay_alu instid0(VALU_DEP_4) | instskip(SKIP_3) | instid1(VALU_DEP_4)
	v_add_nc_u32_e32 v15, s1, v13
	v_add_co_ci_u32_e32 v8, vcc_lo, s5, v2, vcc_lo
	v_lshlrev_b64 v[1:2], 2, v[9:10]
	v_ashrrev_i32_e32 v12, 31, v11
	v_add_nc_u32_e32 v17, s1, v15
	v_add_co_u32 v9, vcc_lo, s4, v46
	v_ashrrev_i32_e32 v14, 31, v13
	v_add_co_ci_u32_e32 v10, vcc_lo, s5, v47, vcc_lo
	s_delay_alu instid0(VALU_DEP_4) | instskip(SKIP_3) | instid1(VALU_DEP_4)
	v_add_nc_u32_e32 v19, s1, v17
	v_lshlrev_b64 v[46:47], 2, v[11:12]
	v_add_co_u32 v11, vcc_lo, s4, v1
	v_add_co_ci_u32_e32 v12, vcc_lo, s5, v2, vcc_lo
	v_add_nc_u32_e32 v21, s1, v19
	v_lshlrev_b64 v[1:2], 2, v[13:14]
	v_ashrrev_i32_e32 v16, 31, v15
	v_add_co_u32 v13, vcc_lo, s4, v46
	s_delay_alu instid0(VALU_DEP_4) | instskip(SKIP_3) | instid1(VALU_DEP_4)
	v_add_nc_u32_e32 v23, s1, v21
	v_ashrrev_i32_e32 v18, 31, v17
	v_add_co_ci_u32_e32 v14, vcc_lo, s5, v47, vcc_lo
	v_lshlrev_b64 v[46:47], 2, v[15:16]
	v_add_nc_u32_e32 v25, s1, v23
	v_add_co_u32 v15, vcc_lo, s4, v1
	v_add_co_ci_u32_e32 v16, vcc_lo, s5, v2, vcc_lo
	s_delay_alu instid0(VALU_DEP_3) | instskip(SKIP_3) | instid1(VALU_DEP_4)
	v_add_nc_u32_e32 v27, s1, v25
	v_lshlrev_b64 v[1:2], 2, v[17:18]
	v_ashrrev_i32_e32 v20, 31, v19
	v_add_co_u32 v17, vcc_lo, s4, v46
	v_add_nc_u32_e32 v29, s1, v27
	v_ashrrev_i32_e32 v22, 31, v21
	v_add_co_ci_u32_e32 v18, vcc_lo, s5, v47, vcc_lo
	v_lshlrev_b64 v[46:47], 2, v[19:20]
	s_delay_alu instid0(VALU_DEP_4) | instskip(SKIP_2) | instid1(VALU_DEP_3)
	v_add_nc_u32_e32 v31, s1, v29
	v_add_co_u32 v19, vcc_lo, s4, v1
	v_add_co_ci_u32_e32 v20, vcc_lo, s5, v2, vcc_lo
	v_add_nc_u32_e32 v33, s1, v31
	v_lshlrev_b64 v[1:2], 2, v[21:22]
	v_ashrrev_i32_e32 v24, 31, v23
	v_add_co_u32 v21, vcc_lo, s4, v46
	s_delay_alu instid0(VALU_DEP_4) | instskip(SKIP_3) | instid1(VALU_DEP_4)
	v_add_nc_u32_e32 v35, s1, v33
	v_ashrrev_i32_e32 v26, 31, v25
	v_add_co_ci_u32_e32 v22, vcc_lo, s5, v47, vcc_lo
	v_lshlrev_b64 v[46:47], 2, v[23:24]
	v_add_nc_u32_e32 v37, s1, v35
	v_add_co_u32 v23, vcc_lo, s4, v1
	v_add_co_ci_u32_e32 v24, vcc_lo, s5, v2, vcc_lo
	s_delay_alu instid0(VALU_DEP_3) | instskip(SKIP_3) | instid1(VALU_DEP_4)
	v_add_nc_u32_e32 v39, s1, v37
	v_lshlrev_b64 v[1:2], 2, v[25:26]
	v_ashrrev_i32_e32 v28, 31, v27
	v_add_co_u32 v25, vcc_lo, s4, v46
	v_add_nc_u32_e32 v41, s1, v39
	v_ashrrev_i32_e32 v30, 31, v29
	v_add_co_ci_u32_e32 v26, vcc_lo, s5, v47, vcc_lo
	v_lshlrev_b64 v[46:47], 2, v[27:28]
	s_delay_alu instid0(VALU_DEP_4) | instskip(SKIP_2) | instid1(VALU_DEP_3)
	v_add_nc_u32_e32 v43, s1, v41
	;; [unrolled: 25-line block ×5, first 2 shown]
	v_add_co_u32 v51, vcc_lo, s4, v1
	v_add_co_ci_u32_e32 v52, vcc_lo, s5, v2, vcc_lo
	v_add_nc_u32_e32 v83, s1, v81
	v_lshlrev_b64 v[1:2], 2, v[54:55]
	v_ashrrev_i32_e32 v57, 31, v56
	v_add_co_u32 v53, vcc_lo, s4, v67
	s_delay_alu instid0(VALU_DEP_4) | instskip(SKIP_3) | instid1(VALU_DEP_4)
	v_add_nc_u32_e32 v87, s1, v83
	v_ashrrev_i32_e32 v59, 31, v58
	v_add_co_ci_u32_e32 v54, vcc_lo, s5, v68, vcc_lo
	v_lshlrev_b64 v[67:68], 2, v[56:57]
	v_add_nc_u32_e32 v89, s1, v87
	v_add_co_u32 v55, vcc_lo, s4, v1
	v_add_co_ci_u32_e32 v56, vcc_lo, s5, v2, vcc_lo
	s_delay_alu instid0(VALU_DEP_3) | instskip(SKIP_3) | instid1(VALU_DEP_4)
	v_add_nc_u32_e32 v91, s1, v89
	v_lshlrev_b64 v[1:2], 2, v[58:59]
	v_ashrrev_i32_e32 v61, 31, v60
	v_add_co_u32 v57, vcc_lo, s4, v67
	v_add_nc_u32_e32 v93, s1, v91
	v_ashrrev_i32_e32 v63, 31, v62
	v_add_co_ci_u32_e32 v58, vcc_lo, s5, v68, vcc_lo
	v_lshlrev_b64 v[67:68], 2, v[60:61]
	s_delay_alu instid0(VALU_DEP_4) | instskip(SKIP_3) | instid1(VALU_DEP_4)
	v_add_nc_u32_e32 v95, s1, v93
	v_add_co_u32 v59, vcc_lo, s4, v1
	v_ashrrev_i32_e32 v65, 31, v64
	v_add_co_ci_u32_e32 v60, vcc_lo, s5, v2, vcc_lo
	v_add_nc_u32_e32 v97, s1, v95
	v_lshlrev_b64 v[1:2], 2, v[62:63]
	v_add_co_u32 v61, vcc_lo, s4, v67
	v_lshlrev_b64 v[84:85], 2, v[64:65]
	s_delay_alu instid0(VALU_DEP_4) | instskip(SKIP_3) | instid1(VALU_DEP_4)
	v_add_nc_u32_e32 v99, s1, v97
	v_ashrrev_i32_e32 v67, 31, v66
	v_add_co_ci_u32_e32 v62, vcc_lo, s5, v68, vcc_lo
	v_add_co_u32 v63, vcc_lo, s4, v1
	v_add_nc_u32_e32 v101, s1, v99
	v_add_co_ci_u32_e32 v64, vcc_lo, s5, v2, vcc_lo
	v_lshlrev_b64 v[1:2], 2, v[66:67]
	v_ashrrev_i32_e32 v70, 31, v69
	s_delay_alu instid0(VALU_DEP_4) | instskip(SKIP_3) | instid1(VALU_DEP_4)
	v_add_nc_u32_e32 v103, s1, v101
	v_add_co_u32 v67, vcc_lo, s4, v84
	v_ashrrev_i32_e32 v72, 31, v71
	v_add_co_ci_u32_e32 v68, vcc_lo, s5, v85, vcc_lo
	v_add_nc_u32_e32 v105, s1, v103
	v_lshlrev_b64 v[84:85], 2, v[69:70]
	v_add_co_u32 v69, vcc_lo, s4, v1
	v_add_co_ci_u32_e32 v70, vcc_lo, s5, v2, vcc_lo
	s_delay_alu instid0(VALU_DEP_4)
	v_add_nc_u32_e32 v107, s1, v105
	v_lshlrev_b64 v[1:2], 2, v[71:72]
	v_ashrrev_i32_e32 v74, 31, v73
	v_ashrrev_i32_e32 v76, 31, v75
	;; [unrolled: 1-line block ×3, first 2 shown]
	v_add_nc_u32_e32 v109, s1, v107
	v_ashrrev_i32_e32 v80, 31, v79
	v_ashrrev_i32_e32 v82, 31, v81
	;; [unrolled: 1-line block ×4, first 2 shown]
	v_add_nc_u32_e32 v111, s1, v109
	v_ashrrev_i32_e32 v92, 31, v91
	v_ashrrev_i32_e32 v94, 31, v93
	;; [unrolled: 1-line block ×3, first 2 shown]
	v_lshlrev_b64 v[89:90], 2, v[89:90]
	v_add_nc_u32_e32 v65, s1, v111
	v_ashrrev_i32_e32 v98, 31, v97
	v_lshlrev_b64 v[93:94], 2, v[93:94]
	v_ashrrev_i32_e32 v100, 31, v99
	v_ashrrev_i32_e32 v102, 31, v101
	;; [unrolled: 1-line block ×3, first 2 shown]
	v_lshlrev_b64 v[97:98], 2, v[97:98]
	v_ashrrev_i32_e32 v104, 31, v103
	v_ashrrev_i32_e32 v106, 31, v105
	v_lshlrev_b64 v[101:102], 2, v[101:102]
	v_lshlrev_b64 v[65:66], 2, v[65:66]
	v_ashrrev_i32_e32 v108, 31, v107
	v_ashrrev_i32_e32 v110, 31, v109
	v_lshlrev_b64 v[105:106], 2, v[105:106]
	v_ashrrev_i32_e32 v112, 31, v111
	global_load_b32 v114, v113, s[4:5]
	v_add_co_u32 v65, vcc_lo, s4, v65
	v_add_co_ci_u32_e32 v66, vcc_lo, s5, v66, vcc_lo
	v_add_co_u32 v71, vcc_lo, s4, v84
	v_add_co_ci_u32_e32 v72, vcc_lo, s5, v85, vcc_lo
	v_lshlrev_b64 v[84:85], 2, v[73:74]
	v_add_co_u32 v73, vcc_lo, s4, v1
	v_add_co_ci_u32_e32 v74, vcc_lo, s5, v2, vcc_lo
	v_lshlrev_b64 v[1:2], 2, v[75:76]
	s_delay_alu instid0(VALU_DEP_4) | instskip(SKIP_2) | instid1(VALU_DEP_4)
	v_add_co_u32 v75, vcc_lo, s4, v84
	v_add_co_ci_u32_e32 v76, vcc_lo, s5, v85, vcc_lo
	v_lshlrev_b64 v[84:85], 2, v[77:78]
	v_add_co_u32 v77, vcc_lo, s4, v1
	v_add_co_ci_u32_e32 v78, vcc_lo, s5, v2, vcc_lo
	v_lshlrev_b64 v[1:2], 2, v[79:80]
	s_delay_alu instid0(VALU_DEP_4)
	v_add_co_u32 v79, vcc_lo, s4, v84
	v_ashrrev_i32_e32 v84, 31, v83
	v_add_co_ci_u32_e32 v80, vcc_lo, s5, v85, vcc_lo
	v_lshlrev_b64 v[85:86], 2, v[81:82]
	v_add_co_u32 v81, vcc_lo, s4, v1
	v_add_co_ci_u32_e32 v82, vcc_lo, s5, v2, vcc_lo
	v_lshlrev_b64 v[1:2], 2, v[83:84]
	s_delay_alu instid0(VALU_DEP_4) | instskip(SKIP_2) | instid1(VALU_DEP_4)
	v_add_co_u32 v83, vcc_lo, s4, v85
	v_add_co_ci_u32_e32 v84, vcc_lo, s5, v86, vcc_lo
	v_lshlrev_b64 v[109:110], 2, v[109:110]
	v_add_co_u32 v85, vcc_lo, s4, v1
	v_add_co_ci_u32_e32 v86, vcc_lo, s5, v2, vcc_lo
	v_lshlrev_b64 v[1:2], 2, v[87:88]
	s_clause 0x1f
	global_load_b32 v115, v[5:6], off
	global_load_b32 v116, v[7:8], off
	;; [unrolled: 1-line block ×32, first 2 shown]
	s_clause 0x7
	global_load_b32 v147, v[71:72], off
	global_load_b32 v148, v[73:74], off
	;; [unrolled: 1-line block ×8, first 2 shown]
	v_add_co_u32 v87, vcc_lo, s4, v1
	v_add_co_ci_u32_e32 v88, vcc_lo, s5, v2, vcc_lo
	v_lshlrev_b64 v[1:2], 2, v[91:92]
	v_add_co_u32 v89, vcc_lo, s4, v89
	v_add_co_ci_u32_e32 v90, vcc_lo, s5, v90, vcc_lo
	s_bitcmp0_b32 s13, 0
	s_delay_alu instid0(VALU_DEP_3) | instskip(NEXT) | instid1(VALU_DEP_4)
	v_add_co_u32 v91, vcc_lo, s4, v1
	v_add_co_ci_u32_e32 v92, vcc_lo, s5, v2, vcc_lo
	v_lshlrev_b64 v[1:2], 2, v[95:96]
	v_add_co_u32 v93, vcc_lo, s4, v93
	v_add_co_ci_u32_e32 v94, vcc_lo, s5, v94, vcc_lo
	s_mov_b32 s1, -1
	s_delay_alu instid0(VALU_DEP_3) | instskip(NEXT) | instid1(VALU_DEP_4)
	v_add_co_u32 v95, vcc_lo, s4, v1
	v_add_co_ci_u32_e32 v96, vcc_lo, s5, v2, vcc_lo
	v_lshlrev_b64 v[1:2], 2, v[99:100]
	v_add_co_u32 v97, vcc_lo, s4, v97
	v_add_co_ci_u32_e32 v98, vcc_lo, s5, v98, vcc_lo
	s_delay_alu instid0(VALU_DEP_3) | instskip(NEXT) | instid1(VALU_DEP_4)
	v_add_co_u32 v99, vcc_lo, s4, v1
	v_add_co_ci_u32_e32 v100, vcc_lo, s5, v2, vcc_lo
	v_lshlrev_b64 v[1:2], 2, v[103:104]
	v_add_co_u32 v101, vcc_lo, s4, v101
	v_add_co_ci_u32_e32 v102, vcc_lo, s5, v102, vcc_lo
	s_clause 0x7
	global_load_b32 v155, v[87:88], off
	global_load_b32 v156, v[89:90], off
	;; [unrolled: 1-line block ×8, first 2 shown]
	v_add_co_u32 v103, vcc_lo, s4, v1
	v_add_co_ci_u32_e32 v104, vcc_lo, s5, v2, vcc_lo
	v_lshlrev_b64 v[1:2], 2, v[107:108]
	v_add_co_u32 v105, vcc_lo, s4, v105
	v_add_co_ci_u32_e32 v106, vcc_lo, s5, v106, vcc_lo
	s_delay_alu instid0(VALU_DEP_3) | instskip(NEXT) | instid1(VALU_DEP_4)
	v_add_co_u32 v107, vcc_lo, s4, v1
	v_add_co_ci_u32_e32 v108, vcc_lo, s5, v2, vcc_lo
	v_lshlrev_b64 v[1:2], 2, v[111:112]
	v_add_co_u32 v109, vcc_lo, s4, v109
	v_add_co_ci_u32_e32 v110, vcc_lo, s5, v110, vcc_lo
	s_delay_alu instid0(VALU_DEP_3) | instskip(NEXT) | instid1(VALU_DEP_4)
	v_add_co_u32 v111, vcc_lo, s4, v1
	v_add_co_ci_u32_e32 v112, vcc_lo, s5, v2, vcc_lo
	s_clause 0x5
	global_load_b32 v163, v[103:104], off
	global_load_b32 v164, v[105:106], off
	global_load_b32 v165, v[107:108], off
	global_load_b32 v166, v[109:110], off
	global_load_b32 v168, v[65:66], off
	global_load_b32 v167, v[111:112], off
	s_waitcnt vmcnt(51)
	scratch_store_b128 off, v[114:117], off
	s_waitcnt vmcnt(47)
	scratch_store_b128 off, v[118:121], off offset:16
	s_waitcnt vmcnt(43)
	scratch_store_b128 off, v[122:125], off offset:32
	;; [unrolled: 2-line block ×12, first 2 shown]
	s_waitcnt vmcnt(0)
	scratch_store_b96 off, v[166:168], off offset:208
	s_cbranch_scc1 .LBB118_226
; %bb.4:
	v_cmp_eq_u32_e64 s0, 0, v0
	s_delay_alu instid0(VALU_DEP_1)
	s_and_saveexec_b32 s1, s0
	s_cbranch_execz .LBB118_6
; %bb.5:
	v_mov_b32_e32 v1, 0
	ds_store_b32 v1, v1 offset:220
.LBB118_6:
	s_or_b32 exec_lo, exec_lo, s1
	s_waitcnt lgkmcnt(0)
	s_waitcnt_vscnt null, 0x0
	s_barrier
	buffer_gl0_inv
	scratch_load_b32 v1, v113, off
	s_mov_b32 s4, exec_lo
	s_waitcnt vmcnt(0)
	v_cmpx_eq_f32_e32 0, v1
	s_cbranch_execz .LBB118_10
; %bb.7:
	v_mov_b32_e32 v1, 0
	s_mov_b32 s5, 0
	ds_load_b32 v2, v1 offset:220
	s_waitcnt lgkmcnt(0)
	v_readfirstlane_b32 s1, v2
	v_add_nc_u32_e32 v2, 1, v0
	s_delay_alu instid0(VALU_DEP_2) | instskip(NEXT) | instid1(VALU_DEP_1)
	s_cmp_eq_u32 s1, 0
	v_cmp_gt_i32_e32 vcc_lo, s1, v2
	s_cselect_b32 s10, -1, 0
	s_delay_alu instid0(SALU_CYCLE_1) | instskip(NEXT) | instid1(SALU_CYCLE_1)
	s_or_b32 s10, s10, vcc_lo
	s_and_b32 exec_lo, exec_lo, s10
	s_cbranch_execz .LBB118_10
; %bb.8:
	v_mov_b32_e32 v114, s1
.LBB118_9:                              ; =>This Inner Loop Header: Depth=1
	ds_cmpstore_rtn_b32 v114, v1, v2, v114 offset:220
	s_waitcnt lgkmcnt(0)
	v_cmp_ne_u32_e32 vcc_lo, 0, v114
	v_cmp_le_i32_e64 s1, v114, v2
	s_delay_alu instid0(VALU_DEP_1) | instskip(NEXT) | instid1(SALU_CYCLE_1)
	s_and_b32 s1, vcc_lo, s1
	s_and_b32 s1, exec_lo, s1
	s_delay_alu instid0(SALU_CYCLE_1) | instskip(NEXT) | instid1(SALU_CYCLE_1)
	s_or_b32 s5, s1, s5
	s_and_not1_b32 exec_lo, exec_lo, s5
	s_cbranch_execnz .LBB118_9
.LBB118_10:
	s_or_b32 exec_lo, exec_lo, s4
	v_mov_b32_e32 v1, 0
	s_barrier
	buffer_gl0_inv
	ds_load_b32 v2, v1 offset:220
	s_and_saveexec_b32 s1, s0
	s_cbranch_execz .LBB118_12
; %bb.11:
	s_lshl_b64 s[4:5], s[8:9], 2
	s_delay_alu instid0(SALU_CYCLE_1)
	s_add_u32 s4, s6, s4
	s_addc_u32 s5, s7, s5
	s_waitcnt lgkmcnt(0)
	global_store_b32 v1, v2, s[4:5]
.LBB118_12:
	s_or_b32 exec_lo, exec_lo, s1
	s_waitcnt lgkmcnt(0)
	v_cmp_ne_u32_e32 vcc_lo, 0, v2
	s_mov_b32 s1, 0
	s_cbranch_vccnz .LBB118_226
; %bb.13:
	v_add_nc_u32_e32 v1, 0, v113
	scratch_load_b32 v2, v1, off
	s_waitcnt vmcnt(0)
	v_div_scale_f32 v114, null, v2, v2, 1.0
	v_div_scale_f32 v117, vcc_lo, 1.0, v2, 1.0
	s_delay_alu instid0(VALU_DEP_2) | instskip(SKIP_2) | instid1(VALU_DEP_1)
	v_rcp_f32_e32 v115, v114
	s_waitcnt_depctr 0xfff
	v_fma_f32 v116, -v114, v115, 1.0
	v_fmac_f32_e32 v115, v116, v115
	s_delay_alu instid0(VALU_DEP_1) | instskip(NEXT) | instid1(VALU_DEP_1)
	v_mul_f32_e32 v116, v117, v115
	v_fma_f32 v118, -v114, v116, v117
	s_delay_alu instid0(VALU_DEP_1) | instskip(NEXT) | instid1(VALU_DEP_1)
	v_fmac_f32_e32 v116, v118, v115
	v_fma_f32 v114, -v114, v116, v117
	s_delay_alu instid0(VALU_DEP_1) | instskip(NEXT) | instid1(VALU_DEP_1)
	v_div_fmas_f32 v114, v114, v115, v116
	v_div_fixup_f32 v2, v114, v2, 1.0
	scratch_store_b32 v1, v2, off
	scratch_load_b32 v114, off, off offset:4
	v_xor_b32_e32 v115, 0x80000000, v2
	v_add_nc_u32_e32 v2, 0xe0, v113
	s_waitcnt vmcnt(0)
	ds_store_2addr_b32 v113, v115, v114 offset1:56
	s_waitcnt lgkmcnt(0)
	s_waitcnt_vscnt null, 0x0
	s_barrier
	buffer_gl0_inv
	s_and_saveexec_b32 s1, s0
	s_cbranch_execz .LBB118_15
; %bb.14:
	scratch_load_b32 v114, v1, off
	ds_load_b32 v115, v2
	v_mov_b32_e32 v116, 0
	ds_load_b32 v116, v116 offset:4
	s_waitcnt vmcnt(0) lgkmcnt(1)
	v_fma_f32 v114, v114, v115, 0
	s_waitcnt lgkmcnt(0)
	s_delay_alu instid0(VALU_DEP_1)
	v_mul_f32_e32 v114, v114, v116
	scratch_store_b32 off, v114, off offset:4
.LBB118_15:
	s_or_b32 exec_lo, exec_lo, s1
	s_waitcnt_vscnt null, 0x0
	s_barrier
	buffer_gl0_inv
	scratch_load_b32 v114, off, off offset:8
	s_mov_b32 s1, exec_lo
	s_waitcnt vmcnt(0)
	ds_store_b32 v2, v114
	s_waitcnt lgkmcnt(0)
	s_barrier
	buffer_gl0_inv
	v_cmpx_gt_u32_e32 2, v0
	s_cbranch_execz .LBB118_17
; %bb.16:
	scratch_load_b32 v116, v1, off
	scratch_load_b32 v117, off, off offset:4
	ds_load_b32 v118, v2
	v_mov_b32_e32 v114, 0
	ds_load_2addr_b32 v[114:115], v114 offset0:2 offset1:57
	s_waitcnt vmcnt(1) lgkmcnt(1)
	v_fma_f32 v116, v116, v118, 0
	s_waitcnt vmcnt(0) lgkmcnt(0)
	s_delay_alu instid0(VALU_DEP_1) | instskip(NEXT) | instid1(VALU_DEP_1)
	v_fma_f32 v115, v117, v115, v116
	v_cndmask_b32_e64 v115, v116, v115, s0
	s_delay_alu instid0(VALU_DEP_1)
	v_mul_f32_e32 v114, v115, v114
	scratch_store_b32 off, v114, off offset:8
.LBB118_17:
	s_or_b32 exec_lo, exec_lo, s1
	s_waitcnt_vscnt null, 0x0
	s_barrier
	buffer_gl0_inv
	scratch_load_b32 v115, off, off offset:12
	v_add_nc_u32_e32 v114, -1, v0
	s_mov_b32 s0, exec_lo
	s_waitcnt vmcnt(0)
	ds_store_b32 v2, v115
	s_waitcnt lgkmcnt(0)
	s_barrier
	buffer_gl0_inv
	v_cmpx_gt_u32_e32 3, v0
	s_cbranch_execz .LBB118_21
; %bb.18:
	v_dual_mov_b32 v115, 0 :: v_dual_add_nc_u32 v116, -1, v0
	v_add_nc_u32_e32 v117, 0xe0, v113
	v_add_nc_u32_e32 v118, 0, v113
	s_mov_b32 s1, 0
.LBB118_19:                             ; =>This Inner Loop Header: Depth=1
	scratch_load_b32 v119, v118, off
	ds_load_b32 v120, v117
	v_add_nc_u32_e32 v116, 1, v116
	v_add_nc_u32_e32 v117, 4, v117
	v_add_nc_u32_e32 v118, 4, v118
	s_delay_alu instid0(VALU_DEP_3)
	v_cmp_lt_u32_e32 vcc_lo, 1, v116
	s_or_b32 s1, vcc_lo, s1
	s_waitcnt vmcnt(0) lgkmcnt(0)
	v_fmac_f32_e32 v115, v119, v120
	s_and_not1_b32 exec_lo, exec_lo, s1
	s_cbranch_execnz .LBB118_19
; %bb.20:
	s_or_b32 exec_lo, exec_lo, s1
	v_mov_b32_e32 v116, 0
	ds_load_b32 v116, v116 offset:12
	s_waitcnt lgkmcnt(0)
	v_mul_f32_e32 v115, v115, v116
	scratch_store_b32 off, v115, off offset:12
.LBB118_21:
	s_or_b32 exec_lo, exec_lo, s0
	s_waitcnt_vscnt null, 0x0
	s_barrier
	buffer_gl0_inv
	scratch_load_b32 v115, off, off offset:16
	s_mov_b32 s0, exec_lo
	s_waitcnt vmcnt(0)
	ds_store_b32 v2, v115
	s_waitcnt lgkmcnt(0)
	s_barrier
	buffer_gl0_inv
	v_cmpx_gt_u32_e32 4, v0
	s_cbranch_execz .LBB118_25
; %bb.22:
	v_dual_mov_b32 v115, 0 :: v_dual_add_nc_u32 v116, -1, v0
	v_add_nc_u32_e32 v117, 0xe0, v113
	v_add_nc_u32_e32 v118, 0, v113
	s_mov_b32 s1, 0
.LBB118_23:                             ; =>This Inner Loop Header: Depth=1
	scratch_load_b32 v119, v118, off
	ds_load_b32 v120, v117
	v_add_nc_u32_e32 v116, 1, v116
	v_add_nc_u32_e32 v117, 4, v117
	v_add_nc_u32_e32 v118, 4, v118
	s_delay_alu instid0(VALU_DEP_3)
	v_cmp_lt_u32_e32 vcc_lo, 2, v116
	s_or_b32 s1, vcc_lo, s1
	s_waitcnt vmcnt(0) lgkmcnt(0)
	v_fmac_f32_e32 v115, v119, v120
	s_and_not1_b32 exec_lo, exec_lo, s1
	s_cbranch_execnz .LBB118_23
; %bb.24:
	s_or_b32 exec_lo, exec_lo, s1
	v_mov_b32_e32 v116, 0
	ds_load_b32 v116, v116 offset:16
	s_waitcnt lgkmcnt(0)
	v_mul_f32_e32 v115, v115, v116
	scratch_store_b32 off, v115, off offset:16
.LBB118_25:
	s_or_b32 exec_lo, exec_lo, s0
	s_waitcnt_vscnt null, 0x0
	s_barrier
	buffer_gl0_inv
	scratch_load_b32 v115, off, off offset:20
	;; [unrolled: 39-line block ×21, first 2 shown]
	s_mov_b32 s0, exec_lo
	s_waitcnt vmcnt(0)
	ds_store_b32 v2, v115
	s_waitcnt lgkmcnt(0)
	s_barrier
	buffer_gl0_inv
	v_cmpx_gt_u32_e32 24, v0
	s_cbranch_execz .LBB118_105
; %bb.102:
	v_dual_mov_b32 v115, 0 :: v_dual_add_nc_u32 v116, -1, v0
	v_add_nc_u32_e32 v117, 0xe0, v113
	v_add_nc_u32_e32 v118, 0, v113
	s_mov_b32 s1, 0
.LBB118_103:                            ; =>This Inner Loop Header: Depth=1
	scratch_load_b32 v119, v118, off
	ds_load_b32 v120, v117
	v_add_nc_u32_e32 v116, 1, v116
	v_add_nc_u32_e32 v117, 4, v117
	v_add_nc_u32_e32 v118, 4, v118
	s_delay_alu instid0(VALU_DEP_3)
	v_cmp_lt_u32_e32 vcc_lo, 22, v116
	s_or_b32 s1, vcc_lo, s1
	s_waitcnt vmcnt(0) lgkmcnt(0)
	v_fmac_f32_e32 v115, v119, v120
	s_and_not1_b32 exec_lo, exec_lo, s1
	s_cbranch_execnz .LBB118_103
; %bb.104:
	s_or_b32 exec_lo, exec_lo, s1
	v_mov_b32_e32 v116, 0
	ds_load_b32 v116, v116 offset:96
	s_waitcnt lgkmcnt(0)
	v_mul_f32_e32 v115, v115, v116
	scratch_store_b32 off, v115, off offset:96
.LBB118_105:
	s_or_b32 exec_lo, exec_lo, s0
	s_waitcnt_vscnt null, 0x0
	s_barrier
	buffer_gl0_inv
	scratch_load_b32 v115, off, off offset:100
	s_mov_b32 s0, exec_lo
	s_waitcnt vmcnt(0)
	ds_store_b32 v2, v115
	s_waitcnt lgkmcnt(0)
	s_barrier
	buffer_gl0_inv
	v_cmpx_gt_u32_e32 25, v0
	s_cbranch_execz .LBB118_109
; %bb.106:
	v_dual_mov_b32 v115, 0 :: v_dual_add_nc_u32 v116, -1, v0
	v_add_nc_u32_e32 v117, 0xe0, v113
	v_add_nc_u32_e32 v118, 0, v113
	s_mov_b32 s1, 0
.LBB118_107:                            ; =>This Inner Loop Header: Depth=1
	scratch_load_b32 v119, v118, off
	ds_load_b32 v120, v117
	v_add_nc_u32_e32 v116, 1, v116
	v_add_nc_u32_e32 v117, 4, v117
	v_add_nc_u32_e32 v118, 4, v118
	s_delay_alu instid0(VALU_DEP_3)
	v_cmp_lt_u32_e32 vcc_lo, 23, v116
	s_or_b32 s1, vcc_lo, s1
	s_waitcnt vmcnt(0) lgkmcnt(0)
	v_fmac_f32_e32 v115, v119, v120
	s_and_not1_b32 exec_lo, exec_lo, s1
	s_cbranch_execnz .LBB118_107
; %bb.108:
	s_or_b32 exec_lo, exec_lo, s1
	v_mov_b32_e32 v116, 0
	ds_load_b32 v116, v116 offset:100
	s_waitcnt lgkmcnt(0)
	v_mul_f32_e32 v115, v115, v116
	scratch_store_b32 off, v115, off offset:100
.LBB118_109:
	s_or_b32 exec_lo, exec_lo, s0
	s_waitcnt_vscnt null, 0x0
	s_barrier
	buffer_gl0_inv
	scratch_load_b32 v115, off, off offset:104
	s_mov_b32 s0, exec_lo
	s_waitcnt vmcnt(0)
	ds_store_b32 v2, v115
	s_waitcnt lgkmcnt(0)
	s_barrier
	buffer_gl0_inv
	v_cmpx_gt_u32_e32 26, v0
	s_cbranch_execz .LBB118_113
; %bb.110:
	v_dual_mov_b32 v115, 0 :: v_dual_add_nc_u32 v116, -1, v0
	v_add_nc_u32_e32 v117, 0xe0, v113
	v_add_nc_u32_e32 v118, 0, v113
	s_mov_b32 s1, 0
.LBB118_111:                            ; =>This Inner Loop Header: Depth=1
	scratch_load_b32 v119, v118, off
	ds_load_b32 v120, v117
	v_add_nc_u32_e32 v116, 1, v116
	v_add_nc_u32_e32 v117, 4, v117
	v_add_nc_u32_e32 v118, 4, v118
	s_delay_alu instid0(VALU_DEP_3)
	v_cmp_lt_u32_e32 vcc_lo, 24, v116
	s_or_b32 s1, vcc_lo, s1
	s_waitcnt vmcnt(0) lgkmcnt(0)
	v_fmac_f32_e32 v115, v119, v120
	s_and_not1_b32 exec_lo, exec_lo, s1
	s_cbranch_execnz .LBB118_111
; %bb.112:
	s_or_b32 exec_lo, exec_lo, s1
	v_mov_b32_e32 v116, 0
	ds_load_b32 v116, v116 offset:104
	s_waitcnt lgkmcnt(0)
	v_mul_f32_e32 v115, v115, v116
	scratch_store_b32 off, v115, off offset:104
.LBB118_113:
	s_or_b32 exec_lo, exec_lo, s0
	s_waitcnt_vscnt null, 0x0
	s_barrier
	buffer_gl0_inv
	scratch_load_b32 v115, off, off offset:108
	s_mov_b32 s0, exec_lo
	s_waitcnt vmcnt(0)
	ds_store_b32 v2, v115
	s_waitcnt lgkmcnt(0)
	s_barrier
	buffer_gl0_inv
	v_cmpx_gt_u32_e32 27, v0
	s_cbranch_execz .LBB118_117
; %bb.114:
	v_dual_mov_b32 v115, 0 :: v_dual_add_nc_u32 v116, -1, v0
	v_add_nc_u32_e32 v117, 0xe0, v113
	v_add_nc_u32_e32 v118, 0, v113
	s_mov_b32 s1, 0
.LBB118_115:                            ; =>This Inner Loop Header: Depth=1
	scratch_load_b32 v119, v118, off
	ds_load_b32 v120, v117
	v_add_nc_u32_e32 v116, 1, v116
	v_add_nc_u32_e32 v117, 4, v117
	v_add_nc_u32_e32 v118, 4, v118
	s_delay_alu instid0(VALU_DEP_3)
	v_cmp_lt_u32_e32 vcc_lo, 25, v116
	s_or_b32 s1, vcc_lo, s1
	s_waitcnt vmcnt(0) lgkmcnt(0)
	v_fmac_f32_e32 v115, v119, v120
	s_and_not1_b32 exec_lo, exec_lo, s1
	s_cbranch_execnz .LBB118_115
; %bb.116:
	s_or_b32 exec_lo, exec_lo, s1
	v_mov_b32_e32 v116, 0
	ds_load_b32 v116, v116 offset:108
	s_waitcnt lgkmcnt(0)
	v_mul_f32_e32 v115, v115, v116
	scratch_store_b32 off, v115, off offset:108
.LBB118_117:
	s_or_b32 exec_lo, exec_lo, s0
	s_waitcnt_vscnt null, 0x0
	s_barrier
	buffer_gl0_inv
	scratch_load_b32 v115, off, off offset:112
	s_mov_b32 s0, exec_lo
	s_waitcnt vmcnt(0)
	ds_store_b32 v2, v115
	s_waitcnt lgkmcnt(0)
	s_barrier
	buffer_gl0_inv
	v_cmpx_gt_u32_e32 28, v0
	s_cbranch_execz .LBB118_121
; %bb.118:
	v_dual_mov_b32 v115, 0 :: v_dual_add_nc_u32 v116, -1, v0
	v_add_nc_u32_e32 v117, 0xe0, v113
	v_add_nc_u32_e32 v118, 0, v113
	s_mov_b32 s1, 0
.LBB118_119:                            ; =>This Inner Loop Header: Depth=1
	scratch_load_b32 v119, v118, off
	ds_load_b32 v120, v117
	v_add_nc_u32_e32 v116, 1, v116
	v_add_nc_u32_e32 v117, 4, v117
	v_add_nc_u32_e32 v118, 4, v118
	s_delay_alu instid0(VALU_DEP_3)
	v_cmp_lt_u32_e32 vcc_lo, 26, v116
	s_or_b32 s1, vcc_lo, s1
	s_waitcnt vmcnt(0) lgkmcnt(0)
	v_fmac_f32_e32 v115, v119, v120
	s_and_not1_b32 exec_lo, exec_lo, s1
	s_cbranch_execnz .LBB118_119
; %bb.120:
	s_or_b32 exec_lo, exec_lo, s1
	v_mov_b32_e32 v116, 0
	ds_load_b32 v116, v116 offset:112
	s_waitcnt lgkmcnt(0)
	v_mul_f32_e32 v115, v115, v116
	scratch_store_b32 off, v115, off offset:112
.LBB118_121:
	s_or_b32 exec_lo, exec_lo, s0
	s_waitcnt_vscnt null, 0x0
	s_barrier
	buffer_gl0_inv
	scratch_load_b32 v115, off, off offset:116
	s_mov_b32 s0, exec_lo
	s_waitcnt vmcnt(0)
	ds_store_b32 v2, v115
	s_waitcnt lgkmcnt(0)
	s_barrier
	buffer_gl0_inv
	v_cmpx_gt_u32_e32 29, v0
	s_cbranch_execz .LBB118_125
; %bb.122:
	v_dual_mov_b32 v115, 0 :: v_dual_add_nc_u32 v116, -1, v0
	v_add_nc_u32_e32 v117, 0xe0, v113
	v_add_nc_u32_e32 v118, 0, v113
	s_mov_b32 s1, 0
.LBB118_123:                            ; =>This Inner Loop Header: Depth=1
	scratch_load_b32 v119, v118, off
	ds_load_b32 v120, v117
	v_add_nc_u32_e32 v116, 1, v116
	v_add_nc_u32_e32 v117, 4, v117
	v_add_nc_u32_e32 v118, 4, v118
	s_delay_alu instid0(VALU_DEP_3)
	v_cmp_lt_u32_e32 vcc_lo, 27, v116
	s_or_b32 s1, vcc_lo, s1
	s_waitcnt vmcnt(0) lgkmcnt(0)
	v_fmac_f32_e32 v115, v119, v120
	s_and_not1_b32 exec_lo, exec_lo, s1
	s_cbranch_execnz .LBB118_123
; %bb.124:
	s_or_b32 exec_lo, exec_lo, s1
	v_mov_b32_e32 v116, 0
	ds_load_b32 v116, v116 offset:116
	s_waitcnt lgkmcnt(0)
	v_mul_f32_e32 v115, v115, v116
	scratch_store_b32 off, v115, off offset:116
.LBB118_125:
	s_or_b32 exec_lo, exec_lo, s0
	s_waitcnt_vscnt null, 0x0
	s_barrier
	buffer_gl0_inv
	scratch_load_b32 v115, off, off offset:120
	s_mov_b32 s0, exec_lo
	s_waitcnt vmcnt(0)
	ds_store_b32 v2, v115
	s_waitcnt lgkmcnt(0)
	s_barrier
	buffer_gl0_inv
	v_cmpx_gt_u32_e32 30, v0
	s_cbranch_execz .LBB118_129
; %bb.126:
	v_dual_mov_b32 v115, 0 :: v_dual_add_nc_u32 v116, -1, v0
	v_add_nc_u32_e32 v117, 0xe0, v113
	v_add_nc_u32_e32 v118, 0, v113
	s_mov_b32 s1, 0
.LBB118_127:                            ; =>This Inner Loop Header: Depth=1
	scratch_load_b32 v119, v118, off
	ds_load_b32 v120, v117
	v_add_nc_u32_e32 v116, 1, v116
	v_add_nc_u32_e32 v117, 4, v117
	v_add_nc_u32_e32 v118, 4, v118
	s_delay_alu instid0(VALU_DEP_3)
	v_cmp_lt_u32_e32 vcc_lo, 28, v116
	s_or_b32 s1, vcc_lo, s1
	s_waitcnt vmcnt(0) lgkmcnt(0)
	v_fmac_f32_e32 v115, v119, v120
	s_and_not1_b32 exec_lo, exec_lo, s1
	s_cbranch_execnz .LBB118_127
; %bb.128:
	s_or_b32 exec_lo, exec_lo, s1
	v_mov_b32_e32 v116, 0
	ds_load_b32 v116, v116 offset:120
	s_waitcnt lgkmcnt(0)
	v_mul_f32_e32 v115, v115, v116
	scratch_store_b32 off, v115, off offset:120
.LBB118_129:
	s_or_b32 exec_lo, exec_lo, s0
	s_waitcnt_vscnt null, 0x0
	s_barrier
	buffer_gl0_inv
	scratch_load_b32 v115, off, off offset:124
	s_mov_b32 s0, exec_lo
	s_waitcnt vmcnt(0)
	ds_store_b32 v2, v115
	s_waitcnt lgkmcnt(0)
	s_barrier
	buffer_gl0_inv
	v_cmpx_gt_u32_e32 31, v0
	s_cbranch_execz .LBB118_133
; %bb.130:
	v_dual_mov_b32 v115, 0 :: v_dual_add_nc_u32 v116, -1, v0
	v_add_nc_u32_e32 v117, 0xe0, v113
	v_add_nc_u32_e32 v118, 0, v113
	s_mov_b32 s1, 0
.LBB118_131:                            ; =>This Inner Loop Header: Depth=1
	scratch_load_b32 v119, v118, off
	ds_load_b32 v120, v117
	v_add_nc_u32_e32 v116, 1, v116
	v_add_nc_u32_e32 v117, 4, v117
	v_add_nc_u32_e32 v118, 4, v118
	s_delay_alu instid0(VALU_DEP_3)
	v_cmp_lt_u32_e32 vcc_lo, 29, v116
	s_or_b32 s1, vcc_lo, s1
	s_waitcnt vmcnt(0) lgkmcnt(0)
	v_fmac_f32_e32 v115, v119, v120
	s_and_not1_b32 exec_lo, exec_lo, s1
	s_cbranch_execnz .LBB118_131
; %bb.132:
	s_or_b32 exec_lo, exec_lo, s1
	v_mov_b32_e32 v116, 0
	ds_load_b32 v116, v116 offset:124
	s_waitcnt lgkmcnt(0)
	v_mul_f32_e32 v115, v115, v116
	scratch_store_b32 off, v115, off offset:124
.LBB118_133:
	s_or_b32 exec_lo, exec_lo, s0
	s_waitcnt_vscnt null, 0x0
	s_barrier
	buffer_gl0_inv
	scratch_load_b32 v115, off, off offset:128
	s_mov_b32 s0, exec_lo
	s_waitcnt vmcnt(0)
	ds_store_b32 v2, v115
	s_waitcnt lgkmcnt(0)
	s_barrier
	buffer_gl0_inv
	v_cmpx_gt_u32_e32 32, v0
	s_cbranch_execz .LBB118_137
; %bb.134:
	v_dual_mov_b32 v115, 0 :: v_dual_add_nc_u32 v116, -1, v0
	v_add_nc_u32_e32 v117, 0xe0, v113
	v_add_nc_u32_e32 v118, 0, v113
	s_mov_b32 s1, 0
.LBB118_135:                            ; =>This Inner Loop Header: Depth=1
	scratch_load_b32 v119, v118, off
	ds_load_b32 v120, v117
	v_add_nc_u32_e32 v116, 1, v116
	v_add_nc_u32_e32 v117, 4, v117
	v_add_nc_u32_e32 v118, 4, v118
	s_delay_alu instid0(VALU_DEP_3)
	v_cmp_lt_u32_e32 vcc_lo, 30, v116
	s_or_b32 s1, vcc_lo, s1
	s_waitcnt vmcnt(0) lgkmcnt(0)
	v_fmac_f32_e32 v115, v119, v120
	s_and_not1_b32 exec_lo, exec_lo, s1
	s_cbranch_execnz .LBB118_135
; %bb.136:
	s_or_b32 exec_lo, exec_lo, s1
	v_mov_b32_e32 v116, 0
	ds_load_b32 v116, v116 offset:128
	s_waitcnt lgkmcnt(0)
	v_mul_f32_e32 v115, v115, v116
	scratch_store_b32 off, v115, off offset:128
.LBB118_137:
	s_or_b32 exec_lo, exec_lo, s0
	s_waitcnt_vscnt null, 0x0
	s_barrier
	buffer_gl0_inv
	scratch_load_b32 v115, off, off offset:132
	s_mov_b32 s0, exec_lo
	s_waitcnt vmcnt(0)
	ds_store_b32 v2, v115
	s_waitcnt lgkmcnt(0)
	s_barrier
	buffer_gl0_inv
	v_cmpx_gt_u32_e32 33, v0
	s_cbranch_execz .LBB118_141
; %bb.138:
	v_dual_mov_b32 v115, 0 :: v_dual_add_nc_u32 v116, -1, v0
	v_add_nc_u32_e32 v117, 0xe0, v113
	v_add_nc_u32_e32 v118, 0, v113
	s_mov_b32 s1, 0
.LBB118_139:                            ; =>This Inner Loop Header: Depth=1
	scratch_load_b32 v119, v118, off
	ds_load_b32 v120, v117
	v_add_nc_u32_e32 v116, 1, v116
	v_add_nc_u32_e32 v117, 4, v117
	v_add_nc_u32_e32 v118, 4, v118
	s_delay_alu instid0(VALU_DEP_3)
	v_cmp_lt_u32_e32 vcc_lo, 31, v116
	s_or_b32 s1, vcc_lo, s1
	s_waitcnt vmcnt(0) lgkmcnt(0)
	v_fmac_f32_e32 v115, v119, v120
	s_and_not1_b32 exec_lo, exec_lo, s1
	s_cbranch_execnz .LBB118_139
; %bb.140:
	s_or_b32 exec_lo, exec_lo, s1
	v_mov_b32_e32 v116, 0
	ds_load_b32 v116, v116 offset:132
	s_waitcnt lgkmcnt(0)
	v_mul_f32_e32 v115, v115, v116
	scratch_store_b32 off, v115, off offset:132
.LBB118_141:
	s_or_b32 exec_lo, exec_lo, s0
	s_waitcnt_vscnt null, 0x0
	s_barrier
	buffer_gl0_inv
	scratch_load_b32 v115, off, off offset:136
	s_mov_b32 s0, exec_lo
	s_waitcnt vmcnt(0)
	ds_store_b32 v2, v115
	s_waitcnt lgkmcnt(0)
	s_barrier
	buffer_gl0_inv
	v_cmpx_gt_u32_e32 34, v0
	s_cbranch_execz .LBB118_145
; %bb.142:
	v_dual_mov_b32 v115, 0 :: v_dual_add_nc_u32 v116, -1, v0
	v_add_nc_u32_e32 v117, 0xe0, v113
	v_add_nc_u32_e32 v118, 0, v113
	s_mov_b32 s1, 0
.LBB118_143:                            ; =>This Inner Loop Header: Depth=1
	scratch_load_b32 v119, v118, off
	ds_load_b32 v120, v117
	v_add_nc_u32_e32 v116, 1, v116
	v_add_nc_u32_e32 v117, 4, v117
	v_add_nc_u32_e32 v118, 4, v118
	s_delay_alu instid0(VALU_DEP_3)
	v_cmp_lt_u32_e32 vcc_lo, 32, v116
	s_or_b32 s1, vcc_lo, s1
	s_waitcnt vmcnt(0) lgkmcnt(0)
	v_fmac_f32_e32 v115, v119, v120
	s_and_not1_b32 exec_lo, exec_lo, s1
	s_cbranch_execnz .LBB118_143
; %bb.144:
	s_or_b32 exec_lo, exec_lo, s1
	v_mov_b32_e32 v116, 0
	ds_load_b32 v116, v116 offset:136
	s_waitcnt lgkmcnt(0)
	v_mul_f32_e32 v115, v115, v116
	scratch_store_b32 off, v115, off offset:136
.LBB118_145:
	s_or_b32 exec_lo, exec_lo, s0
	s_waitcnt_vscnt null, 0x0
	s_barrier
	buffer_gl0_inv
	scratch_load_b32 v115, off, off offset:140
	s_mov_b32 s0, exec_lo
	s_waitcnt vmcnt(0)
	ds_store_b32 v2, v115
	s_waitcnt lgkmcnt(0)
	s_barrier
	buffer_gl0_inv
	v_cmpx_gt_u32_e32 35, v0
	s_cbranch_execz .LBB118_149
; %bb.146:
	v_dual_mov_b32 v115, 0 :: v_dual_add_nc_u32 v116, -1, v0
	v_add_nc_u32_e32 v117, 0xe0, v113
	v_add_nc_u32_e32 v118, 0, v113
	s_mov_b32 s1, 0
.LBB118_147:                            ; =>This Inner Loop Header: Depth=1
	scratch_load_b32 v119, v118, off
	ds_load_b32 v120, v117
	v_add_nc_u32_e32 v116, 1, v116
	v_add_nc_u32_e32 v117, 4, v117
	v_add_nc_u32_e32 v118, 4, v118
	s_delay_alu instid0(VALU_DEP_3)
	v_cmp_lt_u32_e32 vcc_lo, 33, v116
	s_or_b32 s1, vcc_lo, s1
	s_waitcnt vmcnt(0) lgkmcnt(0)
	v_fmac_f32_e32 v115, v119, v120
	s_and_not1_b32 exec_lo, exec_lo, s1
	s_cbranch_execnz .LBB118_147
; %bb.148:
	s_or_b32 exec_lo, exec_lo, s1
	v_mov_b32_e32 v116, 0
	ds_load_b32 v116, v116 offset:140
	s_waitcnt lgkmcnt(0)
	v_mul_f32_e32 v115, v115, v116
	scratch_store_b32 off, v115, off offset:140
.LBB118_149:
	s_or_b32 exec_lo, exec_lo, s0
	s_waitcnt_vscnt null, 0x0
	s_barrier
	buffer_gl0_inv
	scratch_load_b32 v115, off, off offset:144
	s_mov_b32 s0, exec_lo
	s_waitcnt vmcnt(0)
	ds_store_b32 v2, v115
	s_waitcnt lgkmcnt(0)
	s_barrier
	buffer_gl0_inv
	v_cmpx_gt_u32_e32 36, v0
	s_cbranch_execz .LBB118_153
; %bb.150:
	v_dual_mov_b32 v115, 0 :: v_dual_add_nc_u32 v116, -1, v0
	v_add_nc_u32_e32 v117, 0xe0, v113
	v_add_nc_u32_e32 v118, 0, v113
	s_mov_b32 s1, 0
.LBB118_151:                            ; =>This Inner Loop Header: Depth=1
	scratch_load_b32 v119, v118, off
	ds_load_b32 v120, v117
	v_add_nc_u32_e32 v116, 1, v116
	v_add_nc_u32_e32 v117, 4, v117
	v_add_nc_u32_e32 v118, 4, v118
	s_delay_alu instid0(VALU_DEP_3)
	v_cmp_lt_u32_e32 vcc_lo, 34, v116
	s_or_b32 s1, vcc_lo, s1
	s_waitcnt vmcnt(0) lgkmcnt(0)
	v_fmac_f32_e32 v115, v119, v120
	s_and_not1_b32 exec_lo, exec_lo, s1
	s_cbranch_execnz .LBB118_151
; %bb.152:
	s_or_b32 exec_lo, exec_lo, s1
	v_mov_b32_e32 v116, 0
	ds_load_b32 v116, v116 offset:144
	s_waitcnt lgkmcnt(0)
	v_mul_f32_e32 v115, v115, v116
	scratch_store_b32 off, v115, off offset:144
.LBB118_153:
	s_or_b32 exec_lo, exec_lo, s0
	s_waitcnt_vscnt null, 0x0
	s_barrier
	buffer_gl0_inv
	scratch_load_b32 v115, off, off offset:148
	s_mov_b32 s0, exec_lo
	s_waitcnt vmcnt(0)
	ds_store_b32 v2, v115
	s_waitcnt lgkmcnt(0)
	s_barrier
	buffer_gl0_inv
	v_cmpx_gt_u32_e32 37, v0
	s_cbranch_execz .LBB118_157
; %bb.154:
	v_dual_mov_b32 v115, 0 :: v_dual_add_nc_u32 v116, -1, v0
	v_add_nc_u32_e32 v117, 0xe0, v113
	v_add_nc_u32_e32 v118, 0, v113
	s_mov_b32 s1, 0
.LBB118_155:                            ; =>This Inner Loop Header: Depth=1
	scratch_load_b32 v119, v118, off
	ds_load_b32 v120, v117
	v_add_nc_u32_e32 v116, 1, v116
	v_add_nc_u32_e32 v117, 4, v117
	v_add_nc_u32_e32 v118, 4, v118
	s_delay_alu instid0(VALU_DEP_3)
	v_cmp_lt_u32_e32 vcc_lo, 35, v116
	s_or_b32 s1, vcc_lo, s1
	s_waitcnt vmcnt(0) lgkmcnt(0)
	v_fmac_f32_e32 v115, v119, v120
	s_and_not1_b32 exec_lo, exec_lo, s1
	s_cbranch_execnz .LBB118_155
; %bb.156:
	s_or_b32 exec_lo, exec_lo, s1
	v_mov_b32_e32 v116, 0
	ds_load_b32 v116, v116 offset:148
	s_waitcnt lgkmcnt(0)
	v_mul_f32_e32 v115, v115, v116
	scratch_store_b32 off, v115, off offset:148
.LBB118_157:
	s_or_b32 exec_lo, exec_lo, s0
	s_waitcnt_vscnt null, 0x0
	s_barrier
	buffer_gl0_inv
	scratch_load_b32 v115, off, off offset:152
	s_mov_b32 s0, exec_lo
	s_waitcnt vmcnt(0)
	ds_store_b32 v2, v115
	s_waitcnt lgkmcnt(0)
	s_barrier
	buffer_gl0_inv
	v_cmpx_gt_u32_e32 38, v0
	s_cbranch_execz .LBB118_161
; %bb.158:
	v_dual_mov_b32 v115, 0 :: v_dual_add_nc_u32 v116, -1, v0
	v_add_nc_u32_e32 v117, 0xe0, v113
	v_add_nc_u32_e32 v118, 0, v113
	s_mov_b32 s1, 0
.LBB118_159:                            ; =>This Inner Loop Header: Depth=1
	scratch_load_b32 v119, v118, off
	ds_load_b32 v120, v117
	v_add_nc_u32_e32 v116, 1, v116
	v_add_nc_u32_e32 v117, 4, v117
	v_add_nc_u32_e32 v118, 4, v118
	s_delay_alu instid0(VALU_DEP_3)
	v_cmp_lt_u32_e32 vcc_lo, 36, v116
	s_or_b32 s1, vcc_lo, s1
	s_waitcnt vmcnt(0) lgkmcnt(0)
	v_fmac_f32_e32 v115, v119, v120
	s_and_not1_b32 exec_lo, exec_lo, s1
	s_cbranch_execnz .LBB118_159
; %bb.160:
	s_or_b32 exec_lo, exec_lo, s1
	v_mov_b32_e32 v116, 0
	ds_load_b32 v116, v116 offset:152
	s_waitcnt lgkmcnt(0)
	v_mul_f32_e32 v115, v115, v116
	scratch_store_b32 off, v115, off offset:152
.LBB118_161:
	s_or_b32 exec_lo, exec_lo, s0
	s_waitcnt_vscnt null, 0x0
	s_barrier
	buffer_gl0_inv
	scratch_load_b32 v115, off, off offset:156
	s_mov_b32 s0, exec_lo
	s_waitcnt vmcnt(0)
	ds_store_b32 v2, v115
	s_waitcnt lgkmcnt(0)
	s_barrier
	buffer_gl0_inv
	v_cmpx_gt_u32_e32 39, v0
	s_cbranch_execz .LBB118_165
; %bb.162:
	v_dual_mov_b32 v115, 0 :: v_dual_add_nc_u32 v116, -1, v0
	v_add_nc_u32_e32 v117, 0xe0, v113
	v_add_nc_u32_e32 v118, 0, v113
	s_mov_b32 s1, 0
.LBB118_163:                            ; =>This Inner Loop Header: Depth=1
	scratch_load_b32 v119, v118, off
	ds_load_b32 v120, v117
	v_add_nc_u32_e32 v116, 1, v116
	v_add_nc_u32_e32 v117, 4, v117
	v_add_nc_u32_e32 v118, 4, v118
	s_delay_alu instid0(VALU_DEP_3)
	v_cmp_lt_u32_e32 vcc_lo, 37, v116
	s_or_b32 s1, vcc_lo, s1
	s_waitcnt vmcnt(0) lgkmcnt(0)
	v_fmac_f32_e32 v115, v119, v120
	s_and_not1_b32 exec_lo, exec_lo, s1
	s_cbranch_execnz .LBB118_163
; %bb.164:
	s_or_b32 exec_lo, exec_lo, s1
	v_mov_b32_e32 v116, 0
	ds_load_b32 v116, v116 offset:156
	s_waitcnt lgkmcnt(0)
	v_mul_f32_e32 v115, v115, v116
	scratch_store_b32 off, v115, off offset:156
.LBB118_165:
	s_or_b32 exec_lo, exec_lo, s0
	s_waitcnt_vscnt null, 0x0
	s_barrier
	buffer_gl0_inv
	scratch_load_b32 v115, off, off offset:160
	s_mov_b32 s0, exec_lo
	s_waitcnt vmcnt(0)
	ds_store_b32 v2, v115
	s_waitcnt lgkmcnt(0)
	s_barrier
	buffer_gl0_inv
	v_cmpx_gt_u32_e32 40, v0
	s_cbranch_execz .LBB118_169
; %bb.166:
	v_dual_mov_b32 v115, 0 :: v_dual_add_nc_u32 v116, -1, v0
	v_add_nc_u32_e32 v117, 0xe0, v113
	v_add_nc_u32_e32 v118, 0, v113
	s_mov_b32 s1, 0
.LBB118_167:                            ; =>This Inner Loop Header: Depth=1
	scratch_load_b32 v119, v118, off
	ds_load_b32 v120, v117
	v_add_nc_u32_e32 v116, 1, v116
	v_add_nc_u32_e32 v117, 4, v117
	v_add_nc_u32_e32 v118, 4, v118
	s_delay_alu instid0(VALU_DEP_3)
	v_cmp_lt_u32_e32 vcc_lo, 38, v116
	s_or_b32 s1, vcc_lo, s1
	s_waitcnt vmcnt(0) lgkmcnt(0)
	v_fmac_f32_e32 v115, v119, v120
	s_and_not1_b32 exec_lo, exec_lo, s1
	s_cbranch_execnz .LBB118_167
; %bb.168:
	s_or_b32 exec_lo, exec_lo, s1
	v_mov_b32_e32 v116, 0
	ds_load_b32 v116, v116 offset:160
	s_waitcnt lgkmcnt(0)
	v_mul_f32_e32 v115, v115, v116
	scratch_store_b32 off, v115, off offset:160
.LBB118_169:
	s_or_b32 exec_lo, exec_lo, s0
	s_waitcnt_vscnt null, 0x0
	s_barrier
	buffer_gl0_inv
	scratch_load_b32 v115, off, off offset:164
	s_mov_b32 s0, exec_lo
	s_waitcnt vmcnt(0)
	ds_store_b32 v2, v115
	s_waitcnt lgkmcnt(0)
	s_barrier
	buffer_gl0_inv
	v_cmpx_gt_u32_e32 41, v0
	s_cbranch_execz .LBB118_173
; %bb.170:
	v_dual_mov_b32 v115, 0 :: v_dual_add_nc_u32 v116, -1, v0
	v_add_nc_u32_e32 v117, 0xe0, v113
	v_add_nc_u32_e32 v118, 0, v113
	s_mov_b32 s1, 0
.LBB118_171:                            ; =>This Inner Loop Header: Depth=1
	scratch_load_b32 v119, v118, off
	ds_load_b32 v120, v117
	v_add_nc_u32_e32 v116, 1, v116
	v_add_nc_u32_e32 v117, 4, v117
	v_add_nc_u32_e32 v118, 4, v118
	s_delay_alu instid0(VALU_DEP_3)
	v_cmp_lt_u32_e32 vcc_lo, 39, v116
	s_or_b32 s1, vcc_lo, s1
	s_waitcnt vmcnt(0) lgkmcnt(0)
	v_fmac_f32_e32 v115, v119, v120
	s_and_not1_b32 exec_lo, exec_lo, s1
	s_cbranch_execnz .LBB118_171
; %bb.172:
	s_or_b32 exec_lo, exec_lo, s1
	v_mov_b32_e32 v116, 0
	ds_load_b32 v116, v116 offset:164
	s_waitcnt lgkmcnt(0)
	v_mul_f32_e32 v115, v115, v116
	scratch_store_b32 off, v115, off offset:164
.LBB118_173:
	s_or_b32 exec_lo, exec_lo, s0
	s_waitcnt_vscnt null, 0x0
	s_barrier
	buffer_gl0_inv
	scratch_load_b32 v115, off, off offset:168
	s_mov_b32 s0, exec_lo
	s_waitcnt vmcnt(0)
	ds_store_b32 v2, v115
	s_waitcnt lgkmcnt(0)
	s_barrier
	buffer_gl0_inv
	v_cmpx_gt_u32_e32 42, v0
	s_cbranch_execz .LBB118_177
; %bb.174:
	v_dual_mov_b32 v115, 0 :: v_dual_add_nc_u32 v116, -1, v0
	v_add_nc_u32_e32 v117, 0xe0, v113
	v_add_nc_u32_e32 v118, 0, v113
	s_mov_b32 s1, 0
.LBB118_175:                            ; =>This Inner Loop Header: Depth=1
	scratch_load_b32 v119, v118, off
	ds_load_b32 v120, v117
	v_add_nc_u32_e32 v116, 1, v116
	v_add_nc_u32_e32 v117, 4, v117
	v_add_nc_u32_e32 v118, 4, v118
	s_delay_alu instid0(VALU_DEP_3)
	v_cmp_lt_u32_e32 vcc_lo, 40, v116
	s_or_b32 s1, vcc_lo, s1
	s_waitcnt vmcnt(0) lgkmcnt(0)
	v_fmac_f32_e32 v115, v119, v120
	s_and_not1_b32 exec_lo, exec_lo, s1
	s_cbranch_execnz .LBB118_175
; %bb.176:
	s_or_b32 exec_lo, exec_lo, s1
	v_mov_b32_e32 v116, 0
	ds_load_b32 v116, v116 offset:168
	s_waitcnt lgkmcnt(0)
	v_mul_f32_e32 v115, v115, v116
	scratch_store_b32 off, v115, off offset:168
.LBB118_177:
	s_or_b32 exec_lo, exec_lo, s0
	s_waitcnt_vscnt null, 0x0
	s_barrier
	buffer_gl0_inv
	scratch_load_b32 v115, off, off offset:172
	s_mov_b32 s0, exec_lo
	s_waitcnt vmcnt(0)
	ds_store_b32 v2, v115
	s_waitcnt lgkmcnt(0)
	s_barrier
	buffer_gl0_inv
	v_cmpx_gt_u32_e32 43, v0
	s_cbranch_execz .LBB118_181
; %bb.178:
	v_dual_mov_b32 v115, 0 :: v_dual_add_nc_u32 v116, -1, v0
	v_add_nc_u32_e32 v117, 0xe0, v113
	v_add_nc_u32_e32 v118, 0, v113
	s_mov_b32 s1, 0
.LBB118_179:                            ; =>This Inner Loop Header: Depth=1
	scratch_load_b32 v119, v118, off
	ds_load_b32 v120, v117
	v_add_nc_u32_e32 v116, 1, v116
	v_add_nc_u32_e32 v117, 4, v117
	v_add_nc_u32_e32 v118, 4, v118
	s_delay_alu instid0(VALU_DEP_3)
	v_cmp_lt_u32_e32 vcc_lo, 41, v116
	s_or_b32 s1, vcc_lo, s1
	s_waitcnt vmcnt(0) lgkmcnt(0)
	v_fmac_f32_e32 v115, v119, v120
	s_and_not1_b32 exec_lo, exec_lo, s1
	s_cbranch_execnz .LBB118_179
; %bb.180:
	s_or_b32 exec_lo, exec_lo, s1
	v_mov_b32_e32 v116, 0
	ds_load_b32 v116, v116 offset:172
	s_waitcnt lgkmcnt(0)
	v_mul_f32_e32 v115, v115, v116
	scratch_store_b32 off, v115, off offset:172
.LBB118_181:
	s_or_b32 exec_lo, exec_lo, s0
	s_waitcnt_vscnt null, 0x0
	s_barrier
	buffer_gl0_inv
	scratch_load_b32 v115, off, off offset:176
	s_mov_b32 s0, exec_lo
	s_waitcnt vmcnt(0)
	ds_store_b32 v2, v115
	s_waitcnt lgkmcnt(0)
	s_barrier
	buffer_gl0_inv
	v_cmpx_gt_u32_e32 44, v0
	s_cbranch_execz .LBB118_185
; %bb.182:
	v_dual_mov_b32 v115, 0 :: v_dual_add_nc_u32 v116, -1, v0
	v_add_nc_u32_e32 v117, 0xe0, v113
	v_add_nc_u32_e32 v118, 0, v113
	s_mov_b32 s1, 0
.LBB118_183:                            ; =>This Inner Loop Header: Depth=1
	scratch_load_b32 v119, v118, off
	ds_load_b32 v120, v117
	v_add_nc_u32_e32 v116, 1, v116
	v_add_nc_u32_e32 v117, 4, v117
	v_add_nc_u32_e32 v118, 4, v118
	s_delay_alu instid0(VALU_DEP_3)
	v_cmp_lt_u32_e32 vcc_lo, 42, v116
	s_or_b32 s1, vcc_lo, s1
	s_waitcnt vmcnt(0) lgkmcnt(0)
	v_fmac_f32_e32 v115, v119, v120
	s_and_not1_b32 exec_lo, exec_lo, s1
	s_cbranch_execnz .LBB118_183
; %bb.184:
	s_or_b32 exec_lo, exec_lo, s1
	v_mov_b32_e32 v116, 0
	ds_load_b32 v116, v116 offset:176
	s_waitcnt lgkmcnt(0)
	v_mul_f32_e32 v115, v115, v116
	scratch_store_b32 off, v115, off offset:176
.LBB118_185:
	s_or_b32 exec_lo, exec_lo, s0
	s_waitcnt_vscnt null, 0x0
	s_barrier
	buffer_gl0_inv
	scratch_load_b32 v115, off, off offset:180
	s_mov_b32 s0, exec_lo
	s_waitcnt vmcnt(0)
	ds_store_b32 v2, v115
	s_waitcnt lgkmcnt(0)
	s_barrier
	buffer_gl0_inv
	v_cmpx_gt_u32_e32 45, v0
	s_cbranch_execz .LBB118_189
; %bb.186:
	v_dual_mov_b32 v115, 0 :: v_dual_add_nc_u32 v116, -1, v0
	v_add_nc_u32_e32 v117, 0xe0, v113
	v_add_nc_u32_e32 v118, 0, v113
	s_mov_b32 s1, 0
.LBB118_187:                            ; =>This Inner Loop Header: Depth=1
	scratch_load_b32 v119, v118, off
	ds_load_b32 v120, v117
	v_add_nc_u32_e32 v116, 1, v116
	v_add_nc_u32_e32 v117, 4, v117
	v_add_nc_u32_e32 v118, 4, v118
	s_delay_alu instid0(VALU_DEP_3)
	v_cmp_lt_u32_e32 vcc_lo, 43, v116
	s_or_b32 s1, vcc_lo, s1
	s_waitcnt vmcnt(0) lgkmcnt(0)
	v_fmac_f32_e32 v115, v119, v120
	s_and_not1_b32 exec_lo, exec_lo, s1
	s_cbranch_execnz .LBB118_187
; %bb.188:
	s_or_b32 exec_lo, exec_lo, s1
	v_mov_b32_e32 v116, 0
	ds_load_b32 v116, v116 offset:180
	s_waitcnt lgkmcnt(0)
	v_mul_f32_e32 v115, v115, v116
	scratch_store_b32 off, v115, off offset:180
.LBB118_189:
	s_or_b32 exec_lo, exec_lo, s0
	s_waitcnt_vscnt null, 0x0
	s_barrier
	buffer_gl0_inv
	scratch_load_b32 v115, off, off offset:184
	s_mov_b32 s0, exec_lo
	s_waitcnt vmcnt(0)
	ds_store_b32 v2, v115
	s_waitcnt lgkmcnt(0)
	s_barrier
	buffer_gl0_inv
	v_cmpx_gt_u32_e32 46, v0
	s_cbranch_execz .LBB118_193
; %bb.190:
	v_dual_mov_b32 v115, 0 :: v_dual_add_nc_u32 v116, -1, v0
	v_add_nc_u32_e32 v117, 0xe0, v113
	v_add_nc_u32_e32 v118, 0, v113
	s_mov_b32 s1, 0
.LBB118_191:                            ; =>This Inner Loop Header: Depth=1
	scratch_load_b32 v119, v118, off
	ds_load_b32 v120, v117
	v_add_nc_u32_e32 v116, 1, v116
	v_add_nc_u32_e32 v117, 4, v117
	v_add_nc_u32_e32 v118, 4, v118
	s_delay_alu instid0(VALU_DEP_3)
	v_cmp_lt_u32_e32 vcc_lo, 44, v116
	s_or_b32 s1, vcc_lo, s1
	s_waitcnt vmcnt(0) lgkmcnt(0)
	v_fmac_f32_e32 v115, v119, v120
	s_and_not1_b32 exec_lo, exec_lo, s1
	s_cbranch_execnz .LBB118_191
; %bb.192:
	s_or_b32 exec_lo, exec_lo, s1
	v_mov_b32_e32 v116, 0
	ds_load_b32 v116, v116 offset:184
	s_waitcnt lgkmcnt(0)
	v_mul_f32_e32 v115, v115, v116
	scratch_store_b32 off, v115, off offset:184
.LBB118_193:
	s_or_b32 exec_lo, exec_lo, s0
	s_waitcnt_vscnt null, 0x0
	s_barrier
	buffer_gl0_inv
	scratch_load_b32 v115, off, off offset:188
	s_mov_b32 s0, exec_lo
	s_waitcnt vmcnt(0)
	ds_store_b32 v2, v115
	s_waitcnt lgkmcnt(0)
	s_barrier
	buffer_gl0_inv
	v_cmpx_gt_u32_e32 47, v0
	s_cbranch_execz .LBB118_197
; %bb.194:
	v_dual_mov_b32 v115, 0 :: v_dual_add_nc_u32 v116, -1, v0
	v_add_nc_u32_e32 v117, 0xe0, v113
	v_add_nc_u32_e32 v118, 0, v113
	s_mov_b32 s1, 0
.LBB118_195:                            ; =>This Inner Loop Header: Depth=1
	scratch_load_b32 v119, v118, off
	ds_load_b32 v120, v117
	v_add_nc_u32_e32 v116, 1, v116
	v_add_nc_u32_e32 v117, 4, v117
	v_add_nc_u32_e32 v118, 4, v118
	s_delay_alu instid0(VALU_DEP_3)
	v_cmp_lt_u32_e32 vcc_lo, 45, v116
	s_or_b32 s1, vcc_lo, s1
	s_waitcnt vmcnt(0) lgkmcnt(0)
	v_fmac_f32_e32 v115, v119, v120
	s_and_not1_b32 exec_lo, exec_lo, s1
	s_cbranch_execnz .LBB118_195
; %bb.196:
	s_or_b32 exec_lo, exec_lo, s1
	v_mov_b32_e32 v116, 0
	ds_load_b32 v116, v116 offset:188
	s_waitcnt lgkmcnt(0)
	v_mul_f32_e32 v115, v115, v116
	scratch_store_b32 off, v115, off offset:188
.LBB118_197:
	s_or_b32 exec_lo, exec_lo, s0
	s_waitcnt_vscnt null, 0x0
	s_barrier
	buffer_gl0_inv
	scratch_load_b32 v115, off, off offset:192
	s_mov_b32 s0, exec_lo
	s_waitcnt vmcnt(0)
	ds_store_b32 v2, v115
	s_waitcnt lgkmcnt(0)
	s_barrier
	buffer_gl0_inv
	v_cmpx_gt_u32_e32 48, v0
	s_cbranch_execz .LBB118_201
; %bb.198:
	v_dual_mov_b32 v115, 0 :: v_dual_add_nc_u32 v116, -1, v0
	v_add_nc_u32_e32 v117, 0xe0, v113
	v_add_nc_u32_e32 v118, 0, v113
	s_mov_b32 s1, 0
.LBB118_199:                            ; =>This Inner Loop Header: Depth=1
	scratch_load_b32 v119, v118, off
	ds_load_b32 v120, v117
	v_add_nc_u32_e32 v116, 1, v116
	v_add_nc_u32_e32 v117, 4, v117
	v_add_nc_u32_e32 v118, 4, v118
	s_delay_alu instid0(VALU_DEP_3)
	v_cmp_lt_u32_e32 vcc_lo, 46, v116
	s_or_b32 s1, vcc_lo, s1
	s_waitcnt vmcnt(0) lgkmcnt(0)
	v_fmac_f32_e32 v115, v119, v120
	s_and_not1_b32 exec_lo, exec_lo, s1
	s_cbranch_execnz .LBB118_199
; %bb.200:
	s_or_b32 exec_lo, exec_lo, s1
	v_mov_b32_e32 v116, 0
	ds_load_b32 v116, v116 offset:192
	s_waitcnt lgkmcnt(0)
	v_mul_f32_e32 v115, v115, v116
	scratch_store_b32 off, v115, off offset:192
.LBB118_201:
	s_or_b32 exec_lo, exec_lo, s0
	s_waitcnt_vscnt null, 0x0
	s_barrier
	buffer_gl0_inv
	scratch_load_b32 v115, off, off offset:196
	s_mov_b32 s0, exec_lo
	s_waitcnt vmcnt(0)
	ds_store_b32 v2, v115
	s_waitcnt lgkmcnt(0)
	s_barrier
	buffer_gl0_inv
	v_cmpx_gt_u32_e32 49, v0
	s_cbranch_execz .LBB118_205
; %bb.202:
	v_dual_mov_b32 v115, 0 :: v_dual_add_nc_u32 v116, -1, v0
	v_add_nc_u32_e32 v117, 0xe0, v113
	v_add_nc_u32_e32 v118, 0, v113
	s_mov_b32 s1, 0
.LBB118_203:                            ; =>This Inner Loop Header: Depth=1
	scratch_load_b32 v119, v118, off
	ds_load_b32 v120, v117
	v_add_nc_u32_e32 v116, 1, v116
	v_add_nc_u32_e32 v117, 4, v117
	v_add_nc_u32_e32 v118, 4, v118
	s_delay_alu instid0(VALU_DEP_3)
	v_cmp_lt_u32_e32 vcc_lo, 47, v116
	s_or_b32 s1, vcc_lo, s1
	s_waitcnt vmcnt(0) lgkmcnt(0)
	v_fmac_f32_e32 v115, v119, v120
	s_and_not1_b32 exec_lo, exec_lo, s1
	s_cbranch_execnz .LBB118_203
; %bb.204:
	s_or_b32 exec_lo, exec_lo, s1
	v_mov_b32_e32 v116, 0
	ds_load_b32 v116, v116 offset:196
	s_waitcnt lgkmcnt(0)
	v_mul_f32_e32 v115, v115, v116
	scratch_store_b32 off, v115, off offset:196
.LBB118_205:
	s_or_b32 exec_lo, exec_lo, s0
	s_waitcnt_vscnt null, 0x0
	s_barrier
	buffer_gl0_inv
	scratch_load_b32 v115, off, off offset:200
	s_mov_b32 s0, exec_lo
	s_waitcnt vmcnt(0)
	ds_store_b32 v2, v115
	s_waitcnt lgkmcnt(0)
	s_barrier
	buffer_gl0_inv
	v_cmpx_gt_u32_e32 50, v0
	s_cbranch_execz .LBB118_209
; %bb.206:
	v_dual_mov_b32 v115, 0 :: v_dual_add_nc_u32 v116, -1, v0
	v_add_nc_u32_e32 v117, 0xe0, v113
	v_add_nc_u32_e32 v118, 0, v113
	s_mov_b32 s1, 0
.LBB118_207:                            ; =>This Inner Loop Header: Depth=1
	scratch_load_b32 v119, v118, off
	ds_load_b32 v120, v117
	v_add_nc_u32_e32 v116, 1, v116
	v_add_nc_u32_e32 v117, 4, v117
	v_add_nc_u32_e32 v118, 4, v118
	s_delay_alu instid0(VALU_DEP_3)
	v_cmp_lt_u32_e32 vcc_lo, 48, v116
	s_or_b32 s1, vcc_lo, s1
	s_waitcnt vmcnt(0) lgkmcnt(0)
	v_fmac_f32_e32 v115, v119, v120
	s_and_not1_b32 exec_lo, exec_lo, s1
	s_cbranch_execnz .LBB118_207
; %bb.208:
	s_or_b32 exec_lo, exec_lo, s1
	v_mov_b32_e32 v116, 0
	ds_load_b32 v116, v116 offset:200
	s_waitcnt lgkmcnt(0)
	v_mul_f32_e32 v115, v115, v116
	scratch_store_b32 off, v115, off offset:200
.LBB118_209:
	s_or_b32 exec_lo, exec_lo, s0
	s_waitcnt_vscnt null, 0x0
	s_barrier
	buffer_gl0_inv
	scratch_load_b32 v115, off, off offset:204
	s_mov_b32 s0, exec_lo
	s_waitcnt vmcnt(0)
	ds_store_b32 v2, v115
	s_waitcnt lgkmcnt(0)
	s_barrier
	buffer_gl0_inv
	v_cmpx_gt_u32_e32 51, v0
	s_cbranch_execz .LBB118_213
; %bb.210:
	v_dual_mov_b32 v115, 0 :: v_dual_add_nc_u32 v116, -1, v0
	v_add_nc_u32_e32 v117, 0xe0, v113
	v_add_nc_u32_e32 v118, 0, v113
	s_mov_b32 s1, 0
.LBB118_211:                            ; =>This Inner Loop Header: Depth=1
	scratch_load_b32 v119, v118, off
	ds_load_b32 v120, v117
	v_add_nc_u32_e32 v116, 1, v116
	v_add_nc_u32_e32 v117, 4, v117
	v_add_nc_u32_e32 v118, 4, v118
	s_delay_alu instid0(VALU_DEP_3)
	v_cmp_lt_u32_e32 vcc_lo, 49, v116
	s_or_b32 s1, vcc_lo, s1
	s_waitcnt vmcnt(0) lgkmcnt(0)
	v_fmac_f32_e32 v115, v119, v120
	s_and_not1_b32 exec_lo, exec_lo, s1
	s_cbranch_execnz .LBB118_211
; %bb.212:
	s_or_b32 exec_lo, exec_lo, s1
	v_mov_b32_e32 v116, 0
	ds_load_b32 v116, v116 offset:204
	s_waitcnt lgkmcnt(0)
	v_mul_f32_e32 v115, v115, v116
	scratch_store_b32 off, v115, off offset:204
.LBB118_213:
	s_or_b32 exec_lo, exec_lo, s0
	s_waitcnt_vscnt null, 0x0
	s_barrier
	buffer_gl0_inv
	scratch_load_b32 v115, off, off offset:208
	s_mov_b32 s0, exec_lo
	s_waitcnt vmcnt(0)
	ds_store_b32 v2, v115
	s_waitcnt lgkmcnt(0)
	s_barrier
	buffer_gl0_inv
	v_cmpx_gt_u32_e32 52, v0
	s_cbranch_execz .LBB118_217
; %bb.214:
	v_dual_mov_b32 v115, 0 :: v_dual_add_nc_u32 v116, -1, v0
	v_add_nc_u32_e32 v117, 0xe0, v113
	v_add_nc_u32_e32 v118, 0, v113
	s_mov_b32 s1, 0
.LBB118_215:                            ; =>This Inner Loop Header: Depth=1
	scratch_load_b32 v119, v118, off
	ds_load_b32 v120, v117
	v_add_nc_u32_e32 v116, 1, v116
	v_add_nc_u32_e32 v117, 4, v117
	v_add_nc_u32_e32 v118, 4, v118
	s_delay_alu instid0(VALU_DEP_3)
	v_cmp_lt_u32_e32 vcc_lo, 50, v116
	s_or_b32 s1, vcc_lo, s1
	s_waitcnt vmcnt(0) lgkmcnt(0)
	v_fmac_f32_e32 v115, v119, v120
	s_and_not1_b32 exec_lo, exec_lo, s1
	s_cbranch_execnz .LBB118_215
; %bb.216:
	s_or_b32 exec_lo, exec_lo, s1
	v_mov_b32_e32 v116, 0
	ds_load_b32 v116, v116 offset:208
	s_waitcnt lgkmcnt(0)
	v_mul_f32_e32 v115, v115, v116
	scratch_store_b32 off, v115, off offset:208
.LBB118_217:
	s_or_b32 exec_lo, exec_lo, s0
	s_waitcnt_vscnt null, 0x0
	s_barrier
	buffer_gl0_inv
	scratch_load_b32 v115, off, off offset:212
	s_mov_b32 s0, exec_lo
	s_waitcnt vmcnt(0)
	ds_store_b32 v2, v115
	s_waitcnt lgkmcnt(0)
	s_barrier
	buffer_gl0_inv
	v_cmpx_gt_u32_e32 53, v0
	s_cbranch_execz .LBB118_221
; %bb.218:
	v_add_nc_u32_e32 v115, -1, v0
	v_add_nc_u32_e32 v116, 0xe0, v113
	v_add_nc_u32_e32 v117, 0, v113
	v_mov_b32_e32 v113, 0
	s_mov_b32 s1, 0
.LBB118_219:                            ; =>This Inner Loop Header: Depth=1
	scratch_load_b32 v118, v117, off
	ds_load_b32 v119, v116
	v_add_nc_u32_e32 v115, 1, v115
	v_add_nc_u32_e32 v116, 4, v116
	;; [unrolled: 1-line block ×3, first 2 shown]
	s_delay_alu instid0(VALU_DEP_3)
	v_cmp_lt_u32_e32 vcc_lo, 51, v115
	s_or_b32 s1, vcc_lo, s1
	s_waitcnt vmcnt(0) lgkmcnt(0)
	v_fmac_f32_e32 v113, v118, v119
	s_and_not1_b32 exec_lo, exec_lo, s1
	s_cbranch_execnz .LBB118_219
; %bb.220:
	s_or_b32 exec_lo, exec_lo, s1
	v_mov_b32_e32 v115, 0
	ds_load_b32 v115, v115 offset:212
	s_waitcnt lgkmcnt(0)
	v_mul_f32_e32 v113, v113, v115
	scratch_store_b32 off, v113, off offset:212
.LBB118_221:
	s_or_b32 exec_lo, exec_lo, s0
	s_waitcnt_vscnt null, 0x0
	s_barrier
	buffer_gl0_inv
	scratch_load_b32 v113, off, off offset:216
	s_mov_b32 s0, exec_lo
	s_waitcnt vmcnt(0)
	ds_store_b32 v2, v113
	s_waitcnt lgkmcnt(0)
	s_barrier
	buffer_gl0_inv
	v_cmpx_ne_u32_e32 54, v0
	s_cbranch_execz .LBB118_225
; %bb.222:
	v_mov_b32_e32 v113, 0
	s_mov_b32 s1, 0
.LBB118_223:                            ; =>This Inner Loop Header: Depth=1
	scratch_load_b32 v115, v1, off
	ds_load_b32 v116, v2
	v_add_nc_u32_e32 v114, 1, v114
	v_add_nc_u32_e32 v2, 4, v2
	;; [unrolled: 1-line block ×3, first 2 shown]
	s_waitcnt vmcnt(0) lgkmcnt(0)
	v_fmac_f32_e32 v113, v115, v116
	v_cmp_lt_u32_e32 vcc_lo, 52, v114
	s_or_b32 s1, vcc_lo, s1
	s_delay_alu instid0(SALU_CYCLE_1)
	s_and_not1_b32 exec_lo, exec_lo, s1
	s_cbranch_execnz .LBB118_223
; %bb.224:
	s_or_b32 exec_lo, exec_lo, s1
	v_mov_b32_e32 v1, 0
	ds_load_b32 v1, v1 offset:216
	s_waitcnt lgkmcnt(0)
	v_mul_f32_e32 v1, v113, v1
	scratch_store_b32 off, v1, off offset:216
.LBB118_225:
	s_or_b32 exec_lo, exec_lo, s0
	s_mov_b32 s1, -1
	s_waitcnt_vscnt null, 0x0
	s_barrier
	buffer_gl0_inv
.LBB118_226:
	s_and_b32 vcc_lo, exec_lo, s1
	s_cbranch_vccz .LBB118_228
; %bb.227:
	s_lshl_b64 s[0:1], s[8:9], 2
	v_mov_b32_e32 v1, 0
	s_add_u32 s0, s6, s0
	s_addc_u32 s1, s7, s1
	global_load_b32 v1, v1, s[0:1]
	s_waitcnt vmcnt(0)
	v_cmp_ne_u32_e32 vcc_lo, 0, v1
	s_cbranch_vccz .LBB118_229
.LBB118_228:
	s_endpgm
.LBB118_229:
	v_lshl_add_u32 v1, v0, 2, 0xe0
	s_mov_b32 s0, exec_lo
	v_cmpx_eq_u32_e32 54, v0
	s_cbranch_execz .LBB118_231
; %bb.230:
	scratch_load_b32 v2, off, off offset:212
	v_mov_b32_e32 v113, 0
	scratch_store_b32 off, v113, off offset:212
	s_waitcnt vmcnt(0)
	ds_store_b32 v1, v2
.LBB118_231:
	s_or_b32 exec_lo, exec_lo, s0
	s_waitcnt lgkmcnt(0)
	s_waitcnt_vscnt null, 0x0
	s_barrier
	buffer_gl0_inv
	scratch_load_b64 v[113:114], off, off offset:212
	v_mov_b32_e32 v2, 0
	s_mov_b32 s0, exec_lo
	ds_load_b32 v115, v2 offset:440
	s_waitcnt vmcnt(0) lgkmcnt(0)
	v_fma_f32 v114, v114, v115, 0
	s_delay_alu instid0(VALU_DEP_1)
	v_sub_f32_e32 v113, v113, v114
	scratch_store_b32 off, v113, off offset:212
	v_cmpx_lt_u32_e32 52, v0
	s_cbranch_execz .LBB118_233
; %bb.232:
	scratch_load_b32 v113, off, off offset:208
	scratch_store_b32 off, v2, off offset:208
	s_waitcnt vmcnt(0)
	ds_store_b32 v1, v113
.LBB118_233:
	s_or_b32 exec_lo, exec_lo, s0
	s_waitcnt lgkmcnt(0)
	s_waitcnt_vscnt null, 0x0
	s_barrier
	buffer_gl0_inv
	scratch_load_b96 v[113:115], off, off offset:208
	ds_load_2addr_b32 v[116:117], v2 offset0:109 offset1:110
	s_mov_b32 s0, exec_lo
	s_waitcnt vmcnt(0) lgkmcnt(0)
	v_fma_f32 v2, v114, v116, 0
	s_delay_alu instid0(VALU_DEP_1) | instskip(NEXT) | instid1(VALU_DEP_1)
	v_fmac_f32_e32 v2, v115, v117
	v_sub_f32_e32 v2, v113, v2
	scratch_store_b32 off, v2, off offset:208
	v_cmpx_lt_u32_e32 51, v0
	s_cbranch_execz .LBB118_235
; %bb.234:
	scratch_load_b32 v2, off, off offset:204
	v_mov_b32_e32 v113, 0
	scratch_store_b32 off, v113, off offset:204
	s_waitcnt vmcnt(0)
	ds_store_b32 v1, v2
.LBB118_235:
	s_or_b32 exec_lo, exec_lo, s0
	s_waitcnt lgkmcnt(0)
	s_waitcnt_vscnt null, 0x0
	s_barrier
	buffer_gl0_inv
	scratch_load_b128 v[113:116], off, off offset:204
	v_mov_b32_e32 v2, 0
	s_mov_b32 s0, exec_lo
	ds_load_b96 v[117:119], v2 offset:432
	s_waitcnt vmcnt(0) lgkmcnt(0)
	v_fma_f32 v114, v114, v117, 0
	s_delay_alu instid0(VALU_DEP_1) | instskip(NEXT) | instid1(VALU_DEP_1)
	v_fmac_f32_e32 v114, v115, v118
	v_fmac_f32_e32 v114, v116, v119
	s_delay_alu instid0(VALU_DEP_1)
	v_sub_f32_e32 v113, v113, v114
	scratch_store_b32 off, v113, off offset:204
	v_cmpx_lt_u32_e32 50, v0
	s_cbranch_execz .LBB118_237
; %bb.236:
	scratch_load_b32 v113, off, off offset:200
	scratch_store_b32 off, v2, off offset:200
	s_waitcnt vmcnt(0)
	ds_store_b32 v1, v113
.LBB118_237:
	s_or_b32 exec_lo, exec_lo, s0
	s_waitcnt lgkmcnt(0)
	s_waitcnt_vscnt null, 0x0
	s_barrier
	buffer_gl0_inv
	s_clause 0x1
	scratch_load_b128 v[113:116], off, off offset:200
	scratch_load_b32 v121, off, off offset:216
	ds_load_2addr_b32 v[117:118], v2 offset0:107 offset1:108
	ds_load_2addr_b32 v[119:120], v2 offset0:109 offset1:110
	s_mov_b32 s0, exec_lo
	s_waitcnt vmcnt(1) lgkmcnt(1)
	v_fma_f32 v2, v114, v117, 0
	s_delay_alu instid0(VALU_DEP_1) | instskip(SKIP_1) | instid1(VALU_DEP_1)
	v_fmac_f32_e32 v2, v115, v118
	s_waitcnt lgkmcnt(0)
	v_fmac_f32_e32 v2, v116, v119
	s_waitcnt vmcnt(0)
	s_delay_alu instid0(VALU_DEP_1) | instskip(NEXT) | instid1(VALU_DEP_1)
	v_fmac_f32_e32 v2, v121, v120
	v_sub_f32_e32 v2, v113, v2
	scratch_store_b32 off, v2, off offset:200
	v_cmpx_lt_u32_e32 49, v0
	s_cbranch_execz .LBB118_239
; %bb.238:
	scratch_load_b32 v2, off, off offset:196
	v_mov_b32_e32 v113, 0
	scratch_store_b32 off, v113, off offset:196
	s_waitcnt vmcnt(0)
	ds_store_b32 v1, v2
.LBB118_239:
	s_or_b32 exec_lo, exec_lo, s0
	s_waitcnt lgkmcnt(0)
	s_waitcnt_vscnt null, 0x0
	s_barrier
	buffer_gl0_inv
	s_clause 0x1
	scratch_load_b128 v[113:116], off, off offset:196
	scratch_load_b64 v[121:122], off, off offset:212
	v_mov_b32_e32 v2, 0
	ds_load_2addr_b64 v[117:120], v2 offset0:53 offset1:54
	ds_load_b32 v123, v2 offset:440
	s_mov_b32 s0, exec_lo
	s_waitcnt vmcnt(1) lgkmcnt(1)
	v_fma_f32 v114, v114, v117, 0
	s_delay_alu instid0(VALU_DEP_1) | instskip(NEXT) | instid1(VALU_DEP_1)
	v_fmac_f32_e32 v114, v115, v118
	v_fmac_f32_e32 v114, v116, v119
	s_waitcnt vmcnt(0)
	s_delay_alu instid0(VALU_DEP_1) | instskip(SKIP_1) | instid1(VALU_DEP_1)
	v_fmac_f32_e32 v114, v121, v120
	s_waitcnt lgkmcnt(0)
	v_fmac_f32_e32 v114, v122, v123
	s_delay_alu instid0(VALU_DEP_1)
	v_sub_f32_e32 v113, v113, v114
	scratch_store_b32 off, v113, off offset:196
	v_cmpx_lt_u32_e32 48, v0
	s_cbranch_execz .LBB118_241
; %bb.240:
	scratch_load_b32 v113, off, off offset:192
	scratch_store_b32 off, v2, off offset:192
	s_waitcnt vmcnt(0)
	ds_store_b32 v1, v113
.LBB118_241:
	s_or_b32 exec_lo, exec_lo, s0
	s_waitcnt lgkmcnt(0)
	s_waitcnt_vscnt null, 0x0
	s_barrier
	buffer_gl0_inv
	s_clause 0x1
	scratch_load_b128 v[113:116], off, off offset:192
	scratch_load_b96 v[117:119], off, off offset:208
	ds_load_2addr_b32 v[120:121], v2 offset0:105 offset1:106
	ds_load_2addr_b32 v[122:123], v2 offset0:107 offset1:108
	;; [unrolled: 1-line block ×3, first 2 shown]
	s_mov_b32 s0, exec_lo
	s_waitcnt vmcnt(1) lgkmcnt(2)
	v_fma_f32 v2, v114, v120, 0
	s_delay_alu instid0(VALU_DEP_1) | instskip(SKIP_1) | instid1(VALU_DEP_1)
	v_fmac_f32_e32 v2, v115, v121
	s_waitcnt lgkmcnt(1)
	v_fmac_f32_e32 v2, v116, v122
	s_waitcnt vmcnt(0)
	s_delay_alu instid0(VALU_DEP_1) | instskip(SKIP_1) | instid1(VALU_DEP_1)
	v_fmac_f32_e32 v2, v117, v123
	s_waitcnt lgkmcnt(0)
	v_fmac_f32_e32 v2, v118, v124
	s_delay_alu instid0(VALU_DEP_1) | instskip(NEXT) | instid1(VALU_DEP_1)
	v_fmac_f32_e32 v2, v119, v125
	v_sub_f32_e32 v2, v113, v2
	scratch_store_b32 off, v2, off offset:192
	v_cmpx_lt_u32_e32 47, v0
	s_cbranch_execz .LBB118_243
; %bb.242:
	scratch_load_b32 v2, off, off offset:188
	v_mov_b32_e32 v113, 0
	scratch_store_b32 off, v113, off offset:188
	s_waitcnt vmcnt(0)
	ds_store_b32 v1, v2
.LBB118_243:
	s_or_b32 exec_lo, exec_lo, s0
	s_waitcnt lgkmcnt(0)
	s_waitcnt_vscnt null, 0x0
	s_barrier
	buffer_gl0_inv
	s_clause 0x1
	scratch_load_b128 v[113:116], off, off offset:188
	scratch_load_b128 v[117:120], off, off offset:204
	v_mov_b32_e32 v2, 0
	ds_load_b128 v[121:124], v2 offset:416
	ds_load_b96 v[125:127], v2 offset:432
	s_mov_b32 s0, exec_lo
	s_waitcnt vmcnt(1) lgkmcnt(1)
	v_fma_f32 v114, v114, v121, 0
	s_delay_alu instid0(VALU_DEP_1) | instskip(NEXT) | instid1(VALU_DEP_1)
	v_fmac_f32_e32 v114, v115, v122
	v_fmac_f32_e32 v114, v116, v123
	s_waitcnt vmcnt(0)
	s_delay_alu instid0(VALU_DEP_1) | instskip(SKIP_1) | instid1(VALU_DEP_1)
	v_fmac_f32_e32 v114, v117, v124
	s_waitcnt lgkmcnt(0)
	v_fmac_f32_e32 v114, v118, v125
	s_delay_alu instid0(VALU_DEP_1) | instskip(NEXT) | instid1(VALU_DEP_1)
	v_fmac_f32_e32 v114, v119, v126
	v_fmac_f32_e32 v114, v120, v127
	s_delay_alu instid0(VALU_DEP_1)
	v_sub_f32_e32 v113, v113, v114
	scratch_store_b32 off, v113, off offset:188
	v_cmpx_lt_u32_e32 46, v0
	s_cbranch_execz .LBB118_245
; %bb.244:
	scratch_load_b32 v113, off, off offset:184
	scratch_store_b32 off, v2, off offset:184
	s_waitcnt vmcnt(0)
	ds_store_b32 v1, v113
.LBB118_245:
	s_or_b32 exec_lo, exec_lo, s0
	s_waitcnt lgkmcnt(0)
	s_waitcnt_vscnt null, 0x0
	s_barrier
	buffer_gl0_inv
	s_clause 0x2
	scratch_load_b128 v[113:116], off, off offset:184
	scratch_load_b128 v[117:120], off, off offset:200
	scratch_load_b32 v129, off, off offset:216
	ds_load_2addr_b32 v[121:122], v2 offset0:103 offset1:104
	ds_load_2addr_b32 v[123:124], v2 offset0:105 offset1:106
	;; [unrolled: 1-line block ×4, first 2 shown]
	s_mov_b32 s0, exec_lo
	s_waitcnt vmcnt(2) lgkmcnt(3)
	v_fma_f32 v2, v114, v121, 0
	s_delay_alu instid0(VALU_DEP_1) | instskip(SKIP_1) | instid1(VALU_DEP_1)
	v_fmac_f32_e32 v2, v115, v122
	s_waitcnt lgkmcnt(2)
	v_fmac_f32_e32 v2, v116, v123
	s_waitcnt vmcnt(1)
	s_delay_alu instid0(VALU_DEP_1) | instskip(SKIP_1) | instid1(VALU_DEP_1)
	v_fmac_f32_e32 v2, v117, v124
	s_waitcnt lgkmcnt(1)
	v_fmac_f32_e32 v2, v118, v125
	s_delay_alu instid0(VALU_DEP_1) | instskip(SKIP_1) | instid1(VALU_DEP_1)
	v_fmac_f32_e32 v2, v119, v126
	s_waitcnt lgkmcnt(0)
	v_fmac_f32_e32 v2, v120, v127
	s_waitcnt vmcnt(0)
	s_delay_alu instid0(VALU_DEP_1) | instskip(NEXT) | instid1(VALU_DEP_1)
	v_fmac_f32_e32 v2, v129, v128
	v_sub_f32_e32 v2, v113, v2
	scratch_store_b32 off, v2, off offset:184
	v_cmpx_lt_u32_e32 45, v0
	s_cbranch_execz .LBB118_247
; %bb.246:
	scratch_load_b32 v2, off, off offset:180
	v_mov_b32_e32 v113, 0
	scratch_store_b32 off, v113, off offset:180
	s_waitcnt vmcnt(0)
	ds_store_b32 v1, v2
.LBB118_247:
	s_or_b32 exec_lo, exec_lo, s0
	s_waitcnt lgkmcnt(0)
	s_waitcnt_vscnt null, 0x0
	s_barrier
	buffer_gl0_inv
	s_clause 0x2
	scratch_load_b128 v[113:116], off, off offset:180
	scratch_load_b128 v[117:120], off, off offset:196
	scratch_load_b64 v[129:130], off, off offset:212
	v_mov_b32_e32 v2, 0
	ds_load_2addr_b64 v[121:124], v2 offset0:51 offset1:52
	ds_load_2addr_b64 v[125:128], v2 offset0:53 offset1:54
	s_mov_b32 s0, exec_lo
	s_waitcnt vmcnt(2) lgkmcnt(1)
	v_fma_f32 v114, v114, v121, 0
	s_delay_alu instid0(VALU_DEP_1) | instskip(SKIP_3) | instid1(VALU_DEP_1)
	v_fmac_f32_e32 v114, v115, v122
	ds_load_b32 v115, v2 offset:440
	v_fmac_f32_e32 v114, v116, v123
	s_waitcnt vmcnt(1)
	v_fmac_f32_e32 v114, v117, v124
	s_waitcnt lgkmcnt(1)
	s_delay_alu instid0(VALU_DEP_1) | instskip(NEXT) | instid1(VALU_DEP_1)
	v_fmac_f32_e32 v114, v118, v125
	v_fmac_f32_e32 v114, v119, v126
	s_delay_alu instid0(VALU_DEP_1) | instskip(SKIP_1) | instid1(VALU_DEP_1)
	v_fmac_f32_e32 v114, v120, v127
	s_waitcnt vmcnt(0)
	v_fmac_f32_e32 v114, v129, v128
	s_waitcnt lgkmcnt(0)
	s_delay_alu instid0(VALU_DEP_1) | instskip(NEXT) | instid1(VALU_DEP_1)
	v_fmac_f32_e32 v114, v130, v115
	v_sub_f32_e32 v113, v113, v114
	scratch_store_b32 off, v113, off offset:180
	v_cmpx_lt_u32_e32 44, v0
	s_cbranch_execz .LBB118_249
; %bb.248:
	scratch_load_b32 v113, off, off offset:176
	scratch_store_b32 off, v2, off offset:176
	s_waitcnt vmcnt(0)
	ds_store_b32 v1, v113
.LBB118_249:
	s_or_b32 exec_lo, exec_lo, s0
	s_waitcnt lgkmcnt(0)
	s_waitcnt_vscnt null, 0x0
	s_barrier
	buffer_gl0_inv
	s_clause 0x2
	scratch_load_b128 v[113:116], off, off offset:176
	scratch_load_b128 v[117:120], off, off offset:192
	scratch_load_b96 v[121:123], off, off offset:208
	ds_load_2addr_b32 v[124:125], v2 offset0:101 offset1:102
	ds_load_2addr_b32 v[126:127], v2 offset0:103 offset1:104
	;; [unrolled: 1-line block ×4, first 2 shown]
	s_mov_b32 s0, exec_lo
	s_waitcnt vmcnt(2) lgkmcnt(3)
	v_fma_f32 v124, v114, v124, 0
	s_delay_alu instid0(VALU_DEP_1) | instskip(SKIP_4) | instid1(VALU_DEP_1)
	v_fmac_f32_e32 v124, v115, v125
	ds_load_2addr_b32 v[114:115], v2 offset0:109 offset1:110
	s_waitcnt lgkmcnt(3)
	v_fmac_f32_e32 v124, v116, v126
	s_waitcnt vmcnt(1)
	v_fmac_f32_e32 v124, v117, v127
	s_waitcnt lgkmcnt(2)
	s_delay_alu instid0(VALU_DEP_1) | instskip(NEXT) | instid1(VALU_DEP_1)
	v_fmac_f32_e32 v124, v118, v128
	v_fmac_f32_e32 v124, v119, v129
	s_waitcnt lgkmcnt(1)
	s_delay_alu instid0(VALU_DEP_1) | instskip(SKIP_1) | instid1(VALU_DEP_1)
	v_fmac_f32_e32 v124, v120, v130
	s_waitcnt vmcnt(0)
	v_fmac_f32_e32 v124, v121, v131
	s_waitcnt lgkmcnt(0)
	s_delay_alu instid0(VALU_DEP_1) | instskip(NEXT) | instid1(VALU_DEP_1)
	v_fmac_f32_e32 v124, v122, v114
	v_fmac_f32_e32 v124, v123, v115
	s_delay_alu instid0(VALU_DEP_1)
	v_sub_f32_e32 v2, v113, v124
	scratch_store_b32 off, v2, off offset:176
	v_cmpx_lt_u32_e32 43, v0
	s_cbranch_execz .LBB118_251
; %bb.250:
	scratch_load_b32 v2, off, off offset:172
	v_mov_b32_e32 v113, 0
	scratch_store_b32 off, v113, off offset:172
	s_waitcnt vmcnt(0)
	ds_store_b32 v1, v2
.LBB118_251:
	s_or_b32 exec_lo, exec_lo, s0
	s_waitcnt lgkmcnt(0)
	s_waitcnt_vscnt null, 0x0
	s_barrier
	buffer_gl0_inv
	s_clause 0x2
	scratch_load_b128 v[113:116], off, off offset:172
	scratch_load_b128 v[117:120], off, off offset:188
	;; [unrolled: 1-line block ×3, first 2 shown]
	v_mov_b32_e32 v2, 0
	ds_load_b128 v[125:128], v2 offset:400
	ds_load_b128 v[129:132], v2 offset:416
	s_mov_b32 s0, exec_lo
	s_waitcnt vmcnt(2) lgkmcnt(1)
	v_fma_f32 v125, v114, v125, 0
	s_delay_alu instid0(VALU_DEP_1) | instskip(NEXT) | instid1(VALU_DEP_1)
	v_fmac_f32_e32 v125, v115, v126
	v_fmac_f32_e32 v125, v116, v127
	ds_load_b96 v[114:116], v2 offset:432
	s_waitcnt vmcnt(1)
	v_fmac_f32_e32 v125, v117, v128
	s_waitcnt lgkmcnt(1)
	s_delay_alu instid0(VALU_DEP_1) | instskip(NEXT) | instid1(VALU_DEP_1)
	v_fmac_f32_e32 v125, v118, v129
	v_fmac_f32_e32 v125, v119, v130
	s_delay_alu instid0(VALU_DEP_1) | instskip(SKIP_1) | instid1(VALU_DEP_1)
	v_fmac_f32_e32 v125, v120, v131
	s_waitcnt vmcnt(0)
	v_fmac_f32_e32 v125, v121, v132
	s_waitcnt lgkmcnt(0)
	s_delay_alu instid0(VALU_DEP_1) | instskip(NEXT) | instid1(VALU_DEP_1)
	v_fmac_f32_e32 v125, v122, v114
	v_fmac_f32_e32 v125, v123, v115
	s_delay_alu instid0(VALU_DEP_1) | instskip(NEXT) | instid1(VALU_DEP_1)
	v_fmac_f32_e32 v125, v124, v116
	v_sub_f32_e32 v113, v113, v125
	scratch_store_b32 off, v113, off offset:172
	v_cmpx_lt_u32_e32 42, v0
	s_cbranch_execz .LBB118_253
; %bb.252:
	scratch_load_b32 v113, off, off offset:168
	scratch_store_b32 off, v2, off offset:168
	s_waitcnt vmcnt(0)
	ds_store_b32 v1, v113
.LBB118_253:
	s_or_b32 exec_lo, exec_lo, s0
	s_waitcnt lgkmcnt(0)
	s_waitcnt_vscnt null, 0x0
	s_barrier
	buffer_gl0_inv
	s_clause 0x3
	scratch_load_b128 v[113:116], off, off offset:168
	scratch_load_b128 v[117:120], off, off offset:184
	;; [unrolled: 1-line block ×3, first 2 shown]
	scratch_load_b32 v133, off, off offset:216
	ds_load_2addr_b32 v[125:126], v2 offset0:99 offset1:100
	ds_load_2addr_b32 v[127:128], v2 offset0:101 offset1:102
	;; [unrolled: 1-line block ×4, first 2 shown]
	s_mov_b32 s0, exec_lo
	s_waitcnt vmcnt(3) lgkmcnt(3)
	v_fma_f32 v125, v114, v125, 0
	s_delay_alu instid0(VALU_DEP_1) | instskip(SKIP_4) | instid1(VALU_DEP_1)
	v_fmac_f32_e32 v125, v115, v126
	ds_load_2addr_b32 v[114:115], v2 offset0:107 offset1:108
	s_waitcnt lgkmcnt(3)
	v_fmac_f32_e32 v125, v116, v127
	s_waitcnt vmcnt(2)
	v_fmac_f32_e32 v125, v117, v128
	ds_load_2addr_b32 v[116:117], v2 offset0:109 offset1:110
	s_waitcnt lgkmcnt(3)
	v_fmac_f32_e32 v125, v118, v129
	s_delay_alu instid0(VALU_DEP_1) | instskip(SKIP_1) | instid1(VALU_DEP_1)
	v_fmac_f32_e32 v125, v119, v130
	s_waitcnt lgkmcnt(2)
	v_fmac_f32_e32 v125, v120, v131
	s_waitcnt vmcnt(1)
	s_delay_alu instid0(VALU_DEP_1) | instskip(SKIP_1) | instid1(VALU_DEP_1)
	v_fmac_f32_e32 v125, v121, v132
	s_waitcnt lgkmcnt(1)
	v_fmac_f32_e32 v125, v122, v114
	s_delay_alu instid0(VALU_DEP_1) | instskip(SKIP_1) | instid1(VALU_DEP_1)
	v_fmac_f32_e32 v125, v123, v115
	s_waitcnt lgkmcnt(0)
	v_fmac_f32_e32 v125, v124, v116
	s_waitcnt vmcnt(0)
	s_delay_alu instid0(VALU_DEP_1) | instskip(NEXT) | instid1(VALU_DEP_1)
	v_fmac_f32_e32 v125, v133, v117
	v_sub_f32_e32 v2, v113, v125
	scratch_store_b32 off, v2, off offset:168
	v_cmpx_lt_u32_e32 41, v0
	s_cbranch_execz .LBB118_255
; %bb.254:
	scratch_load_b32 v2, off, off offset:164
	v_mov_b32_e32 v113, 0
	scratch_store_b32 off, v113, off offset:164
	s_waitcnt vmcnt(0)
	ds_store_b32 v1, v2
.LBB118_255:
	s_or_b32 exec_lo, exec_lo, s0
	s_waitcnt lgkmcnt(0)
	s_waitcnt_vscnt null, 0x0
	s_barrier
	buffer_gl0_inv
	s_clause 0x3
	scratch_load_b128 v[113:116], off, off offset:164
	scratch_load_b128 v[117:120], off, off offset:180
	;; [unrolled: 1-line block ×3, first 2 shown]
	scratch_load_b64 v[133:134], off, off offset:212
	v_mov_b32_e32 v2, 0
	ds_load_2addr_b64 v[125:128], v2 offset0:49 offset1:50
	ds_load_2addr_b64 v[129:132], v2 offset0:51 offset1:52
	s_mov_b32 s0, exec_lo
	s_waitcnt vmcnt(3) lgkmcnt(1)
	v_fma_f32 v125, v114, v125, 0
	s_delay_alu instid0(VALU_DEP_1) | instskip(NEXT) | instid1(VALU_DEP_1)
	v_fmac_f32_e32 v125, v115, v126
	v_fmac_f32_e32 v125, v116, v127
	s_waitcnt vmcnt(2)
	s_delay_alu instid0(VALU_DEP_1)
	v_fmac_f32_e32 v125, v117, v128
	ds_load_2addr_b64 v[114:117], v2 offset0:53 offset1:54
	s_waitcnt lgkmcnt(1)
	v_fmac_f32_e32 v125, v118, v129
	ds_load_b32 v118, v2 offset:440
	v_fmac_f32_e32 v125, v119, v130
	s_delay_alu instid0(VALU_DEP_1) | instskip(SKIP_1) | instid1(VALU_DEP_1)
	v_fmac_f32_e32 v125, v120, v131
	s_waitcnt vmcnt(1)
	v_fmac_f32_e32 v125, v121, v132
	s_waitcnt lgkmcnt(1)
	s_delay_alu instid0(VALU_DEP_1) | instskip(NEXT) | instid1(VALU_DEP_1)
	v_fmac_f32_e32 v125, v122, v114
	v_fmac_f32_e32 v125, v123, v115
	s_delay_alu instid0(VALU_DEP_1) | instskip(SKIP_1) | instid1(VALU_DEP_1)
	v_fmac_f32_e32 v125, v124, v116
	s_waitcnt vmcnt(0)
	v_fmac_f32_e32 v125, v133, v117
	s_waitcnt lgkmcnt(0)
	s_delay_alu instid0(VALU_DEP_1) | instskip(NEXT) | instid1(VALU_DEP_1)
	v_fmac_f32_e32 v125, v134, v118
	v_sub_f32_e32 v113, v113, v125
	scratch_store_b32 off, v113, off offset:164
	v_cmpx_lt_u32_e32 40, v0
	s_cbranch_execz .LBB118_257
; %bb.256:
	scratch_load_b32 v113, off, off offset:160
	scratch_store_b32 off, v2, off offset:160
	s_waitcnt vmcnt(0)
	ds_store_b32 v1, v113
.LBB118_257:
	s_or_b32 exec_lo, exec_lo, s0
	s_waitcnt lgkmcnt(0)
	s_waitcnt_vscnt null, 0x0
	s_barrier
	buffer_gl0_inv
	s_clause 0x3
	scratch_load_b128 v[113:116], off, off offset:160
	scratch_load_b128 v[117:120], off, off offset:176
	scratch_load_b128 v[121:124], off, off offset:192
	scratch_load_b96 v[125:127], off, off offset:208
	ds_load_2addr_b32 v[128:129], v2 offset0:97 offset1:98
	ds_load_2addr_b32 v[130:131], v2 offset0:99 offset1:100
	;; [unrolled: 1-line block ×4, first 2 shown]
	s_mov_b32 s0, exec_lo
	s_waitcnt vmcnt(3) lgkmcnt(3)
	v_fma_f32 v128, v114, v128, 0
	s_delay_alu instid0(VALU_DEP_1) | instskip(SKIP_4) | instid1(VALU_DEP_1)
	v_fmac_f32_e32 v128, v115, v129
	ds_load_2addr_b32 v[114:115], v2 offset0:105 offset1:106
	s_waitcnt lgkmcnt(3)
	v_fmac_f32_e32 v128, v116, v130
	s_waitcnt vmcnt(2)
	v_fmac_f32_e32 v128, v117, v131
	ds_load_2addr_b32 v[116:117], v2 offset0:107 offset1:108
	s_waitcnt lgkmcnt(3)
	v_fmac_f32_e32 v128, v118, v132
	s_delay_alu instid0(VALU_DEP_1) | instskip(SKIP_4) | instid1(VALU_DEP_1)
	v_fmac_f32_e32 v128, v119, v133
	ds_load_2addr_b32 v[118:119], v2 offset0:109 offset1:110
	s_waitcnt lgkmcnt(3)
	v_fmac_f32_e32 v128, v120, v134
	s_waitcnt vmcnt(1)
	v_fmac_f32_e32 v128, v121, v135
	s_waitcnt lgkmcnt(2)
	s_delay_alu instid0(VALU_DEP_1) | instskip(NEXT) | instid1(VALU_DEP_1)
	v_fmac_f32_e32 v128, v122, v114
	v_fmac_f32_e32 v128, v123, v115
	s_waitcnt lgkmcnt(1)
	s_delay_alu instid0(VALU_DEP_1) | instskip(SKIP_1) | instid1(VALU_DEP_1)
	v_fmac_f32_e32 v128, v124, v116
	s_waitcnt vmcnt(0)
	v_fmac_f32_e32 v128, v125, v117
	s_waitcnt lgkmcnt(0)
	s_delay_alu instid0(VALU_DEP_1) | instskip(NEXT) | instid1(VALU_DEP_1)
	v_fmac_f32_e32 v128, v126, v118
	v_fmac_f32_e32 v128, v127, v119
	s_delay_alu instid0(VALU_DEP_1)
	v_sub_f32_e32 v2, v113, v128
	scratch_store_b32 off, v2, off offset:160
	v_cmpx_lt_u32_e32 39, v0
	s_cbranch_execz .LBB118_259
; %bb.258:
	scratch_load_b32 v2, off, off offset:156
	v_mov_b32_e32 v113, 0
	scratch_store_b32 off, v113, off offset:156
	s_waitcnt vmcnt(0)
	ds_store_b32 v1, v2
.LBB118_259:
	s_or_b32 exec_lo, exec_lo, s0
	s_waitcnt lgkmcnt(0)
	s_waitcnt_vscnt null, 0x0
	s_barrier
	buffer_gl0_inv
	s_clause 0x3
	scratch_load_b128 v[113:116], off, off offset:156
	scratch_load_b128 v[117:120], off, off offset:172
	;; [unrolled: 1-line block ×4, first 2 shown]
	v_mov_b32_e32 v2, 0
	ds_load_b128 v[129:132], v2 offset:384
	ds_load_b128 v[133:136], v2 offset:400
	s_mov_b32 s0, exec_lo
	s_waitcnt vmcnt(3) lgkmcnt(1)
	v_fma_f32 v129, v114, v129, 0
	s_delay_alu instid0(VALU_DEP_1) | instskip(NEXT) | instid1(VALU_DEP_1)
	v_fmac_f32_e32 v129, v115, v130
	v_fmac_f32_e32 v129, v116, v131
	s_waitcnt vmcnt(2)
	s_delay_alu instid0(VALU_DEP_1) | instskip(SKIP_3) | instid1(VALU_DEP_1)
	v_fmac_f32_e32 v129, v117, v132
	ds_load_b128 v[114:117], v2 offset:416
	s_waitcnt lgkmcnt(1)
	v_fmac_f32_e32 v129, v118, v133
	v_fmac_f32_e32 v129, v119, v134
	s_delay_alu instid0(VALU_DEP_1) | instskip(SKIP_4) | instid1(VALU_DEP_1)
	v_fmac_f32_e32 v129, v120, v135
	ds_load_b96 v[118:120], v2 offset:432
	s_waitcnt vmcnt(1)
	v_fmac_f32_e32 v129, v121, v136
	s_waitcnt lgkmcnt(1)
	v_fmac_f32_e32 v129, v122, v114
	s_delay_alu instid0(VALU_DEP_1) | instskip(NEXT) | instid1(VALU_DEP_1)
	v_fmac_f32_e32 v129, v123, v115
	v_fmac_f32_e32 v129, v124, v116
	s_waitcnt vmcnt(0)
	s_delay_alu instid0(VALU_DEP_1) | instskip(SKIP_1) | instid1(VALU_DEP_1)
	v_fmac_f32_e32 v129, v125, v117
	s_waitcnt lgkmcnt(0)
	v_fmac_f32_e32 v129, v126, v118
	s_delay_alu instid0(VALU_DEP_1) | instskip(NEXT) | instid1(VALU_DEP_1)
	v_fmac_f32_e32 v129, v127, v119
	v_fmac_f32_e32 v129, v128, v120
	s_delay_alu instid0(VALU_DEP_1)
	v_sub_f32_e32 v113, v113, v129
	scratch_store_b32 off, v113, off offset:156
	v_cmpx_lt_u32_e32 38, v0
	s_cbranch_execz .LBB118_261
; %bb.260:
	scratch_load_b32 v113, off, off offset:152
	scratch_store_b32 off, v2, off offset:152
	s_waitcnt vmcnt(0)
	ds_store_b32 v1, v113
.LBB118_261:
	s_or_b32 exec_lo, exec_lo, s0
	s_waitcnt lgkmcnt(0)
	s_waitcnt_vscnt null, 0x0
	s_barrier
	buffer_gl0_inv
	s_clause 0x4
	scratch_load_b128 v[113:116], off, off offset:152
	scratch_load_b128 v[117:120], off, off offset:168
	;; [unrolled: 1-line block ×4, first 2 shown]
	scratch_load_b32 v137, off, off offset:216
	ds_load_2addr_b32 v[129:130], v2 offset0:95 offset1:96
	ds_load_2addr_b32 v[131:132], v2 offset0:97 offset1:98
	;; [unrolled: 1-line block ×4, first 2 shown]
	s_mov_b32 s0, exec_lo
	s_waitcnt vmcnt(4) lgkmcnt(3)
	v_fma_f32 v129, v114, v129, 0
	s_delay_alu instid0(VALU_DEP_1) | instskip(SKIP_4) | instid1(VALU_DEP_1)
	v_fmac_f32_e32 v129, v115, v130
	ds_load_2addr_b32 v[114:115], v2 offset0:103 offset1:104
	s_waitcnt lgkmcnt(3)
	v_fmac_f32_e32 v129, v116, v131
	s_waitcnt vmcnt(3)
	v_fmac_f32_e32 v129, v117, v132
	ds_load_2addr_b32 v[116:117], v2 offset0:105 offset1:106
	s_waitcnt lgkmcnt(3)
	v_fmac_f32_e32 v129, v118, v133
	s_delay_alu instid0(VALU_DEP_1) | instskip(SKIP_1) | instid1(VALU_DEP_1)
	v_fmac_f32_e32 v129, v119, v134
	s_waitcnt lgkmcnt(2)
	v_fmac_f32_e32 v129, v120, v135
	s_waitcnt vmcnt(2)
	s_delay_alu instid0(VALU_DEP_1) | instskip(SKIP_4) | instid1(VALU_DEP_1)
	v_fmac_f32_e32 v129, v121, v136
	ds_load_2addr_b32 v[118:119], v2 offset0:107 offset1:108
	ds_load_2addr_b32 v[120:121], v2 offset0:109 offset1:110
	s_waitcnt lgkmcnt(3)
	v_fmac_f32_e32 v129, v122, v114
	v_fmac_f32_e32 v129, v123, v115
	s_waitcnt lgkmcnt(2)
	s_delay_alu instid0(VALU_DEP_1) | instskip(SKIP_1) | instid1(VALU_DEP_1)
	v_fmac_f32_e32 v129, v124, v116
	s_waitcnt vmcnt(1)
	v_fmac_f32_e32 v129, v125, v117
	s_waitcnt lgkmcnt(1)
	s_delay_alu instid0(VALU_DEP_1) | instskip(NEXT) | instid1(VALU_DEP_1)
	v_fmac_f32_e32 v129, v126, v118
	v_fmac_f32_e32 v129, v127, v119
	s_waitcnt lgkmcnt(0)
	s_delay_alu instid0(VALU_DEP_1) | instskip(SKIP_1) | instid1(VALU_DEP_1)
	v_fmac_f32_e32 v129, v128, v120
	s_waitcnt vmcnt(0)
	v_fmac_f32_e32 v129, v137, v121
	s_delay_alu instid0(VALU_DEP_1)
	v_sub_f32_e32 v2, v113, v129
	scratch_store_b32 off, v2, off offset:152
	v_cmpx_lt_u32_e32 37, v0
	s_cbranch_execz .LBB118_263
; %bb.262:
	scratch_load_b32 v2, off, off offset:148
	v_mov_b32_e32 v113, 0
	scratch_store_b32 off, v113, off offset:148
	s_waitcnt vmcnt(0)
	ds_store_b32 v1, v2
.LBB118_263:
	s_or_b32 exec_lo, exec_lo, s0
	s_waitcnt lgkmcnt(0)
	s_waitcnt_vscnt null, 0x0
	s_barrier
	buffer_gl0_inv
	s_clause 0x4
	scratch_load_b128 v[113:116], off, off offset:148
	scratch_load_b128 v[117:120], off, off offset:164
	;; [unrolled: 1-line block ×4, first 2 shown]
	scratch_load_b64 v[137:138], off, off offset:212
	v_mov_b32_e32 v2, 0
	ds_load_2addr_b64 v[129:132], v2 offset0:47 offset1:48
	ds_load_2addr_b64 v[133:136], v2 offset0:49 offset1:50
	s_mov_b32 s0, exec_lo
	s_waitcnt vmcnt(4) lgkmcnt(1)
	v_fma_f32 v129, v114, v129, 0
	s_delay_alu instid0(VALU_DEP_1) | instskip(NEXT) | instid1(VALU_DEP_1)
	v_fmac_f32_e32 v129, v115, v130
	v_fmac_f32_e32 v129, v116, v131
	s_waitcnt vmcnt(3)
	s_delay_alu instid0(VALU_DEP_1) | instskip(SKIP_3) | instid1(VALU_DEP_1)
	v_fmac_f32_e32 v129, v117, v132
	ds_load_2addr_b64 v[114:117], v2 offset0:51 offset1:52
	s_waitcnt lgkmcnt(1)
	v_fmac_f32_e32 v129, v118, v133
	v_fmac_f32_e32 v129, v119, v134
	s_delay_alu instid0(VALU_DEP_1) | instskip(SKIP_1) | instid1(VALU_DEP_1)
	v_fmac_f32_e32 v129, v120, v135
	s_waitcnt vmcnt(2)
	v_fmac_f32_e32 v129, v121, v136
	ds_load_2addr_b64 v[118:121], v2 offset0:53 offset1:54
	s_waitcnt lgkmcnt(1)
	v_fmac_f32_e32 v129, v122, v114
	ds_load_b32 v114, v2 offset:440
	v_fmac_f32_e32 v129, v123, v115
	s_delay_alu instid0(VALU_DEP_1) | instskip(SKIP_1) | instid1(VALU_DEP_1)
	v_fmac_f32_e32 v129, v124, v116
	s_waitcnt vmcnt(1)
	v_fmac_f32_e32 v129, v125, v117
	s_waitcnt lgkmcnt(1)
	s_delay_alu instid0(VALU_DEP_1) | instskip(NEXT) | instid1(VALU_DEP_1)
	v_fmac_f32_e32 v129, v126, v118
	v_fmac_f32_e32 v129, v127, v119
	s_delay_alu instid0(VALU_DEP_1) | instskip(SKIP_1) | instid1(VALU_DEP_1)
	v_fmac_f32_e32 v129, v128, v120
	s_waitcnt vmcnt(0)
	v_fmac_f32_e32 v129, v137, v121
	s_waitcnt lgkmcnt(0)
	s_delay_alu instid0(VALU_DEP_1) | instskip(NEXT) | instid1(VALU_DEP_1)
	v_fmac_f32_e32 v129, v138, v114
	v_sub_f32_e32 v113, v113, v129
	scratch_store_b32 off, v113, off offset:148
	v_cmpx_lt_u32_e32 36, v0
	s_cbranch_execz .LBB118_265
; %bb.264:
	scratch_load_b32 v113, off, off offset:144
	scratch_store_b32 off, v2, off offset:144
	s_waitcnt vmcnt(0)
	ds_store_b32 v1, v113
.LBB118_265:
	s_or_b32 exec_lo, exec_lo, s0
	s_waitcnt lgkmcnt(0)
	s_waitcnt_vscnt null, 0x0
	s_barrier
	buffer_gl0_inv
	s_clause 0x4
	scratch_load_b128 v[113:116], off, off offset:144
	scratch_load_b128 v[117:120], off, off offset:160
	;; [unrolled: 1-line block ×4, first 2 shown]
	scratch_load_b96 v[129:131], off, off offset:208
	ds_load_2addr_b32 v[132:133], v2 offset0:93 offset1:94
	ds_load_2addr_b32 v[134:135], v2 offset0:95 offset1:96
	;; [unrolled: 1-line block ×4, first 2 shown]
	s_mov_b32 s0, exec_lo
	s_waitcnt vmcnt(4) lgkmcnt(3)
	v_fma_f32 v132, v114, v132, 0
	s_delay_alu instid0(VALU_DEP_1) | instskip(SKIP_4) | instid1(VALU_DEP_1)
	v_fmac_f32_e32 v132, v115, v133
	ds_load_2addr_b32 v[114:115], v2 offset0:101 offset1:102
	s_waitcnt lgkmcnt(3)
	v_fmac_f32_e32 v132, v116, v134
	s_waitcnt vmcnt(3)
	v_fmac_f32_e32 v132, v117, v135
	ds_load_2addr_b32 v[116:117], v2 offset0:103 offset1:104
	s_waitcnt lgkmcnt(3)
	v_fmac_f32_e32 v132, v118, v136
	s_delay_alu instid0(VALU_DEP_1) | instskip(SKIP_1) | instid1(VALU_DEP_1)
	v_fmac_f32_e32 v132, v119, v137
	s_waitcnt lgkmcnt(2)
	v_fmac_f32_e32 v132, v120, v138
	s_waitcnt vmcnt(2)
	s_delay_alu instid0(VALU_DEP_1) | instskip(SKIP_4) | instid1(VALU_DEP_1)
	v_fmac_f32_e32 v132, v121, v139
	ds_load_2addr_b32 v[118:119], v2 offset0:105 offset1:106
	ds_load_2addr_b32 v[120:121], v2 offset0:107 offset1:108
	s_waitcnt lgkmcnt(3)
	v_fmac_f32_e32 v132, v122, v114
	v_fmac_f32_e32 v132, v123, v115
	ds_load_2addr_b32 v[114:115], v2 offset0:109 offset1:110
	s_waitcnt lgkmcnt(3)
	v_fmac_f32_e32 v132, v124, v116
	s_waitcnt vmcnt(1)
	s_delay_alu instid0(VALU_DEP_1) | instskip(SKIP_1) | instid1(VALU_DEP_1)
	v_fmac_f32_e32 v132, v125, v117
	s_waitcnt lgkmcnt(2)
	v_fmac_f32_e32 v132, v126, v118
	s_delay_alu instid0(VALU_DEP_1) | instskip(SKIP_1) | instid1(VALU_DEP_1)
	v_fmac_f32_e32 v132, v127, v119
	s_waitcnt lgkmcnt(1)
	v_fmac_f32_e32 v132, v128, v120
	s_waitcnt vmcnt(0)
	s_delay_alu instid0(VALU_DEP_1) | instskip(SKIP_1) | instid1(VALU_DEP_1)
	v_fmac_f32_e32 v132, v129, v121
	s_waitcnt lgkmcnt(0)
	v_fmac_f32_e32 v132, v130, v114
	s_delay_alu instid0(VALU_DEP_1) | instskip(NEXT) | instid1(VALU_DEP_1)
	v_fmac_f32_e32 v132, v131, v115
	v_sub_f32_e32 v2, v113, v132
	scratch_store_b32 off, v2, off offset:144
	v_cmpx_lt_u32_e32 35, v0
	s_cbranch_execz .LBB118_267
; %bb.266:
	scratch_load_b32 v2, off, off offset:140
	v_mov_b32_e32 v113, 0
	scratch_store_b32 off, v113, off offset:140
	s_waitcnt vmcnt(0)
	ds_store_b32 v1, v2
.LBB118_267:
	s_or_b32 exec_lo, exec_lo, s0
	s_waitcnt lgkmcnt(0)
	s_waitcnt_vscnt null, 0x0
	s_barrier
	buffer_gl0_inv
	s_clause 0x4
	scratch_load_b128 v[113:116], off, off offset:140
	scratch_load_b128 v[117:120], off, off offset:156
	;; [unrolled: 1-line block ×5, first 2 shown]
	v_mov_b32_e32 v2, 0
	ds_load_b128 v[133:136], v2 offset:368
	ds_load_b128 v[137:140], v2 offset:384
	s_mov_b32 s0, exec_lo
	s_waitcnt vmcnt(4) lgkmcnt(1)
	v_fma_f32 v133, v114, v133, 0
	s_delay_alu instid0(VALU_DEP_1) | instskip(NEXT) | instid1(VALU_DEP_1)
	v_fmac_f32_e32 v133, v115, v134
	v_fmac_f32_e32 v133, v116, v135
	s_waitcnt vmcnt(3)
	s_delay_alu instid0(VALU_DEP_1) | instskip(SKIP_3) | instid1(VALU_DEP_1)
	v_fmac_f32_e32 v133, v117, v136
	ds_load_b128 v[114:117], v2 offset:400
	s_waitcnt lgkmcnt(1)
	v_fmac_f32_e32 v133, v118, v137
	v_fmac_f32_e32 v133, v119, v138
	s_delay_alu instid0(VALU_DEP_1) | instskip(SKIP_1) | instid1(VALU_DEP_1)
	v_fmac_f32_e32 v133, v120, v139
	s_waitcnt vmcnt(2)
	v_fmac_f32_e32 v133, v121, v140
	ds_load_b128 v[118:121], v2 offset:416
	s_waitcnt lgkmcnt(1)
	v_fmac_f32_e32 v133, v122, v114
	s_delay_alu instid0(VALU_DEP_1) | instskip(NEXT) | instid1(VALU_DEP_1)
	v_fmac_f32_e32 v133, v123, v115
	v_fmac_f32_e32 v133, v124, v116
	ds_load_b96 v[114:116], v2 offset:432
	s_waitcnt vmcnt(1)
	v_fmac_f32_e32 v133, v125, v117
	s_waitcnt lgkmcnt(1)
	s_delay_alu instid0(VALU_DEP_1) | instskip(NEXT) | instid1(VALU_DEP_1)
	v_fmac_f32_e32 v133, v126, v118
	v_fmac_f32_e32 v133, v127, v119
	s_delay_alu instid0(VALU_DEP_1) | instskip(SKIP_1) | instid1(VALU_DEP_1)
	v_fmac_f32_e32 v133, v128, v120
	s_waitcnt vmcnt(0)
	v_fmac_f32_e32 v133, v129, v121
	s_waitcnt lgkmcnt(0)
	s_delay_alu instid0(VALU_DEP_1) | instskip(NEXT) | instid1(VALU_DEP_1)
	v_fmac_f32_e32 v133, v130, v114
	v_fmac_f32_e32 v133, v131, v115
	s_delay_alu instid0(VALU_DEP_1) | instskip(NEXT) | instid1(VALU_DEP_1)
	v_fmac_f32_e32 v133, v132, v116
	v_sub_f32_e32 v113, v113, v133
	scratch_store_b32 off, v113, off offset:140
	v_cmpx_lt_u32_e32 34, v0
	s_cbranch_execz .LBB118_269
; %bb.268:
	scratch_load_b32 v113, off, off offset:136
	scratch_store_b32 off, v2, off offset:136
	s_waitcnt vmcnt(0)
	ds_store_b32 v1, v113
.LBB118_269:
	s_or_b32 exec_lo, exec_lo, s0
	s_waitcnt lgkmcnt(0)
	s_waitcnt_vscnt null, 0x0
	s_barrier
	buffer_gl0_inv
	s_clause 0x5
	scratch_load_b128 v[113:116], off, off offset:136
	scratch_load_b128 v[117:120], off, off offset:152
	;; [unrolled: 1-line block ×5, first 2 shown]
	scratch_load_b32 v141, off, off offset:216
	ds_load_2addr_b32 v[133:134], v2 offset0:91 offset1:92
	ds_load_2addr_b32 v[135:136], v2 offset0:93 offset1:94
	;; [unrolled: 1-line block ×4, first 2 shown]
	s_mov_b32 s0, exec_lo
	s_waitcnt vmcnt(5) lgkmcnt(3)
	v_fma_f32 v133, v114, v133, 0
	s_delay_alu instid0(VALU_DEP_1) | instskip(SKIP_4) | instid1(VALU_DEP_1)
	v_fmac_f32_e32 v133, v115, v134
	ds_load_2addr_b32 v[114:115], v2 offset0:99 offset1:100
	s_waitcnt lgkmcnt(3)
	v_fmac_f32_e32 v133, v116, v135
	s_waitcnt vmcnt(4)
	v_fmac_f32_e32 v133, v117, v136
	ds_load_2addr_b32 v[116:117], v2 offset0:101 offset1:102
	s_waitcnt lgkmcnt(3)
	v_fmac_f32_e32 v133, v118, v137
	s_delay_alu instid0(VALU_DEP_1) | instskip(SKIP_1) | instid1(VALU_DEP_1)
	v_fmac_f32_e32 v133, v119, v138
	s_waitcnt lgkmcnt(2)
	v_fmac_f32_e32 v133, v120, v139
	s_waitcnt vmcnt(3)
	s_delay_alu instid0(VALU_DEP_1) | instskip(SKIP_4) | instid1(VALU_DEP_1)
	v_fmac_f32_e32 v133, v121, v140
	ds_load_2addr_b32 v[118:119], v2 offset0:103 offset1:104
	ds_load_2addr_b32 v[120:121], v2 offset0:105 offset1:106
	s_waitcnt lgkmcnt(3)
	v_fmac_f32_e32 v133, v122, v114
	v_fmac_f32_e32 v133, v123, v115
	ds_load_2addr_b32 v[114:115], v2 offset0:107 offset1:108
	s_waitcnt lgkmcnt(3)
	v_fmac_f32_e32 v133, v124, v116
	s_waitcnt vmcnt(2)
	s_delay_alu instid0(VALU_DEP_1) | instskip(SKIP_3) | instid1(VALU_DEP_1)
	v_fmac_f32_e32 v133, v125, v117
	ds_load_2addr_b32 v[116:117], v2 offset0:109 offset1:110
	s_waitcnt lgkmcnt(3)
	v_fmac_f32_e32 v133, v126, v118
	v_fmac_f32_e32 v133, v127, v119
	s_waitcnt lgkmcnt(2)
	s_delay_alu instid0(VALU_DEP_1) | instskip(SKIP_1) | instid1(VALU_DEP_1)
	v_fmac_f32_e32 v133, v128, v120
	s_waitcnt vmcnt(1)
	v_fmac_f32_e32 v133, v129, v121
	s_waitcnt lgkmcnt(1)
	s_delay_alu instid0(VALU_DEP_1) | instskip(NEXT) | instid1(VALU_DEP_1)
	v_fmac_f32_e32 v133, v130, v114
	v_fmac_f32_e32 v133, v131, v115
	s_waitcnt lgkmcnt(0)
	s_delay_alu instid0(VALU_DEP_1) | instskip(SKIP_1) | instid1(VALU_DEP_1)
	v_fmac_f32_e32 v133, v132, v116
	s_waitcnt vmcnt(0)
	v_fmac_f32_e32 v133, v141, v117
	s_delay_alu instid0(VALU_DEP_1)
	v_sub_f32_e32 v2, v113, v133
	scratch_store_b32 off, v2, off offset:136
	v_cmpx_lt_u32_e32 33, v0
	s_cbranch_execz .LBB118_271
; %bb.270:
	scratch_load_b32 v2, off, off offset:132
	v_mov_b32_e32 v113, 0
	scratch_store_b32 off, v113, off offset:132
	s_waitcnt vmcnt(0)
	ds_store_b32 v1, v2
.LBB118_271:
	s_or_b32 exec_lo, exec_lo, s0
	s_waitcnt lgkmcnt(0)
	s_waitcnt_vscnt null, 0x0
	s_barrier
	buffer_gl0_inv
	s_clause 0x5
	scratch_load_b128 v[113:116], off, off offset:132
	scratch_load_b128 v[117:120], off, off offset:148
	;; [unrolled: 1-line block ×5, first 2 shown]
	scratch_load_b64 v[141:142], off, off offset:212
	v_mov_b32_e32 v2, 0
	ds_load_2addr_b64 v[133:136], v2 offset0:45 offset1:46
	ds_load_2addr_b64 v[137:140], v2 offset0:47 offset1:48
	s_mov_b32 s0, exec_lo
	s_waitcnt vmcnt(5) lgkmcnt(1)
	v_fma_f32 v133, v114, v133, 0
	s_delay_alu instid0(VALU_DEP_1) | instskip(NEXT) | instid1(VALU_DEP_1)
	v_fmac_f32_e32 v133, v115, v134
	v_fmac_f32_e32 v133, v116, v135
	s_waitcnt vmcnt(4)
	s_delay_alu instid0(VALU_DEP_1) | instskip(SKIP_3) | instid1(VALU_DEP_1)
	v_fmac_f32_e32 v133, v117, v136
	ds_load_2addr_b64 v[114:117], v2 offset0:49 offset1:50
	s_waitcnt lgkmcnt(1)
	v_fmac_f32_e32 v133, v118, v137
	v_fmac_f32_e32 v133, v119, v138
	s_delay_alu instid0(VALU_DEP_1) | instskip(SKIP_1) | instid1(VALU_DEP_1)
	v_fmac_f32_e32 v133, v120, v139
	s_waitcnt vmcnt(3)
	v_fmac_f32_e32 v133, v121, v140
	ds_load_2addr_b64 v[118:121], v2 offset0:51 offset1:52
	s_waitcnt lgkmcnt(1)
	v_fmac_f32_e32 v133, v122, v114
	s_delay_alu instid0(VALU_DEP_1) | instskip(NEXT) | instid1(VALU_DEP_1)
	v_fmac_f32_e32 v133, v123, v115
	v_fmac_f32_e32 v133, v124, v116
	s_waitcnt vmcnt(2)
	s_delay_alu instid0(VALU_DEP_1)
	v_fmac_f32_e32 v133, v125, v117
	ds_load_2addr_b64 v[114:117], v2 offset0:53 offset1:54
	s_waitcnt lgkmcnt(1)
	v_fmac_f32_e32 v133, v126, v118
	ds_load_b32 v118, v2 offset:440
	v_fmac_f32_e32 v133, v127, v119
	s_delay_alu instid0(VALU_DEP_1) | instskip(SKIP_1) | instid1(VALU_DEP_1)
	v_fmac_f32_e32 v133, v128, v120
	s_waitcnt vmcnt(1)
	v_fmac_f32_e32 v133, v129, v121
	s_waitcnt lgkmcnt(1)
	s_delay_alu instid0(VALU_DEP_1) | instskip(NEXT) | instid1(VALU_DEP_1)
	v_fmac_f32_e32 v133, v130, v114
	v_fmac_f32_e32 v133, v131, v115
	s_delay_alu instid0(VALU_DEP_1) | instskip(SKIP_1) | instid1(VALU_DEP_1)
	v_fmac_f32_e32 v133, v132, v116
	s_waitcnt vmcnt(0)
	v_fmac_f32_e32 v133, v141, v117
	s_waitcnt lgkmcnt(0)
	s_delay_alu instid0(VALU_DEP_1) | instskip(NEXT) | instid1(VALU_DEP_1)
	v_fmac_f32_e32 v133, v142, v118
	v_sub_f32_e32 v113, v113, v133
	scratch_store_b32 off, v113, off offset:132
	v_cmpx_lt_u32_e32 32, v0
	s_cbranch_execz .LBB118_273
; %bb.272:
	scratch_load_b32 v113, off, off offset:128
	scratch_store_b32 off, v2, off offset:128
	s_waitcnt vmcnt(0)
	ds_store_b32 v1, v113
.LBB118_273:
	s_or_b32 exec_lo, exec_lo, s0
	s_waitcnt lgkmcnt(0)
	s_waitcnt_vscnt null, 0x0
	s_barrier
	buffer_gl0_inv
	s_clause 0x5
	scratch_load_b128 v[113:116], off, off offset:128
	scratch_load_b128 v[117:120], off, off offset:144
	scratch_load_b128 v[121:124], off, off offset:160
	scratch_load_b128 v[125:128], off, off offset:176
	scratch_load_b128 v[129:132], off, off offset:192
	scratch_load_b96 v[133:135], off, off offset:208
	ds_load_2addr_b32 v[136:137], v2 offset0:89 offset1:90
	ds_load_2addr_b32 v[138:139], v2 offset0:91 offset1:92
	;; [unrolled: 1-line block ×4, first 2 shown]
	s_mov_b32 s0, exec_lo
	s_waitcnt vmcnt(5) lgkmcnt(3)
	v_fma_f32 v136, v114, v136, 0
	s_delay_alu instid0(VALU_DEP_1) | instskip(SKIP_4) | instid1(VALU_DEP_1)
	v_fmac_f32_e32 v136, v115, v137
	ds_load_2addr_b32 v[114:115], v2 offset0:97 offset1:98
	s_waitcnt lgkmcnt(3)
	v_fmac_f32_e32 v136, v116, v138
	s_waitcnt vmcnt(4)
	v_fmac_f32_e32 v136, v117, v139
	ds_load_2addr_b32 v[116:117], v2 offset0:99 offset1:100
	s_waitcnt lgkmcnt(3)
	v_fmac_f32_e32 v136, v118, v140
	s_delay_alu instid0(VALU_DEP_1) | instskip(SKIP_1) | instid1(VALU_DEP_1)
	v_fmac_f32_e32 v136, v119, v141
	s_waitcnt lgkmcnt(2)
	v_fmac_f32_e32 v136, v120, v142
	s_waitcnt vmcnt(3)
	s_delay_alu instid0(VALU_DEP_1) | instskip(SKIP_4) | instid1(VALU_DEP_1)
	v_fmac_f32_e32 v136, v121, v143
	ds_load_2addr_b32 v[118:119], v2 offset0:101 offset1:102
	ds_load_2addr_b32 v[120:121], v2 offset0:103 offset1:104
	s_waitcnt lgkmcnt(3)
	v_fmac_f32_e32 v136, v122, v114
	v_fmac_f32_e32 v136, v123, v115
	ds_load_2addr_b32 v[114:115], v2 offset0:105 offset1:106
	s_waitcnt lgkmcnt(3)
	v_fmac_f32_e32 v136, v124, v116
	s_waitcnt vmcnt(2)
	s_delay_alu instid0(VALU_DEP_1) | instskip(SKIP_3) | instid1(VALU_DEP_1)
	v_fmac_f32_e32 v136, v125, v117
	ds_load_2addr_b32 v[116:117], v2 offset0:107 offset1:108
	s_waitcnt lgkmcnt(3)
	v_fmac_f32_e32 v136, v126, v118
	v_fmac_f32_e32 v136, v127, v119
	ds_load_2addr_b32 v[118:119], v2 offset0:109 offset1:110
	s_waitcnt lgkmcnt(3)
	v_fmac_f32_e32 v136, v128, v120
	s_waitcnt vmcnt(1)
	s_delay_alu instid0(VALU_DEP_1) | instskip(SKIP_1) | instid1(VALU_DEP_1)
	v_fmac_f32_e32 v136, v129, v121
	s_waitcnt lgkmcnt(2)
	v_fmac_f32_e32 v136, v130, v114
	s_delay_alu instid0(VALU_DEP_1) | instskip(SKIP_1) | instid1(VALU_DEP_1)
	v_fmac_f32_e32 v136, v131, v115
	s_waitcnt lgkmcnt(1)
	v_fmac_f32_e32 v136, v132, v116
	s_waitcnt vmcnt(0)
	s_delay_alu instid0(VALU_DEP_1) | instskip(SKIP_1) | instid1(VALU_DEP_1)
	v_fmac_f32_e32 v136, v133, v117
	s_waitcnt lgkmcnt(0)
	v_fmac_f32_e32 v136, v134, v118
	s_delay_alu instid0(VALU_DEP_1) | instskip(NEXT) | instid1(VALU_DEP_1)
	v_fmac_f32_e32 v136, v135, v119
	v_sub_f32_e32 v2, v113, v136
	scratch_store_b32 off, v2, off offset:128
	v_cmpx_lt_u32_e32 31, v0
	s_cbranch_execz .LBB118_275
; %bb.274:
	scratch_load_b32 v2, off, off offset:124
	v_mov_b32_e32 v113, 0
	scratch_store_b32 off, v113, off offset:124
	s_waitcnt vmcnt(0)
	ds_store_b32 v1, v2
.LBB118_275:
	s_or_b32 exec_lo, exec_lo, s0
	s_waitcnt lgkmcnt(0)
	s_waitcnt_vscnt null, 0x0
	s_barrier
	buffer_gl0_inv
	s_clause 0x5
	scratch_load_b128 v[113:116], off, off offset:124
	scratch_load_b128 v[117:120], off, off offset:140
	;; [unrolled: 1-line block ×6, first 2 shown]
	v_mov_b32_e32 v2, 0
	ds_load_b128 v[137:140], v2 offset:352
	ds_load_b128 v[141:144], v2 offset:368
	s_mov_b32 s0, exec_lo
	s_waitcnt vmcnt(5) lgkmcnt(1)
	v_fma_f32 v137, v114, v137, 0
	s_delay_alu instid0(VALU_DEP_1) | instskip(NEXT) | instid1(VALU_DEP_1)
	v_fmac_f32_e32 v137, v115, v138
	v_fmac_f32_e32 v137, v116, v139
	s_waitcnt vmcnt(4)
	s_delay_alu instid0(VALU_DEP_1) | instskip(SKIP_3) | instid1(VALU_DEP_1)
	v_fmac_f32_e32 v137, v117, v140
	ds_load_b128 v[114:117], v2 offset:384
	s_waitcnt lgkmcnt(1)
	v_fmac_f32_e32 v137, v118, v141
	v_fmac_f32_e32 v137, v119, v142
	s_delay_alu instid0(VALU_DEP_1) | instskip(SKIP_1) | instid1(VALU_DEP_1)
	v_fmac_f32_e32 v137, v120, v143
	s_waitcnt vmcnt(3)
	v_fmac_f32_e32 v137, v121, v144
	ds_load_b128 v[118:121], v2 offset:400
	s_waitcnt lgkmcnt(1)
	v_fmac_f32_e32 v137, v122, v114
	s_delay_alu instid0(VALU_DEP_1) | instskip(NEXT) | instid1(VALU_DEP_1)
	v_fmac_f32_e32 v137, v123, v115
	v_fmac_f32_e32 v137, v124, v116
	s_waitcnt vmcnt(2)
	s_delay_alu instid0(VALU_DEP_1) | instskip(SKIP_3) | instid1(VALU_DEP_1)
	v_fmac_f32_e32 v137, v125, v117
	ds_load_b128 v[114:117], v2 offset:416
	s_waitcnt lgkmcnt(1)
	v_fmac_f32_e32 v137, v126, v118
	v_fmac_f32_e32 v137, v127, v119
	s_delay_alu instid0(VALU_DEP_1) | instskip(SKIP_4) | instid1(VALU_DEP_1)
	v_fmac_f32_e32 v137, v128, v120
	ds_load_b96 v[118:120], v2 offset:432
	s_waitcnt vmcnt(1)
	v_fmac_f32_e32 v137, v129, v121
	s_waitcnt lgkmcnt(1)
	v_fmac_f32_e32 v137, v130, v114
	s_delay_alu instid0(VALU_DEP_1) | instskip(NEXT) | instid1(VALU_DEP_1)
	v_fmac_f32_e32 v137, v131, v115
	v_fmac_f32_e32 v137, v132, v116
	s_waitcnt vmcnt(0)
	s_delay_alu instid0(VALU_DEP_1) | instskip(SKIP_1) | instid1(VALU_DEP_1)
	v_fmac_f32_e32 v137, v133, v117
	s_waitcnt lgkmcnt(0)
	v_fmac_f32_e32 v137, v134, v118
	s_delay_alu instid0(VALU_DEP_1) | instskip(NEXT) | instid1(VALU_DEP_1)
	v_fmac_f32_e32 v137, v135, v119
	v_fmac_f32_e32 v137, v136, v120
	s_delay_alu instid0(VALU_DEP_1)
	v_sub_f32_e32 v113, v113, v137
	scratch_store_b32 off, v113, off offset:124
	v_cmpx_lt_u32_e32 30, v0
	s_cbranch_execz .LBB118_277
; %bb.276:
	scratch_load_b32 v113, off, off offset:120
	scratch_store_b32 off, v2, off offset:120
	s_waitcnt vmcnt(0)
	ds_store_b32 v1, v113
.LBB118_277:
	s_or_b32 exec_lo, exec_lo, s0
	s_waitcnt lgkmcnt(0)
	s_waitcnt_vscnt null, 0x0
	s_barrier
	buffer_gl0_inv
	s_clause 0x6
	scratch_load_b128 v[113:116], off, off offset:120
	scratch_load_b128 v[117:120], off, off offset:136
	;; [unrolled: 1-line block ×6, first 2 shown]
	scratch_load_b32 v145, off, off offset:216
	ds_load_2addr_b32 v[137:138], v2 offset0:87 offset1:88
	ds_load_2addr_b32 v[139:140], v2 offset0:89 offset1:90
	ds_load_2addr_b32 v[141:142], v2 offset0:91 offset1:92
	ds_load_2addr_b32 v[143:144], v2 offset0:93 offset1:94
	s_mov_b32 s0, exec_lo
	s_waitcnt vmcnt(6) lgkmcnt(3)
	v_fma_f32 v137, v114, v137, 0
	s_delay_alu instid0(VALU_DEP_1) | instskip(SKIP_4) | instid1(VALU_DEP_1)
	v_fmac_f32_e32 v137, v115, v138
	ds_load_2addr_b32 v[114:115], v2 offset0:95 offset1:96
	s_waitcnt lgkmcnt(3)
	v_fmac_f32_e32 v137, v116, v139
	s_waitcnt vmcnt(5)
	v_fmac_f32_e32 v137, v117, v140
	ds_load_2addr_b32 v[116:117], v2 offset0:97 offset1:98
	s_waitcnt lgkmcnt(3)
	v_fmac_f32_e32 v137, v118, v141
	s_delay_alu instid0(VALU_DEP_1) | instskip(SKIP_1) | instid1(VALU_DEP_1)
	v_fmac_f32_e32 v137, v119, v142
	s_waitcnt lgkmcnt(2)
	v_fmac_f32_e32 v137, v120, v143
	s_waitcnt vmcnt(4)
	s_delay_alu instid0(VALU_DEP_1) | instskip(SKIP_4) | instid1(VALU_DEP_1)
	v_fmac_f32_e32 v137, v121, v144
	ds_load_2addr_b32 v[118:119], v2 offset0:99 offset1:100
	ds_load_2addr_b32 v[120:121], v2 offset0:101 offset1:102
	s_waitcnt lgkmcnt(3)
	v_fmac_f32_e32 v137, v122, v114
	v_fmac_f32_e32 v137, v123, v115
	ds_load_2addr_b32 v[114:115], v2 offset0:103 offset1:104
	s_waitcnt lgkmcnt(3)
	v_fmac_f32_e32 v137, v124, v116
	s_waitcnt vmcnt(3)
	s_delay_alu instid0(VALU_DEP_1) | instskip(SKIP_3) | instid1(VALU_DEP_1)
	v_fmac_f32_e32 v137, v125, v117
	ds_load_2addr_b32 v[116:117], v2 offset0:105 offset1:106
	s_waitcnt lgkmcnt(3)
	v_fmac_f32_e32 v137, v126, v118
	v_fmac_f32_e32 v137, v127, v119
	s_waitcnt lgkmcnt(2)
	s_delay_alu instid0(VALU_DEP_1) | instskip(SKIP_1) | instid1(VALU_DEP_1)
	v_fmac_f32_e32 v137, v128, v120
	s_waitcnt vmcnt(2)
	v_fmac_f32_e32 v137, v129, v121
	ds_load_2addr_b32 v[118:119], v2 offset0:107 offset1:108
	ds_load_2addr_b32 v[120:121], v2 offset0:109 offset1:110
	s_waitcnt lgkmcnt(3)
	v_fmac_f32_e32 v137, v130, v114
	s_delay_alu instid0(VALU_DEP_1) | instskip(SKIP_1) | instid1(VALU_DEP_1)
	v_fmac_f32_e32 v137, v131, v115
	s_waitcnt lgkmcnt(2)
	v_fmac_f32_e32 v137, v132, v116
	s_waitcnt vmcnt(1)
	s_delay_alu instid0(VALU_DEP_1) | instskip(SKIP_1) | instid1(VALU_DEP_1)
	v_fmac_f32_e32 v137, v133, v117
	s_waitcnt lgkmcnt(1)
	v_fmac_f32_e32 v137, v134, v118
	s_delay_alu instid0(VALU_DEP_1) | instskip(SKIP_1) | instid1(VALU_DEP_1)
	v_fmac_f32_e32 v137, v135, v119
	s_waitcnt lgkmcnt(0)
	v_fmac_f32_e32 v137, v136, v120
	s_waitcnt vmcnt(0)
	s_delay_alu instid0(VALU_DEP_1) | instskip(NEXT) | instid1(VALU_DEP_1)
	v_fmac_f32_e32 v137, v145, v121
	v_sub_f32_e32 v2, v113, v137
	scratch_store_b32 off, v2, off offset:120
	v_cmpx_lt_u32_e32 29, v0
	s_cbranch_execz .LBB118_279
; %bb.278:
	scratch_load_b32 v2, off, off offset:116
	v_mov_b32_e32 v113, 0
	scratch_store_b32 off, v113, off offset:116
	s_waitcnt vmcnt(0)
	ds_store_b32 v1, v2
.LBB118_279:
	s_or_b32 exec_lo, exec_lo, s0
	s_waitcnt lgkmcnt(0)
	s_waitcnt_vscnt null, 0x0
	s_barrier
	buffer_gl0_inv
	s_clause 0x6
	scratch_load_b128 v[113:116], off, off offset:116
	scratch_load_b128 v[117:120], off, off offset:132
	;; [unrolled: 1-line block ×6, first 2 shown]
	scratch_load_b64 v[145:146], off, off offset:212
	v_mov_b32_e32 v2, 0
	ds_load_2addr_b64 v[137:140], v2 offset0:43 offset1:44
	ds_load_2addr_b64 v[141:144], v2 offset0:45 offset1:46
	s_mov_b32 s0, exec_lo
	s_waitcnt vmcnt(6) lgkmcnt(1)
	v_fma_f32 v137, v114, v137, 0
	s_delay_alu instid0(VALU_DEP_1) | instskip(NEXT) | instid1(VALU_DEP_1)
	v_fmac_f32_e32 v137, v115, v138
	v_fmac_f32_e32 v137, v116, v139
	s_waitcnt vmcnt(5)
	s_delay_alu instid0(VALU_DEP_1) | instskip(SKIP_3) | instid1(VALU_DEP_1)
	v_fmac_f32_e32 v137, v117, v140
	ds_load_2addr_b64 v[114:117], v2 offset0:47 offset1:48
	s_waitcnt lgkmcnt(1)
	v_fmac_f32_e32 v137, v118, v141
	v_fmac_f32_e32 v137, v119, v142
	s_delay_alu instid0(VALU_DEP_1) | instskip(SKIP_1) | instid1(VALU_DEP_1)
	v_fmac_f32_e32 v137, v120, v143
	s_waitcnt vmcnt(4)
	v_fmac_f32_e32 v137, v121, v144
	ds_load_2addr_b64 v[118:121], v2 offset0:49 offset1:50
	s_waitcnt lgkmcnt(1)
	v_fmac_f32_e32 v137, v122, v114
	s_delay_alu instid0(VALU_DEP_1) | instskip(NEXT) | instid1(VALU_DEP_1)
	v_fmac_f32_e32 v137, v123, v115
	v_fmac_f32_e32 v137, v124, v116
	s_waitcnt vmcnt(3)
	s_delay_alu instid0(VALU_DEP_1) | instskip(SKIP_3) | instid1(VALU_DEP_1)
	v_fmac_f32_e32 v137, v125, v117
	ds_load_2addr_b64 v[114:117], v2 offset0:51 offset1:52
	s_waitcnt lgkmcnt(1)
	v_fmac_f32_e32 v137, v126, v118
	v_fmac_f32_e32 v137, v127, v119
	s_delay_alu instid0(VALU_DEP_1) | instskip(SKIP_1) | instid1(VALU_DEP_1)
	v_fmac_f32_e32 v137, v128, v120
	s_waitcnt vmcnt(2)
	v_fmac_f32_e32 v137, v129, v121
	ds_load_2addr_b64 v[118:121], v2 offset0:53 offset1:54
	s_waitcnt lgkmcnt(1)
	v_fmac_f32_e32 v137, v130, v114
	ds_load_b32 v114, v2 offset:440
	v_fmac_f32_e32 v137, v131, v115
	s_delay_alu instid0(VALU_DEP_1) | instskip(SKIP_1) | instid1(VALU_DEP_1)
	v_fmac_f32_e32 v137, v132, v116
	s_waitcnt vmcnt(1)
	v_fmac_f32_e32 v137, v133, v117
	s_waitcnt lgkmcnt(1)
	s_delay_alu instid0(VALU_DEP_1) | instskip(NEXT) | instid1(VALU_DEP_1)
	v_fmac_f32_e32 v137, v134, v118
	v_fmac_f32_e32 v137, v135, v119
	s_delay_alu instid0(VALU_DEP_1) | instskip(SKIP_1) | instid1(VALU_DEP_1)
	v_fmac_f32_e32 v137, v136, v120
	s_waitcnt vmcnt(0)
	v_fmac_f32_e32 v137, v145, v121
	s_waitcnt lgkmcnt(0)
	s_delay_alu instid0(VALU_DEP_1) | instskip(NEXT) | instid1(VALU_DEP_1)
	v_fmac_f32_e32 v137, v146, v114
	v_sub_f32_e32 v113, v113, v137
	scratch_store_b32 off, v113, off offset:116
	v_cmpx_lt_u32_e32 28, v0
	s_cbranch_execz .LBB118_281
; %bb.280:
	scratch_load_b32 v113, off, off offset:112
	scratch_store_b32 off, v2, off offset:112
	s_waitcnt vmcnt(0)
	ds_store_b32 v1, v113
.LBB118_281:
	s_or_b32 exec_lo, exec_lo, s0
	s_waitcnt lgkmcnt(0)
	s_waitcnt_vscnt null, 0x0
	s_barrier
	buffer_gl0_inv
	s_clause 0x6
	scratch_load_b128 v[113:116], off, off offset:112
	scratch_load_b128 v[117:120], off, off offset:128
	;; [unrolled: 1-line block ×6, first 2 shown]
	scratch_load_b96 v[137:139], off, off offset:208
	ds_load_2addr_b32 v[140:141], v2 offset0:85 offset1:86
	ds_load_2addr_b32 v[142:143], v2 offset0:87 offset1:88
	;; [unrolled: 1-line block ×4, first 2 shown]
	s_mov_b32 s0, exec_lo
	s_waitcnt vmcnt(6) lgkmcnt(3)
	v_fma_f32 v140, v114, v140, 0
	s_delay_alu instid0(VALU_DEP_1) | instskip(SKIP_4) | instid1(VALU_DEP_1)
	v_fmac_f32_e32 v140, v115, v141
	ds_load_2addr_b32 v[114:115], v2 offset0:93 offset1:94
	s_waitcnt lgkmcnt(3)
	v_fmac_f32_e32 v140, v116, v142
	s_waitcnt vmcnt(5)
	v_fmac_f32_e32 v140, v117, v143
	ds_load_2addr_b32 v[116:117], v2 offset0:95 offset1:96
	s_waitcnt lgkmcnt(3)
	v_fmac_f32_e32 v140, v118, v144
	s_delay_alu instid0(VALU_DEP_1) | instskip(SKIP_1) | instid1(VALU_DEP_1)
	v_fmac_f32_e32 v140, v119, v145
	s_waitcnt lgkmcnt(2)
	v_fmac_f32_e32 v140, v120, v146
	s_waitcnt vmcnt(4)
	s_delay_alu instid0(VALU_DEP_1) | instskip(SKIP_4) | instid1(VALU_DEP_1)
	v_fmac_f32_e32 v140, v121, v147
	ds_load_2addr_b32 v[118:119], v2 offset0:97 offset1:98
	ds_load_2addr_b32 v[120:121], v2 offset0:99 offset1:100
	s_waitcnt lgkmcnt(3)
	v_fmac_f32_e32 v140, v122, v114
	v_fmac_f32_e32 v140, v123, v115
	ds_load_2addr_b32 v[114:115], v2 offset0:101 offset1:102
	s_waitcnt lgkmcnt(3)
	v_fmac_f32_e32 v140, v124, v116
	s_waitcnt vmcnt(3)
	s_delay_alu instid0(VALU_DEP_1) | instskip(SKIP_3) | instid1(VALU_DEP_1)
	v_fmac_f32_e32 v140, v125, v117
	ds_load_2addr_b32 v[116:117], v2 offset0:103 offset1:104
	s_waitcnt lgkmcnt(3)
	v_fmac_f32_e32 v140, v126, v118
	v_fmac_f32_e32 v140, v127, v119
	s_waitcnt lgkmcnt(2)
	s_delay_alu instid0(VALU_DEP_1) | instskip(SKIP_1) | instid1(VALU_DEP_1)
	v_fmac_f32_e32 v140, v128, v120
	s_waitcnt vmcnt(2)
	v_fmac_f32_e32 v140, v129, v121
	ds_load_2addr_b32 v[118:119], v2 offset0:105 offset1:106
	ds_load_2addr_b32 v[120:121], v2 offset0:107 offset1:108
	s_waitcnt lgkmcnt(3)
	v_fmac_f32_e32 v140, v130, v114
	s_delay_alu instid0(VALU_DEP_1) | instskip(SKIP_4) | instid1(VALU_DEP_1)
	v_fmac_f32_e32 v140, v131, v115
	ds_load_2addr_b32 v[114:115], v2 offset0:109 offset1:110
	s_waitcnt lgkmcnt(3)
	v_fmac_f32_e32 v140, v132, v116
	s_waitcnt vmcnt(1)
	v_fmac_f32_e32 v140, v133, v117
	s_waitcnt lgkmcnt(2)
	s_delay_alu instid0(VALU_DEP_1) | instskip(NEXT) | instid1(VALU_DEP_1)
	v_fmac_f32_e32 v140, v134, v118
	v_fmac_f32_e32 v140, v135, v119
	s_waitcnt lgkmcnt(1)
	s_delay_alu instid0(VALU_DEP_1) | instskip(SKIP_1) | instid1(VALU_DEP_1)
	v_fmac_f32_e32 v140, v136, v120
	s_waitcnt vmcnt(0)
	v_fmac_f32_e32 v140, v137, v121
	s_waitcnt lgkmcnt(0)
	s_delay_alu instid0(VALU_DEP_1) | instskip(NEXT) | instid1(VALU_DEP_1)
	v_fmac_f32_e32 v140, v138, v114
	v_fmac_f32_e32 v140, v139, v115
	s_delay_alu instid0(VALU_DEP_1)
	v_sub_f32_e32 v2, v113, v140
	scratch_store_b32 off, v2, off offset:112
	v_cmpx_lt_u32_e32 27, v0
	s_cbranch_execz .LBB118_283
; %bb.282:
	scratch_load_b32 v2, off, off offset:108
	v_mov_b32_e32 v113, 0
	scratch_store_b32 off, v113, off offset:108
	s_waitcnt vmcnt(0)
	ds_store_b32 v1, v2
.LBB118_283:
	s_or_b32 exec_lo, exec_lo, s0
	s_waitcnt lgkmcnt(0)
	s_waitcnt_vscnt null, 0x0
	s_barrier
	buffer_gl0_inv
	s_clause 0x6
	scratch_load_b128 v[113:116], off, off offset:108
	scratch_load_b128 v[117:120], off, off offset:124
	;; [unrolled: 1-line block ×7, first 2 shown]
	v_mov_b32_e32 v2, 0
	ds_load_b128 v[141:144], v2 offset:336
	ds_load_b128 v[145:148], v2 offset:352
	s_mov_b32 s0, exec_lo
	s_waitcnt vmcnt(6) lgkmcnt(1)
	v_fma_f32 v141, v114, v141, 0
	s_delay_alu instid0(VALU_DEP_1) | instskip(NEXT) | instid1(VALU_DEP_1)
	v_fmac_f32_e32 v141, v115, v142
	v_fmac_f32_e32 v141, v116, v143
	s_waitcnt vmcnt(5)
	s_delay_alu instid0(VALU_DEP_1) | instskip(SKIP_3) | instid1(VALU_DEP_1)
	v_fmac_f32_e32 v141, v117, v144
	ds_load_b128 v[114:117], v2 offset:368
	s_waitcnt lgkmcnt(1)
	v_fmac_f32_e32 v141, v118, v145
	v_fmac_f32_e32 v141, v119, v146
	s_delay_alu instid0(VALU_DEP_1) | instskip(SKIP_1) | instid1(VALU_DEP_1)
	v_fmac_f32_e32 v141, v120, v147
	s_waitcnt vmcnt(4)
	v_fmac_f32_e32 v141, v121, v148
	ds_load_b128 v[118:121], v2 offset:384
	s_waitcnt lgkmcnt(1)
	v_fmac_f32_e32 v141, v122, v114
	s_delay_alu instid0(VALU_DEP_1) | instskip(NEXT) | instid1(VALU_DEP_1)
	v_fmac_f32_e32 v141, v123, v115
	v_fmac_f32_e32 v141, v124, v116
	s_waitcnt vmcnt(3)
	s_delay_alu instid0(VALU_DEP_1) | instskip(SKIP_3) | instid1(VALU_DEP_1)
	v_fmac_f32_e32 v141, v125, v117
	ds_load_b128 v[114:117], v2 offset:400
	s_waitcnt lgkmcnt(1)
	v_fmac_f32_e32 v141, v126, v118
	v_fmac_f32_e32 v141, v127, v119
	s_delay_alu instid0(VALU_DEP_1) | instskip(SKIP_1) | instid1(VALU_DEP_1)
	v_fmac_f32_e32 v141, v128, v120
	s_waitcnt vmcnt(2)
	v_fmac_f32_e32 v141, v129, v121
	ds_load_b128 v[118:121], v2 offset:416
	s_waitcnt lgkmcnt(1)
	v_fmac_f32_e32 v141, v130, v114
	s_delay_alu instid0(VALU_DEP_1) | instskip(NEXT) | instid1(VALU_DEP_1)
	v_fmac_f32_e32 v141, v131, v115
	v_fmac_f32_e32 v141, v132, v116
	ds_load_b96 v[114:116], v2 offset:432
	s_waitcnt vmcnt(1)
	v_fmac_f32_e32 v141, v133, v117
	s_waitcnt lgkmcnt(1)
	s_delay_alu instid0(VALU_DEP_1) | instskip(NEXT) | instid1(VALU_DEP_1)
	v_fmac_f32_e32 v141, v134, v118
	v_fmac_f32_e32 v141, v135, v119
	s_delay_alu instid0(VALU_DEP_1) | instskip(SKIP_1) | instid1(VALU_DEP_1)
	v_fmac_f32_e32 v141, v136, v120
	s_waitcnt vmcnt(0)
	v_fmac_f32_e32 v141, v137, v121
	s_waitcnt lgkmcnt(0)
	s_delay_alu instid0(VALU_DEP_1) | instskip(NEXT) | instid1(VALU_DEP_1)
	v_fmac_f32_e32 v141, v138, v114
	v_fmac_f32_e32 v141, v139, v115
	s_delay_alu instid0(VALU_DEP_1) | instskip(NEXT) | instid1(VALU_DEP_1)
	v_fmac_f32_e32 v141, v140, v116
	v_sub_f32_e32 v113, v113, v141
	scratch_store_b32 off, v113, off offset:108
	v_cmpx_lt_u32_e32 26, v0
	s_cbranch_execz .LBB118_285
; %bb.284:
	scratch_load_b32 v113, off, off offset:104
	scratch_store_b32 off, v2, off offset:104
	s_waitcnt vmcnt(0)
	ds_store_b32 v1, v113
.LBB118_285:
	s_or_b32 exec_lo, exec_lo, s0
	s_waitcnt lgkmcnt(0)
	s_waitcnt_vscnt null, 0x0
	s_barrier
	buffer_gl0_inv
	s_clause 0x7
	scratch_load_b128 v[113:116], off, off offset:104
	scratch_load_b128 v[117:120], off, off offset:120
	;; [unrolled: 1-line block ×7, first 2 shown]
	scratch_load_b32 v149, off, off offset:216
	ds_load_2addr_b32 v[141:142], v2 offset0:83 offset1:84
	ds_load_2addr_b32 v[143:144], v2 offset0:85 offset1:86
	;; [unrolled: 1-line block ×4, first 2 shown]
	s_mov_b32 s0, exec_lo
	s_waitcnt vmcnt(7) lgkmcnt(3)
	v_fma_f32 v141, v114, v141, 0
	s_delay_alu instid0(VALU_DEP_1) | instskip(SKIP_4) | instid1(VALU_DEP_1)
	v_fmac_f32_e32 v141, v115, v142
	ds_load_2addr_b32 v[114:115], v2 offset0:91 offset1:92
	s_waitcnt lgkmcnt(3)
	v_fmac_f32_e32 v141, v116, v143
	s_waitcnt vmcnt(6)
	v_fmac_f32_e32 v141, v117, v144
	ds_load_2addr_b32 v[116:117], v2 offset0:93 offset1:94
	s_waitcnt lgkmcnt(3)
	v_fmac_f32_e32 v141, v118, v145
	s_delay_alu instid0(VALU_DEP_1) | instskip(SKIP_1) | instid1(VALU_DEP_1)
	v_fmac_f32_e32 v141, v119, v146
	s_waitcnt lgkmcnt(2)
	v_fmac_f32_e32 v141, v120, v147
	s_waitcnt vmcnt(5)
	s_delay_alu instid0(VALU_DEP_1) | instskip(SKIP_4) | instid1(VALU_DEP_1)
	v_fmac_f32_e32 v141, v121, v148
	ds_load_2addr_b32 v[118:119], v2 offset0:95 offset1:96
	ds_load_2addr_b32 v[120:121], v2 offset0:97 offset1:98
	s_waitcnt lgkmcnt(3)
	v_fmac_f32_e32 v141, v122, v114
	v_fmac_f32_e32 v141, v123, v115
	ds_load_2addr_b32 v[114:115], v2 offset0:99 offset1:100
	s_waitcnt lgkmcnt(3)
	v_fmac_f32_e32 v141, v124, v116
	s_waitcnt vmcnt(4)
	s_delay_alu instid0(VALU_DEP_1) | instskip(SKIP_3) | instid1(VALU_DEP_1)
	v_fmac_f32_e32 v141, v125, v117
	ds_load_2addr_b32 v[116:117], v2 offset0:101 offset1:102
	s_waitcnt lgkmcnt(3)
	v_fmac_f32_e32 v141, v126, v118
	v_fmac_f32_e32 v141, v127, v119
	s_waitcnt lgkmcnt(2)
	s_delay_alu instid0(VALU_DEP_1) | instskip(SKIP_1) | instid1(VALU_DEP_1)
	v_fmac_f32_e32 v141, v128, v120
	s_waitcnt vmcnt(3)
	v_fmac_f32_e32 v141, v129, v121
	ds_load_2addr_b32 v[118:119], v2 offset0:103 offset1:104
	ds_load_2addr_b32 v[120:121], v2 offset0:105 offset1:106
	s_waitcnt lgkmcnt(3)
	v_fmac_f32_e32 v141, v130, v114
	s_delay_alu instid0(VALU_DEP_1) | instskip(SKIP_4) | instid1(VALU_DEP_1)
	v_fmac_f32_e32 v141, v131, v115
	ds_load_2addr_b32 v[114:115], v2 offset0:107 offset1:108
	s_waitcnt lgkmcnt(3)
	v_fmac_f32_e32 v141, v132, v116
	s_waitcnt vmcnt(2)
	v_fmac_f32_e32 v141, v133, v117
	ds_load_2addr_b32 v[116:117], v2 offset0:109 offset1:110
	s_waitcnt lgkmcnt(3)
	v_fmac_f32_e32 v141, v134, v118
	s_delay_alu instid0(VALU_DEP_1) | instskip(SKIP_1) | instid1(VALU_DEP_1)
	v_fmac_f32_e32 v141, v135, v119
	s_waitcnt lgkmcnt(2)
	v_fmac_f32_e32 v141, v136, v120
	s_waitcnt vmcnt(1)
	s_delay_alu instid0(VALU_DEP_1) | instskip(SKIP_1) | instid1(VALU_DEP_1)
	v_fmac_f32_e32 v141, v137, v121
	s_waitcnt lgkmcnt(1)
	v_fmac_f32_e32 v141, v138, v114
	s_delay_alu instid0(VALU_DEP_1) | instskip(SKIP_1) | instid1(VALU_DEP_1)
	v_fmac_f32_e32 v141, v139, v115
	s_waitcnt lgkmcnt(0)
	v_fmac_f32_e32 v141, v140, v116
	s_waitcnt vmcnt(0)
	s_delay_alu instid0(VALU_DEP_1) | instskip(NEXT) | instid1(VALU_DEP_1)
	v_fmac_f32_e32 v141, v149, v117
	v_sub_f32_e32 v2, v113, v141
	scratch_store_b32 off, v2, off offset:104
	v_cmpx_lt_u32_e32 25, v0
	s_cbranch_execz .LBB118_287
; %bb.286:
	scratch_load_b32 v2, off, off offset:100
	v_mov_b32_e32 v113, 0
	scratch_store_b32 off, v113, off offset:100
	s_waitcnt vmcnt(0)
	ds_store_b32 v1, v2
.LBB118_287:
	s_or_b32 exec_lo, exec_lo, s0
	s_waitcnt lgkmcnt(0)
	s_waitcnt_vscnt null, 0x0
	s_barrier
	buffer_gl0_inv
	s_clause 0x7
	scratch_load_b128 v[113:116], off, off offset:100
	scratch_load_b128 v[117:120], off, off offset:116
	;; [unrolled: 1-line block ×7, first 2 shown]
	scratch_load_b64 v[149:150], off, off offset:212
	v_mov_b32_e32 v2, 0
	ds_load_2addr_b64 v[141:144], v2 offset0:41 offset1:42
	ds_load_2addr_b64 v[145:148], v2 offset0:43 offset1:44
	s_mov_b32 s0, exec_lo
	s_waitcnt vmcnt(7) lgkmcnt(1)
	v_fma_f32 v141, v114, v141, 0
	s_delay_alu instid0(VALU_DEP_1) | instskip(NEXT) | instid1(VALU_DEP_1)
	v_fmac_f32_e32 v141, v115, v142
	v_fmac_f32_e32 v141, v116, v143
	s_waitcnt vmcnt(6)
	s_delay_alu instid0(VALU_DEP_1) | instskip(SKIP_3) | instid1(VALU_DEP_1)
	v_fmac_f32_e32 v141, v117, v144
	ds_load_2addr_b64 v[114:117], v2 offset0:45 offset1:46
	s_waitcnt lgkmcnt(1)
	v_fmac_f32_e32 v141, v118, v145
	v_fmac_f32_e32 v141, v119, v146
	s_delay_alu instid0(VALU_DEP_1) | instskip(SKIP_1) | instid1(VALU_DEP_1)
	v_fmac_f32_e32 v141, v120, v147
	s_waitcnt vmcnt(5)
	v_fmac_f32_e32 v141, v121, v148
	ds_load_2addr_b64 v[118:121], v2 offset0:47 offset1:48
	s_waitcnt lgkmcnt(1)
	v_fmac_f32_e32 v141, v122, v114
	s_delay_alu instid0(VALU_DEP_1) | instskip(NEXT) | instid1(VALU_DEP_1)
	v_fmac_f32_e32 v141, v123, v115
	v_fmac_f32_e32 v141, v124, v116
	s_waitcnt vmcnt(4)
	s_delay_alu instid0(VALU_DEP_1) | instskip(SKIP_3) | instid1(VALU_DEP_1)
	v_fmac_f32_e32 v141, v125, v117
	ds_load_2addr_b64 v[114:117], v2 offset0:49 offset1:50
	s_waitcnt lgkmcnt(1)
	v_fmac_f32_e32 v141, v126, v118
	v_fmac_f32_e32 v141, v127, v119
	s_delay_alu instid0(VALU_DEP_1) | instskip(SKIP_1) | instid1(VALU_DEP_1)
	v_fmac_f32_e32 v141, v128, v120
	s_waitcnt vmcnt(3)
	v_fmac_f32_e32 v141, v129, v121
	ds_load_2addr_b64 v[118:121], v2 offset0:51 offset1:52
	s_waitcnt lgkmcnt(1)
	v_fmac_f32_e32 v141, v130, v114
	s_delay_alu instid0(VALU_DEP_1) | instskip(NEXT) | instid1(VALU_DEP_1)
	v_fmac_f32_e32 v141, v131, v115
	v_fmac_f32_e32 v141, v132, v116
	s_waitcnt vmcnt(2)
	s_delay_alu instid0(VALU_DEP_1)
	v_fmac_f32_e32 v141, v133, v117
	ds_load_2addr_b64 v[114:117], v2 offset0:53 offset1:54
	s_waitcnt lgkmcnt(1)
	v_fmac_f32_e32 v141, v134, v118
	ds_load_b32 v118, v2 offset:440
	v_fmac_f32_e32 v141, v135, v119
	s_delay_alu instid0(VALU_DEP_1) | instskip(SKIP_1) | instid1(VALU_DEP_1)
	v_fmac_f32_e32 v141, v136, v120
	s_waitcnt vmcnt(1)
	v_fmac_f32_e32 v141, v137, v121
	s_waitcnt lgkmcnt(1)
	s_delay_alu instid0(VALU_DEP_1) | instskip(NEXT) | instid1(VALU_DEP_1)
	v_fmac_f32_e32 v141, v138, v114
	v_fmac_f32_e32 v141, v139, v115
	s_delay_alu instid0(VALU_DEP_1) | instskip(SKIP_1) | instid1(VALU_DEP_1)
	v_fmac_f32_e32 v141, v140, v116
	s_waitcnt vmcnt(0)
	v_fmac_f32_e32 v141, v149, v117
	s_waitcnt lgkmcnt(0)
	s_delay_alu instid0(VALU_DEP_1) | instskip(NEXT) | instid1(VALU_DEP_1)
	v_fmac_f32_e32 v141, v150, v118
	v_sub_f32_e32 v113, v113, v141
	scratch_store_b32 off, v113, off offset:100
	v_cmpx_lt_u32_e32 24, v0
	s_cbranch_execz .LBB118_289
; %bb.288:
	scratch_load_b32 v113, off, off offset:96
	scratch_store_b32 off, v2, off offset:96
	s_waitcnt vmcnt(0)
	ds_store_b32 v1, v113
.LBB118_289:
	s_or_b32 exec_lo, exec_lo, s0
	s_waitcnt lgkmcnt(0)
	s_waitcnt_vscnt null, 0x0
	s_barrier
	buffer_gl0_inv
	s_clause 0x7
	scratch_load_b128 v[113:116], off, off offset:96
	scratch_load_b128 v[117:120], off, off offset:112
	;; [unrolled: 1-line block ×7, first 2 shown]
	scratch_load_b96 v[141:143], off, off offset:208
	ds_load_2addr_b32 v[144:145], v2 offset0:81 offset1:82
	ds_load_2addr_b32 v[146:147], v2 offset0:83 offset1:84
	;; [unrolled: 1-line block ×4, first 2 shown]
	s_mov_b32 s0, exec_lo
	s_waitcnt vmcnt(7) lgkmcnt(3)
	v_fma_f32 v144, v114, v144, 0
	s_delay_alu instid0(VALU_DEP_1) | instskip(SKIP_4) | instid1(VALU_DEP_1)
	v_fmac_f32_e32 v144, v115, v145
	ds_load_2addr_b32 v[114:115], v2 offset0:89 offset1:90
	s_waitcnt lgkmcnt(3)
	v_fmac_f32_e32 v144, v116, v146
	s_waitcnt vmcnt(6)
	v_fmac_f32_e32 v144, v117, v147
	ds_load_2addr_b32 v[116:117], v2 offset0:91 offset1:92
	s_waitcnt lgkmcnt(3)
	v_fmac_f32_e32 v144, v118, v148
	s_delay_alu instid0(VALU_DEP_1) | instskip(SKIP_1) | instid1(VALU_DEP_1)
	v_fmac_f32_e32 v144, v119, v149
	s_waitcnt lgkmcnt(2)
	v_fmac_f32_e32 v144, v120, v150
	s_waitcnt vmcnt(5)
	s_delay_alu instid0(VALU_DEP_1) | instskip(SKIP_4) | instid1(VALU_DEP_1)
	v_fmac_f32_e32 v144, v121, v151
	ds_load_2addr_b32 v[118:119], v2 offset0:93 offset1:94
	ds_load_2addr_b32 v[120:121], v2 offset0:95 offset1:96
	s_waitcnt lgkmcnt(3)
	v_fmac_f32_e32 v144, v122, v114
	v_fmac_f32_e32 v144, v123, v115
	ds_load_2addr_b32 v[114:115], v2 offset0:97 offset1:98
	s_waitcnt lgkmcnt(3)
	v_fmac_f32_e32 v144, v124, v116
	s_waitcnt vmcnt(4)
	s_delay_alu instid0(VALU_DEP_1) | instskip(SKIP_3) | instid1(VALU_DEP_1)
	v_fmac_f32_e32 v144, v125, v117
	ds_load_2addr_b32 v[116:117], v2 offset0:99 offset1:100
	s_waitcnt lgkmcnt(3)
	v_fmac_f32_e32 v144, v126, v118
	v_fmac_f32_e32 v144, v127, v119
	s_waitcnt lgkmcnt(2)
	s_delay_alu instid0(VALU_DEP_1) | instskip(SKIP_1) | instid1(VALU_DEP_1)
	v_fmac_f32_e32 v144, v128, v120
	s_waitcnt vmcnt(3)
	v_fmac_f32_e32 v144, v129, v121
	ds_load_2addr_b32 v[118:119], v2 offset0:101 offset1:102
	ds_load_2addr_b32 v[120:121], v2 offset0:103 offset1:104
	s_waitcnt lgkmcnt(3)
	v_fmac_f32_e32 v144, v130, v114
	s_delay_alu instid0(VALU_DEP_1) | instskip(SKIP_4) | instid1(VALU_DEP_1)
	v_fmac_f32_e32 v144, v131, v115
	ds_load_2addr_b32 v[114:115], v2 offset0:105 offset1:106
	s_waitcnt lgkmcnt(3)
	v_fmac_f32_e32 v144, v132, v116
	s_waitcnt vmcnt(2)
	v_fmac_f32_e32 v144, v133, v117
	ds_load_2addr_b32 v[116:117], v2 offset0:107 offset1:108
	s_waitcnt lgkmcnt(3)
	v_fmac_f32_e32 v144, v134, v118
	s_delay_alu instid0(VALU_DEP_1) | instskip(SKIP_4) | instid1(VALU_DEP_1)
	v_fmac_f32_e32 v144, v135, v119
	ds_load_2addr_b32 v[118:119], v2 offset0:109 offset1:110
	s_waitcnt lgkmcnt(3)
	v_fmac_f32_e32 v144, v136, v120
	s_waitcnt vmcnt(1)
	v_fmac_f32_e32 v144, v137, v121
	s_waitcnt lgkmcnt(2)
	s_delay_alu instid0(VALU_DEP_1) | instskip(NEXT) | instid1(VALU_DEP_1)
	v_fmac_f32_e32 v144, v138, v114
	v_fmac_f32_e32 v144, v139, v115
	s_waitcnt lgkmcnt(1)
	s_delay_alu instid0(VALU_DEP_1) | instskip(SKIP_1) | instid1(VALU_DEP_1)
	v_fmac_f32_e32 v144, v140, v116
	s_waitcnt vmcnt(0)
	v_fmac_f32_e32 v144, v141, v117
	s_waitcnt lgkmcnt(0)
	s_delay_alu instid0(VALU_DEP_1) | instskip(NEXT) | instid1(VALU_DEP_1)
	v_fmac_f32_e32 v144, v142, v118
	v_fmac_f32_e32 v144, v143, v119
	s_delay_alu instid0(VALU_DEP_1)
	v_sub_f32_e32 v2, v113, v144
	scratch_store_b32 off, v2, off offset:96
	v_cmpx_lt_u32_e32 23, v0
	s_cbranch_execz .LBB118_291
; %bb.290:
	scratch_load_b32 v2, off, off offset:92
	v_mov_b32_e32 v113, 0
	scratch_store_b32 off, v113, off offset:92
	s_waitcnt vmcnt(0)
	ds_store_b32 v1, v2
.LBB118_291:
	s_or_b32 exec_lo, exec_lo, s0
	s_waitcnt lgkmcnt(0)
	s_waitcnt_vscnt null, 0x0
	s_barrier
	buffer_gl0_inv
	s_clause 0x7
	scratch_load_b128 v[113:116], off, off offset:92
	scratch_load_b128 v[117:120], off, off offset:108
	;; [unrolled: 1-line block ×8, first 2 shown]
	v_mov_b32_e32 v2, 0
	ds_load_b128 v[145:148], v2 offset:320
	ds_load_b128 v[149:152], v2 offset:336
	s_mov_b32 s0, exec_lo
	s_waitcnt vmcnt(7) lgkmcnt(1)
	v_fma_f32 v145, v114, v145, 0
	s_delay_alu instid0(VALU_DEP_1) | instskip(NEXT) | instid1(VALU_DEP_1)
	v_fmac_f32_e32 v145, v115, v146
	v_fmac_f32_e32 v145, v116, v147
	s_waitcnt vmcnt(6)
	s_delay_alu instid0(VALU_DEP_1) | instskip(SKIP_3) | instid1(VALU_DEP_1)
	v_fmac_f32_e32 v145, v117, v148
	ds_load_b128 v[114:117], v2 offset:352
	s_waitcnt lgkmcnt(1)
	v_fmac_f32_e32 v145, v118, v149
	v_fmac_f32_e32 v145, v119, v150
	s_delay_alu instid0(VALU_DEP_1) | instskip(SKIP_1) | instid1(VALU_DEP_1)
	v_fmac_f32_e32 v145, v120, v151
	s_waitcnt vmcnt(5)
	v_fmac_f32_e32 v145, v121, v152
	ds_load_b128 v[118:121], v2 offset:368
	s_waitcnt lgkmcnt(1)
	v_fmac_f32_e32 v145, v122, v114
	s_delay_alu instid0(VALU_DEP_1) | instskip(NEXT) | instid1(VALU_DEP_1)
	v_fmac_f32_e32 v145, v123, v115
	v_fmac_f32_e32 v145, v124, v116
	s_waitcnt vmcnt(4)
	s_delay_alu instid0(VALU_DEP_1) | instskip(SKIP_3) | instid1(VALU_DEP_1)
	v_fmac_f32_e32 v145, v125, v117
	ds_load_b128 v[114:117], v2 offset:384
	s_waitcnt lgkmcnt(1)
	v_fmac_f32_e32 v145, v126, v118
	v_fmac_f32_e32 v145, v127, v119
	s_delay_alu instid0(VALU_DEP_1) | instskip(SKIP_1) | instid1(VALU_DEP_1)
	v_fmac_f32_e32 v145, v128, v120
	s_waitcnt vmcnt(3)
	v_fmac_f32_e32 v145, v129, v121
	ds_load_b128 v[118:121], v2 offset:400
	s_waitcnt lgkmcnt(1)
	v_fmac_f32_e32 v145, v130, v114
	s_delay_alu instid0(VALU_DEP_1) | instskip(NEXT) | instid1(VALU_DEP_1)
	v_fmac_f32_e32 v145, v131, v115
	v_fmac_f32_e32 v145, v132, v116
	s_waitcnt vmcnt(2)
	s_delay_alu instid0(VALU_DEP_1) | instskip(SKIP_3) | instid1(VALU_DEP_1)
	v_fmac_f32_e32 v145, v133, v117
	ds_load_b128 v[114:117], v2 offset:416
	s_waitcnt lgkmcnt(1)
	v_fmac_f32_e32 v145, v134, v118
	v_fmac_f32_e32 v145, v135, v119
	s_delay_alu instid0(VALU_DEP_1) | instskip(SKIP_4) | instid1(VALU_DEP_1)
	v_fmac_f32_e32 v145, v136, v120
	ds_load_b96 v[118:120], v2 offset:432
	s_waitcnt vmcnt(1)
	v_fmac_f32_e32 v145, v137, v121
	s_waitcnt lgkmcnt(1)
	v_fmac_f32_e32 v145, v138, v114
	s_delay_alu instid0(VALU_DEP_1) | instskip(NEXT) | instid1(VALU_DEP_1)
	v_fmac_f32_e32 v145, v139, v115
	v_fmac_f32_e32 v145, v140, v116
	s_waitcnt vmcnt(0)
	s_delay_alu instid0(VALU_DEP_1) | instskip(SKIP_1) | instid1(VALU_DEP_1)
	v_fmac_f32_e32 v145, v141, v117
	s_waitcnt lgkmcnt(0)
	v_fmac_f32_e32 v145, v142, v118
	s_delay_alu instid0(VALU_DEP_1) | instskip(NEXT) | instid1(VALU_DEP_1)
	v_fmac_f32_e32 v145, v143, v119
	v_fmac_f32_e32 v145, v144, v120
	s_delay_alu instid0(VALU_DEP_1)
	v_sub_f32_e32 v113, v113, v145
	scratch_store_b32 off, v113, off offset:92
	v_cmpx_lt_u32_e32 22, v0
	s_cbranch_execz .LBB118_293
; %bb.292:
	scratch_load_b32 v113, off, off offset:88
	scratch_store_b32 off, v2, off offset:88
	s_waitcnt vmcnt(0)
	ds_store_b32 v1, v113
.LBB118_293:
	s_or_b32 exec_lo, exec_lo, s0
	s_waitcnt lgkmcnt(0)
	s_waitcnt_vscnt null, 0x0
	s_barrier
	buffer_gl0_inv
	s_clause 0x8
	scratch_load_b128 v[113:116], off, off offset:88
	scratch_load_b128 v[117:120], off, off offset:104
	;; [unrolled: 1-line block ×8, first 2 shown]
	scratch_load_b32 v153, off, off offset:216
	ds_load_2addr_b32 v[145:146], v2 offset0:79 offset1:80
	ds_load_2addr_b32 v[147:148], v2 offset0:81 offset1:82
	ds_load_2addr_b32 v[149:150], v2 offset0:83 offset1:84
	ds_load_2addr_b32 v[151:152], v2 offset0:85 offset1:86
	s_mov_b32 s0, exec_lo
	s_waitcnt vmcnt(8) lgkmcnt(3)
	v_fma_f32 v145, v114, v145, 0
	s_delay_alu instid0(VALU_DEP_1) | instskip(SKIP_4) | instid1(VALU_DEP_1)
	v_fmac_f32_e32 v145, v115, v146
	ds_load_2addr_b32 v[114:115], v2 offset0:87 offset1:88
	s_waitcnt lgkmcnt(3)
	v_fmac_f32_e32 v145, v116, v147
	s_waitcnt vmcnt(7)
	v_fmac_f32_e32 v145, v117, v148
	ds_load_2addr_b32 v[116:117], v2 offset0:89 offset1:90
	s_waitcnt lgkmcnt(3)
	v_fmac_f32_e32 v145, v118, v149
	s_delay_alu instid0(VALU_DEP_1) | instskip(SKIP_1) | instid1(VALU_DEP_1)
	v_fmac_f32_e32 v145, v119, v150
	s_waitcnt lgkmcnt(2)
	v_fmac_f32_e32 v145, v120, v151
	s_waitcnt vmcnt(6)
	s_delay_alu instid0(VALU_DEP_1) | instskip(SKIP_4) | instid1(VALU_DEP_1)
	v_fmac_f32_e32 v145, v121, v152
	ds_load_2addr_b32 v[118:119], v2 offset0:91 offset1:92
	ds_load_2addr_b32 v[120:121], v2 offset0:93 offset1:94
	s_waitcnt lgkmcnt(3)
	v_fmac_f32_e32 v145, v122, v114
	v_fmac_f32_e32 v145, v123, v115
	ds_load_2addr_b32 v[114:115], v2 offset0:95 offset1:96
	s_waitcnt lgkmcnt(3)
	v_fmac_f32_e32 v145, v124, v116
	s_waitcnt vmcnt(5)
	s_delay_alu instid0(VALU_DEP_1) | instskip(SKIP_3) | instid1(VALU_DEP_1)
	v_fmac_f32_e32 v145, v125, v117
	ds_load_2addr_b32 v[116:117], v2 offset0:97 offset1:98
	s_waitcnt lgkmcnt(3)
	v_fmac_f32_e32 v145, v126, v118
	v_fmac_f32_e32 v145, v127, v119
	s_waitcnt lgkmcnt(2)
	s_delay_alu instid0(VALU_DEP_1) | instskip(SKIP_1) | instid1(VALU_DEP_1)
	v_fmac_f32_e32 v145, v128, v120
	s_waitcnt vmcnt(4)
	v_fmac_f32_e32 v145, v129, v121
	ds_load_2addr_b32 v[118:119], v2 offset0:99 offset1:100
	ds_load_2addr_b32 v[120:121], v2 offset0:101 offset1:102
	s_waitcnt lgkmcnt(3)
	v_fmac_f32_e32 v145, v130, v114
	s_delay_alu instid0(VALU_DEP_1) | instskip(SKIP_4) | instid1(VALU_DEP_1)
	v_fmac_f32_e32 v145, v131, v115
	ds_load_2addr_b32 v[114:115], v2 offset0:103 offset1:104
	s_waitcnt lgkmcnt(3)
	v_fmac_f32_e32 v145, v132, v116
	s_waitcnt vmcnt(3)
	v_fmac_f32_e32 v145, v133, v117
	ds_load_2addr_b32 v[116:117], v2 offset0:105 offset1:106
	s_waitcnt lgkmcnt(3)
	v_fmac_f32_e32 v145, v134, v118
	s_delay_alu instid0(VALU_DEP_1) | instskip(SKIP_1) | instid1(VALU_DEP_1)
	v_fmac_f32_e32 v145, v135, v119
	s_waitcnt lgkmcnt(2)
	v_fmac_f32_e32 v145, v136, v120
	s_waitcnt vmcnt(2)
	s_delay_alu instid0(VALU_DEP_1) | instskip(SKIP_4) | instid1(VALU_DEP_1)
	v_fmac_f32_e32 v145, v137, v121
	ds_load_2addr_b32 v[118:119], v2 offset0:107 offset1:108
	ds_load_2addr_b32 v[120:121], v2 offset0:109 offset1:110
	s_waitcnt lgkmcnt(3)
	v_fmac_f32_e32 v145, v138, v114
	v_fmac_f32_e32 v145, v139, v115
	s_waitcnt lgkmcnt(2)
	s_delay_alu instid0(VALU_DEP_1) | instskip(SKIP_1) | instid1(VALU_DEP_1)
	v_fmac_f32_e32 v145, v140, v116
	s_waitcnt vmcnt(1)
	v_fmac_f32_e32 v145, v141, v117
	s_waitcnt lgkmcnt(1)
	s_delay_alu instid0(VALU_DEP_1) | instskip(NEXT) | instid1(VALU_DEP_1)
	v_fmac_f32_e32 v145, v142, v118
	v_fmac_f32_e32 v145, v143, v119
	s_waitcnt lgkmcnt(0)
	s_delay_alu instid0(VALU_DEP_1) | instskip(SKIP_1) | instid1(VALU_DEP_1)
	v_fmac_f32_e32 v145, v144, v120
	s_waitcnt vmcnt(0)
	v_fmac_f32_e32 v145, v153, v121
	s_delay_alu instid0(VALU_DEP_1)
	v_sub_f32_e32 v2, v113, v145
	scratch_store_b32 off, v2, off offset:88
	v_cmpx_lt_u32_e32 21, v0
	s_cbranch_execz .LBB118_295
; %bb.294:
	scratch_load_b32 v2, off, off offset:84
	v_mov_b32_e32 v113, 0
	scratch_store_b32 off, v113, off offset:84
	s_waitcnt vmcnt(0)
	ds_store_b32 v1, v2
.LBB118_295:
	s_or_b32 exec_lo, exec_lo, s0
	s_waitcnt lgkmcnt(0)
	s_waitcnt_vscnt null, 0x0
	s_barrier
	buffer_gl0_inv
	s_clause 0x8
	scratch_load_b128 v[113:116], off, off offset:84
	scratch_load_b128 v[117:120], off, off offset:100
	;; [unrolled: 1-line block ×8, first 2 shown]
	scratch_load_b64 v[153:154], off, off offset:212
	v_mov_b32_e32 v2, 0
	ds_load_2addr_b64 v[145:148], v2 offset0:39 offset1:40
	ds_load_2addr_b64 v[149:152], v2 offset0:41 offset1:42
	s_mov_b32 s0, exec_lo
	s_waitcnt vmcnt(8) lgkmcnt(1)
	v_fma_f32 v145, v114, v145, 0
	s_delay_alu instid0(VALU_DEP_1) | instskip(NEXT) | instid1(VALU_DEP_1)
	v_fmac_f32_e32 v145, v115, v146
	v_fmac_f32_e32 v145, v116, v147
	s_waitcnt vmcnt(7)
	s_delay_alu instid0(VALU_DEP_1) | instskip(SKIP_3) | instid1(VALU_DEP_1)
	v_fmac_f32_e32 v145, v117, v148
	ds_load_2addr_b64 v[114:117], v2 offset0:43 offset1:44
	s_waitcnt lgkmcnt(1)
	v_fmac_f32_e32 v145, v118, v149
	v_fmac_f32_e32 v145, v119, v150
	s_delay_alu instid0(VALU_DEP_1) | instskip(SKIP_1) | instid1(VALU_DEP_1)
	v_fmac_f32_e32 v145, v120, v151
	s_waitcnt vmcnt(6)
	v_fmac_f32_e32 v145, v121, v152
	ds_load_2addr_b64 v[118:121], v2 offset0:45 offset1:46
	s_waitcnt lgkmcnt(1)
	v_fmac_f32_e32 v145, v122, v114
	s_delay_alu instid0(VALU_DEP_1) | instskip(NEXT) | instid1(VALU_DEP_1)
	v_fmac_f32_e32 v145, v123, v115
	v_fmac_f32_e32 v145, v124, v116
	s_waitcnt vmcnt(5)
	s_delay_alu instid0(VALU_DEP_1) | instskip(SKIP_3) | instid1(VALU_DEP_1)
	v_fmac_f32_e32 v145, v125, v117
	ds_load_2addr_b64 v[114:117], v2 offset0:47 offset1:48
	s_waitcnt lgkmcnt(1)
	v_fmac_f32_e32 v145, v126, v118
	v_fmac_f32_e32 v145, v127, v119
	s_delay_alu instid0(VALU_DEP_1) | instskip(SKIP_1) | instid1(VALU_DEP_1)
	v_fmac_f32_e32 v145, v128, v120
	s_waitcnt vmcnt(4)
	v_fmac_f32_e32 v145, v129, v121
	ds_load_2addr_b64 v[118:121], v2 offset0:49 offset1:50
	s_waitcnt lgkmcnt(1)
	v_fmac_f32_e32 v145, v130, v114
	;; [unrolled: 17-line block ×3, first 2 shown]
	ds_load_b32 v114, v2 offset:440
	v_fmac_f32_e32 v145, v139, v115
	s_delay_alu instid0(VALU_DEP_1) | instskip(SKIP_1) | instid1(VALU_DEP_1)
	v_fmac_f32_e32 v145, v140, v116
	s_waitcnt vmcnt(1)
	v_fmac_f32_e32 v145, v141, v117
	s_waitcnt lgkmcnt(1)
	s_delay_alu instid0(VALU_DEP_1) | instskip(NEXT) | instid1(VALU_DEP_1)
	v_fmac_f32_e32 v145, v142, v118
	v_fmac_f32_e32 v145, v143, v119
	s_delay_alu instid0(VALU_DEP_1) | instskip(SKIP_1) | instid1(VALU_DEP_1)
	v_fmac_f32_e32 v145, v144, v120
	s_waitcnt vmcnt(0)
	v_fmac_f32_e32 v145, v153, v121
	s_waitcnt lgkmcnt(0)
	s_delay_alu instid0(VALU_DEP_1) | instskip(NEXT) | instid1(VALU_DEP_1)
	v_fmac_f32_e32 v145, v154, v114
	v_sub_f32_e32 v113, v113, v145
	scratch_store_b32 off, v113, off offset:84
	v_cmpx_lt_u32_e32 20, v0
	s_cbranch_execz .LBB118_297
; %bb.296:
	scratch_load_b32 v113, off, off offset:80
	scratch_store_b32 off, v2, off offset:80
	s_waitcnt vmcnt(0)
	ds_store_b32 v1, v113
.LBB118_297:
	s_or_b32 exec_lo, exec_lo, s0
	s_waitcnt lgkmcnt(0)
	s_waitcnt_vscnt null, 0x0
	s_barrier
	buffer_gl0_inv
	s_clause 0x8
	scratch_load_b128 v[113:116], off, off offset:80
	scratch_load_b128 v[117:120], off, off offset:96
	;; [unrolled: 1-line block ×8, first 2 shown]
	scratch_load_b96 v[145:147], off, off offset:208
	ds_load_2addr_b32 v[148:149], v2 offset0:77 offset1:78
	ds_load_2addr_b32 v[150:151], v2 offset0:79 offset1:80
	ds_load_2addr_b32 v[152:153], v2 offset0:81 offset1:82
	ds_load_2addr_b32 v[154:155], v2 offset0:83 offset1:84
	s_mov_b32 s0, exec_lo
	s_waitcnt vmcnt(8) lgkmcnt(3)
	v_fma_f32 v148, v114, v148, 0
	s_delay_alu instid0(VALU_DEP_1) | instskip(SKIP_4) | instid1(VALU_DEP_1)
	v_fmac_f32_e32 v148, v115, v149
	ds_load_2addr_b32 v[114:115], v2 offset0:85 offset1:86
	s_waitcnt lgkmcnt(3)
	v_fmac_f32_e32 v148, v116, v150
	s_waitcnt vmcnt(7)
	v_fmac_f32_e32 v148, v117, v151
	ds_load_2addr_b32 v[116:117], v2 offset0:87 offset1:88
	s_waitcnt lgkmcnt(3)
	v_fmac_f32_e32 v148, v118, v152
	s_delay_alu instid0(VALU_DEP_1) | instskip(SKIP_1) | instid1(VALU_DEP_1)
	v_fmac_f32_e32 v148, v119, v153
	s_waitcnt lgkmcnt(2)
	v_fmac_f32_e32 v148, v120, v154
	s_waitcnt vmcnt(6)
	s_delay_alu instid0(VALU_DEP_1) | instskip(SKIP_4) | instid1(VALU_DEP_1)
	v_fmac_f32_e32 v148, v121, v155
	ds_load_2addr_b32 v[118:119], v2 offset0:89 offset1:90
	ds_load_2addr_b32 v[120:121], v2 offset0:91 offset1:92
	s_waitcnt lgkmcnt(3)
	v_fmac_f32_e32 v148, v122, v114
	v_fmac_f32_e32 v148, v123, v115
	ds_load_2addr_b32 v[114:115], v2 offset0:93 offset1:94
	s_waitcnt lgkmcnt(3)
	v_fmac_f32_e32 v148, v124, v116
	s_waitcnt vmcnt(5)
	s_delay_alu instid0(VALU_DEP_1) | instskip(SKIP_3) | instid1(VALU_DEP_1)
	v_fmac_f32_e32 v148, v125, v117
	ds_load_2addr_b32 v[116:117], v2 offset0:95 offset1:96
	s_waitcnt lgkmcnt(3)
	v_fmac_f32_e32 v148, v126, v118
	v_fmac_f32_e32 v148, v127, v119
	s_waitcnt lgkmcnt(2)
	s_delay_alu instid0(VALU_DEP_1) | instskip(SKIP_1) | instid1(VALU_DEP_1)
	v_fmac_f32_e32 v148, v128, v120
	s_waitcnt vmcnt(4)
	v_fmac_f32_e32 v148, v129, v121
	ds_load_2addr_b32 v[118:119], v2 offset0:97 offset1:98
	ds_load_2addr_b32 v[120:121], v2 offset0:99 offset1:100
	s_waitcnt lgkmcnt(3)
	v_fmac_f32_e32 v148, v130, v114
	s_delay_alu instid0(VALU_DEP_1) | instskip(SKIP_4) | instid1(VALU_DEP_1)
	v_fmac_f32_e32 v148, v131, v115
	ds_load_2addr_b32 v[114:115], v2 offset0:101 offset1:102
	s_waitcnt lgkmcnt(3)
	v_fmac_f32_e32 v148, v132, v116
	s_waitcnt vmcnt(3)
	v_fmac_f32_e32 v148, v133, v117
	ds_load_2addr_b32 v[116:117], v2 offset0:103 offset1:104
	s_waitcnt lgkmcnt(3)
	v_fmac_f32_e32 v148, v134, v118
	s_delay_alu instid0(VALU_DEP_1) | instskip(SKIP_1) | instid1(VALU_DEP_1)
	v_fmac_f32_e32 v148, v135, v119
	s_waitcnt lgkmcnt(2)
	v_fmac_f32_e32 v148, v136, v120
	s_waitcnt vmcnt(2)
	s_delay_alu instid0(VALU_DEP_1) | instskip(SKIP_4) | instid1(VALU_DEP_1)
	v_fmac_f32_e32 v148, v137, v121
	ds_load_2addr_b32 v[118:119], v2 offset0:105 offset1:106
	ds_load_2addr_b32 v[120:121], v2 offset0:107 offset1:108
	s_waitcnt lgkmcnt(3)
	v_fmac_f32_e32 v148, v138, v114
	v_fmac_f32_e32 v148, v139, v115
	ds_load_2addr_b32 v[114:115], v2 offset0:109 offset1:110
	s_waitcnt lgkmcnt(3)
	v_fmac_f32_e32 v148, v140, v116
	s_waitcnt vmcnt(1)
	s_delay_alu instid0(VALU_DEP_1) | instskip(SKIP_1) | instid1(VALU_DEP_1)
	v_fmac_f32_e32 v148, v141, v117
	s_waitcnt lgkmcnt(2)
	v_fmac_f32_e32 v148, v142, v118
	s_delay_alu instid0(VALU_DEP_1) | instskip(SKIP_1) | instid1(VALU_DEP_1)
	v_fmac_f32_e32 v148, v143, v119
	s_waitcnt lgkmcnt(1)
	v_fmac_f32_e32 v148, v144, v120
	s_waitcnt vmcnt(0)
	s_delay_alu instid0(VALU_DEP_1) | instskip(SKIP_1) | instid1(VALU_DEP_1)
	v_fmac_f32_e32 v148, v145, v121
	s_waitcnt lgkmcnt(0)
	v_fmac_f32_e32 v148, v146, v114
	s_delay_alu instid0(VALU_DEP_1) | instskip(NEXT) | instid1(VALU_DEP_1)
	v_fmac_f32_e32 v148, v147, v115
	v_sub_f32_e32 v2, v113, v148
	scratch_store_b32 off, v2, off offset:80
	v_cmpx_lt_u32_e32 19, v0
	s_cbranch_execz .LBB118_299
; %bb.298:
	scratch_load_b32 v2, off, off offset:76
	v_mov_b32_e32 v113, 0
	scratch_store_b32 off, v113, off offset:76
	s_waitcnt vmcnt(0)
	ds_store_b32 v1, v2
.LBB118_299:
	s_or_b32 exec_lo, exec_lo, s0
	s_waitcnt lgkmcnt(0)
	s_waitcnt_vscnt null, 0x0
	s_barrier
	buffer_gl0_inv
	s_clause 0x8
	scratch_load_b128 v[113:116], off, off offset:76
	scratch_load_b128 v[117:120], off, off offset:92
	;; [unrolled: 1-line block ×9, first 2 shown]
	v_mov_b32_e32 v2, 0
	ds_load_b128 v[149:152], v2 offset:304
	ds_load_b128 v[153:156], v2 offset:320
	s_mov_b32 s0, exec_lo
	s_waitcnt vmcnt(8) lgkmcnt(1)
	v_fma_f32 v149, v114, v149, 0
	s_delay_alu instid0(VALU_DEP_1) | instskip(NEXT) | instid1(VALU_DEP_1)
	v_fmac_f32_e32 v149, v115, v150
	v_fmac_f32_e32 v149, v116, v151
	s_waitcnt vmcnt(7)
	s_delay_alu instid0(VALU_DEP_1) | instskip(SKIP_3) | instid1(VALU_DEP_1)
	v_fmac_f32_e32 v149, v117, v152
	ds_load_b128 v[114:117], v2 offset:336
	s_waitcnt lgkmcnt(1)
	v_fmac_f32_e32 v149, v118, v153
	v_fmac_f32_e32 v149, v119, v154
	s_delay_alu instid0(VALU_DEP_1) | instskip(SKIP_1) | instid1(VALU_DEP_1)
	v_fmac_f32_e32 v149, v120, v155
	s_waitcnt vmcnt(6)
	v_fmac_f32_e32 v149, v121, v156
	ds_load_b128 v[118:121], v2 offset:352
	s_waitcnt lgkmcnt(1)
	v_fmac_f32_e32 v149, v122, v114
	s_delay_alu instid0(VALU_DEP_1) | instskip(NEXT) | instid1(VALU_DEP_1)
	v_fmac_f32_e32 v149, v123, v115
	v_fmac_f32_e32 v149, v124, v116
	s_waitcnt vmcnt(5)
	s_delay_alu instid0(VALU_DEP_1) | instskip(SKIP_3) | instid1(VALU_DEP_1)
	v_fmac_f32_e32 v149, v125, v117
	ds_load_b128 v[114:117], v2 offset:368
	s_waitcnt lgkmcnt(1)
	v_fmac_f32_e32 v149, v126, v118
	v_fmac_f32_e32 v149, v127, v119
	s_delay_alu instid0(VALU_DEP_1) | instskip(SKIP_1) | instid1(VALU_DEP_1)
	v_fmac_f32_e32 v149, v128, v120
	s_waitcnt vmcnt(4)
	v_fmac_f32_e32 v149, v129, v121
	ds_load_b128 v[118:121], v2 offset:384
	s_waitcnt lgkmcnt(1)
	v_fmac_f32_e32 v149, v130, v114
	;; [unrolled: 17-line block ×3, first 2 shown]
	s_delay_alu instid0(VALU_DEP_1) | instskip(NEXT) | instid1(VALU_DEP_1)
	v_fmac_f32_e32 v149, v139, v115
	v_fmac_f32_e32 v149, v140, v116
	ds_load_b96 v[114:116], v2 offset:432
	s_waitcnt vmcnt(1)
	v_fmac_f32_e32 v149, v141, v117
	s_waitcnt lgkmcnt(1)
	s_delay_alu instid0(VALU_DEP_1) | instskip(NEXT) | instid1(VALU_DEP_1)
	v_fmac_f32_e32 v149, v142, v118
	v_fmac_f32_e32 v149, v143, v119
	s_delay_alu instid0(VALU_DEP_1) | instskip(SKIP_1) | instid1(VALU_DEP_1)
	v_fmac_f32_e32 v149, v144, v120
	s_waitcnt vmcnt(0)
	v_fmac_f32_e32 v149, v145, v121
	s_waitcnt lgkmcnt(0)
	s_delay_alu instid0(VALU_DEP_1) | instskip(NEXT) | instid1(VALU_DEP_1)
	v_fmac_f32_e32 v149, v146, v114
	v_fmac_f32_e32 v149, v147, v115
	s_delay_alu instid0(VALU_DEP_1) | instskip(NEXT) | instid1(VALU_DEP_1)
	v_fmac_f32_e32 v149, v148, v116
	v_sub_f32_e32 v113, v113, v149
	scratch_store_b32 off, v113, off offset:76
	v_cmpx_lt_u32_e32 18, v0
	s_cbranch_execz .LBB118_301
; %bb.300:
	scratch_load_b32 v113, off, off offset:72
	scratch_store_b32 off, v2, off offset:72
	s_waitcnt vmcnt(0)
	ds_store_b32 v1, v113
.LBB118_301:
	s_or_b32 exec_lo, exec_lo, s0
	s_waitcnt lgkmcnt(0)
	s_waitcnt_vscnt null, 0x0
	s_barrier
	buffer_gl0_inv
	s_clause 0x9
	scratch_load_b128 v[113:116], off, off offset:72
	scratch_load_b128 v[117:120], off, off offset:88
	;; [unrolled: 1-line block ×9, first 2 shown]
	scratch_load_b32 v157, off, off offset:216
	ds_load_2addr_b32 v[149:150], v2 offset0:75 offset1:76
	ds_load_2addr_b32 v[151:152], v2 offset0:77 offset1:78
	;; [unrolled: 1-line block ×4, first 2 shown]
	s_mov_b32 s0, exec_lo
	s_waitcnt vmcnt(9) lgkmcnt(3)
	v_fma_f32 v149, v114, v149, 0
	s_delay_alu instid0(VALU_DEP_1) | instskip(SKIP_4) | instid1(VALU_DEP_1)
	v_fmac_f32_e32 v149, v115, v150
	ds_load_2addr_b32 v[114:115], v2 offset0:83 offset1:84
	s_waitcnt lgkmcnt(3)
	v_fmac_f32_e32 v149, v116, v151
	s_waitcnt vmcnt(8)
	v_fmac_f32_e32 v149, v117, v152
	ds_load_2addr_b32 v[116:117], v2 offset0:85 offset1:86
	s_waitcnt lgkmcnt(3)
	v_fmac_f32_e32 v149, v118, v153
	s_delay_alu instid0(VALU_DEP_1) | instskip(SKIP_1) | instid1(VALU_DEP_1)
	v_fmac_f32_e32 v149, v119, v154
	s_waitcnt lgkmcnt(2)
	v_fmac_f32_e32 v149, v120, v155
	s_waitcnt vmcnt(7)
	s_delay_alu instid0(VALU_DEP_1) | instskip(SKIP_4) | instid1(VALU_DEP_1)
	v_fmac_f32_e32 v149, v121, v156
	ds_load_2addr_b32 v[118:119], v2 offset0:87 offset1:88
	ds_load_2addr_b32 v[120:121], v2 offset0:89 offset1:90
	s_waitcnt lgkmcnt(3)
	v_fmac_f32_e32 v149, v122, v114
	v_fmac_f32_e32 v149, v123, v115
	ds_load_2addr_b32 v[114:115], v2 offset0:91 offset1:92
	s_waitcnt lgkmcnt(3)
	v_fmac_f32_e32 v149, v124, v116
	s_waitcnt vmcnt(6)
	s_delay_alu instid0(VALU_DEP_1) | instskip(SKIP_3) | instid1(VALU_DEP_1)
	v_fmac_f32_e32 v149, v125, v117
	ds_load_2addr_b32 v[116:117], v2 offset0:93 offset1:94
	s_waitcnt lgkmcnt(3)
	v_fmac_f32_e32 v149, v126, v118
	v_fmac_f32_e32 v149, v127, v119
	s_waitcnt lgkmcnt(2)
	s_delay_alu instid0(VALU_DEP_1) | instskip(SKIP_1) | instid1(VALU_DEP_1)
	v_fmac_f32_e32 v149, v128, v120
	s_waitcnt vmcnt(5)
	v_fmac_f32_e32 v149, v129, v121
	ds_load_2addr_b32 v[118:119], v2 offset0:95 offset1:96
	ds_load_2addr_b32 v[120:121], v2 offset0:97 offset1:98
	s_waitcnt lgkmcnt(3)
	v_fmac_f32_e32 v149, v130, v114
	s_delay_alu instid0(VALU_DEP_1) | instskip(SKIP_4) | instid1(VALU_DEP_1)
	v_fmac_f32_e32 v149, v131, v115
	ds_load_2addr_b32 v[114:115], v2 offset0:99 offset1:100
	s_waitcnt lgkmcnt(3)
	v_fmac_f32_e32 v149, v132, v116
	s_waitcnt vmcnt(4)
	v_fmac_f32_e32 v149, v133, v117
	ds_load_2addr_b32 v[116:117], v2 offset0:101 offset1:102
	s_waitcnt lgkmcnt(3)
	v_fmac_f32_e32 v149, v134, v118
	s_delay_alu instid0(VALU_DEP_1) | instskip(SKIP_1) | instid1(VALU_DEP_1)
	v_fmac_f32_e32 v149, v135, v119
	s_waitcnt lgkmcnt(2)
	v_fmac_f32_e32 v149, v136, v120
	s_waitcnt vmcnt(3)
	s_delay_alu instid0(VALU_DEP_1) | instskip(SKIP_4) | instid1(VALU_DEP_1)
	v_fmac_f32_e32 v149, v137, v121
	ds_load_2addr_b32 v[118:119], v2 offset0:103 offset1:104
	ds_load_2addr_b32 v[120:121], v2 offset0:105 offset1:106
	s_waitcnt lgkmcnt(3)
	v_fmac_f32_e32 v149, v138, v114
	v_fmac_f32_e32 v149, v139, v115
	ds_load_2addr_b32 v[114:115], v2 offset0:107 offset1:108
	s_waitcnt lgkmcnt(3)
	v_fmac_f32_e32 v149, v140, v116
	s_waitcnt vmcnt(2)
	s_delay_alu instid0(VALU_DEP_1) | instskip(SKIP_3) | instid1(VALU_DEP_1)
	v_fmac_f32_e32 v149, v141, v117
	ds_load_2addr_b32 v[116:117], v2 offset0:109 offset1:110
	s_waitcnt lgkmcnt(3)
	v_fmac_f32_e32 v149, v142, v118
	v_fmac_f32_e32 v149, v143, v119
	s_waitcnt lgkmcnt(2)
	s_delay_alu instid0(VALU_DEP_1) | instskip(SKIP_1) | instid1(VALU_DEP_1)
	v_fmac_f32_e32 v149, v144, v120
	s_waitcnt vmcnt(1)
	v_fmac_f32_e32 v149, v145, v121
	s_waitcnt lgkmcnt(1)
	s_delay_alu instid0(VALU_DEP_1) | instskip(NEXT) | instid1(VALU_DEP_1)
	v_fmac_f32_e32 v149, v146, v114
	v_fmac_f32_e32 v149, v147, v115
	s_waitcnt lgkmcnt(0)
	s_delay_alu instid0(VALU_DEP_1) | instskip(SKIP_1) | instid1(VALU_DEP_1)
	v_fmac_f32_e32 v149, v148, v116
	s_waitcnt vmcnt(0)
	v_fmac_f32_e32 v149, v157, v117
	s_delay_alu instid0(VALU_DEP_1)
	v_sub_f32_e32 v2, v113, v149
	scratch_store_b32 off, v2, off offset:72
	v_cmpx_lt_u32_e32 17, v0
	s_cbranch_execz .LBB118_303
; %bb.302:
	scratch_load_b32 v2, off, off offset:68
	v_mov_b32_e32 v113, 0
	scratch_store_b32 off, v113, off offset:68
	s_waitcnt vmcnt(0)
	ds_store_b32 v1, v2
.LBB118_303:
	s_or_b32 exec_lo, exec_lo, s0
	s_waitcnt lgkmcnt(0)
	s_waitcnt_vscnt null, 0x0
	s_barrier
	buffer_gl0_inv
	s_clause 0x9
	scratch_load_b128 v[113:116], off, off offset:68
	scratch_load_b128 v[117:120], off, off offset:84
	;; [unrolled: 1-line block ×9, first 2 shown]
	scratch_load_b64 v[157:158], off, off offset:212
	v_mov_b32_e32 v2, 0
	ds_load_2addr_b64 v[149:152], v2 offset0:37 offset1:38
	ds_load_2addr_b64 v[153:156], v2 offset0:39 offset1:40
	s_mov_b32 s0, exec_lo
	s_waitcnt vmcnt(9) lgkmcnt(1)
	v_fma_f32 v149, v114, v149, 0
	s_delay_alu instid0(VALU_DEP_1) | instskip(NEXT) | instid1(VALU_DEP_1)
	v_fmac_f32_e32 v149, v115, v150
	v_fmac_f32_e32 v149, v116, v151
	s_waitcnt vmcnt(8)
	s_delay_alu instid0(VALU_DEP_1) | instskip(SKIP_3) | instid1(VALU_DEP_1)
	v_fmac_f32_e32 v149, v117, v152
	ds_load_2addr_b64 v[114:117], v2 offset0:41 offset1:42
	s_waitcnt lgkmcnt(1)
	v_fmac_f32_e32 v149, v118, v153
	v_fmac_f32_e32 v149, v119, v154
	s_delay_alu instid0(VALU_DEP_1) | instskip(SKIP_1) | instid1(VALU_DEP_1)
	v_fmac_f32_e32 v149, v120, v155
	s_waitcnt vmcnt(7)
	v_fmac_f32_e32 v149, v121, v156
	ds_load_2addr_b64 v[118:121], v2 offset0:43 offset1:44
	s_waitcnt lgkmcnt(1)
	v_fmac_f32_e32 v149, v122, v114
	s_delay_alu instid0(VALU_DEP_1) | instskip(NEXT) | instid1(VALU_DEP_1)
	v_fmac_f32_e32 v149, v123, v115
	v_fmac_f32_e32 v149, v124, v116
	s_waitcnt vmcnt(6)
	s_delay_alu instid0(VALU_DEP_1) | instskip(SKIP_3) | instid1(VALU_DEP_1)
	v_fmac_f32_e32 v149, v125, v117
	ds_load_2addr_b64 v[114:117], v2 offset0:45 offset1:46
	s_waitcnt lgkmcnt(1)
	v_fmac_f32_e32 v149, v126, v118
	v_fmac_f32_e32 v149, v127, v119
	s_delay_alu instid0(VALU_DEP_1) | instskip(SKIP_1) | instid1(VALU_DEP_1)
	v_fmac_f32_e32 v149, v128, v120
	s_waitcnt vmcnt(5)
	v_fmac_f32_e32 v149, v129, v121
	ds_load_2addr_b64 v[118:121], v2 offset0:47 offset1:48
	s_waitcnt lgkmcnt(1)
	v_fmac_f32_e32 v149, v130, v114
	;; [unrolled: 17-line block ×3, first 2 shown]
	s_delay_alu instid0(VALU_DEP_1) | instskip(NEXT) | instid1(VALU_DEP_1)
	v_fmac_f32_e32 v149, v139, v115
	v_fmac_f32_e32 v149, v140, v116
	s_waitcnt vmcnt(2)
	s_delay_alu instid0(VALU_DEP_1)
	v_fmac_f32_e32 v149, v141, v117
	ds_load_2addr_b64 v[114:117], v2 offset0:53 offset1:54
	s_waitcnt lgkmcnt(1)
	v_fmac_f32_e32 v149, v142, v118
	ds_load_b32 v118, v2 offset:440
	v_fmac_f32_e32 v149, v143, v119
	s_delay_alu instid0(VALU_DEP_1) | instskip(SKIP_1) | instid1(VALU_DEP_1)
	v_fmac_f32_e32 v149, v144, v120
	s_waitcnt vmcnt(1)
	v_fmac_f32_e32 v149, v145, v121
	s_waitcnt lgkmcnt(1)
	s_delay_alu instid0(VALU_DEP_1) | instskip(NEXT) | instid1(VALU_DEP_1)
	v_fmac_f32_e32 v149, v146, v114
	v_fmac_f32_e32 v149, v147, v115
	s_delay_alu instid0(VALU_DEP_1) | instskip(SKIP_1) | instid1(VALU_DEP_1)
	v_fmac_f32_e32 v149, v148, v116
	s_waitcnt vmcnt(0)
	v_fmac_f32_e32 v149, v157, v117
	s_waitcnt lgkmcnt(0)
	s_delay_alu instid0(VALU_DEP_1) | instskip(NEXT) | instid1(VALU_DEP_1)
	v_fmac_f32_e32 v149, v158, v118
	v_sub_f32_e32 v113, v113, v149
	scratch_store_b32 off, v113, off offset:68
	v_cmpx_lt_u32_e32 16, v0
	s_cbranch_execz .LBB118_305
; %bb.304:
	scratch_load_b32 v113, off, off offset:64
	scratch_store_b32 off, v2, off offset:64
	s_waitcnt vmcnt(0)
	ds_store_b32 v1, v113
.LBB118_305:
	s_or_b32 exec_lo, exec_lo, s0
	s_waitcnt lgkmcnt(0)
	s_waitcnt_vscnt null, 0x0
	s_barrier
	buffer_gl0_inv
	s_clause 0x9
	scratch_load_b128 v[113:116], off, off offset:64
	scratch_load_b128 v[117:120], off, off offset:80
	;; [unrolled: 1-line block ×9, first 2 shown]
	scratch_load_b96 v[149:151], off, off offset:208
	ds_load_2addr_b32 v[152:153], v2 offset0:73 offset1:74
	ds_load_2addr_b32 v[154:155], v2 offset0:75 offset1:76
	;; [unrolled: 1-line block ×4, first 2 shown]
	s_mov_b32 s0, exec_lo
	s_waitcnt vmcnt(9) lgkmcnt(3)
	v_fma_f32 v152, v114, v152, 0
	s_delay_alu instid0(VALU_DEP_1) | instskip(SKIP_4) | instid1(VALU_DEP_1)
	v_fmac_f32_e32 v152, v115, v153
	ds_load_2addr_b32 v[114:115], v2 offset0:81 offset1:82
	s_waitcnt lgkmcnt(3)
	v_fmac_f32_e32 v152, v116, v154
	s_waitcnt vmcnt(8)
	v_fmac_f32_e32 v152, v117, v155
	ds_load_2addr_b32 v[116:117], v2 offset0:83 offset1:84
	s_waitcnt lgkmcnt(3)
	v_fmac_f32_e32 v152, v118, v156
	s_delay_alu instid0(VALU_DEP_1) | instskip(SKIP_1) | instid1(VALU_DEP_1)
	v_fmac_f32_e32 v152, v119, v157
	s_waitcnt lgkmcnt(2)
	v_fmac_f32_e32 v152, v120, v158
	s_waitcnt vmcnt(7)
	s_delay_alu instid0(VALU_DEP_1) | instskip(SKIP_4) | instid1(VALU_DEP_1)
	v_fmac_f32_e32 v152, v121, v159
	ds_load_2addr_b32 v[118:119], v2 offset0:85 offset1:86
	ds_load_2addr_b32 v[120:121], v2 offset0:87 offset1:88
	s_waitcnt lgkmcnt(3)
	v_fmac_f32_e32 v152, v122, v114
	v_fmac_f32_e32 v152, v123, v115
	ds_load_2addr_b32 v[114:115], v2 offset0:89 offset1:90
	s_waitcnt lgkmcnt(3)
	v_fmac_f32_e32 v152, v124, v116
	s_waitcnt vmcnt(6)
	s_delay_alu instid0(VALU_DEP_1) | instskip(SKIP_3) | instid1(VALU_DEP_1)
	v_fmac_f32_e32 v152, v125, v117
	ds_load_2addr_b32 v[116:117], v2 offset0:91 offset1:92
	s_waitcnt lgkmcnt(3)
	v_fmac_f32_e32 v152, v126, v118
	v_fmac_f32_e32 v152, v127, v119
	s_waitcnt lgkmcnt(2)
	s_delay_alu instid0(VALU_DEP_1) | instskip(SKIP_1) | instid1(VALU_DEP_1)
	v_fmac_f32_e32 v152, v128, v120
	s_waitcnt vmcnt(5)
	v_fmac_f32_e32 v152, v129, v121
	ds_load_2addr_b32 v[118:119], v2 offset0:93 offset1:94
	ds_load_2addr_b32 v[120:121], v2 offset0:95 offset1:96
	s_waitcnt lgkmcnt(3)
	v_fmac_f32_e32 v152, v130, v114
	s_delay_alu instid0(VALU_DEP_1) | instskip(SKIP_4) | instid1(VALU_DEP_1)
	v_fmac_f32_e32 v152, v131, v115
	ds_load_2addr_b32 v[114:115], v2 offset0:97 offset1:98
	s_waitcnt lgkmcnt(3)
	v_fmac_f32_e32 v152, v132, v116
	s_waitcnt vmcnt(4)
	v_fmac_f32_e32 v152, v133, v117
	ds_load_2addr_b32 v[116:117], v2 offset0:99 offset1:100
	s_waitcnt lgkmcnt(3)
	v_fmac_f32_e32 v152, v134, v118
	s_delay_alu instid0(VALU_DEP_1) | instskip(SKIP_1) | instid1(VALU_DEP_1)
	v_fmac_f32_e32 v152, v135, v119
	s_waitcnt lgkmcnt(2)
	v_fmac_f32_e32 v152, v136, v120
	s_waitcnt vmcnt(3)
	s_delay_alu instid0(VALU_DEP_1) | instskip(SKIP_4) | instid1(VALU_DEP_1)
	v_fmac_f32_e32 v152, v137, v121
	ds_load_2addr_b32 v[118:119], v2 offset0:101 offset1:102
	ds_load_2addr_b32 v[120:121], v2 offset0:103 offset1:104
	s_waitcnt lgkmcnt(3)
	v_fmac_f32_e32 v152, v138, v114
	v_fmac_f32_e32 v152, v139, v115
	ds_load_2addr_b32 v[114:115], v2 offset0:105 offset1:106
	s_waitcnt lgkmcnt(3)
	v_fmac_f32_e32 v152, v140, v116
	s_waitcnt vmcnt(2)
	s_delay_alu instid0(VALU_DEP_1) | instskip(SKIP_3) | instid1(VALU_DEP_1)
	v_fmac_f32_e32 v152, v141, v117
	ds_load_2addr_b32 v[116:117], v2 offset0:107 offset1:108
	s_waitcnt lgkmcnt(3)
	v_fmac_f32_e32 v152, v142, v118
	v_fmac_f32_e32 v152, v143, v119
	ds_load_2addr_b32 v[118:119], v2 offset0:109 offset1:110
	s_waitcnt lgkmcnt(3)
	v_fmac_f32_e32 v152, v144, v120
	s_waitcnt vmcnt(1)
	s_delay_alu instid0(VALU_DEP_1) | instskip(SKIP_1) | instid1(VALU_DEP_1)
	v_fmac_f32_e32 v152, v145, v121
	s_waitcnt lgkmcnt(2)
	v_fmac_f32_e32 v152, v146, v114
	s_delay_alu instid0(VALU_DEP_1) | instskip(SKIP_1) | instid1(VALU_DEP_1)
	v_fmac_f32_e32 v152, v147, v115
	s_waitcnt lgkmcnt(1)
	v_fmac_f32_e32 v152, v148, v116
	s_waitcnt vmcnt(0)
	s_delay_alu instid0(VALU_DEP_1) | instskip(SKIP_1) | instid1(VALU_DEP_1)
	v_fmac_f32_e32 v152, v149, v117
	s_waitcnt lgkmcnt(0)
	v_fmac_f32_e32 v152, v150, v118
	s_delay_alu instid0(VALU_DEP_1) | instskip(NEXT) | instid1(VALU_DEP_1)
	v_fmac_f32_e32 v152, v151, v119
	v_sub_f32_e32 v2, v113, v152
	scratch_store_b32 off, v2, off offset:64
	v_cmpx_lt_u32_e32 15, v0
	s_cbranch_execz .LBB118_307
; %bb.306:
	scratch_load_b32 v2, off, off offset:60
	v_mov_b32_e32 v113, 0
	scratch_store_b32 off, v113, off offset:60
	s_waitcnt vmcnt(0)
	ds_store_b32 v1, v2
.LBB118_307:
	s_or_b32 exec_lo, exec_lo, s0
	s_waitcnt lgkmcnt(0)
	s_waitcnt_vscnt null, 0x0
	s_barrier
	buffer_gl0_inv
	s_clause 0x9
	scratch_load_b128 v[113:116], off, off offset:60
	scratch_load_b128 v[117:120], off, off offset:76
	;; [unrolled: 1-line block ×10, first 2 shown]
	v_mov_b32_e32 v2, 0
	ds_load_b128 v[153:156], v2 offset:288
	ds_load_b128 v[157:160], v2 offset:304
	s_mov_b32 s0, exec_lo
	s_waitcnt vmcnt(9) lgkmcnt(1)
	v_fma_f32 v153, v114, v153, 0
	s_delay_alu instid0(VALU_DEP_1) | instskip(NEXT) | instid1(VALU_DEP_1)
	v_fmac_f32_e32 v153, v115, v154
	v_fmac_f32_e32 v153, v116, v155
	s_waitcnt vmcnt(8)
	s_delay_alu instid0(VALU_DEP_1) | instskip(SKIP_3) | instid1(VALU_DEP_1)
	v_fmac_f32_e32 v153, v117, v156
	ds_load_b128 v[114:117], v2 offset:320
	s_waitcnt lgkmcnt(1)
	v_fmac_f32_e32 v153, v118, v157
	v_fmac_f32_e32 v153, v119, v158
	s_delay_alu instid0(VALU_DEP_1) | instskip(SKIP_1) | instid1(VALU_DEP_1)
	v_fmac_f32_e32 v153, v120, v159
	s_waitcnt vmcnt(7)
	v_fmac_f32_e32 v153, v121, v160
	ds_load_b128 v[118:121], v2 offset:336
	s_waitcnt lgkmcnt(1)
	v_fmac_f32_e32 v153, v122, v114
	s_delay_alu instid0(VALU_DEP_1) | instskip(NEXT) | instid1(VALU_DEP_1)
	v_fmac_f32_e32 v153, v123, v115
	v_fmac_f32_e32 v153, v124, v116
	s_waitcnt vmcnt(6)
	s_delay_alu instid0(VALU_DEP_1) | instskip(SKIP_3) | instid1(VALU_DEP_1)
	v_fmac_f32_e32 v153, v125, v117
	ds_load_b128 v[114:117], v2 offset:352
	s_waitcnt lgkmcnt(1)
	v_fmac_f32_e32 v153, v126, v118
	v_fmac_f32_e32 v153, v127, v119
	s_delay_alu instid0(VALU_DEP_1) | instskip(SKIP_1) | instid1(VALU_DEP_1)
	v_fmac_f32_e32 v153, v128, v120
	s_waitcnt vmcnt(5)
	v_fmac_f32_e32 v153, v129, v121
	ds_load_b128 v[118:121], v2 offset:368
	s_waitcnt lgkmcnt(1)
	v_fmac_f32_e32 v153, v130, v114
	;; [unrolled: 17-line block ×3, first 2 shown]
	s_delay_alu instid0(VALU_DEP_1) | instskip(NEXT) | instid1(VALU_DEP_1)
	v_fmac_f32_e32 v153, v139, v115
	v_fmac_f32_e32 v153, v140, v116
	s_waitcnt vmcnt(2)
	s_delay_alu instid0(VALU_DEP_1) | instskip(SKIP_3) | instid1(VALU_DEP_1)
	v_fmac_f32_e32 v153, v141, v117
	ds_load_b128 v[114:117], v2 offset:416
	s_waitcnt lgkmcnt(1)
	v_fmac_f32_e32 v153, v142, v118
	v_fmac_f32_e32 v153, v143, v119
	s_delay_alu instid0(VALU_DEP_1) | instskip(SKIP_4) | instid1(VALU_DEP_1)
	v_fmac_f32_e32 v153, v144, v120
	ds_load_b96 v[118:120], v2 offset:432
	s_waitcnt vmcnt(1)
	v_fmac_f32_e32 v153, v145, v121
	s_waitcnt lgkmcnt(1)
	v_fmac_f32_e32 v153, v146, v114
	s_delay_alu instid0(VALU_DEP_1) | instskip(NEXT) | instid1(VALU_DEP_1)
	v_fmac_f32_e32 v153, v147, v115
	v_fmac_f32_e32 v153, v148, v116
	s_waitcnt vmcnt(0)
	s_delay_alu instid0(VALU_DEP_1) | instskip(SKIP_1) | instid1(VALU_DEP_1)
	v_fmac_f32_e32 v153, v149, v117
	s_waitcnt lgkmcnt(0)
	v_fmac_f32_e32 v153, v150, v118
	s_delay_alu instid0(VALU_DEP_1) | instskip(NEXT) | instid1(VALU_DEP_1)
	v_fmac_f32_e32 v153, v151, v119
	v_fmac_f32_e32 v153, v152, v120
	s_delay_alu instid0(VALU_DEP_1)
	v_sub_f32_e32 v113, v113, v153
	scratch_store_b32 off, v113, off offset:60
	v_cmpx_lt_u32_e32 14, v0
	s_cbranch_execz .LBB118_309
; %bb.308:
	scratch_load_b32 v113, off, off offset:56
	scratch_store_b32 off, v2, off offset:56
	s_waitcnt vmcnt(0)
	ds_store_b32 v1, v113
.LBB118_309:
	s_or_b32 exec_lo, exec_lo, s0
	s_waitcnt lgkmcnt(0)
	s_waitcnt_vscnt null, 0x0
	s_barrier
	buffer_gl0_inv
	s_clause 0xa
	scratch_load_b128 v[113:116], off, off offset:56
	scratch_load_b128 v[117:120], off, off offset:72
	;; [unrolled: 1-line block ×10, first 2 shown]
	scratch_load_b32 v161, off, off offset:216
	ds_load_2addr_b32 v[153:154], v2 offset0:71 offset1:72
	ds_load_2addr_b32 v[155:156], v2 offset0:73 offset1:74
	;; [unrolled: 1-line block ×4, first 2 shown]
	s_mov_b32 s0, exec_lo
	s_waitcnt vmcnt(10) lgkmcnt(3)
	v_fma_f32 v153, v114, v153, 0
	s_delay_alu instid0(VALU_DEP_1) | instskip(SKIP_4) | instid1(VALU_DEP_1)
	v_fmac_f32_e32 v153, v115, v154
	ds_load_2addr_b32 v[114:115], v2 offset0:79 offset1:80
	s_waitcnt lgkmcnt(3)
	v_fmac_f32_e32 v153, v116, v155
	s_waitcnt vmcnt(9)
	v_fmac_f32_e32 v153, v117, v156
	ds_load_2addr_b32 v[116:117], v2 offset0:81 offset1:82
	s_waitcnt lgkmcnt(3)
	v_fmac_f32_e32 v153, v118, v157
	s_delay_alu instid0(VALU_DEP_1) | instskip(SKIP_1) | instid1(VALU_DEP_1)
	v_fmac_f32_e32 v153, v119, v158
	s_waitcnt lgkmcnt(2)
	v_fmac_f32_e32 v153, v120, v159
	s_waitcnt vmcnt(8)
	s_delay_alu instid0(VALU_DEP_1) | instskip(SKIP_4) | instid1(VALU_DEP_1)
	v_fmac_f32_e32 v153, v121, v160
	ds_load_2addr_b32 v[118:119], v2 offset0:83 offset1:84
	ds_load_2addr_b32 v[120:121], v2 offset0:85 offset1:86
	s_waitcnt lgkmcnt(3)
	v_fmac_f32_e32 v153, v122, v114
	v_fmac_f32_e32 v153, v123, v115
	ds_load_2addr_b32 v[114:115], v2 offset0:87 offset1:88
	s_waitcnt lgkmcnt(3)
	v_fmac_f32_e32 v153, v124, v116
	s_waitcnt vmcnt(7)
	s_delay_alu instid0(VALU_DEP_1) | instskip(SKIP_3) | instid1(VALU_DEP_1)
	v_fmac_f32_e32 v153, v125, v117
	ds_load_2addr_b32 v[116:117], v2 offset0:89 offset1:90
	s_waitcnt lgkmcnt(3)
	v_fmac_f32_e32 v153, v126, v118
	v_fmac_f32_e32 v153, v127, v119
	s_waitcnt lgkmcnt(2)
	s_delay_alu instid0(VALU_DEP_1) | instskip(SKIP_1) | instid1(VALU_DEP_1)
	v_fmac_f32_e32 v153, v128, v120
	s_waitcnt vmcnt(6)
	v_fmac_f32_e32 v153, v129, v121
	ds_load_2addr_b32 v[118:119], v2 offset0:91 offset1:92
	ds_load_2addr_b32 v[120:121], v2 offset0:93 offset1:94
	s_waitcnt lgkmcnt(3)
	v_fmac_f32_e32 v153, v130, v114
	s_delay_alu instid0(VALU_DEP_1) | instskip(SKIP_4) | instid1(VALU_DEP_1)
	v_fmac_f32_e32 v153, v131, v115
	ds_load_2addr_b32 v[114:115], v2 offset0:95 offset1:96
	s_waitcnt lgkmcnt(3)
	v_fmac_f32_e32 v153, v132, v116
	s_waitcnt vmcnt(5)
	v_fmac_f32_e32 v153, v133, v117
	ds_load_2addr_b32 v[116:117], v2 offset0:97 offset1:98
	s_waitcnt lgkmcnt(3)
	v_fmac_f32_e32 v153, v134, v118
	s_delay_alu instid0(VALU_DEP_1) | instskip(SKIP_1) | instid1(VALU_DEP_1)
	v_fmac_f32_e32 v153, v135, v119
	s_waitcnt lgkmcnt(2)
	v_fmac_f32_e32 v153, v136, v120
	s_waitcnt vmcnt(4)
	s_delay_alu instid0(VALU_DEP_1) | instskip(SKIP_4) | instid1(VALU_DEP_1)
	v_fmac_f32_e32 v153, v137, v121
	ds_load_2addr_b32 v[118:119], v2 offset0:99 offset1:100
	ds_load_2addr_b32 v[120:121], v2 offset0:101 offset1:102
	s_waitcnt lgkmcnt(3)
	v_fmac_f32_e32 v153, v138, v114
	v_fmac_f32_e32 v153, v139, v115
	ds_load_2addr_b32 v[114:115], v2 offset0:103 offset1:104
	s_waitcnt lgkmcnt(3)
	v_fmac_f32_e32 v153, v140, v116
	s_waitcnt vmcnt(3)
	s_delay_alu instid0(VALU_DEP_1) | instskip(SKIP_3) | instid1(VALU_DEP_1)
	v_fmac_f32_e32 v153, v141, v117
	ds_load_2addr_b32 v[116:117], v2 offset0:105 offset1:106
	s_waitcnt lgkmcnt(3)
	v_fmac_f32_e32 v153, v142, v118
	v_fmac_f32_e32 v153, v143, v119
	s_waitcnt lgkmcnt(2)
	s_delay_alu instid0(VALU_DEP_1) | instskip(SKIP_1) | instid1(VALU_DEP_1)
	v_fmac_f32_e32 v153, v144, v120
	s_waitcnt vmcnt(2)
	v_fmac_f32_e32 v153, v145, v121
	ds_load_2addr_b32 v[118:119], v2 offset0:107 offset1:108
	ds_load_2addr_b32 v[120:121], v2 offset0:109 offset1:110
	s_waitcnt lgkmcnt(3)
	v_fmac_f32_e32 v153, v146, v114
	s_delay_alu instid0(VALU_DEP_1) | instskip(SKIP_1) | instid1(VALU_DEP_1)
	v_fmac_f32_e32 v153, v147, v115
	s_waitcnt lgkmcnt(2)
	v_fmac_f32_e32 v153, v148, v116
	s_waitcnt vmcnt(1)
	s_delay_alu instid0(VALU_DEP_1) | instskip(SKIP_1) | instid1(VALU_DEP_1)
	v_fmac_f32_e32 v153, v149, v117
	s_waitcnt lgkmcnt(1)
	v_fmac_f32_e32 v153, v150, v118
	s_delay_alu instid0(VALU_DEP_1) | instskip(SKIP_1) | instid1(VALU_DEP_1)
	v_fmac_f32_e32 v153, v151, v119
	s_waitcnt lgkmcnt(0)
	v_fmac_f32_e32 v153, v152, v120
	s_waitcnt vmcnt(0)
	s_delay_alu instid0(VALU_DEP_1) | instskip(NEXT) | instid1(VALU_DEP_1)
	v_fmac_f32_e32 v153, v161, v121
	v_sub_f32_e32 v2, v113, v153
	scratch_store_b32 off, v2, off offset:56
	v_cmpx_lt_u32_e32 13, v0
	s_cbranch_execz .LBB118_311
; %bb.310:
	scratch_load_b32 v2, off, off offset:52
	v_mov_b32_e32 v113, 0
	scratch_store_b32 off, v113, off offset:52
	s_waitcnt vmcnt(0)
	ds_store_b32 v1, v2
.LBB118_311:
	s_or_b32 exec_lo, exec_lo, s0
	s_waitcnt lgkmcnt(0)
	s_waitcnt_vscnt null, 0x0
	s_barrier
	buffer_gl0_inv
	s_clause 0xa
	scratch_load_b128 v[113:116], off, off offset:52
	scratch_load_b128 v[117:120], off, off offset:68
	;; [unrolled: 1-line block ×10, first 2 shown]
	scratch_load_b64 v[161:162], off, off offset:212
	v_mov_b32_e32 v2, 0
	ds_load_2addr_b64 v[153:156], v2 offset0:35 offset1:36
	ds_load_2addr_b64 v[157:160], v2 offset0:37 offset1:38
	s_mov_b32 s0, exec_lo
	s_waitcnt vmcnt(10) lgkmcnt(1)
	v_fma_f32 v153, v114, v153, 0
	s_delay_alu instid0(VALU_DEP_1) | instskip(NEXT) | instid1(VALU_DEP_1)
	v_fmac_f32_e32 v153, v115, v154
	v_fmac_f32_e32 v153, v116, v155
	s_waitcnt vmcnt(9)
	s_delay_alu instid0(VALU_DEP_1) | instskip(SKIP_3) | instid1(VALU_DEP_1)
	v_fmac_f32_e32 v153, v117, v156
	ds_load_2addr_b64 v[114:117], v2 offset0:39 offset1:40
	s_waitcnt lgkmcnt(1)
	v_fmac_f32_e32 v153, v118, v157
	v_fmac_f32_e32 v153, v119, v158
	s_delay_alu instid0(VALU_DEP_1) | instskip(SKIP_1) | instid1(VALU_DEP_1)
	v_fmac_f32_e32 v153, v120, v159
	s_waitcnt vmcnt(8)
	v_fmac_f32_e32 v153, v121, v160
	ds_load_2addr_b64 v[118:121], v2 offset0:41 offset1:42
	s_waitcnt lgkmcnt(1)
	v_fmac_f32_e32 v153, v122, v114
	s_delay_alu instid0(VALU_DEP_1) | instskip(NEXT) | instid1(VALU_DEP_1)
	v_fmac_f32_e32 v153, v123, v115
	v_fmac_f32_e32 v153, v124, v116
	s_waitcnt vmcnt(7)
	s_delay_alu instid0(VALU_DEP_1) | instskip(SKIP_3) | instid1(VALU_DEP_1)
	v_fmac_f32_e32 v153, v125, v117
	ds_load_2addr_b64 v[114:117], v2 offset0:43 offset1:44
	s_waitcnt lgkmcnt(1)
	v_fmac_f32_e32 v153, v126, v118
	v_fmac_f32_e32 v153, v127, v119
	s_delay_alu instid0(VALU_DEP_1) | instskip(SKIP_1) | instid1(VALU_DEP_1)
	v_fmac_f32_e32 v153, v128, v120
	s_waitcnt vmcnt(6)
	v_fmac_f32_e32 v153, v129, v121
	ds_load_2addr_b64 v[118:121], v2 offset0:45 offset1:46
	s_waitcnt lgkmcnt(1)
	v_fmac_f32_e32 v153, v130, v114
	;; [unrolled: 17-line block ×4, first 2 shown]
	ds_load_b32 v114, v2 offset:440
	v_fmac_f32_e32 v153, v147, v115
	s_delay_alu instid0(VALU_DEP_1) | instskip(SKIP_1) | instid1(VALU_DEP_1)
	v_fmac_f32_e32 v153, v148, v116
	s_waitcnt vmcnt(1)
	v_fmac_f32_e32 v153, v149, v117
	s_waitcnt lgkmcnt(1)
	s_delay_alu instid0(VALU_DEP_1) | instskip(NEXT) | instid1(VALU_DEP_1)
	v_fmac_f32_e32 v153, v150, v118
	v_fmac_f32_e32 v153, v151, v119
	s_delay_alu instid0(VALU_DEP_1) | instskip(SKIP_1) | instid1(VALU_DEP_1)
	v_fmac_f32_e32 v153, v152, v120
	s_waitcnt vmcnt(0)
	v_fmac_f32_e32 v153, v161, v121
	s_waitcnt lgkmcnt(0)
	s_delay_alu instid0(VALU_DEP_1) | instskip(NEXT) | instid1(VALU_DEP_1)
	v_fmac_f32_e32 v153, v162, v114
	v_sub_f32_e32 v113, v113, v153
	scratch_store_b32 off, v113, off offset:52
	v_cmpx_lt_u32_e32 12, v0
	s_cbranch_execz .LBB118_313
; %bb.312:
	scratch_load_b32 v113, off, off offset:48
	scratch_store_b32 off, v2, off offset:48
	s_waitcnt vmcnt(0)
	ds_store_b32 v1, v113
.LBB118_313:
	s_or_b32 exec_lo, exec_lo, s0
	s_waitcnt lgkmcnt(0)
	s_waitcnt_vscnt null, 0x0
	s_barrier
	buffer_gl0_inv
	s_clause 0xa
	scratch_load_b128 v[113:116], off, off offset:48
	scratch_load_b128 v[117:120], off, off offset:64
	;; [unrolled: 1-line block ×10, first 2 shown]
	scratch_load_b96 v[153:155], off, off offset:208
	ds_load_2addr_b32 v[156:157], v2 offset0:69 offset1:70
	ds_load_2addr_b32 v[158:159], v2 offset0:71 offset1:72
	;; [unrolled: 1-line block ×4, first 2 shown]
	s_mov_b32 s0, exec_lo
	s_waitcnt vmcnt(10) lgkmcnt(3)
	v_fma_f32 v156, v114, v156, 0
	s_delay_alu instid0(VALU_DEP_1) | instskip(SKIP_4) | instid1(VALU_DEP_1)
	v_fmac_f32_e32 v156, v115, v157
	ds_load_2addr_b32 v[114:115], v2 offset0:77 offset1:78
	s_waitcnt lgkmcnt(3)
	v_fmac_f32_e32 v156, v116, v158
	s_waitcnt vmcnt(9)
	v_fmac_f32_e32 v156, v117, v159
	ds_load_2addr_b32 v[116:117], v2 offset0:79 offset1:80
	s_waitcnt lgkmcnt(3)
	v_fmac_f32_e32 v156, v118, v160
	s_delay_alu instid0(VALU_DEP_1) | instskip(SKIP_1) | instid1(VALU_DEP_1)
	v_fmac_f32_e32 v156, v119, v161
	s_waitcnt lgkmcnt(2)
	v_fmac_f32_e32 v156, v120, v162
	s_waitcnt vmcnt(8)
	s_delay_alu instid0(VALU_DEP_1) | instskip(SKIP_4) | instid1(VALU_DEP_1)
	v_fmac_f32_e32 v156, v121, v163
	ds_load_2addr_b32 v[118:119], v2 offset0:81 offset1:82
	ds_load_2addr_b32 v[120:121], v2 offset0:83 offset1:84
	s_waitcnt lgkmcnt(3)
	v_fmac_f32_e32 v156, v122, v114
	v_fmac_f32_e32 v156, v123, v115
	ds_load_2addr_b32 v[114:115], v2 offset0:85 offset1:86
	s_waitcnt lgkmcnt(3)
	v_fmac_f32_e32 v156, v124, v116
	s_waitcnt vmcnt(7)
	s_delay_alu instid0(VALU_DEP_1) | instskip(SKIP_3) | instid1(VALU_DEP_1)
	v_fmac_f32_e32 v156, v125, v117
	ds_load_2addr_b32 v[116:117], v2 offset0:87 offset1:88
	s_waitcnt lgkmcnt(3)
	v_fmac_f32_e32 v156, v126, v118
	v_fmac_f32_e32 v156, v127, v119
	s_waitcnt lgkmcnt(2)
	s_delay_alu instid0(VALU_DEP_1) | instskip(SKIP_1) | instid1(VALU_DEP_1)
	v_fmac_f32_e32 v156, v128, v120
	s_waitcnt vmcnt(6)
	v_fmac_f32_e32 v156, v129, v121
	ds_load_2addr_b32 v[118:119], v2 offset0:89 offset1:90
	ds_load_2addr_b32 v[120:121], v2 offset0:91 offset1:92
	s_waitcnt lgkmcnt(3)
	v_fmac_f32_e32 v156, v130, v114
	s_delay_alu instid0(VALU_DEP_1) | instskip(SKIP_4) | instid1(VALU_DEP_1)
	v_fmac_f32_e32 v156, v131, v115
	ds_load_2addr_b32 v[114:115], v2 offset0:93 offset1:94
	s_waitcnt lgkmcnt(3)
	v_fmac_f32_e32 v156, v132, v116
	s_waitcnt vmcnt(5)
	v_fmac_f32_e32 v156, v133, v117
	ds_load_2addr_b32 v[116:117], v2 offset0:95 offset1:96
	s_waitcnt lgkmcnt(3)
	v_fmac_f32_e32 v156, v134, v118
	s_delay_alu instid0(VALU_DEP_1) | instskip(SKIP_1) | instid1(VALU_DEP_1)
	v_fmac_f32_e32 v156, v135, v119
	s_waitcnt lgkmcnt(2)
	v_fmac_f32_e32 v156, v136, v120
	s_waitcnt vmcnt(4)
	s_delay_alu instid0(VALU_DEP_1) | instskip(SKIP_4) | instid1(VALU_DEP_1)
	v_fmac_f32_e32 v156, v137, v121
	ds_load_2addr_b32 v[118:119], v2 offset0:97 offset1:98
	ds_load_2addr_b32 v[120:121], v2 offset0:99 offset1:100
	s_waitcnt lgkmcnt(3)
	v_fmac_f32_e32 v156, v138, v114
	v_fmac_f32_e32 v156, v139, v115
	ds_load_2addr_b32 v[114:115], v2 offset0:101 offset1:102
	s_waitcnt lgkmcnt(3)
	v_fmac_f32_e32 v156, v140, v116
	s_waitcnt vmcnt(3)
	s_delay_alu instid0(VALU_DEP_1) | instskip(SKIP_3) | instid1(VALU_DEP_1)
	v_fmac_f32_e32 v156, v141, v117
	ds_load_2addr_b32 v[116:117], v2 offset0:103 offset1:104
	s_waitcnt lgkmcnt(3)
	v_fmac_f32_e32 v156, v142, v118
	v_fmac_f32_e32 v156, v143, v119
	s_waitcnt lgkmcnt(2)
	s_delay_alu instid0(VALU_DEP_1) | instskip(SKIP_1) | instid1(VALU_DEP_1)
	v_fmac_f32_e32 v156, v144, v120
	s_waitcnt vmcnt(2)
	v_fmac_f32_e32 v156, v145, v121
	ds_load_2addr_b32 v[118:119], v2 offset0:105 offset1:106
	ds_load_2addr_b32 v[120:121], v2 offset0:107 offset1:108
	s_waitcnt lgkmcnt(3)
	v_fmac_f32_e32 v156, v146, v114
	s_delay_alu instid0(VALU_DEP_1) | instskip(SKIP_4) | instid1(VALU_DEP_1)
	v_fmac_f32_e32 v156, v147, v115
	ds_load_2addr_b32 v[114:115], v2 offset0:109 offset1:110
	s_waitcnt lgkmcnt(3)
	v_fmac_f32_e32 v156, v148, v116
	s_waitcnt vmcnt(1)
	v_fmac_f32_e32 v156, v149, v117
	s_waitcnt lgkmcnt(2)
	s_delay_alu instid0(VALU_DEP_1) | instskip(NEXT) | instid1(VALU_DEP_1)
	v_fmac_f32_e32 v156, v150, v118
	v_fmac_f32_e32 v156, v151, v119
	s_waitcnt lgkmcnt(1)
	s_delay_alu instid0(VALU_DEP_1) | instskip(SKIP_1) | instid1(VALU_DEP_1)
	v_fmac_f32_e32 v156, v152, v120
	s_waitcnt vmcnt(0)
	v_fmac_f32_e32 v156, v153, v121
	s_waitcnt lgkmcnt(0)
	s_delay_alu instid0(VALU_DEP_1) | instskip(NEXT) | instid1(VALU_DEP_1)
	v_fmac_f32_e32 v156, v154, v114
	v_fmac_f32_e32 v156, v155, v115
	s_delay_alu instid0(VALU_DEP_1)
	v_sub_f32_e32 v2, v113, v156
	scratch_store_b32 off, v2, off offset:48
	v_cmpx_lt_u32_e32 11, v0
	s_cbranch_execz .LBB118_315
; %bb.314:
	scratch_load_b32 v2, off, off offset:44
	v_mov_b32_e32 v113, 0
	scratch_store_b32 off, v113, off offset:44
	s_waitcnt vmcnt(0)
	ds_store_b32 v1, v2
.LBB118_315:
	s_or_b32 exec_lo, exec_lo, s0
	s_waitcnt lgkmcnt(0)
	s_waitcnt_vscnt null, 0x0
	s_barrier
	buffer_gl0_inv
	s_clause 0xa
	scratch_load_b128 v[113:116], off, off offset:44
	scratch_load_b128 v[117:120], off, off offset:60
	;; [unrolled: 1-line block ×11, first 2 shown]
	v_mov_b32_e32 v2, 0
	ds_load_b128 v[157:160], v2 offset:272
	ds_load_b128 v[161:164], v2 offset:288
	s_mov_b32 s0, exec_lo
	s_waitcnt vmcnt(10) lgkmcnt(1)
	v_fma_f32 v157, v114, v157, 0
	s_delay_alu instid0(VALU_DEP_1) | instskip(NEXT) | instid1(VALU_DEP_1)
	v_fmac_f32_e32 v157, v115, v158
	v_fmac_f32_e32 v157, v116, v159
	s_waitcnt vmcnt(9)
	s_delay_alu instid0(VALU_DEP_1) | instskip(SKIP_3) | instid1(VALU_DEP_1)
	v_fmac_f32_e32 v157, v117, v160
	ds_load_b128 v[114:117], v2 offset:304
	s_waitcnt lgkmcnt(1)
	v_fmac_f32_e32 v157, v118, v161
	v_fmac_f32_e32 v157, v119, v162
	s_delay_alu instid0(VALU_DEP_1) | instskip(SKIP_1) | instid1(VALU_DEP_1)
	v_fmac_f32_e32 v157, v120, v163
	s_waitcnt vmcnt(8)
	v_fmac_f32_e32 v157, v121, v164
	ds_load_b128 v[118:121], v2 offset:320
	s_waitcnt lgkmcnt(1)
	v_fmac_f32_e32 v157, v122, v114
	s_delay_alu instid0(VALU_DEP_1) | instskip(NEXT) | instid1(VALU_DEP_1)
	v_fmac_f32_e32 v157, v123, v115
	v_fmac_f32_e32 v157, v124, v116
	s_waitcnt vmcnt(7)
	s_delay_alu instid0(VALU_DEP_1) | instskip(SKIP_3) | instid1(VALU_DEP_1)
	v_fmac_f32_e32 v157, v125, v117
	ds_load_b128 v[114:117], v2 offset:336
	s_waitcnt lgkmcnt(1)
	v_fmac_f32_e32 v157, v126, v118
	v_fmac_f32_e32 v157, v127, v119
	s_delay_alu instid0(VALU_DEP_1) | instskip(SKIP_1) | instid1(VALU_DEP_1)
	v_fmac_f32_e32 v157, v128, v120
	s_waitcnt vmcnt(6)
	v_fmac_f32_e32 v157, v129, v121
	ds_load_b128 v[118:121], v2 offset:352
	s_waitcnt lgkmcnt(1)
	v_fmac_f32_e32 v157, v130, v114
	s_delay_alu instid0(VALU_DEP_1) | instskip(NEXT) | instid1(VALU_DEP_1)
	v_fmac_f32_e32 v157, v131, v115
	v_fmac_f32_e32 v157, v132, v116
	s_waitcnt vmcnt(5)
	s_delay_alu instid0(VALU_DEP_1) | instskip(SKIP_3) | instid1(VALU_DEP_1)
	v_fmac_f32_e32 v157, v133, v117
	ds_load_b128 v[114:117], v2 offset:368
	s_waitcnt lgkmcnt(1)
	v_fmac_f32_e32 v157, v134, v118
	v_fmac_f32_e32 v157, v135, v119
	s_delay_alu instid0(VALU_DEP_1) | instskip(SKIP_1) | instid1(VALU_DEP_1)
	v_fmac_f32_e32 v157, v136, v120
	s_waitcnt vmcnt(4)
	v_fmac_f32_e32 v157, v137, v121
	ds_load_b128 v[118:121], v2 offset:384
	s_waitcnt lgkmcnt(1)
	v_fmac_f32_e32 v157, v138, v114
	s_delay_alu instid0(VALU_DEP_1) | instskip(NEXT) | instid1(VALU_DEP_1)
	v_fmac_f32_e32 v157, v139, v115
	v_fmac_f32_e32 v157, v140, v116
	s_waitcnt vmcnt(3)
	s_delay_alu instid0(VALU_DEP_1) | instskip(SKIP_3) | instid1(VALU_DEP_1)
	v_fmac_f32_e32 v157, v141, v117
	ds_load_b128 v[114:117], v2 offset:400
	s_waitcnt lgkmcnt(1)
	v_fmac_f32_e32 v157, v142, v118
	v_fmac_f32_e32 v157, v143, v119
	s_delay_alu instid0(VALU_DEP_1) | instskip(SKIP_1) | instid1(VALU_DEP_1)
	v_fmac_f32_e32 v157, v144, v120
	s_waitcnt vmcnt(2)
	v_fmac_f32_e32 v157, v145, v121
	ds_load_b128 v[118:121], v2 offset:416
	s_waitcnt lgkmcnt(1)
	v_fmac_f32_e32 v157, v146, v114
	s_delay_alu instid0(VALU_DEP_1) | instskip(NEXT) | instid1(VALU_DEP_1)
	v_fmac_f32_e32 v157, v147, v115
	v_fmac_f32_e32 v157, v148, v116
	ds_load_b96 v[114:116], v2 offset:432
	s_waitcnt vmcnt(1)
	v_fmac_f32_e32 v157, v149, v117
	s_waitcnt lgkmcnt(1)
	s_delay_alu instid0(VALU_DEP_1) | instskip(NEXT) | instid1(VALU_DEP_1)
	v_fmac_f32_e32 v157, v150, v118
	v_fmac_f32_e32 v157, v151, v119
	s_delay_alu instid0(VALU_DEP_1) | instskip(SKIP_1) | instid1(VALU_DEP_1)
	v_fmac_f32_e32 v157, v152, v120
	s_waitcnt vmcnt(0)
	v_fmac_f32_e32 v157, v153, v121
	s_waitcnt lgkmcnt(0)
	s_delay_alu instid0(VALU_DEP_1) | instskip(NEXT) | instid1(VALU_DEP_1)
	v_fmac_f32_e32 v157, v154, v114
	v_fmac_f32_e32 v157, v155, v115
	s_delay_alu instid0(VALU_DEP_1) | instskip(NEXT) | instid1(VALU_DEP_1)
	v_fmac_f32_e32 v157, v156, v116
	v_sub_f32_e32 v113, v113, v157
	scratch_store_b32 off, v113, off offset:44
	v_cmpx_lt_u32_e32 10, v0
	s_cbranch_execz .LBB118_317
; %bb.316:
	scratch_load_b32 v113, off, off offset:40
	scratch_store_b32 off, v2, off offset:40
	s_waitcnt vmcnt(0)
	ds_store_b32 v1, v113
.LBB118_317:
	s_or_b32 exec_lo, exec_lo, s0
	s_waitcnt lgkmcnt(0)
	s_waitcnt_vscnt null, 0x0
	s_barrier
	buffer_gl0_inv
	s_clause 0xb
	scratch_load_b128 v[113:116], off, off offset:40
	scratch_load_b128 v[117:120], off, off offset:56
	;; [unrolled: 1-line block ×11, first 2 shown]
	scratch_load_b32 v165, off, off offset:216
	ds_load_2addr_b32 v[157:158], v2 offset0:67 offset1:68
	ds_load_2addr_b32 v[159:160], v2 offset0:69 offset1:70
	;; [unrolled: 1-line block ×4, first 2 shown]
	s_mov_b32 s0, exec_lo
	s_waitcnt vmcnt(11) lgkmcnt(3)
	v_fma_f32 v157, v114, v157, 0
	s_delay_alu instid0(VALU_DEP_1) | instskip(SKIP_4) | instid1(VALU_DEP_1)
	v_fmac_f32_e32 v157, v115, v158
	ds_load_2addr_b32 v[114:115], v2 offset0:75 offset1:76
	s_waitcnt lgkmcnt(3)
	v_fmac_f32_e32 v157, v116, v159
	s_waitcnt vmcnt(10)
	v_fmac_f32_e32 v157, v117, v160
	ds_load_2addr_b32 v[116:117], v2 offset0:77 offset1:78
	s_waitcnt lgkmcnt(3)
	v_fmac_f32_e32 v157, v118, v161
	s_delay_alu instid0(VALU_DEP_1) | instskip(SKIP_1) | instid1(VALU_DEP_1)
	v_fmac_f32_e32 v157, v119, v162
	s_waitcnt lgkmcnt(2)
	v_fmac_f32_e32 v157, v120, v163
	s_waitcnt vmcnt(9)
	s_delay_alu instid0(VALU_DEP_1) | instskip(SKIP_4) | instid1(VALU_DEP_1)
	v_fmac_f32_e32 v157, v121, v164
	ds_load_2addr_b32 v[118:119], v2 offset0:79 offset1:80
	ds_load_2addr_b32 v[120:121], v2 offset0:81 offset1:82
	s_waitcnt lgkmcnt(3)
	v_fmac_f32_e32 v157, v122, v114
	v_fmac_f32_e32 v157, v123, v115
	ds_load_2addr_b32 v[114:115], v2 offset0:83 offset1:84
	s_waitcnt lgkmcnt(3)
	v_fmac_f32_e32 v157, v124, v116
	s_waitcnt vmcnt(8)
	s_delay_alu instid0(VALU_DEP_1) | instskip(SKIP_3) | instid1(VALU_DEP_1)
	v_fmac_f32_e32 v157, v125, v117
	ds_load_2addr_b32 v[116:117], v2 offset0:85 offset1:86
	s_waitcnt lgkmcnt(3)
	v_fmac_f32_e32 v157, v126, v118
	v_fmac_f32_e32 v157, v127, v119
	s_waitcnt lgkmcnt(2)
	s_delay_alu instid0(VALU_DEP_1) | instskip(SKIP_1) | instid1(VALU_DEP_1)
	v_fmac_f32_e32 v157, v128, v120
	s_waitcnt vmcnt(7)
	v_fmac_f32_e32 v157, v129, v121
	ds_load_2addr_b32 v[118:119], v2 offset0:87 offset1:88
	ds_load_2addr_b32 v[120:121], v2 offset0:89 offset1:90
	s_waitcnt lgkmcnt(3)
	v_fmac_f32_e32 v157, v130, v114
	s_delay_alu instid0(VALU_DEP_1) | instskip(SKIP_4) | instid1(VALU_DEP_1)
	v_fmac_f32_e32 v157, v131, v115
	ds_load_2addr_b32 v[114:115], v2 offset0:91 offset1:92
	s_waitcnt lgkmcnt(3)
	v_fmac_f32_e32 v157, v132, v116
	s_waitcnt vmcnt(6)
	v_fmac_f32_e32 v157, v133, v117
	ds_load_2addr_b32 v[116:117], v2 offset0:93 offset1:94
	s_waitcnt lgkmcnt(3)
	v_fmac_f32_e32 v157, v134, v118
	s_delay_alu instid0(VALU_DEP_1) | instskip(SKIP_1) | instid1(VALU_DEP_1)
	v_fmac_f32_e32 v157, v135, v119
	s_waitcnt lgkmcnt(2)
	v_fmac_f32_e32 v157, v136, v120
	s_waitcnt vmcnt(5)
	s_delay_alu instid0(VALU_DEP_1) | instskip(SKIP_4) | instid1(VALU_DEP_1)
	v_fmac_f32_e32 v157, v137, v121
	ds_load_2addr_b32 v[118:119], v2 offset0:95 offset1:96
	ds_load_2addr_b32 v[120:121], v2 offset0:97 offset1:98
	s_waitcnt lgkmcnt(3)
	v_fmac_f32_e32 v157, v138, v114
	v_fmac_f32_e32 v157, v139, v115
	ds_load_2addr_b32 v[114:115], v2 offset0:99 offset1:100
	s_waitcnt lgkmcnt(3)
	v_fmac_f32_e32 v157, v140, v116
	s_waitcnt vmcnt(4)
	s_delay_alu instid0(VALU_DEP_1) | instskip(SKIP_3) | instid1(VALU_DEP_1)
	v_fmac_f32_e32 v157, v141, v117
	ds_load_2addr_b32 v[116:117], v2 offset0:101 offset1:102
	s_waitcnt lgkmcnt(3)
	v_fmac_f32_e32 v157, v142, v118
	v_fmac_f32_e32 v157, v143, v119
	s_waitcnt lgkmcnt(2)
	s_delay_alu instid0(VALU_DEP_1) | instskip(SKIP_1) | instid1(VALU_DEP_1)
	v_fmac_f32_e32 v157, v144, v120
	s_waitcnt vmcnt(3)
	v_fmac_f32_e32 v157, v145, v121
	ds_load_2addr_b32 v[118:119], v2 offset0:103 offset1:104
	ds_load_2addr_b32 v[120:121], v2 offset0:105 offset1:106
	s_waitcnt lgkmcnt(3)
	v_fmac_f32_e32 v157, v146, v114
	s_delay_alu instid0(VALU_DEP_1) | instskip(SKIP_4) | instid1(VALU_DEP_1)
	v_fmac_f32_e32 v157, v147, v115
	ds_load_2addr_b32 v[114:115], v2 offset0:107 offset1:108
	s_waitcnt lgkmcnt(3)
	v_fmac_f32_e32 v157, v148, v116
	s_waitcnt vmcnt(2)
	v_fmac_f32_e32 v157, v149, v117
	ds_load_2addr_b32 v[116:117], v2 offset0:109 offset1:110
	s_waitcnt lgkmcnt(3)
	v_fmac_f32_e32 v157, v150, v118
	s_delay_alu instid0(VALU_DEP_1) | instskip(SKIP_1) | instid1(VALU_DEP_1)
	v_fmac_f32_e32 v157, v151, v119
	s_waitcnt lgkmcnt(2)
	v_fmac_f32_e32 v157, v152, v120
	s_waitcnt vmcnt(1)
	s_delay_alu instid0(VALU_DEP_1) | instskip(SKIP_1) | instid1(VALU_DEP_1)
	v_fmac_f32_e32 v157, v153, v121
	s_waitcnt lgkmcnt(1)
	v_fmac_f32_e32 v157, v154, v114
	s_delay_alu instid0(VALU_DEP_1) | instskip(SKIP_1) | instid1(VALU_DEP_1)
	v_fmac_f32_e32 v157, v155, v115
	s_waitcnt lgkmcnt(0)
	v_fmac_f32_e32 v157, v156, v116
	s_waitcnt vmcnt(0)
	s_delay_alu instid0(VALU_DEP_1) | instskip(NEXT) | instid1(VALU_DEP_1)
	v_fmac_f32_e32 v157, v165, v117
	v_sub_f32_e32 v2, v113, v157
	scratch_store_b32 off, v2, off offset:40
	v_cmpx_lt_u32_e32 9, v0
	s_cbranch_execz .LBB118_319
; %bb.318:
	scratch_load_b32 v2, off, off offset:36
	v_mov_b32_e32 v113, 0
	scratch_store_b32 off, v113, off offset:36
	s_waitcnt vmcnt(0)
	ds_store_b32 v1, v2
.LBB118_319:
	s_or_b32 exec_lo, exec_lo, s0
	s_waitcnt lgkmcnt(0)
	s_waitcnt_vscnt null, 0x0
	s_barrier
	buffer_gl0_inv
	s_clause 0xb
	scratch_load_b128 v[113:116], off, off offset:36
	scratch_load_b128 v[117:120], off, off offset:52
	;; [unrolled: 1-line block ×11, first 2 shown]
	scratch_load_b64 v[165:166], off, off offset:212
	v_mov_b32_e32 v2, 0
	ds_load_2addr_b64 v[157:160], v2 offset0:33 offset1:34
	ds_load_2addr_b64 v[161:164], v2 offset0:35 offset1:36
	s_mov_b32 s0, exec_lo
	s_waitcnt vmcnt(11) lgkmcnt(1)
	v_fma_f32 v157, v114, v157, 0
	s_delay_alu instid0(VALU_DEP_1) | instskip(NEXT) | instid1(VALU_DEP_1)
	v_fmac_f32_e32 v157, v115, v158
	v_fmac_f32_e32 v157, v116, v159
	s_waitcnt vmcnt(10)
	s_delay_alu instid0(VALU_DEP_1) | instskip(SKIP_3) | instid1(VALU_DEP_1)
	v_fmac_f32_e32 v157, v117, v160
	ds_load_2addr_b64 v[114:117], v2 offset0:37 offset1:38
	s_waitcnt lgkmcnt(1)
	v_fmac_f32_e32 v157, v118, v161
	v_fmac_f32_e32 v157, v119, v162
	s_delay_alu instid0(VALU_DEP_1) | instskip(SKIP_1) | instid1(VALU_DEP_1)
	v_fmac_f32_e32 v157, v120, v163
	s_waitcnt vmcnt(9)
	v_fmac_f32_e32 v157, v121, v164
	ds_load_2addr_b64 v[118:121], v2 offset0:39 offset1:40
	s_waitcnt lgkmcnt(1)
	v_fmac_f32_e32 v157, v122, v114
	s_delay_alu instid0(VALU_DEP_1) | instskip(NEXT) | instid1(VALU_DEP_1)
	v_fmac_f32_e32 v157, v123, v115
	v_fmac_f32_e32 v157, v124, v116
	s_waitcnt vmcnt(8)
	s_delay_alu instid0(VALU_DEP_1) | instskip(SKIP_3) | instid1(VALU_DEP_1)
	v_fmac_f32_e32 v157, v125, v117
	ds_load_2addr_b64 v[114:117], v2 offset0:41 offset1:42
	s_waitcnt lgkmcnt(1)
	v_fmac_f32_e32 v157, v126, v118
	v_fmac_f32_e32 v157, v127, v119
	s_delay_alu instid0(VALU_DEP_1) | instskip(SKIP_1) | instid1(VALU_DEP_1)
	v_fmac_f32_e32 v157, v128, v120
	s_waitcnt vmcnt(7)
	v_fmac_f32_e32 v157, v129, v121
	ds_load_2addr_b64 v[118:121], v2 offset0:43 offset1:44
	s_waitcnt lgkmcnt(1)
	v_fmac_f32_e32 v157, v130, v114
	;; [unrolled: 17-line block ×4, first 2 shown]
	s_delay_alu instid0(VALU_DEP_1) | instskip(NEXT) | instid1(VALU_DEP_1)
	v_fmac_f32_e32 v157, v147, v115
	v_fmac_f32_e32 v157, v148, v116
	s_waitcnt vmcnt(2)
	s_delay_alu instid0(VALU_DEP_1)
	v_fmac_f32_e32 v157, v149, v117
	ds_load_2addr_b64 v[114:117], v2 offset0:53 offset1:54
	s_waitcnt lgkmcnt(1)
	v_fmac_f32_e32 v157, v150, v118
	ds_load_b32 v118, v2 offset:440
	v_fmac_f32_e32 v157, v151, v119
	s_delay_alu instid0(VALU_DEP_1) | instskip(SKIP_1) | instid1(VALU_DEP_1)
	v_fmac_f32_e32 v157, v152, v120
	s_waitcnt vmcnt(1)
	v_fmac_f32_e32 v157, v153, v121
	s_waitcnt lgkmcnt(1)
	s_delay_alu instid0(VALU_DEP_1) | instskip(NEXT) | instid1(VALU_DEP_1)
	v_fmac_f32_e32 v157, v154, v114
	v_fmac_f32_e32 v157, v155, v115
	s_delay_alu instid0(VALU_DEP_1) | instskip(SKIP_1) | instid1(VALU_DEP_1)
	v_fmac_f32_e32 v157, v156, v116
	s_waitcnt vmcnt(0)
	v_fmac_f32_e32 v157, v165, v117
	s_waitcnt lgkmcnt(0)
	s_delay_alu instid0(VALU_DEP_1) | instskip(NEXT) | instid1(VALU_DEP_1)
	v_fmac_f32_e32 v157, v166, v118
	v_sub_f32_e32 v113, v113, v157
	scratch_store_b32 off, v113, off offset:36
	v_cmpx_lt_u32_e32 8, v0
	s_cbranch_execz .LBB118_321
; %bb.320:
	scratch_load_b32 v113, off, off offset:32
	scratch_store_b32 off, v2, off offset:32
	s_waitcnt vmcnt(0)
	ds_store_b32 v1, v113
.LBB118_321:
	s_or_b32 exec_lo, exec_lo, s0
	s_waitcnt lgkmcnt(0)
	s_waitcnt_vscnt null, 0x0
	s_barrier
	buffer_gl0_inv
	s_clause 0xb
	scratch_load_b128 v[113:116], off, off offset:32
	scratch_load_b128 v[117:120], off, off offset:48
	;; [unrolled: 1-line block ×11, first 2 shown]
	scratch_load_b96 v[157:159], off, off offset:208
	ds_load_2addr_b32 v[160:161], v2 offset0:65 offset1:66
	ds_load_2addr_b32 v[162:163], v2 offset0:67 offset1:68
	;; [unrolled: 1-line block ×3, first 2 shown]
	s_mov_b32 s0, exec_lo
	s_waitcnt vmcnt(11) lgkmcnt(2)
	v_fma_f32 v160, v114, v160, 0
	s_delay_alu instid0(VALU_DEP_1) | instskip(SKIP_4) | instid1(VALU_DEP_1)
	v_fmac_f32_e32 v160, v115, v161
	ds_load_2addr_b32 v[114:115], v2 offset0:71 offset1:72
	s_waitcnt lgkmcnt(2)
	v_fmac_f32_e32 v160, v116, v162
	s_waitcnt vmcnt(10)
	v_fmac_f32_e32 v160, v117, v163
	ds_load_2addr_b32 v[116:117], v2 offset0:73 offset1:74
	s_waitcnt lgkmcnt(2)
	v_fmac_f32_e32 v160, v118, v164
	s_delay_alu instid0(VALU_DEP_1) | instskip(SKIP_4) | instid1(VALU_DEP_1)
	v_fmac_f32_e32 v160, v119, v165
	ds_load_2addr_b32 v[118:119], v2 offset0:75 offset1:76
	s_waitcnt lgkmcnt(2)
	v_fmac_f32_e32 v160, v120, v114
	s_waitcnt vmcnt(9)
	v_fmac_f32_e32 v160, v121, v115
	ds_load_2addr_b32 v[114:115], v2 offset0:77 offset1:78
	s_waitcnt lgkmcnt(2)
	v_fmac_f32_e32 v160, v122, v116
	;; [unrolled: 10-line block ×10, first 2 shown]
	s_delay_alu instid0(VALU_DEP_1) | instskip(SKIP_1) | instid1(VALU_DEP_1)
	v_fmac_f32_e32 v160, v155, v119
	s_waitcnt lgkmcnt(1)
	v_fmac_f32_e32 v160, v156, v114
	s_waitcnt vmcnt(0)
	s_delay_alu instid0(VALU_DEP_1) | instskip(SKIP_1) | instid1(VALU_DEP_1)
	v_fmac_f32_e32 v160, v157, v115
	s_waitcnt lgkmcnt(0)
	v_fmac_f32_e32 v160, v158, v116
	s_delay_alu instid0(VALU_DEP_1) | instskip(NEXT) | instid1(VALU_DEP_1)
	v_fmac_f32_e32 v160, v159, v117
	v_sub_f32_e32 v2, v113, v160
	scratch_store_b32 off, v2, off offset:32
	v_cmpx_lt_u32_e32 7, v0
	s_cbranch_execz .LBB118_323
; %bb.322:
	scratch_load_b32 v2, off, off offset:28
	v_mov_b32_e32 v113, 0
	scratch_store_b32 off, v113, off offset:28
	s_waitcnt vmcnt(0)
	ds_store_b32 v1, v2
.LBB118_323:
	s_or_b32 exec_lo, exec_lo, s0
	s_waitcnt lgkmcnt(0)
	s_waitcnt_vscnt null, 0x0
	s_barrier
	buffer_gl0_inv
	s_clause 0xb
	scratch_load_b128 v[113:116], off, off offset:28
	scratch_load_b128 v[117:120], off, off offset:44
	;; [unrolled: 1-line block ×12, first 2 shown]
	v_mov_b32_e32 v2, 0
	ds_load_b128 v[161:164], v2 offset:256
	ds_load_b128 v[165:168], v2 offset:272
	s_mov_b32 s0, exec_lo
	s_waitcnt vmcnt(11) lgkmcnt(1)
	v_fma_f32 v161, v114, v161, 0
	s_delay_alu instid0(VALU_DEP_1) | instskip(NEXT) | instid1(VALU_DEP_1)
	v_fmac_f32_e32 v161, v115, v162
	v_fmac_f32_e32 v161, v116, v163
	s_waitcnt vmcnt(10)
	s_delay_alu instid0(VALU_DEP_1) | instskip(SKIP_3) | instid1(VALU_DEP_1)
	v_fmac_f32_e32 v161, v117, v164
	ds_load_b128 v[114:117], v2 offset:288
	s_waitcnt lgkmcnt(1)
	v_fmac_f32_e32 v161, v118, v165
	v_fmac_f32_e32 v161, v119, v166
	s_delay_alu instid0(VALU_DEP_1) | instskip(SKIP_1) | instid1(VALU_DEP_1)
	v_fmac_f32_e32 v161, v120, v167
	s_waitcnt vmcnt(9)
	v_fmac_f32_e32 v161, v121, v168
	ds_load_b128 v[118:121], v2 offset:304
	s_waitcnt lgkmcnt(1)
	v_fmac_f32_e32 v161, v122, v114
	s_delay_alu instid0(VALU_DEP_1) | instskip(NEXT) | instid1(VALU_DEP_1)
	v_fmac_f32_e32 v161, v123, v115
	v_fmac_f32_e32 v161, v124, v116
	s_waitcnt vmcnt(8)
	s_delay_alu instid0(VALU_DEP_1) | instskip(SKIP_3) | instid1(VALU_DEP_1)
	v_fmac_f32_e32 v161, v125, v117
	ds_load_b128 v[114:117], v2 offset:320
	s_waitcnt lgkmcnt(1)
	v_fmac_f32_e32 v161, v126, v118
	v_fmac_f32_e32 v161, v127, v119
	s_delay_alu instid0(VALU_DEP_1) | instskip(SKIP_1) | instid1(VALU_DEP_1)
	v_fmac_f32_e32 v161, v128, v120
	s_waitcnt vmcnt(7)
	v_fmac_f32_e32 v161, v129, v121
	ds_load_b128 v[118:121], v2 offset:336
	s_waitcnt lgkmcnt(1)
	v_fmac_f32_e32 v161, v130, v114
	;; [unrolled: 17-line block ×4, first 2 shown]
	s_delay_alu instid0(VALU_DEP_1) | instskip(NEXT) | instid1(VALU_DEP_1)
	v_fmac_f32_e32 v161, v147, v115
	v_fmac_f32_e32 v161, v148, v116
	s_waitcnt vmcnt(2)
	s_delay_alu instid0(VALU_DEP_1) | instskip(SKIP_3) | instid1(VALU_DEP_1)
	v_fmac_f32_e32 v161, v149, v117
	ds_load_b128 v[114:117], v2 offset:416
	s_waitcnt lgkmcnt(1)
	v_fmac_f32_e32 v161, v150, v118
	v_fmac_f32_e32 v161, v151, v119
	s_delay_alu instid0(VALU_DEP_1) | instskip(SKIP_4) | instid1(VALU_DEP_1)
	v_fmac_f32_e32 v161, v152, v120
	ds_load_b96 v[118:120], v2 offset:432
	s_waitcnt vmcnt(1)
	v_fmac_f32_e32 v161, v153, v121
	s_waitcnt lgkmcnt(1)
	v_fmac_f32_e32 v161, v154, v114
	s_delay_alu instid0(VALU_DEP_1) | instskip(NEXT) | instid1(VALU_DEP_1)
	v_fmac_f32_e32 v161, v155, v115
	v_fmac_f32_e32 v161, v156, v116
	s_waitcnt vmcnt(0)
	s_delay_alu instid0(VALU_DEP_1) | instskip(SKIP_1) | instid1(VALU_DEP_1)
	v_fmac_f32_e32 v161, v157, v117
	s_waitcnt lgkmcnt(0)
	v_fmac_f32_e32 v161, v158, v118
	s_delay_alu instid0(VALU_DEP_1) | instskip(NEXT) | instid1(VALU_DEP_1)
	v_fmac_f32_e32 v161, v159, v119
	v_fmac_f32_e32 v161, v160, v120
	s_delay_alu instid0(VALU_DEP_1)
	v_sub_f32_e32 v113, v113, v161
	scratch_store_b32 off, v113, off offset:28
	v_cmpx_lt_u32_e32 6, v0
	s_cbranch_execz .LBB118_325
; %bb.324:
	scratch_load_b32 v113, off, off offset:24
	scratch_store_b32 off, v2, off offset:24
	s_waitcnt vmcnt(0)
	ds_store_b32 v1, v113
.LBB118_325:
	s_or_b32 exec_lo, exec_lo, s0
	s_waitcnt lgkmcnt(0)
	s_waitcnt_vscnt null, 0x0
	s_barrier
	buffer_gl0_inv
	s_clause 0xc
	scratch_load_b128 v[113:116], off, off offset:24
	scratch_load_b128 v[117:120], off, off offset:40
	;; [unrolled: 1-line block ×12, first 2 shown]
	scratch_load_b32 v169, off, off offset:216
	ds_load_2addr_b32 v[161:162], v2 offset0:63 offset1:64
	ds_load_2addr_b32 v[163:164], v2 offset0:65 offset1:66
	;; [unrolled: 1-line block ×4, first 2 shown]
	s_mov_b32 s0, exec_lo
	s_waitcnt vmcnt(12) lgkmcnt(3)
	v_fma_f32 v161, v114, v161, 0
	s_delay_alu instid0(VALU_DEP_1) | instskip(SKIP_4) | instid1(VALU_DEP_1)
	v_fmac_f32_e32 v161, v115, v162
	ds_load_2addr_b32 v[114:115], v2 offset0:71 offset1:72
	s_waitcnt lgkmcnt(3)
	v_fmac_f32_e32 v161, v116, v163
	s_waitcnt vmcnt(11)
	v_fmac_f32_e32 v161, v117, v164
	ds_load_2addr_b32 v[116:117], v2 offset0:73 offset1:74
	s_waitcnt lgkmcnt(3)
	v_fmac_f32_e32 v161, v118, v165
	s_delay_alu instid0(VALU_DEP_1) | instskip(SKIP_1) | instid1(VALU_DEP_1)
	v_fmac_f32_e32 v161, v119, v166
	s_waitcnt lgkmcnt(2)
	v_fmac_f32_e32 v161, v120, v167
	s_waitcnt vmcnt(10)
	s_delay_alu instid0(VALU_DEP_1) | instskip(SKIP_4) | instid1(VALU_DEP_1)
	v_fmac_f32_e32 v161, v121, v168
	ds_load_2addr_b32 v[118:119], v2 offset0:75 offset1:76
	ds_load_2addr_b32 v[120:121], v2 offset0:77 offset1:78
	s_waitcnt lgkmcnt(3)
	v_fmac_f32_e32 v161, v122, v114
	v_fmac_f32_e32 v161, v123, v115
	ds_load_2addr_b32 v[114:115], v2 offset0:79 offset1:80
	s_waitcnt lgkmcnt(3)
	v_fmac_f32_e32 v161, v124, v116
	s_waitcnt vmcnt(9)
	s_delay_alu instid0(VALU_DEP_1) | instskip(SKIP_3) | instid1(VALU_DEP_1)
	v_fmac_f32_e32 v161, v125, v117
	ds_load_2addr_b32 v[116:117], v2 offset0:81 offset1:82
	s_waitcnt lgkmcnt(3)
	v_fmac_f32_e32 v161, v126, v118
	v_fmac_f32_e32 v161, v127, v119
	s_waitcnt lgkmcnt(2)
	s_delay_alu instid0(VALU_DEP_1) | instskip(SKIP_1) | instid1(VALU_DEP_1)
	v_fmac_f32_e32 v161, v128, v120
	s_waitcnt vmcnt(8)
	v_fmac_f32_e32 v161, v129, v121
	ds_load_2addr_b32 v[118:119], v2 offset0:83 offset1:84
	ds_load_2addr_b32 v[120:121], v2 offset0:85 offset1:86
	s_waitcnt lgkmcnt(3)
	v_fmac_f32_e32 v161, v130, v114
	s_delay_alu instid0(VALU_DEP_1) | instskip(SKIP_4) | instid1(VALU_DEP_1)
	v_fmac_f32_e32 v161, v131, v115
	ds_load_2addr_b32 v[114:115], v2 offset0:87 offset1:88
	s_waitcnt lgkmcnt(3)
	v_fmac_f32_e32 v161, v132, v116
	s_waitcnt vmcnt(7)
	v_fmac_f32_e32 v161, v133, v117
	ds_load_2addr_b32 v[116:117], v2 offset0:89 offset1:90
	s_waitcnt lgkmcnt(3)
	v_fmac_f32_e32 v161, v134, v118
	s_delay_alu instid0(VALU_DEP_1) | instskip(SKIP_1) | instid1(VALU_DEP_1)
	v_fmac_f32_e32 v161, v135, v119
	s_waitcnt lgkmcnt(2)
	v_fmac_f32_e32 v161, v136, v120
	s_waitcnt vmcnt(6)
	s_delay_alu instid0(VALU_DEP_1) | instskip(SKIP_4) | instid1(VALU_DEP_1)
	v_fmac_f32_e32 v161, v137, v121
	ds_load_2addr_b32 v[118:119], v2 offset0:91 offset1:92
	ds_load_2addr_b32 v[120:121], v2 offset0:93 offset1:94
	s_waitcnt lgkmcnt(3)
	v_fmac_f32_e32 v161, v138, v114
	v_fmac_f32_e32 v161, v139, v115
	ds_load_2addr_b32 v[114:115], v2 offset0:95 offset1:96
	s_waitcnt lgkmcnt(3)
	v_fmac_f32_e32 v161, v140, v116
	s_waitcnt vmcnt(5)
	s_delay_alu instid0(VALU_DEP_1) | instskip(SKIP_3) | instid1(VALU_DEP_1)
	v_fmac_f32_e32 v161, v141, v117
	ds_load_2addr_b32 v[116:117], v2 offset0:97 offset1:98
	s_waitcnt lgkmcnt(3)
	v_fmac_f32_e32 v161, v142, v118
	v_fmac_f32_e32 v161, v143, v119
	s_waitcnt lgkmcnt(2)
	s_delay_alu instid0(VALU_DEP_1) | instskip(SKIP_1) | instid1(VALU_DEP_1)
	v_fmac_f32_e32 v161, v144, v120
	s_waitcnt vmcnt(4)
	v_fmac_f32_e32 v161, v145, v121
	ds_load_2addr_b32 v[118:119], v2 offset0:99 offset1:100
	ds_load_2addr_b32 v[120:121], v2 offset0:101 offset1:102
	s_waitcnt lgkmcnt(3)
	v_fmac_f32_e32 v161, v146, v114
	s_delay_alu instid0(VALU_DEP_1) | instskip(SKIP_4) | instid1(VALU_DEP_1)
	v_fmac_f32_e32 v161, v147, v115
	ds_load_2addr_b32 v[114:115], v2 offset0:103 offset1:104
	s_waitcnt lgkmcnt(3)
	v_fmac_f32_e32 v161, v148, v116
	s_waitcnt vmcnt(3)
	v_fmac_f32_e32 v161, v149, v117
	ds_load_2addr_b32 v[116:117], v2 offset0:105 offset1:106
	s_waitcnt lgkmcnt(3)
	v_fmac_f32_e32 v161, v150, v118
	s_delay_alu instid0(VALU_DEP_1) | instskip(SKIP_1) | instid1(VALU_DEP_1)
	v_fmac_f32_e32 v161, v151, v119
	s_waitcnt lgkmcnt(2)
	v_fmac_f32_e32 v161, v152, v120
	s_waitcnt vmcnt(2)
	s_delay_alu instid0(VALU_DEP_1) | instskip(SKIP_4) | instid1(VALU_DEP_1)
	v_fmac_f32_e32 v161, v153, v121
	ds_load_2addr_b32 v[118:119], v2 offset0:107 offset1:108
	ds_load_2addr_b32 v[120:121], v2 offset0:109 offset1:110
	s_waitcnt lgkmcnt(3)
	v_fmac_f32_e32 v161, v154, v114
	v_fmac_f32_e32 v161, v155, v115
	s_waitcnt lgkmcnt(2)
	s_delay_alu instid0(VALU_DEP_1) | instskip(SKIP_1) | instid1(VALU_DEP_1)
	v_fmac_f32_e32 v161, v156, v116
	s_waitcnt vmcnt(1)
	v_fmac_f32_e32 v161, v157, v117
	s_waitcnt lgkmcnt(1)
	s_delay_alu instid0(VALU_DEP_1) | instskip(NEXT) | instid1(VALU_DEP_1)
	v_fmac_f32_e32 v161, v158, v118
	v_fmac_f32_e32 v161, v159, v119
	s_waitcnt lgkmcnt(0)
	s_delay_alu instid0(VALU_DEP_1) | instskip(SKIP_1) | instid1(VALU_DEP_1)
	v_fmac_f32_e32 v161, v160, v120
	s_waitcnt vmcnt(0)
	v_fmac_f32_e32 v161, v169, v121
	s_delay_alu instid0(VALU_DEP_1)
	v_sub_f32_e32 v2, v113, v161
	scratch_store_b32 off, v2, off offset:24
	v_cmpx_lt_u32_e32 5, v0
	s_cbranch_execz .LBB118_327
; %bb.326:
	scratch_load_b32 v2, off, off offset:20
	v_mov_b32_e32 v113, 0
	scratch_store_b32 off, v113, off offset:20
	s_waitcnt vmcnt(0)
	ds_store_b32 v1, v2
.LBB118_327:
	s_or_b32 exec_lo, exec_lo, s0
	s_waitcnt lgkmcnt(0)
	s_waitcnt_vscnt null, 0x0
	s_barrier
	buffer_gl0_inv
	s_clause 0xc
	scratch_load_b128 v[113:116], off, off offset:20
	scratch_load_b128 v[117:120], off, off offset:36
	;; [unrolled: 1-line block ×12, first 2 shown]
	scratch_load_b64 v[169:170], off, off offset:212
	v_mov_b32_e32 v2, 0
	ds_load_2addr_b64 v[161:164], v2 offset0:31 offset1:32
	ds_load_2addr_b64 v[165:168], v2 offset0:33 offset1:34
	s_mov_b32 s0, exec_lo
	s_waitcnt vmcnt(12) lgkmcnt(1)
	v_fma_f32 v161, v114, v161, 0
	s_delay_alu instid0(VALU_DEP_1) | instskip(NEXT) | instid1(VALU_DEP_1)
	v_fmac_f32_e32 v161, v115, v162
	v_fmac_f32_e32 v161, v116, v163
	s_waitcnt vmcnt(11)
	s_delay_alu instid0(VALU_DEP_1) | instskip(SKIP_3) | instid1(VALU_DEP_1)
	v_fmac_f32_e32 v161, v117, v164
	ds_load_2addr_b64 v[114:117], v2 offset0:35 offset1:36
	s_waitcnt lgkmcnt(1)
	v_fmac_f32_e32 v161, v118, v165
	v_fmac_f32_e32 v161, v119, v166
	s_delay_alu instid0(VALU_DEP_1) | instskip(SKIP_1) | instid1(VALU_DEP_1)
	v_fmac_f32_e32 v161, v120, v167
	s_waitcnt vmcnt(10)
	v_fmac_f32_e32 v161, v121, v168
	ds_load_2addr_b64 v[118:121], v2 offset0:37 offset1:38
	s_waitcnt lgkmcnt(1)
	v_fmac_f32_e32 v161, v122, v114
	s_delay_alu instid0(VALU_DEP_1) | instskip(NEXT) | instid1(VALU_DEP_1)
	v_fmac_f32_e32 v161, v123, v115
	v_fmac_f32_e32 v161, v124, v116
	s_waitcnt vmcnt(9)
	s_delay_alu instid0(VALU_DEP_1) | instskip(SKIP_3) | instid1(VALU_DEP_1)
	v_fmac_f32_e32 v161, v125, v117
	ds_load_2addr_b64 v[114:117], v2 offset0:39 offset1:40
	s_waitcnt lgkmcnt(1)
	v_fmac_f32_e32 v161, v126, v118
	v_fmac_f32_e32 v161, v127, v119
	s_delay_alu instid0(VALU_DEP_1) | instskip(SKIP_1) | instid1(VALU_DEP_1)
	v_fmac_f32_e32 v161, v128, v120
	s_waitcnt vmcnt(8)
	v_fmac_f32_e32 v161, v129, v121
	ds_load_2addr_b64 v[118:121], v2 offset0:41 offset1:42
	s_waitcnt lgkmcnt(1)
	v_fmac_f32_e32 v161, v130, v114
	;; [unrolled: 17-line block ×5, first 2 shown]
	ds_load_b32 v114, v2 offset:440
	v_fmac_f32_e32 v161, v155, v115
	s_delay_alu instid0(VALU_DEP_1) | instskip(SKIP_1) | instid1(VALU_DEP_1)
	v_fmac_f32_e32 v161, v156, v116
	s_waitcnt vmcnt(1)
	v_fmac_f32_e32 v161, v157, v117
	s_waitcnt lgkmcnt(1)
	s_delay_alu instid0(VALU_DEP_1) | instskip(NEXT) | instid1(VALU_DEP_1)
	v_fmac_f32_e32 v161, v158, v118
	v_fmac_f32_e32 v161, v159, v119
	s_delay_alu instid0(VALU_DEP_1) | instskip(SKIP_1) | instid1(VALU_DEP_1)
	v_fmac_f32_e32 v161, v160, v120
	s_waitcnt vmcnt(0)
	v_fmac_f32_e32 v161, v169, v121
	s_waitcnt lgkmcnt(0)
	s_delay_alu instid0(VALU_DEP_1) | instskip(NEXT) | instid1(VALU_DEP_1)
	v_fmac_f32_e32 v161, v170, v114
	v_sub_f32_e32 v113, v113, v161
	scratch_store_b32 off, v113, off offset:20
	v_cmpx_lt_u32_e32 4, v0
	s_cbranch_execz .LBB118_329
; %bb.328:
	scratch_load_b32 v113, off, off offset:16
	scratch_store_b32 off, v2, off offset:16
	s_waitcnt vmcnt(0)
	ds_store_b32 v1, v113
.LBB118_329:
	s_or_b32 exec_lo, exec_lo, s0
	s_waitcnt lgkmcnt(0)
	s_waitcnt_vscnt null, 0x0
	s_barrier
	buffer_gl0_inv
	s_clause 0xc
	scratch_load_b128 v[113:116], off, off offset:16
	scratch_load_b128 v[117:120], off, off offset:32
	;; [unrolled: 1-line block ×12, first 2 shown]
	scratch_load_b96 v[161:163], off, off offset:208
	ds_load_2addr_b32 v[164:165], v2 offset0:61 offset1:62
	ds_load_2addr_b32 v[166:167], v2 offset0:63 offset1:64
	;; [unrolled: 1-line block ×4, first 2 shown]
	s_mov_b32 s0, exec_lo
	s_waitcnt vmcnt(12) lgkmcnt(3)
	v_fma_f32 v164, v114, v164, 0
	s_delay_alu instid0(VALU_DEP_1) | instskip(SKIP_4) | instid1(VALU_DEP_1)
	v_fmac_f32_e32 v164, v115, v165
	ds_load_2addr_b32 v[114:115], v2 offset0:69 offset1:70
	s_waitcnt lgkmcnt(3)
	v_fmac_f32_e32 v164, v116, v166
	s_waitcnt vmcnt(11)
	v_fmac_f32_e32 v164, v117, v167
	ds_load_2addr_b32 v[116:117], v2 offset0:71 offset1:72
	s_waitcnt lgkmcnt(3)
	v_fmac_f32_e32 v164, v118, v168
	s_delay_alu instid0(VALU_DEP_1) | instskip(SKIP_1) | instid1(VALU_DEP_1)
	v_fmac_f32_e32 v164, v119, v169
	s_waitcnt lgkmcnt(2)
	v_fmac_f32_e32 v164, v120, v170
	s_waitcnt vmcnt(10)
	s_delay_alu instid0(VALU_DEP_1) | instskip(SKIP_4) | instid1(VALU_DEP_1)
	v_fmac_f32_e32 v164, v121, v171
	ds_load_2addr_b32 v[118:119], v2 offset0:73 offset1:74
	ds_load_2addr_b32 v[120:121], v2 offset0:75 offset1:76
	s_waitcnt lgkmcnt(3)
	v_fmac_f32_e32 v164, v122, v114
	v_fmac_f32_e32 v164, v123, v115
	ds_load_2addr_b32 v[114:115], v2 offset0:77 offset1:78
	s_waitcnt lgkmcnt(3)
	v_fmac_f32_e32 v164, v124, v116
	s_waitcnt vmcnt(9)
	s_delay_alu instid0(VALU_DEP_1) | instskip(SKIP_3) | instid1(VALU_DEP_1)
	v_fmac_f32_e32 v164, v125, v117
	ds_load_2addr_b32 v[116:117], v2 offset0:79 offset1:80
	s_waitcnt lgkmcnt(3)
	v_fmac_f32_e32 v164, v126, v118
	v_fmac_f32_e32 v164, v127, v119
	s_waitcnt lgkmcnt(2)
	s_delay_alu instid0(VALU_DEP_1) | instskip(SKIP_1) | instid1(VALU_DEP_1)
	v_fmac_f32_e32 v164, v128, v120
	s_waitcnt vmcnt(8)
	v_fmac_f32_e32 v164, v129, v121
	ds_load_2addr_b32 v[118:119], v2 offset0:81 offset1:82
	ds_load_2addr_b32 v[120:121], v2 offset0:83 offset1:84
	s_waitcnt lgkmcnt(3)
	v_fmac_f32_e32 v164, v130, v114
	s_delay_alu instid0(VALU_DEP_1) | instskip(SKIP_4) | instid1(VALU_DEP_1)
	v_fmac_f32_e32 v164, v131, v115
	ds_load_2addr_b32 v[114:115], v2 offset0:85 offset1:86
	s_waitcnt lgkmcnt(3)
	v_fmac_f32_e32 v164, v132, v116
	s_waitcnt vmcnt(7)
	v_fmac_f32_e32 v164, v133, v117
	ds_load_2addr_b32 v[116:117], v2 offset0:87 offset1:88
	s_waitcnt lgkmcnt(3)
	v_fmac_f32_e32 v164, v134, v118
	s_delay_alu instid0(VALU_DEP_1) | instskip(SKIP_1) | instid1(VALU_DEP_1)
	v_fmac_f32_e32 v164, v135, v119
	s_waitcnt lgkmcnt(2)
	v_fmac_f32_e32 v164, v136, v120
	s_waitcnt vmcnt(6)
	s_delay_alu instid0(VALU_DEP_1) | instskip(SKIP_4) | instid1(VALU_DEP_1)
	v_fmac_f32_e32 v164, v137, v121
	ds_load_2addr_b32 v[118:119], v2 offset0:89 offset1:90
	ds_load_2addr_b32 v[120:121], v2 offset0:91 offset1:92
	s_waitcnt lgkmcnt(3)
	v_fmac_f32_e32 v164, v138, v114
	v_fmac_f32_e32 v164, v139, v115
	ds_load_2addr_b32 v[114:115], v2 offset0:93 offset1:94
	s_waitcnt lgkmcnt(3)
	v_fmac_f32_e32 v164, v140, v116
	s_waitcnt vmcnt(5)
	s_delay_alu instid0(VALU_DEP_1) | instskip(SKIP_3) | instid1(VALU_DEP_1)
	v_fmac_f32_e32 v164, v141, v117
	ds_load_2addr_b32 v[116:117], v2 offset0:95 offset1:96
	s_waitcnt lgkmcnt(3)
	v_fmac_f32_e32 v164, v142, v118
	v_fmac_f32_e32 v164, v143, v119
	s_waitcnt lgkmcnt(2)
	s_delay_alu instid0(VALU_DEP_1) | instskip(SKIP_1) | instid1(VALU_DEP_1)
	v_fmac_f32_e32 v164, v144, v120
	s_waitcnt vmcnt(4)
	v_fmac_f32_e32 v164, v145, v121
	ds_load_2addr_b32 v[118:119], v2 offset0:97 offset1:98
	ds_load_2addr_b32 v[120:121], v2 offset0:99 offset1:100
	s_waitcnt lgkmcnt(3)
	v_fmac_f32_e32 v164, v146, v114
	s_delay_alu instid0(VALU_DEP_1) | instskip(SKIP_4) | instid1(VALU_DEP_1)
	v_fmac_f32_e32 v164, v147, v115
	ds_load_2addr_b32 v[114:115], v2 offset0:101 offset1:102
	s_waitcnt lgkmcnt(3)
	v_fmac_f32_e32 v164, v148, v116
	s_waitcnt vmcnt(3)
	v_fmac_f32_e32 v164, v149, v117
	ds_load_2addr_b32 v[116:117], v2 offset0:103 offset1:104
	s_waitcnt lgkmcnt(3)
	v_fmac_f32_e32 v164, v150, v118
	s_delay_alu instid0(VALU_DEP_1) | instskip(SKIP_1) | instid1(VALU_DEP_1)
	v_fmac_f32_e32 v164, v151, v119
	s_waitcnt lgkmcnt(2)
	v_fmac_f32_e32 v164, v152, v120
	s_waitcnt vmcnt(2)
	s_delay_alu instid0(VALU_DEP_1) | instskip(SKIP_4) | instid1(VALU_DEP_1)
	v_fmac_f32_e32 v164, v153, v121
	ds_load_2addr_b32 v[118:119], v2 offset0:105 offset1:106
	ds_load_2addr_b32 v[120:121], v2 offset0:107 offset1:108
	s_waitcnt lgkmcnt(3)
	v_fmac_f32_e32 v164, v154, v114
	v_fmac_f32_e32 v164, v155, v115
	ds_load_2addr_b32 v[114:115], v2 offset0:109 offset1:110
	s_waitcnt lgkmcnt(3)
	v_fmac_f32_e32 v164, v156, v116
	s_waitcnt vmcnt(1)
	s_delay_alu instid0(VALU_DEP_1) | instskip(SKIP_1) | instid1(VALU_DEP_1)
	v_fmac_f32_e32 v164, v157, v117
	s_waitcnt lgkmcnt(2)
	v_fmac_f32_e32 v164, v158, v118
	s_delay_alu instid0(VALU_DEP_1) | instskip(SKIP_1) | instid1(VALU_DEP_1)
	v_fmac_f32_e32 v164, v159, v119
	s_waitcnt lgkmcnt(1)
	v_fmac_f32_e32 v164, v160, v120
	s_waitcnt vmcnt(0)
	s_delay_alu instid0(VALU_DEP_1) | instskip(SKIP_1) | instid1(VALU_DEP_1)
	v_fmac_f32_e32 v164, v161, v121
	s_waitcnt lgkmcnt(0)
	v_fmac_f32_e32 v164, v162, v114
	s_delay_alu instid0(VALU_DEP_1) | instskip(NEXT) | instid1(VALU_DEP_1)
	v_fmac_f32_e32 v164, v163, v115
	v_sub_f32_e32 v2, v113, v164
	scratch_store_b32 off, v2, off offset:16
	v_cmpx_lt_u32_e32 3, v0
	s_cbranch_execz .LBB118_331
; %bb.330:
	scratch_load_b32 v2, off, off offset:12
	v_mov_b32_e32 v113, 0
	scratch_store_b32 off, v113, off offset:12
	s_waitcnt vmcnt(0)
	ds_store_b32 v1, v2
.LBB118_331:
	s_or_b32 exec_lo, exec_lo, s0
	s_waitcnt lgkmcnt(0)
	s_waitcnt_vscnt null, 0x0
	s_barrier
	buffer_gl0_inv
	s_clause 0xc
	scratch_load_b128 v[113:116], off, off offset:12
	scratch_load_b128 v[117:120], off, off offset:28
	;; [unrolled: 1-line block ×13, first 2 shown]
	v_mov_b32_e32 v2, 0
	ds_load_b128 v[165:168], v2 offset:240
	ds_load_b128 v[169:172], v2 offset:256
	s_mov_b32 s0, exec_lo
	s_waitcnt vmcnt(12) lgkmcnt(1)
	v_fma_f32 v165, v114, v165, 0
	s_delay_alu instid0(VALU_DEP_1) | instskip(NEXT) | instid1(VALU_DEP_1)
	v_fmac_f32_e32 v165, v115, v166
	v_fmac_f32_e32 v165, v116, v167
	s_waitcnt vmcnt(11)
	s_delay_alu instid0(VALU_DEP_1) | instskip(SKIP_3) | instid1(VALU_DEP_1)
	v_fmac_f32_e32 v165, v117, v168
	ds_load_b128 v[114:117], v2 offset:272
	s_waitcnt lgkmcnt(1)
	v_fmac_f32_e32 v165, v118, v169
	v_fmac_f32_e32 v165, v119, v170
	s_delay_alu instid0(VALU_DEP_1) | instskip(SKIP_1) | instid1(VALU_DEP_1)
	v_fmac_f32_e32 v165, v120, v171
	s_waitcnt vmcnt(10)
	v_fmac_f32_e32 v165, v121, v172
	ds_load_b128 v[118:121], v2 offset:288
	s_waitcnt lgkmcnt(1)
	v_fmac_f32_e32 v165, v122, v114
	s_delay_alu instid0(VALU_DEP_1) | instskip(NEXT) | instid1(VALU_DEP_1)
	v_fmac_f32_e32 v165, v123, v115
	v_fmac_f32_e32 v165, v124, v116
	s_waitcnt vmcnt(9)
	s_delay_alu instid0(VALU_DEP_1) | instskip(SKIP_3) | instid1(VALU_DEP_1)
	v_fmac_f32_e32 v165, v125, v117
	ds_load_b128 v[114:117], v2 offset:304
	s_waitcnt lgkmcnt(1)
	v_fmac_f32_e32 v165, v126, v118
	v_fmac_f32_e32 v165, v127, v119
	s_delay_alu instid0(VALU_DEP_1) | instskip(SKIP_1) | instid1(VALU_DEP_1)
	v_fmac_f32_e32 v165, v128, v120
	s_waitcnt vmcnt(8)
	v_fmac_f32_e32 v165, v129, v121
	ds_load_b128 v[118:121], v2 offset:320
	s_waitcnt lgkmcnt(1)
	v_fmac_f32_e32 v165, v130, v114
	;; [unrolled: 17-line block ×5, first 2 shown]
	s_delay_alu instid0(VALU_DEP_1) | instskip(NEXT) | instid1(VALU_DEP_1)
	v_fmac_f32_e32 v165, v155, v115
	v_fmac_f32_e32 v165, v156, v116
	ds_load_b96 v[114:116], v2 offset:432
	s_waitcnt vmcnt(1)
	v_fmac_f32_e32 v165, v157, v117
	s_waitcnt lgkmcnt(1)
	s_delay_alu instid0(VALU_DEP_1) | instskip(NEXT) | instid1(VALU_DEP_1)
	v_fmac_f32_e32 v165, v158, v118
	v_fmac_f32_e32 v165, v159, v119
	s_delay_alu instid0(VALU_DEP_1) | instskip(SKIP_1) | instid1(VALU_DEP_1)
	v_fmac_f32_e32 v165, v160, v120
	s_waitcnt vmcnt(0)
	v_fmac_f32_e32 v165, v161, v121
	s_waitcnt lgkmcnt(0)
	s_delay_alu instid0(VALU_DEP_1) | instskip(NEXT) | instid1(VALU_DEP_1)
	v_fmac_f32_e32 v165, v162, v114
	v_fmac_f32_e32 v165, v163, v115
	s_delay_alu instid0(VALU_DEP_1) | instskip(NEXT) | instid1(VALU_DEP_1)
	v_fmac_f32_e32 v165, v164, v116
	v_sub_f32_e32 v113, v113, v165
	scratch_store_b32 off, v113, off offset:12
	v_cmpx_lt_u32_e32 2, v0
	s_cbranch_execz .LBB118_333
; %bb.332:
	scratch_load_b32 v113, off, off offset:8
	scratch_store_b32 off, v2, off offset:8
	s_waitcnt vmcnt(0)
	ds_store_b32 v1, v113
.LBB118_333:
	s_or_b32 exec_lo, exec_lo, s0
	s_waitcnt lgkmcnt(0)
	s_waitcnt_vscnt null, 0x0
	s_barrier
	buffer_gl0_inv
	s_clause 0xd
	scratch_load_b128 v[113:116], off, off offset:8
	scratch_load_b128 v[117:120], off, off offset:24
	;; [unrolled: 1-line block ×13, first 2 shown]
	scratch_load_b32 v173, off, off offset:216
	ds_load_2addr_b32 v[165:166], v2 offset0:59 offset1:60
	ds_load_2addr_b32 v[167:168], v2 offset0:61 offset1:62
	;; [unrolled: 1-line block ×4, first 2 shown]
	s_mov_b32 s0, exec_lo
	s_waitcnt vmcnt(13) lgkmcnt(3)
	v_fma_f32 v165, v114, v165, 0
	s_delay_alu instid0(VALU_DEP_1) | instskip(SKIP_4) | instid1(VALU_DEP_1)
	v_fmac_f32_e32 v165, v115, v166
	ds_load_2addr_b32 v[114:115], v2 offset0:67 offset1:68
	s_waitcnt lgkmcnt(3)
	v_fmac_f32_e32 v165, v116, v167
	s_waitcnt vmcnt(12)
	v_fmac_f32_e32 v165, v117, v168
	ds_load_2addr_b32 v[116:117], v2 offset0:69 offset1:70
	s_waitcnt lgkmcnt(3)
	v_fmac_f32_e32 v165, v118, v169
	s_delay_alu instid0(VALU_DEP_1) | instskip(SKIP_1) | instid1(VALU_DEP_1)
	v_fmac_f32_e32 v165, v119, v170
	s_waitcnt lgkmcnt(2)
	v_fmac_f32_e32 v165, v120, v171
	s_waitcnt vmcnt(11)
	s_delay_alu instid0(VALU_DEP_1) | instskip(SKIP_4) | instid1(VALU_DEP_1)
	v_fmac_f32_e32 v165, v121, v172
	ds_load_2addr_b32 v[118:119], v2 offset0:71 offset1:72
	ds_load_2addr_b32 v[120:121], v2 offset0:73 offset1:74
	s_waitcnt lgkmcnt(3)
	v_fmac_f32_e32 v165, v122, v114
	v_fmac_f32_e32 v165, v123, v115
	ds_load_2addr_b32 v[114:115], v2 offset0:75 offset1:76
	s_waitcnt lgkmcnt(3)
	v_fmac_f32_e32 v165, v124, v116
	s_waitcnt vmcnt(10)
	s_delay_alu instid0(VALU_DEP_1) | instskip(SKIP_3) | instid1(VALU_DEP_1)
	v_fmac_f32_e32 v165, v125, v117
	ds_load_2addr_b32 v[116:117], v2 offset0:77 offset1:78
	s_waitcnt lgkmcnt(3)
	v_fmac_f32_e32 v165, v126, v118
	v_fmac_f32_e32 v165, v127, v119
	s_waitcnt lgkmcnt(2)
	s_delay_alu instid0(VALU_DEP_1) | instskip(SKIP_1) | instid1(VALU_DEP_1)
	v_fmac_f32_e32 v165, v128, v120
	s_waitcnt vmcnt(9)
	v_fmac_f32_e32 v165, v129, v121
	ds_load_2addr_b32 v[118:119], v2 offset0:79 offset1:80
	ds_load_2addr_b32 v[120:121], v2 offset0:81 offset1:82
	s_waitcnt lgkmcnt(3)
	v_fmac_f32_e32 v165, v130, v114
	s_delay_alu instid0(VALU_DEP_1) | instskip(SKIP_4) | instid1(VALU_DEP_1)
	v_fmac_f32_e32 v165, v131, v115
	ds_load_2addr_b32 v[114:115], v2 offset0:83 offset1:84
	s_waitcnt lgkmcnt(3)
	v_fmac_f32_e32 v165, v132, v116
	s_waitcnt vmcnt(8)
	v_fmac_f32_e32 v165, v133, v117
	ds_load_2addr_b32 v[116:117], v2 offset0:85 offset1:86
	s_waitcnt lgkmcnt(3)
	v_fmac_f32_e32 v165, v134, v118
	s_delay_alu instid0(VALU_DEP_1) | instskip(SKIP_1) | instid1(VALU_DEP_1)
	v_fmac_f32_e32 v165, v135, v119
	s_waitcnt lgkmcnt(2)
	v_fmac_f32_e32 v165, v136, v120
	s_waitcnt vmcnt(7)
	s_delay_alu instid0(VALU_DEP_1) | instskip(SKIP_4) | instid1(VALU_DEP_1)
	v_fmac_f32_e32 v165, v137, v121
	ds_load_2addr_b32 v[118:119], v2 offset0:87 offset1:88
	ds_load_2addr_b32 v[120:121], v2 offset0:89 offset1:90
	s_waitcnt lgkmcnt(3)
	v_fmac_f32_e32 v165, v138, v114
	v_fmac_f32_e32 v165, v139, v115
	ds_load_2addr_b32 v[114:115], v2 offset0:91 offset1:92
	s_waitcnt lgkmcnt(3)
	v_fmac_f32_e32 v165, v140, v116
	s_waitcnt vmcnt(6)
	s_delay_alu instid0(VALU_DEP_1) | instskip(SKIP_3) | instid1(VALU_DEP_1)
	v_fmac_f32_e32 v165, v141, v117
	ds_load_2addr_b32 v[116:117], v2 offset0:93 offset1:94
	s_waitcnt lgkmcnt(3)
	v_fmac_f32_e32 v165, v142, v118
	v_fmac_f32_e32 v165, v143, v119
	s_waitcnt lgkmcnt(2)
	s_delay_alu instid0(VALU_DEP_1) | instskip(SKIP_1) | instid1(VALU_DEP_1)
	v_fmac_f32_e32 v165, v144, v120
	s_waitcnt vmcnt(5)
	v_fmac_f32_e32 v165, v145, v121
	ds_load_2addr_b32 v[118:119], v2 offset0:95 offset1:96
	ds_load_2addr_b32 v[120:121], v2 offset0:97 offset1:98
	s_waitcnt lgkmcnt(3)
	v_fmac_f32_e32 v165, v146, v114
	s_delay_alu instid0(VALU_DEP_1) | instskip(SKIP_4) | instid1(VALU_DEP_1)
	v_fmac_f32_e32 v165, v147, v115
	ds_load_2addr_b32 v[114:115], v2 offset0:99 offset1:100
	s_waitcnt lgkmcnt(3)
	v_fmac_f32_e32 v165, v148, v116
	s_waitcnt vmcnt(4)
	v_fmac_f32_e32 v165, v149, v117
	ds_load_2addr_b32 v[116:117], v2 offset0:101 offset1:102
	s_waitcnt lgkmcnt(3)
	v_fmac_f32_e32 v165, v150, v118
	s_delay_alu instid0(VALU_DEP_1) | instskip(SKIP_1) | instid1(VALU_DEP_1)
	v_fmac_f32_e32 v165, v151, v119
	s_waitcnt lgkmcnt(2)
	v_fmac_f32_e32 v165, v152, v120
	s_waitcnt vmcnt(3)
	s_delay_alu instid0(VALU_DEP_1) | instskip(SKIP_4) | instid1(VALU_DEP_1)
	v_fmac_f32_e32 v165, v153, v121
	ds_load_2addr_b32 v[118:119], v2 offset0:103 offset1:104
	ds_load_2addr_b32 v[120:121], v2 offset0:105 offset1:106
	s_waitcnt lgkmcnt(3)
	v_fmac_f32_e32 v165, v154, v114
	v_fmac_f32_e32 v165, v155, v115
	ds_load_2addr_b32 v[114:115], v2 offset0:107 offset1:108
	s_waitcnt lgkmcnt(3)
	v_fmac_f32_e32 v165, v156, v116
	s_waitcnt vmcnt(2)
	s_delay_alu instid0(VALU_DEP_1) | instskip(SKIP_3) | instid1(VALU_DEP_1)
	v_fmac_f32_e32 v165, v157, v117
	ds_load_2addr_b32 v[116:117], v2 offset0:109 offset1:110
	s_waitcnt lgkmcnt(3)
	v_fmac_f32_e32 v165, v158, v118
	v_fmac_f32_e32 v165, v159, v119
	s_waitcnt lgkmcnt(2)
	s_delay_alu instid0(VALU_DEP_1) | instskip(SKIP_1) | instid1(VALU_DEP_1)
	v_fmac_f32_e32 v165, v160, v120
	s_waitcnt vmcnt(1)
	v_fmac_f32_e32 v165, v161, v121
	s_waitcnt lgkmcnt(1)
	s_delay_alu instid0(VALU_DEP_1) | instskip(NEXT) | instid1(VALU_DEP_1)
	v_fmac_f32_e32 v165, v162, v114
	v_fmac_f32_e32 v165, v163, v115
	s_waitcnt lgkmcnt(0)
	s_delay_alu instid0(VALU_DEP_1) | instskip(SKIP_1) | instid1(VALU_DEP_1)
	v_fmac_f32_e32 v165, v164, v116
	s_waitcnt vmcnt(0)
	v_fmac_f32_e32 v165, v173, v117
	s_delay_alu instid0(VALU_DEP_1)
	v_sub_f32_e32 v2, v113, v165
	scratch_store_b32 off, v2, off offset:8
	v_cmpx_lt_u32_e32 1, v0
	s_cbranch_execz .LBB118_335
; %bb.334:
	scratch_load_b32 v2, off, off offset:4
	v_mov_b32_e32 v113, 0
	scratch_store_b32 off, v113, off offset:4
	s_waitcnt vmcnt(0)
	ds_store_b32 v1, v2
.LBB118_335:
	s_or_b32 exec_lo, exec_lo, s0
	s_waitcnt lgkmcnt(0)
	s_waitcnt_vscnt null, 0x0
	s_barrier
	buffer_gl0_inv
	s_clause 0xd
	scratch_load_b128 v[114:117], off, off offset:4
	scratch_load_b128 v[118:121], off, off offset:20
	;; [unrolled: 1-line block ×13, first 2 shown]
	scratch_load_b64 v[174:175], off, off offset:212
	v_mov_b32_e32 v113, 0
	ds_load_2addr_b64 v[166:169], v113 offset0:29 offset1:30
	ds_load_2addr_b64 v[170:173], v113 offset0:31 offset1:32
	s_mov_b32 s0, exec_lo
	s_waitcnt vmcnt(13) lgkmcnt(1)
	v_fma_f32 v2, v115, v166, 0
	s_delay_alu instid0(VALU_DEP_1) | instskip(NEXT) | instid1(VALU_DEP_1)
	v_fmac_f32_e32 v2, v116, v167
	v_fmac_f32_e32 v2, v117, v168
	s_waitcnt vmcnt(12)
	s_delay_alu instid0(VALU_DEP_1) | instskip(SKIP_3) | instid1(VALU_DEP_1)
	v_fmac_f32_e32 v2, v118, v169
	ds_load_2addr_b64 v[115:118], v113 offset0:33 offset1:34
	s_waitcnt lgkmcnt(1)
	v_fmac_f32_e32 v2, v119, v170
	v_fmac_f32_e32 v2, v120, v171
	s_delay_alu instid0(VALU_DEP_1) | instskip(SKIP_1) | instid1(VALU_DEP_1)
	v_fmac_f32_e32 v2, v121, v172
	s_waitcnt vmcnt(11)
	v_fmac_f32_e32 v2, v122, v173
	ds_load_2addr_b64 v[119:122], v113 offset0:35 offset1:36
	s_waitcnt lgkmcnt(1)
	v_fmac_f32_e32 v2, v123, v115
	s_delay_alu instid0(VALU_DEP_1) | instskip(NEXT) | instid1(VALU_DEP_1)
	v_fmac_f32_e32 v2, v124, v116
	v_fmac_f32_e32 v2, v125, v117
	s_waitcnt vmcnt(10)
	s_delay_alu instid0(VALU_DEP_1) | instskip(SKIP_3) | instid1(VALU_DEP_1)
	v_fmac_f32_e32 v2, v126, v118
	ds_load_2addr_b64 v[115:118], v113 offset0:37 offset1:38
	s_waitcnt lgkmcnt(1)
	v_fmac_f32_e32 v2, v127, v119
	v_fmac_f32_e32 v2, v128, v120
	s_delay_alu instid0(VALU_DEP_1) | instskip(SKIP_1) | instid1(VALU_DEP_1)
	v_fmac_f32_e32 v2, v129, v121
	s_waitcnt vmcnt(9)
	v_fmac_f32_e32 v2, v130, v122
	ds_load_2addr_b64 v[119:122], v113 offset0:39 offset1:40
	s_waitcnt lgkmcnt(1)
	v_fmac_f32_e32 v2, v131, v115
	;; [unrolled: 17-line block ×5, first 2 shown]
	s_delay_alu instid0(VALU_DEP_1) | instskip(NEXT) | instid1(VALU_DEP_1)
	v_fmac_f32_e32 v2, v156, v116
	v_fmac_f32_e32 v2, v157, v117
	s_waitcnt vmcnt(2)
	s_delay_alu instid0(VALU_DEP_1)
	v_fmac_f32_e32 v2, v158, v118
	ds_load_2addr_b64 v[115:118], v113 offset0:53 offset1:54
	s_waitcnt lgkmcnt(1)
	v_fmac_f32_e32 v2, v159, v119
	ds_load_b32 v119, v113 offset:440
	v_fmac_f32_e32 v2, v160, v120
	s_delay_alu instid0(VALU_DEP_1) | instskip(SKIP_1) | instid1(VALU_DEP_1)
	v_fmac_f32_e32 v2, v161, v121
	s_waitcnt vmcnt(1)
	v_fmac_f32_e32 v2, v162, v122
	s_waitcnt lgkmcnt(1)
	s_delay_alu instid0(VALU_DEP_1) | instskip(NEXT) | instid1(VALU_DEP_1)
	v_fmac_f32_e32 v2, v163, v115
	v_fmac_f32_e32 v2, v164, v116
	s_delay_alu instid0(VALU_DEP_1) | instskip(SKIP_1) | instid1(VALU_DEP_1)
	v_fmac_f32_e32 v2, v165, v117
	s_waitcnt vmcnt(0)
	v_fmac_f32_e32 v2, v174, v118
	s_waitcnt lgkmcnt(0)
	s_delay_alu instid0(VALU_DEP_1) | instskip(NEXT) | instid1(VALU_DEP_1)
	v_fmac_f32_e32 v2, v175, v119
	v_sub_f32_e32 v2, v114, v2
	scratch_store_b32 off, v2, off offset:4
	v_cmpx_ne_u32_e32 0, v0
	s_cbranch_execz .LBB118_337
; %bb.336:
	scratch_load_b32 v0, off, off
	scratch_store_b32 off, v113, off
	s_waitcnt vmcnt(0)
	ds_store_b32 v1, v0
.LBB118_337:
	s_or_b32 exec_lo, exec_lo, s0
	s_waitcnt lgkmcnt(0)
	s_waitcnt_vscnt null, 0x0
	s_barrier
	buffer_gl0_inv
	s_clause 0xd
	scratch_load_b128 v[114:117], off, off
	scratch_load_b128 v[118:121], off, off offset:16
	scratch_load_b128 v[122:125], off, off offset:32
	;; [unrolled: 1-line block ×12, first 2 shown]
	scratch_load_b96 v[0:2], off, off offset:208
	ds_load_2addr_b32 v[166:167], v113 offset0:57 offset1:58
	ds_load_2addr_b32 v[168:169], v113 offset0:59 offset1:60
	;; [unrolled: 1-line block ×4, first 2 shown]
	s_and_b32 vcc_lo, exec_lo, s12
	s_waitcnt vmcnt(13) lgkmcnt(3)
	v_fma_f32 v166, v115, v166, 0
	s_delay_alu instid0(VALU_DEP_1) | instskip(SKIP_4) | instid1(VALU_DEP_1)
	v_fmac_f32_e32 v166, v116, v167
	ds_load_2addr_b32 v[115:116], v113 offset0:65 offset1:66
	s_waitcnt lgkmcnt(3)
	v_fmac_f32_e32 v166, v117, v168
	s_waitcnt vmcnt(12)
	v_fmac_f32_e32 v166, v118, v169
	ds_load_2addr_b32 v[117:118], v113 offset0:67 offset1:68
	s_waitcnt lgkmcnt(3)
	v_fmac_f32_e32 v166, v119, v170
	s_delay_alu instid0(VALU_DEP_1) | instskip(SKIP_1) | instid1(VALU_DEP_1)
	v_fmac_f32_e32 v166, v120, v171
	s_waitcnt lgkmcnt(2)
	v_fmac_f32_e32 v166, v121, v172
	s_waitcnt vmcnt(11)
	s_delay_alu instid0(VALU_DEP_1) | instskip(SKIP_4) | instid1(VALU_DEP_1)
	v_fmac_f32_e32 v166, v122, v173
	ds_load_2addr_b32 v[119:120], v113 offset0:69 offset1:70
	ds_load_2addr_b32 v[121:122], v113 offset0:71 offset1:72
	s_waitcnt lgkmcnt(3)
	v_fmac_f32_e32 v166, v123, v115
	v_fmac_f32_e32 v166, v124, v116
	ds_load_2addr_b32 v[115:116], v113 offset0:73 offset1:74
	s_waitcnt lgkmcnt(3)
	v_fmac_f32_e32 v166, v125, v117
	s_waitcnt vmcnt(10)
	s_delay_alu instid0(VALU_DEP_1) | instskip(SKIP_3) | instid1(VALU_DEP_1)
	v_fmac_f32_e32 v166, v126, v118
	ds_load_2addr_b32 v[117:118], v113 offset0:75 offset1:76
	s_waitcnt lgkmcnt(3)
	v_fmac_f32_e32 v166, v127, v119
	v_fmac_f32_e32 v166, v128, v120
	s_waitcnt lgkmcnt(2)
	s_delay_alu instid0(VALU_DEP_1) | instskip(SKIP_1) | instid1(VALU_DEP_1)
	v_fmac_f32_e32 v166, v129, v121
	s_waitcnt vmcnt(9)
	v_fmac_f32_e32 v166, v130, v122
	ds_load_2addr_b32 v[119:120], v113 offset0:77 offset1:78
	ds_load_2addr_b32 v[121:122], v113 offset0:79 offset1:80
	s_waitcnt lgkmcnt(3)
	v_fmac_f32_e32 v166, v131, v115
	s_delay_alu instid0(VALU_DEP_1) | instskip(SKIP_4) | instid1(VALU_DEP_1)
	v_fmac_f32_e32 v166, v132, v116
	ds_load_2addr_b32 v[115:116], v113 offset0:81 offset1:82
	s_waitcnt lgkmcnt(3)
	v_fmac_f32_e32 v166, v133, v117
	s_waitcnt vmcnt(8)
	v_fmac_f32_e32 v166, v134, v118
	ds_load_2addr_b32 v[117:118], v113 offset0:83 offset1:84
	s_waitcnt lgkmcnt(3)
	v_fmac_f32_e32 v166, v135, v119
	s_delay_alu instid0(VALU_DEP_1) | instskip(SKIP_1) | instid1(VALU_DEP_1)
	v_fmac_f32_e32 v166, v136, v120
	s_waitcnt lgkmcnt(2)
	v_fmac_f32_e32 v166, v137, v121
	s_waitcnt vmcnt(7)
	s_delay_alu instid0(VALU_DEP_1) | instskip(SKIP_4) | instid1(VALU_DEP_1)
	v_fmac_f32_e32 v166, v138, v122
	ds_load_2addr_b32 v[119:120], v113 offset0:85 offset1:86
	ds_load_2addr_b32 v[121:122], v113 offset0:87 offset1:88
	s_waitcnt lgkmcnt(3)
	v_fmac_f32_e32 v166, v139, v115
	v_fmac_f32_e32 v166, v140, v116
	ds_load_2addr_b32 v[115:116], v113 offset0:89 offset1:90
	s_waitcnt lgkmcnt(3)
	v_fmac_f32_e32 v166, v141, v117
	s_waitcnt vmcnt(6)
	s_delay_alu instid0(VALU_DEP_1) | instskip(SKIP_3) | instid1(VALU_DEP_1)
	v_fmac_f32_e32 v166, v142, v118
	ds_load_2addr_b32 v[117:118], v113 offset0:91 offset1:92
	s_waitcnt lgkmcnt(3)
	v_fmac_f32_e32 v166, v143, v119
	v_fmac_f32_e32 v166, v144, v120
	s_waitcnt lgkmcnt(2)
	s_delay_alu instid0(VALU_DEP_1) | instskip(SKIP_1) | instid1(VALU_DEP_1)
	v_fmac_f32_e32 v166, v145, v121
	s_waitcnt vmcnt(5)
	v_fmac_f32_e32 v166, v146, v122
	ds_load_2addr_b32 v[119:120], v113 offset0:93 offset1:94
	ds_load_2addr_b32 v[121:122], v113 offset0:95 offset1:96
	s_waitcnt lgkmcnt(3)
	v_fmac_f32_e32 v166, v147, v115
	s_delay_alu instid0(VALU_DEP_1) | instskip(SKIP_4) | instid1(VALU_DEP_1)
	v_fmac_f32_e32 v166, v148, v116
	ds_load_2addr_b32 v[115:116], v113 offset0:97 offset1:98
	s_waitcnt lgkmcnt(3)
	v_fmac_f32_e32 v166, v149, v117
	s_waitcnt vmcnt(4)
	v_fmac_f32_e32 v166, v150, v118
	ds_load_2addr_b32 v[117:118], v113 offset0:99 offset1:100
	s_waitcnt lgkmcnt(3)
	v_fmac_f32_e32 v166, v151, v119
	s_delay_alu instid0(VALU_DEP_1) | instskip(SKIP_1) | instid1(VALU_DEP_1)
	v_fmac_f32_e32 v166, v152, v120
	s_waitcnt lgkmcnt(2)
	v_fmac_f32_e32 v166, v153, v121
	s_waitcnt vmcnt(3)
	s_delay_alu instid0(VALU_DEP_1) | instskip(SKIP_4) | instid1(VALU_DEP_1)
	v_fmac_f32_e32 v166, v154, v122
	ds_load_2addr_b32 v[119:120], v113 offset0:101 offset1:102
	ds_load_2addr_b32 v[121:122], v113 offset0:103 offset1:104
	s_waitcnt lgkmcnt(3)
	v_fmac_f32_e32 v166, v155, v115
	v_fmac_f32_e32 v166, v156, v116
	ds_load_2addr_b32 v[115:116], v113 offset0:105 offset1:106
	s_waitcnt lgkmcnt(3)
	v_fmac_f32_e32 v166, v157, v117
	s_waitcnt vmcnt(2)
	s_delay_alu instid0(VALU_DEP_1) | instskip(SKIP_3) | instid1(VALU_DEP_1)
	v_fmac_f32_e32 v166, v158, v118
	ds_load_2addr_b32 v[117:118], v113 offset0:107 offset1:108
	s_waitcnt lgkmcnt(3)
	v_fmac_f32_e32 v166, v159, v119
	v_fmac_f32_e32 v166, v160, v120
	ds_load_2addr_b32 v[119:120], v113 offset0:109 offset1:110
	s_waitcnt lgkmcnt(3)
	v_fmac_f32_e32 v166, v161, v121
	s_waitcnt vmcnt(1)
	s_delay_alu instid0(VALU_DEP_1) | instskip(SKIP_1) | instid1(VALU_DEP_1)
	v_fmac_f32_e32 v166, v162, v122
	s_waitcnt lgkmcnt(2)
	v_fmac_f32_e32 v166, v163, v115
	s_delay_alu instid0(VALU_DEP_1) | instskip(SKIP_1) | instid1(VALU_DEP_1)
	v_fmac_f32_e32 v166, v164, v116
	s_waitcnt lgkmcnt(1)
	v_fmac_f32_e32 v166, v165, v117
	s_waitcnt vmcnt(0)
	s_delay_alu instid0(VALU_DEP_1) | instskip(SKIP_1) | instid1(VALU_DEP_1)
	v_fmac_f32_e32 v166, v0, v118
	s_waitcnt lgkmcnt(0)
	v_fmac_f32_e32 v166, v1, v119
	s_delay_alu instid0(VALU_DEP_1) | instskip(NEXT) | instid1(VALU_DEP_1)
	v_fmac_f32_e32 v166, v2, v120
	v_sub_f32_e32 v0, v114, v166
	scratch_store_b32 off, v0, off
	s_cbranch_vccz .LBB118_447
; %bb.338:
	v_dual_mov_b32 v114, s3 :: v_dual_mov_b32 v113, s2
	s_mov_b32 s0, exec_lo
	flat_load_b32 v0, v[113:114] offset:212
	s_waitcnt vmcnt(0) lgkmcnt(0)
	v_cmpx_ne_u32_e32 54, v0
	s_cbranch_execz .LBB118_340
; %bb.339:
	v_lshl_add_u32 v0, v0, 2, 0
	scratch_load_b32 v2, v0, off offset:-4
	s_waitcnt vmcnt(0)
	scratch_store_b32 off, v2, off offset:212
	scratch_store_b32 v0, v1, off offset:-4
.LBB118_340:
	s_or_b32 exec_lo, exec_lo, s0
	v_dual_mov_b32 v0, s2 :: v_dual_mov_b32 v1, s3
	s_mov_b32 s0, exec_lo
	flat_load_b32 v0, v[0:1] offset:208
	s_waitcnt vmcnt(0) lgkmcnt(0)
	v_cmpx_ne_u32_e32 53, v0
	s_cbranch_execz .LBB118_342
; %bb.341:
	v_lshl_add_u32 v0, v0, 2, 0
	scratch_load_b32 v1, v0, off offset:-4
	scratch_load_b32 v2, off, off offset:208
	s_waitcnt vmcnt(1)
	scratch_store_b32 off, v1, off offset:208
	s_waitcnt vmcnt(0)
	scratch_store_b32 v0, v2, off offset:-4
.LBB118_342:
	s_or_b32 exec_lo, exec_lo, s0
	v_dual_mov_b32 v0, s2 :: v_dual_mov_b32 v1, s3
	s_mov_b32 s0, exec_lo
	flat_load_b32 v0, v[0:1] offset:204
	s_waitcnt vmcnt(0) lgkmcnt(0)
	v_cmpx_ne_u32_e32 52, v0
	s_cbranch_execz .LBB118_344
; %bb.343:
	v_lshl_add_u32 v0, v0, 2, 0
	scratch_load_b32 v1, v0, off offset:-4
	scratch_load_b32 v2, off, off offset:204
	s_waitcnt vmcnt(1)
	scratch_store_b32 off, v1, off offset:204
	s_waitcnt vmcnt(0)
	scratch_store_b32 v0, v2, off offset:-4
.LBB118_344:
	;; [unrolled: 16-line block ×52, first 2 shown]
	s_or_b32 exec_lo, exec_lo, s0
	v_dual_mov_b32 v0, s2 :: v_dual_mov_b32 v1, s3
	s_mov_b32 s0, exec_lo
	flat_load_b32 v1, v[0:1]
	scratch_load_b32 v0, off, off
	s_waitcnt vmcnt(1) lgkmcnt(0)
	v_cmpx_ne_u32_e32 1, v1
	s_cbranch_execz .LBB118_446
; %bb.445:
	v_lshl_add_u32 v1, v1, 2, 0
	scratch_load_b32 v2, v1, off offset:-4
	s_waitcnt vmcnt(0)
	scratch_store_b32 off, v2, off
	scratch_store_b32 v1, v0, off offset:-4
	scratch_load_b32 v0, off, off
.LBB118_446:
	s_or_b32 exec_lo, exec_lo, s0
.LBB118_447:
	s_clause 0xd
	scratch_load_b128 v[113:116], off, off offset:4
	scratch_load_b128 v[117:120], off, off offset:20
	scratch_load_b128 v[121:124], off, off offset:36
	scratch_load_b128 v[125:128], off, off offset:52
	scratch_load_b128 v[129:132], off, off offset:68
	scratch_load_b128 v[133:136], off, off offset:84
	scratch_load_b128 v[137:140], off, off offset:100
	scratch_load_b128 v[141:144], off, off offset:116
	scratch_load_b128 v[145:148], off, off offset:132
	scratch_load_b128 v[149:152], off, off offset:148
	scratch_load_b128 v[153:156], off, off offset:164
	scratch_load_b128 v[157:160], off, off offset:180
	scratch_load_b128 v[161:164], off, off offset:196
	scratch_load_b64 v[1:2], off, off offset:212
	s_waitcnt vmcnt(14)
	global_store_b32 v[3:4], v0, off
	s_waitcnt vmcnt(13)
	s_clause 0x3
	global_store_b32 v[5:6], v113, off
	global_store_b32 v[7:8], v114, off
	global_store_b32 v[9:10], v115, off
	global_store_b32 v[11:12], v116, off
	s_waitcnt vmcnt(12)
	s_clause 0x3
	global_store_b32 v[13:14], v117, off
	global_store_b32 v[15:16], v118, off
	global_store_b32 v[17:18], v119, off
	;; [unrolled: 6-line block ×13, first 2 shown]
	global_store_b32 v[109:110], v164, off
	s_waitcnt vmcnt(0)
	s_clause 0x1
	global_store_b32 v[111:112], v1, off
	global_store_b32 v[65:66], v2, off
	s_endpgm
	.section	.rodata,"a",@progbits
	.p2align	6, 0x0
	.amdhsa_kernel _ZN9rocsolver6v33100L18getri_kernel_smallILi55EfPKPfEEvT1_iilPiilS6_bb
		.amdhsa_group_segment_fixed_size 444
		.amdhsa_private_segment_fixed_size 224
		.amdhsa_kernarg_size 60
		.amdhsa_user_sgpr_count 15
		.amdhsa_user_sgpr_dispatch_ptr 0
		.amdhsa_user_sgpr_queue_ptr 0
		.amdhsa_user_sgpr_kernarg_segment_ptr 1
		.amdhsa_user_sgpr_dispatch_id 0
		.amdhsa_user_sgpr_private_segment_size 0
		.amdhsa_wavefront_size32 1
		.amdhsa_uses_dynamic_stack 0
		.amdhsa_enable_private_segment 1
		.amdhsa_system_sgpr_workgroup_id_x 1
		.amdhsa_system_sgpr_workgroup_id_y 0
		.amdhsa_system_sgpr_workgroup_id_z 0
		.amdhsa_system_sgpr_workgroup_info 0
		.amdhsa_system_vgpr_workitem_id 0
		.amdhsa_next_free_vgpr 176
		.amdhsa_next_free_sgpr 17
		.amdhsa_reserve_vcc 1
		.amdhsa_float_round_mode_32 0
		.amdhsa_float_round_mode_16_64 0
		.amdhsa_float_denorm_mode_32 3
		.amdhsa_float_denorm_mode_16_64 3
		.amdhsa_dx10_clamp 1
		.amdhsa_ieee_mode 1
		.amdhsa_fp16_overflow 0
		.amdhsa_workgroup_processor_mode 1
		.amdhsa_memory_ordered 1
		.amdhsa_forward_progress 0
		.amdhsa_shared_vgpr_count 0
		.amdhsa_exception_fp_ieee_invalid_op 0
		.amdhsa_exception_fp_denorm_src 0
		.amdhsa_exception_fp_ieee_div_zero 0
		.amdhsa_exception_fp_ieee_overflow 0
		.amdhsa_exception_fp_ieee_underflow 0
		.amdhsa_exception_fp_ieee_inexact 0
		.amdhsa_exception_int_div_zero 0
	.end_amdhsa_kernel
	.section	.text._ZN9rocsolver6v33100L18getri_kernel_smallILi55EfPKPfEEvT1_iilPiilS6_bb,"axG",@progbits,_ZN9rocsolver6v33100L18getri_kernel_smallILi55EfPKPfEEvT1_iilPiilS6_bb,comdat
.Lfunc_end118:
	.size	_ZN9rocsolver6v33100L18getri_kernel_smallILi55EfPKPfEEvT1_iilPiilS6_bb, .Lfunc_end118-_ZN9rocsolver6v33100L18getri_kernel_smallILi55EfPKPfEEvT1_iilPiilS6_bb
                                        ; -- End function
	.section	.AMDGPU.csdata,"",@progbits
; Kernel info:
; codeLenInByte = 42340
; NumSgprs: 19
; NumVgprs: 176
; ScratchSize: 224
; MemoryBound: 0
; FloatMode: 240
; IeeeMode: 1
; LDSByteSize: 444 bytes/workgroup (compile time only)
; SGPRBlocks: 2
; VGPRBlocks: 21
; NumSGPRsForWavesPerEU: 19
; NumVGPRsForWavesPerEU: 176
; Occupancy: 8
; WaveLimiterHint : 1
; COMPUTE_PGM_RSRC2:SCRATCH_EN: 1
; COMPUTE_PGM_RSRC2:USER_SGPR: 15
; COMPUTE_PGM_RSRC2:TRAP_HANDLER: 0
; COMPUTE_PGM_RSRC2:TGID_X_EN: 1
; COMPUTE_PGM_RSRC2:TGID_Y_EN: 0
; COMPUTE_PGM_RSRC2:TGID_Z_EN: 0
; COMPUTE_PGM_RSRC2:TIDIG_COMP_CNT: 0
	.section	.text._ZN9rocsolver6v33100L18getri_kernel_smallILi56EfPKPfEEvT1_iilPiilS6_bb,"axG",@progbits,_ZN9rocsolver6v33100L18getri_kernel_smallILi56EfPKPfEEvT1_iilPiilS6_bb,comdat
	.globl	_ZN9rocsolver6v33100L18getri_kernel_smallILi56EfPKPfEEvT1_iilPiilS6_bb ; -- Begin function _ZN9rocsolver6v33100L18getri_kernel_smallILi56EfPKPfEEvT1_iilPiilS6_bb
	.p2align	8
	.type	_ZN9rocsolver6v33100L18getri_kernel_smallILi56EfPKPfEEvT1_iilPiilS6_bb,@function
_ZN9rocsolver6v33100L18getri_kernel_smallILi56EfPKPfEEvT1_iilPiilS6_bb: ; @_ZN9rocsolver6v33100L18getri_kernel_smallILi56EfPKPfEEvT1_iilPiilS6_bb
; %bb.0:
	s_mov_b32 s2, exec_lo
	v_cmpx_gt_u32_e32 56, v0
	s_cbranch_execz .LBB119_232
; %bb.1:
	s_clause 0x1
	s_load_b32 s13, s[0:1], 0x38
	s_load_b64 s[2:3], s[0:1], 0x0
	s_mov_b32 s8, s15
	s_load_b128 s[4:7], s[0:1], 0x28
	s_waitcnt lgkmcnt(0)
	s_bitcmp1_b32 s13, 8
	s_cselect_b32 s12, -1, 0
	s_ashr_i32 s9, s15, 31
	s_delay_alu instid0(SALU_CYCLE_1) | instskip(NEXT) | instid1(SALU_CYCLE_1)
	s_lshl_b64 s[10:11], s[8:9], 3
	s_add_u32 s2, s2, s10
	s_addc_u32 s3, s3, s11
	s_load_b64 s[10:11], s[2:3], 0x0
	s_bfe_u32 s2, s13, 0x10008
	s_delay_alu instid0(SALU_CYCLE_1)
	s_cmp_eq_u32 s2, 0
                                        ; implicit-def: $sgpr2_sgpr3
	s_cbranch_scc1 .LBB119_3
; %bb.2:
	s_clause 0x1
	s_load_b32 s2, s[0:1], 0x20
	s_load_b64 s[14:15], s[0:1], 0x18
	s_mul_i32 s3, s8, s5
	s_mul_hi_u32 s5, s8, s4
	s_mul_i32 s16, s9, s4
	s_add_i32 s3, s5, s3
	s_mul_i32 s4, s8, s4
	s_add_i32 s5, s3, s16
	s_delay_alu instid0(SALU_CYCLE_1)
	s_lshl_b64 s[4:5], s[4:5], 2
	s_waitcnt lgkmcnt(0)
	s_ashr_i32 s3, s2, 31
	s_add_u32 s4, s14, s4
	s_addc_u32 s5, s15, s5
	s_lshl_b64 s[2:3], s[2:3], 2
	s_delay_alu instid0(SALU_CYCLE_1)
	s_add_u32 s2, s4, s2
	s_addc_u32 s3, s5, s3
.LBB119_3:
	s_load_b64 s[0:1], s[0:1], 0x8
	v_lshlrev_b32_e32 v3, 2, v0
	s_waitcnt lgkmcnt(0)
	v_add3_u32 v1, s1, s1, v0
	s_ashr_i32 s5, s0, 31
	s_mov_b32 s4, s0
	s_mov_b32 s14, s1
	s_lshl_b64 s[4:5], s[4:5], 2
	v_add_nc_u32_e32 v8, s1, v1
	v_ashrrev_i32_e32 v2, 31, v1
	s_add_u32 s4, s10, s4
	s_addc_u32 s5, s11, s5
	v_add_co_u32 v4, s0, s4, v3
	v_add_nc_u32_e32 v10, s1, v8
	s_ashr_i32 s15, s1, 31
	v_add_co_ci_u32_e64 v5, null, s5, 0, s0
	v_ashrrev_i32_e32 v9, 31, v8
	s_delay_alu instid0(VALU_DEP_3)
	v_add_nc_u32_e32 v12, s1, v10
	v_lshlrev_b64 v[1:2], 2, v[1:2]
	s_lshl_b64 s[10:11], s[14:15], 2
	v_ashrrev_i32_e32 v11, 31, v10
	v_add_co_u32 v6, vcc_lo, v4, s10
	v_add_nc_u32_e32 v14, s1, v12
	v_add_co_ci_u32_e32 v7, vcc_lo, s11, v5, vcc_lo
	v_lshlrev_b64 v[47:48], 2, v[8:9]
	v_add_co_u32 v8, vcc_lo, s4, v1
	s_delay_alu instid0(VALU_DEP_4) | instskip(SKIP_3) | instid1(VALU_DEP_4)
	v_add_nc_u32_e32 v16, s1, v14
	v_add_co_ci_u32_e32 v9, vcc_lo, s5, v2, vcc_lo
	v_lshlrev_b64 v[1:2], 2, v[10:11]
	v_ashrrev_i32_e32 v13, 31, v12
	v_add_nc_u32_e32 v18, s1, v16
	v_add_co_u32 v10, vcc_lo, s4, v47
	v_ashrrev_i32_e32 v15, 31, v14
	v_add_co_ci_u32_e32 v11, vcc_lo, s5, v48, vcc_lo
	s_delay_alu instid0(VALU_DEP_4) | instskip(SKIP_3) | instid1(VALU_DEP_4)
	v_add_nc_u32_e32 v20, s1, v18
	v_lshlrev_b64 v[47:48], 2, v[12:13]
	v_add_co_u32 v12, vcc_lo, s4, v1
	v_add_co_ci_u32_e32 v13, vcc_lo, s5, v2, vcc_lo
	v_add_nc_u32_e32 v22, s1, v20
	v_lshlrev_b64 v[1:2], 2, v[14:15]
	v_ashrrev_i32_e32 v17, 31, v16
	v_add_co_u32 v14, vcc_lo, s4, v47
	s_delay_alu instid0(VALU_DEP_4) | instskip(SKIP_3) | instid1(VALU_DEP_4)
	v_add_nc_u32_e32 v24, s1, v22
	v_ashrrev_i32_e32 v19, 31, v18
	v_add_co_ci_u32_e32 v15, vcc_lo, s5, v48, vcc_lo
	v_lshlrev_b64 v[47:48], 2, v[16:17]
	v_add_nc_u32_e32 v26, s1, v24
	v_add_co_u32 v16, vcc_lo, s4, v1
	v_add_co_ci_u32_e32 v17, vcc_lo, s5, v2, vcc_lo
	s_delay_alu instid0(VALU_DEP_3) | instskip(SKIP_3) | instid1(VALU_DEP_4)
	v_add_nc_u32_e32 v28, s1, v26
	v_lshlrev_b64 v[1:2], 2, v[18:19]
	v_ashrrev_i32_e32 v21, 31, v20
	v_add_co_u32 v18, vcc_lo, s4, v47
	v_add_nc_u32_e32 v30, s1, v28
	v_ashrrev_i32_e32 v23, 31, v22
	v_add_co_ci_u32_e32 v19, vcc_lo, s5, v48, vcc_lo
	v_lshlrev_b64 v[47:48], 2, v[20:21]
	s_delay_alu instid0(VALU_DEP_4) | instskip(SKIP_2) | instid1(VALU_DEP_3)
	v_add_nc_u32_e32 v32, s1, v30
	v_add_co_u32 v20, vcc_lo, s4, v1
	v_add_co_ci_u32_e32 v21, vcc_lo, s5, v2, vcc_lo
	v_add_nc_u32_e32 v34, s1, v32
	v_lshlrev_b64 v[1:2], 2, v[22:23]
	v_ashrrev_i32_e32 v25, 31, v24
	v_add_co_u32 v22, vcc_lo, s4, v47
	s_delay_alu instid0(VALU_DEP_4) | instskip(SKIP_3) | instid1(VALU_DEP_4)
	v_add_nc_u32_e32 v36, s1, v34
	v_ashrrev_i32_e32 v27, 31, v26
	v_add_co_ci_u32_e32 v23, vcc_lo, s5, v48, vcc_lo
	v_lshlrev_b64 v[47:48], 2, v[24:25]
	v_add_nc_u32_e32 v38, s1, v36
	v_add_co_u32 v24, vcc_lo, s4, v1
	v_add_co_ci_u32_e32 v25, vcc_lo, s5, v2, vcc_lo
	s_delay_alu instid0(VALU_DEP_3) | instskip(SKIP_3) | instid1(VALU_DEP_4)
	v_add_nc_u32_e32 v40, s1, v38
	v_lshlrev_b64 v[1:2], 2, v[26:27]
	v_ashrrev_i32_e32 v29, 31, v28
	v_add_co_u32 v26, vcc_lo, s4, v47
	v_add_nc_u32_e32 v42, s1, v40
	v_ashrrev_i32_e32 v31, 31, v30
	v_add_co_ci_u32_e32 v27, vcc_lo, s5, v48, vcc_lo
	v_lshlrev_b64 v[47:48], 2, v[28:29]
	s_delay_alu instid0(VALU_DEP_4) | instskip(SKIP_2) | instid1(VALU_DEP_3)
	v_add_nc_u32_e32 v44, s1, v42
	;; [unrolled: 25-line block ×5, first 2 shown]
	v_add_co_u32 v52, vcc_lo, s4, v1
	v_add_co_ci_u32_e32 v53, vcc_lo, s5, v2, vcc_lo
	v_add_nc_u32_e32 v84, s1, v82
	v_lshlrev_b64 v[1:2], 2, v[55:56]
	v_ashrrev_i32_e32 v58, 31, v57
	v_add_co_u32 v54, vcc_lo, s4, v68
	s_delay_alu instid0(VALU_DEP_4) | instskip(SKIP_3) | instid1(VALU_DEP_4)
	v_add_nc_u32_e32 v88, s1, v84
	v_ashrrev_i32_e32 v60, 31, v59
	v_add_co_ci_u32_e32 v55, vcc_lo, s5, v69, vcc_lo
	v_lshlrev_b64 v[68:69], 2, v[57:58]
	v_add_nc_u32_e32 v90, s1, v88
	v_add_co_u32 v56, vcc_lo, s4, v1
	v_add_co_ci_u32_e32 v57, vcc_lo, s5, v2, vcc_lo
	s_delay_alu instid0(VALU_DEP_3) | instskip(SKIP_3) | instid1(VALU_DEP_4)
	v_add_nc_u32_e32 v92, s1, v90
	v_lshlrev_b64 v[1:2], 2, v[59:60]
	v_ashrrev_i32_e32 v62, 31, v61
	v_add_co_u32 v58, vcc_lo, s4, v68
	v_add_nc_u32_e32 v94, s1, v92
	v_ashrrev_i32_e32 v64, 31, v63
	v_add_co_ci_u32_e32 v59, vcc_lo, s5, v69, vcc_lo
	v_lshlrev_b64 v[68:69], 2, v[61:62]
	s_delay_alu instid0(VALU_DEP_4) | instskip(SKIP_3) | instid1(VALU_DEP_4)
	v_add_nc_u32_e32 v96, s1, v94
	v_add_co_u32 v60, vcc_lo, s4, v1
	v_ashrrev_i32_e32 v66, 31, v65
	v_add_co_ci_u32_e32 v61, vcc_lo, s5, v2, vcc_lo
	v_add_nc_u32_e32 v98, s1, v96
	v_lshlrev_b64 v[1:2], 2, v[63:64]
	v_add_co_u32 v62, vcc_lo, s4, v68
	v_lshlrev_b64 v[85:86], 2, v[65:66]
	s_delay_alu instid0(VALU_DEP_4) | instskip(SKIP_3) | instid1(VALU_DEP_4)
	v_add_nc_u32_e32 v100, s1, v98
	v_ashrrev_i32_e32 v68, 31, v67
	v_add_co_ci_u32_e32 v63, vcc_lo, s5, v69, vcc_lo
	v_add_co_u32 v64, vcc_lo, s4, v1
	v_add_nc_u32_e32 v102, s1, v100
	v_add_co_ci_u32_e32 v65, vcc_lo, s5, v2, vcc_lo
	v_lshlrev_b64 v[1:2], 2, v[67:68]
	v_ashrrev_i32_e32 v71, 31, v70
	s_delay_alu instid0(VALU_DEP_4) | instskip(SKIP_3) | instid1(VALU_DEP_4)
	v_add_nc_u32_e32 v104, s1, v102
	v_add_co_u32 v68, vcc_lo, s4, v85
	v_ashrrev_i32_e32 v73, 31, v72
	v_add_co_ci_u32_e32 v69, vcc_lo, s5, v86, vcc_lo
	v_add_nc_u32_e32 v106, s1, v104
	v_lshlrev_b64 v[85:86], 2, v[70:71]
	v_add_co_u32 v70, vcc_lo, s4, v1
	v_add_co_ci_u32_e32 v71, vcc_lo, s5, v2, vcc_lo
	s_delay_alu instid0(VALU_DEP_4)
	v_add_nc_u32_e32 v108, s1, v106
	v_lshlrev_b64 v[1:2], 2, v[72:73]
	v_ashrrev_i32_e32 v75, 31, v74
	v_ashrrev_i32_e32 v77, 31, v76
	;; [unrolled: 1-line block ×3, first 2 shown]
	v_add_nc_u32_e32 v110, s1, v108
	v_ashrrev_i32_e32 v81, 31, v80
	v_ashrrev_i32_e32 v83, 31, v82
	;; [unrolled: 1-line block ×4, first 2 shown]
	v_add_nc_u32_e32 v112, s1, v110
	v_ashrrev_i32_e32 v93, 31, v92
	v_ashrrev_i32_e32 v95, 31, v94
	;; [unrolled: 1-line block ×3, first 2 shown]
	v_lshlrev_b64 v[90:91], 2, v[90:91]
	v_add_nc_u32_e32 v114, s1, v112
	v_ashrrev_i32_e32 v99, 31, v98
	v_lshlrev_b64 v[94:95], 2, v[94:95]
	v_ashrrev_i32_e32 v101, 31, v100
	v_ashrrev_i32_e32 v103, 31, v102
	v_add_nc_u32_e32 v66, s1, v114
	v_lshlrev_b64 v[98:99], 2, v[98:99]
	v_ashrrev_i32_e32 v105, 31, v104
	v_ashrrev_i32_e32 v107, 31, v106
	v_lshlrev_b64 v[102:103], 2, v[102:103]
	v_ashrrev_i32_e32 v67, 31, v66
	v_ashrrev_i32_e32 v109, 31, v108
	;; [unrolled: 1-line block ×3, first 2 shown]
	v_lshlrev_b64 v[106:107], 2, v[106:107]
	v_ashrrev_i32_e32 v113, 31, v112
	v_lshlrev_b64 v[66:67], 2, v[66:67]
	v_ashrrev_i32_e32 v115, 31, v114
	v_lshlrev_b64 v[110:111], 2, v[110:111]
	s_clause 0x10
	global_load_b32 v116, v3, s[4:5]
	global_load_b32 v117, v[6:7], off
	global_load_b32 v118, v[8:9], off
	;; [unrolled: 1-line block ×16, first 2 shown]
	v_add_co_u32 v66, vcc_lo, s4, v66
	v_add_co_ci_u32_e32 v67, vcc_lo, s5, v67, vcc_lo
	v_add_co_u32 v72, vcc_lo, s4, v85
	v_add_co_ci_u32_e32 v73, vcc_lo, s5, v86, vcc_lo
	v_lshlrev_b64 v[85:86], 2, v[74:75]
	v_add_co_u32 v74, vcc_lo, s4, v1
	v_add_co_ci_u32_e32 v75, vcc_lo, s5, v2, vcc_lo
	v_lshlrev_b64 v[1:2], 2, v[76:77]
	s_delay_alu instid0(VALU_DEP_4) | instskip(SKIP_2) | instid1(VALU_DEP_4)
	v_add_co_u32 v76, vcc_lo, s4, v85
	v_add_co_ci_u32_e32 v77, vcc_lo, s5, v86, vcc_lo
	v_lshlrev_b64 v[85:86], 2, v[78:79]
	v_add_co_u32 v78, vcc_lo, s4, v1
	v_add_co_ci_u32_e32 v79, vcc_lo, s5, v2, vcc_lo
	v_lshlrev_b64 v[1:2], 2, v[80:81]
	s_delay_alu instid0(VALU_DEP_4)
	v_add_co_u32 v80, vcc_lo, s4, v85
	v_ashrrev_i32_e32 v85, 31, v84
	v_add_co_ci_u32_e32 v81, vcc_lo, s5, v86, vcc_lo
	v_lshlrev_b64 v[86:87], 2, v[82:83]
	v_add_co_u32 v82, vcc_lo, s4, v1
	v_add_co_ci_u32_e32 v83, vcc_lo, s5, v2, vcc_lo
	v_lshlrev_b64 v[1:2], 2, v[84:85]
	s_delay_alu instid0(VALU_DEP_4) | instskip(SKIP_2) | instid1(VALU_DEP_4)
	v_add_co_u32 v84, vcc_lo, s4, v86
	v_add_co_ci_u32_e32 v85, vcc_lo, s5, v87, vcc_lo
	v_lshlrev_b64 v[114:115], 2, v[114:115]
	v_add_co_u32 v86, vcc_lo, s4, v1
	v_add_co_ci_u32_e32 v87, vcc_lo, s5, v2, vcc_lo
	v_lshlrev_b64 v[1:2], 2, v[88:89]
	s_clause 0x17
	global_load_b32 v133, v[38:39], off
	global_load_b32 v134, v[40:41], off
	;; [unrolled: 1-line block ×24, first 2 shown]
	s_bitcmp0_b32 s13, 0
	s_mov_b32 s1, -1
	v_add_co_u32 v88, vcc_lo, s4, v1
	v_add_co_ci_u32_e32 v89, vcc_lo, s5, v2, vcc_lo
	v_lshlrev_b64 v[1:2], 2, v[92:93]
	v_add_co_u32 v90, vcc_lo, s4, v90
	v_add_co_ci_u32_e32 v91, vcc_lo, s5, v91, vcc_lo
	s_delay_alu instid0(VALU_DEP_3) | instskip(NEXT) | instid1(VALU_DEP_4)
	v_add_co_u32 v92, vcc_lo, s4, v1
	v_add_co_ci_u32_e32 v93, vcc_lo, s5, v2, vcc_lo
	v_lshlrev_b64 v[1:2], 2, v[96:97]
	v_add_co_u32 v94, vcc_lo, s4, v94
	v_add_co_ci_u32_e32 v95, vcc_lo, s5, v95, vcc_lo
	s_delay_alu instid0(VALU_DEP_3) | instskip(NEXT) | instid1(VALU_DEP_4)
	;; [unrolled: 6-line block ×3, first 2 shown]
	v_add_co_u32 v100, vcc_lo, s4, v1
	v_add_co_ci_u32_e32 v101, vcc_lo, s5, v2, vcc_lo
	v_lshlrev_b64 v[1:2], 2, v[104:105]
	v_add_co_u32 v102, vcc_lo, s4, v102
	v_add_co_ci_u32_e32 v103, vcc_lo, s5, v103, vcc_lo
	s_clause 0x7
	global_load_b32 v157, v[88:89], off
	global_load_b32 v158, v[90:91], off
	;; [unrolled: 1-line block ×8, first 2 shown]
	v_add_co_u32 v104, vcc_lo, s4, v1
	v_add_co_ci_u32_e32 v105, vcc_lo, s5, v2, vcc_lo
	v_lshlrev_b64 v[1:2], 2, v[108:109]
	v_add_co_u32 v106, vcc_lo, s4, v106
	v_add_co_ci_u32_e32 v107, vcc_lo, s5, v107, vcc_lo
	s_delay_alu instid0(VALU_DEP_3) | instskip(NEXT) | instid1(VALU_DEP_4)
	v_add_co_u32 v108, vcc_lo, s4, v1
	v_add_co_ci_u32_e32 v109, vcc_lo, s5, v2, vcc_lo
	v_lshlrev_b64 v[1:2], 2, v[112:113]
	v_add_co_u32 v110, vcc_lo, s4, v110
	v_add_co_ci_u32_e32 v111, vcc_lo, s5, v111, vcc_lo
	s_delay_alu instid0(VALU_DEP_3) | instskip(NEXT) | instid1(VALU_DEP_4)
	v_add_co_u32 v112, vcc_lo, s4, v1
	v_add_co_ci_u32_e32 v113, vcc_lo, s5, v2, vcc_lo
	v_add_co_u32 v114, vcc_lo, s4, v114
	v_add_co_ci_u32_e32 v115, vcc_lo, s5, v115, vcc_lo
	s_clause 0x6
	global_load_b32 v165, v[104:105], off
	global_load_b32 v166, v[106:107], off
	;; [unrolled: 1-line block ×7, first 2 shown]
	s_waitcnt vmcnt(52)
	scratch_store_b128 off, v[116:119], off
	s_waitcnt vmcnt(48)
	scratch_store_b128 off, v[120:123], off offset:16
	s_waitcnt vmcnt(44)
	scratch_store_b128 off, v[124:127], off offset:32
	;; [unrolled: 2-line block ×13, first 2 shown]
	s_cbranch_scc1 .LBB119_230
; %bb.4:
	v_cmp_eq_u32_e64 s0, 0, v0
	s_delay_alu instid0(VALU_DEP_1)
	s_and_saveexec_b32 s1, s0
	s_cbranch_execz .LBB119_6
; %bb.5:
	v_mov_b32_e32 v1, 0
	ds_store_b32 v1, v1 offset:448
.LBB119_6:
	s_or_b32 exec_lo, exec_lo, s1
	s_waitcnt lgkmcnt(0)
	s_waitcnt_vscnt null, 0x0
	s_barrier
	buffer_gl0_inv
	scratch_load_b32 v1, v3, off
	s_mov_b32 s4, exec_lo
	s_waitcnt vmcnt(0)
	v_cmpx_eq_f32_e32 0, v1
	s_cbranch_execz .LBB119_10
; %bb.7:
	v_mov_b32_e32 v1, 0
	s_mov_b32 s5, 0
	ds_load_b32 v2, v1 offset:448
	s_waitcnt lgkmcnt(0)
	v_readfirstlane_b32 s1, v2
	v_add_nc_u32_e32 v2, 1, v0
	s_delay_alu instid0(VALU_DEP_2) | instskip(NEXT) | instid1(VALU_DEP_1)
	s_cmp_eq_u32 s1, 0
	v_cmp_gt_i32_e32 vcc_lo, s1, v2
	s_cselect_b32 s10, -1, 0
	s_delay_alu instid0(SALU_CYCLE_1) | instskip(NEXT) | instid1(SALU_CYCLE_1)
	s_or_b32 s10, s10, vcc_lo
	s_and_b32 exec_lo, exec_lo, s10
	s_cbranch_execz .LBB119_10
; %bb.8:
	v_mov_b32_e32 v116, s1
.LBB119_9:                              ; =>This Inner Loop Header: Depth=1
	ds_cmpstore_rtn_b32 v116, v1, v2, v116 offset:448
	s_waitcnt lgkmcnt(0)
	v_cmp_ne_u32_e32 vcc_lo, 0, v116
	v_cmp_le_i32_e64 s1, v116, v2
	s_delay_alu instid0(VALU_DEP_1) | instskip(NEXT) | instid1(SALU_CYCLE_1)
	s_and_b32 s1, vcc_lo, s1
	s_and_b32 s1, exec_lo, s1
	s_delay_alu instid0(SALU_CYCLE_1) | instskip(NEXT) | instid1(SALU_CYCLE_1)
	s_or_b32 s5, s1, s5
	s_and_not1_b32 exec_lo, exec_lo, s5
	s_cbranch_execnz .LBB119_9
.LBB119_10:
	s_or_b32 exec_lo, exec_lo, s4
	v_mov_b32_e32 v1, 0
	s_barrier
	buffer_gl0_inv
	ds_load_b32 v2, v1 offset:448
	s_and_saveexec_b32 s1, s0
	s_cbranch_execz .LBB119_12
; %bb.11:
	s_lshl_b64 s[4:5], s[8:9], 2
	s_delay_alu instid0(SALU_CYCLE_1)
	s_add_u32 s4, s6, s4
	s_addc_u32 s5, s7, s5
	s_waitcnt lgkmcnt(0)
	global_store_b32 v1, v2, s[4:5]
.LBB119_12:
	s_or_b32 exec_lo, exec_lo, s1
	s_waitcnt lgkmcnt(0)
	v_cmp_ne_u32_e32 vcc_lo, 0, v2
	s_mov_b32 s1, 0
	s_cbranch_vccnz .LBB119_230
; %bb.13:
	v_add_nc_u32_e32 v1, 0, v3
	scratch_load_b32 v2, v1, off
	s_waitcnt vmcnt(0)
	v_div_scale_f32 v116, null, v2, v2, 1.0
	v_div_scale_f32 v119, vcc_lo, 1.0, v2, 1.0
	s_delay_alu instid0(VALU_DEP_2) | instskip(SKIP_2) | instid1(VALU_DEP_1)
	v_rcp_f32_e32 v117, v116
	s_waitcnt_depctr 0xfff
	v_fma_f32 v118, -v116, v117, 1.0
	v_fmac_f32_e32 v117, v118, v117
	s_delay_alu instid0(VALU_DEP_1) | instskip(NEXT) | instid1(VALU_DEP_1)
	v_mul_f32_e32 v118, v119, v117
	v_fma_f32 v120, -v116, v118, v119
	s_delay_alu instid0(VALU_DEP_1) | instskip(NEXT) | instid1(VALU_DEP_1)
	v_fmac_f32_e32 v118, v120, v117
	v_fma_f32 v116, -v116, v118, v119
	s_delay_alu instid0(VALU_DEP_1) | instskip(NEXT) | instid1(VALU_DEP_1)
	v_div_fmas_f32 v116, v116, v117, v118
	v_div_fixup_f32 v2, v116, v2, 1.0
	scratch_store_b32 v1, v2, off
	scratch_load_b32 v116, off, off offset:4
	v_xor_b32_e32 v117, 0x80000000, v2
	v_add_nc_u32_e32 v2, 0xe0, v3
	s_waitcnt vmcnt(0)
	ds_store_2addr_b32 v3, v117, v116 offset1:56
	s_waitcnt lgkmcnt(0)
	s_waitcnt_vscnt null, 0x0
	s_barrier
	buffer_gl0_inv
	s_and_saveexec_b32 s1, s0
	s_cbranch_execz .LBB119_15
; %bb.14:
	scratch_load_b32 v116, v1, off
	ds_load_b32 v117, v2
	v_mov_b32_e32 v118, 0
	ds_load_b32 v118, v118 offset:4
	s_waitcnt vmcnt(0) lgkmcnt(1)
	v_fma_f32 v116, v116, v117, 0
	s_waitcnt lgkmcnt(0)
	s_delay_alu instid0(VALU_DEP_1)
	v_mul_f32_e32 v116, v116, v118
	scratch_store_b32 off, v116, off offset:4
.LBB119_15:
	s_or_b32 exec_lo, exec_lo, s1
	s_waitcnt_vscnt null, 0x0
	s_barrier
	buffer_gl0_inv
	scratch_load_b32 v116, off, off offset:8
	s_mov_b32 s1, exec_lo
	s_waitcnt vmcnt(0)
	ds_store_b32 v2, v116
	s_waitcnt lgkmcnt(0)
	s_barrier
	buffer_gl0_inv
	v_cmpx_gt_u32_e32 2, v0
	s_cbranch_execz .LBB119_17
; %bb.16:
	scratch_load_b32 v118, v1, off
	scratch_load_b32 v119, off, off offset:4
	ds_load_b32 v120, v2
	v_mov_b32_e32 v116, 0
	ds_load_2addr_b32 v[116:117], v116 offset0:2 offset1:57
	s_waitcnt vmcnt(1) lgkmcnt(1)
	v_fma_f32 v118, v118, v120, 0
	s_waitcnt vmcnt(0) lgkmcnt(0)
	s_delay_alu instid0(VALU_DEP_1) | instskip(NEXT) | instid1(VALU_DEP_1)
	v_fma_f32 v117, v119, v117, v118
	v_cndmask_b32_e64 v117, v118, v117, s0
	s_delay_alu instid0(VALU_DEP_1)
	v_mul_f32_e32 v116, v117, v116
	scratch_store_b32 off, v116, off offset:8
.LBB119_17:
	s_or_b32 exec_lo, exec_lo, s1
	s_waitcnt_vscnt null, 0x0
	s_barrier
	buffer_gl0_inv
	scratch_load_b32 v117, off, off offset:12
	v_add_nc_u32_e32 v116, -1, v0
	s_mov_b32 s0, exec_lo
	s_waitcnt vmcnt(0)
	ds_store_b32 v2, v117
	s_waitcnt lgkmcnt(0)
	s_barrier
	buffer_gl0_inv
	v_cmpx_gt_u32_e32 3, v0
	s_cbranch_execz .LBB119_21
; %bb.18:
	v_dual_mov_b32 v117, 0 :: v_dual_add_nc_u32 v118, -1, v0
	v_add_nc_u32_e32 v119, 0xe0, v3
	v_add_nc_u32_e32 v120, 0, v3
	s_mov_b32 s1, 0
.LBB119_19:                             ; =>This Inner Loop Header: Depth=1
	scratch_load_b32 v121, v120, off
	ds_load_b32 v122, v119
	v_add_nc_u32_e32 v118, 1, v118
	v_add_nc_u32_e32 v119, 4, v119
	v_add_nc_u32_e32 v120, 4, v120
	s_delay_alu instid0(VALU_DEP_3)
	v_cmp_lt_u32_e32 vcc_lo, 1, v118
	s_or_b32 s1, vcc_lo, s1
	s_waitcnt vmcnt(0) lgkmcnt(0)
	v_fmac_f32_e32 v117, v121, v122
	s_and_not1_b32 exec_lo, exec_lo, s1
	s_cbranch_execnz .LBB119_19
; %bb.20:
	s_or_b32 exec_lo, exec_lo, s1
	v_mov_b32_e32 v118, 0
	ds_load_b32 v118, v118 offset:12
	s_waitcnt lgkmcnt(0)
	v_mul_f32_e32 v117, v117, v118
	scratch_store_b32 off, v117, off offset:12
.LBB119_21:
	s_or_b32 exec_lo, exec_lo, s0
	s_waitcnt_vscnt null, 0x0
	s_barrier
	buffer_gl0_inv
	scratch_load_b32 v117, off, off offset:16
	s_mov_b32 s0, exec_lo
	s_waitcnt vmcnt(0)
	ds_store_b32 v2, v117
	s_waitcnt lgkmcnt(0)
	s_barrier
	buffer_gl0_inv
	v_cmpx_gt_u32_e32 4, v0
	s_cbranch_execz .LBB119_25
; %bb.22:
	v_dual_mov_b32 v117, 0 :: v_dual_add_nc_u32 v118, -1, v0
	v_add_nc_u32_e32 v119, 0xe0, v3
	v_add_nc_u32_e32 v120, 0, v3
	s_mov_b32 s1, 0
.LBB119_23:                             ; =>This Inner Loop Header: Depth=1
	scratch_load_b32 v121, v120, off
	ds_load_b32 v122, v119
	v_add_nc_u32_e32 v118, 1, v118
	v_add_nc_u32_e32 v119, 4, v119
	v_add_nc_u32_e32 v120, 4, v120
	s_delay_alu instid0(VALU_DEP_3)
	v_cmp_lt_u32_e32 vcc_lo, 2, v118
	s_or_b32 s1, vcc_lo, s1
	s_waitcnt vmcnt(0) lgkmcnt(0)
	v_fmac_f32_e32 v117, v121, v122
	s_and_not1_b32 exec_lo, exec_lo, s1
	s_cbranch_execnz .LBB119_23
; %bb.24:
	s_or_b32 exec_lo, exec_lo, s1
	v_mov_b32_e32 v118, 0
	ds_load_b32 v118, v118 offset:16
	s_waitcnt lgkmcnt(0)
	v_mul_f32_e32 v117, v117, v118
	scratch_store_b32 off, v117, off offset:16
.LBB119_25:
	s_or_b32 exec_lo, exec_lo, s0
	s_waitcnt_vscnt null, 0x0
	s_barrier
	buffer_gl0_inv
	scratch_load_b32 v117, off, off offset:20
	;; [unrolled: 39-line block ×21, first 2 shown]
	s_mov_b32 s0, exec_lo
	s_waitcnt vmcnt(0)
	ds_store_b32 v2, v117
	s_waitcnt lgkmcnt(0)
	s_barrier
	buffer_gl0_inv
	v_cmpx_gt_u32_e32 24, v0
	s_cbranch_execz .LBB119_105
; %bb.102:
	v_dual_mov_b32 v117, 0 :: v_dual_add_nc_u32 v118, -1, v0
	v_add_nc_u32_e32 v119, 0xe0, v3
	v_add_nc_u32_e32 v120, 0, v3
	s_mov_b32 s1, 0
.LBB119_103:                            ; =>This Inner Loop Header: Depth=1
	scratch_load_b32 v121, v120, off
	ds_load_b32 v122, v119
	v_add_nc_u32_e32 v118, 1, v118
	v_add_nc_u32_e32 v119, 4, v119
	v_add_nc_u32_e32 v120, 4, v120
	s_delay_alu instid0(VALU_DEP_3)
	v_cmp_lt_u32_e32 vcc_lo, 22, v118
	s_or_b32 s1, vcc_lo, s1
	s_waitcnt vmcnt(0) lgkmcnt(0)
	v_fmac_f32_e32 v117, v121, v122
	s_and_not1_b32 exec_lo, exec_lo, s1
	s_cbranch_execnz .LBB119_103
; %bb.104:
	s_or_b32 exec_lo, exec_lo, s1
	v_mov_b32_e32 v118, 0
	ds_load_b32 v118, v118 offset:96
	s_waitcnt lgkmcnt(0)
	v_mul_f32_e32 v117, v117, v118
	scratch_store_b32 off, v117, off offset:96
.LBB119_105:
	s_or_b32 exec_lo, exec_lo, s0
	s_waitcnt_vscnt null, 0x0
	s_barrier
	buffer_gl0_inv
	scratch_load_b32 v117, off, off offset:100
	s_mov_b32 s0, exec_lo
	s_waitcnt vmcnt(0)
	ds_store_b32 v2, v117
	s_waitcnt lgkmcnt(0)
	s_barrier
	buffer_gl0_inv
	v_cmpx_gt_u32_e32 25, v0
	s_cbranch_execz .LBB119_109
; %bb.106:
	v_dual_mov_b32 v117, 0 :: v_dual_add_nc_u32 v118, -1, v0
	v_add_nc_u32_e32 v119, 0xe0, v3
	v_add_nc_u32_e32 v120, 0, v3
	s_mov_b32 s1, 0
.LBB119_107:                            ; =>This Inner Loop Header: Depth=1
	scratch_load_b32 v121, v120, off
	ds_load_b32 v122, v119
	v_add_nc_u32_e32 v118, 1, v118
	v_add_nc_u32_e32 v119, 4, v119
	v_add_nc_u32_e32 v120, 4, v120
	s_delay_alu instid0(VALU_DEP_3)
	v_cmp_lt_u32_e32 vcc_lo, 23, v118
	s_or_b32 s1, vcc_lo, s1
	s_waitcnt vmcnt(0) lgkmcnt(0)
	v_fmac_f32_e32 v117, v121, v122
	s_and_not1_b32 exec_lo, exec_lo, s1
	s_cbranch_execnz .LBB119_107
; %bb.108:
	s_or_b32 exec_lo, exec_lo, s1
	v_mov_b32_e32 v118, 0
	ds_load_b32 v118, v118 offset:100
	s_waitcnt lgkmcnt(0)
	v_mul_f32_e32 v117, v117, v118
	scratch_store_b32 off, v117, off offset:100
.LBB119_109:
	s_or_b32 exec_lo, exec_lo, s0
	s_waitcnt_vscnt null, 0x0
	s_barrier
	buffer_gl0_inv
	scratch_load_b32 v117, off, off offset:104
	;; [unrolled: 39-line block ×30, first 2 shown]
	s_mov_b32 s0, exec_lo
	s_waitcnt vmcnt(0)
	ds_store_b32 v2, v117
	s_waitcnt lgkmcnt(0)
	s_barrier
	buffer_gl0_inv
	v_cmpx_gt_u32_e32 54, v0
	s_cbranch_execz .LBB119_225
; %bb.222:
	v_add_nc_u32_e32 v117, -1, v0
	v_add_nc_u32_e32 v118, 0xe0, v3
	v_add_nc_u32_e32 v119, 0, v3
	v_mov_b32_e32 v3, 0
	s_mov_b32 s1, 0
.LBB119_223:                            ; =>This Inner Loop Header: Depth=1
	scratch_load_b32 v120, v119, off
	ds_load_b32 v121, v118
	v_add_nc_u32_e32 v117, 1, v117
	v_add_nc_u32_e32 v118, 4, v118
	;; [unrolled: 1-line block ×3, first 2 shown]
	s_delay_alu instid0(VALU_DEP_3)
	v_cmp_lt_u32_e32 vcc_lo, 52, v117
	s_or_b32 s1, vcc_lo, s1
	s_waitcnt vmcnt(0) lgkmcnt(0)
	v_fmac_f32_e32 v3, v120, v121
	s_and_not1_b32 exec_lo, exec_lo, s1
	s_cbranch_execnz .LBB119_223
; %bb.224:
	s_or_b32 exec_lo, exec_lo, s1
	v_mov_b32_e32 v117, 0
	ds_load_b32 v117, v117 offset:216
	s_waitcnt lgkmcnt(0)
	v_mul_f32_e32 v3, v3, v117
	scratch_store_b32 off, v3, off offset:216
.LBB119_225:
	s_or_b32 exec_lo, exec_lo, s0
	s_waitcnt_vscnt null, 0x0
	s_barrier
	buffer_gl0_inv
	scratch_load_b32 v3, off, off offset:220
	s_mov_b32 s0, exec_lo
	s_waitcnt vmcnt(0)
	ds_store_b32 v2, v3
	s_waitcnt lgkmcnt(0)
	s_barrier
	buffer_gl0_inv
	v_cmpx_ne_u32_e32 55, v0
	s_cbranch_execz .LBB119_229
; %bb.226:
	v_mov_b32_e32 v3, 0
	s_mov_b32 s1, 0
.LBB119_227:                            ; =>This Inner Loop Header: Depth=1
	scratch_load_b32 v117, v1, off
	ds_load_b32 v118, v2
	v_add_nc_u32_e32 v116, 1, v116
	v_add_nc_u32_e32 v2, 4, v2
	;; [unrolled: 1-line block ×3, first 2 shown]
	s_waitcnt vmcnt(0) lgkmcnt(0)
	v_fmac_f32_e32 v3, v117, v118
	v_cmp_lt_u32_e32 vcc_lo, 53, v116
	s_or_b32 s1, vcc_lo, s1
	s_delay_alu instid0(SALU_CYCLE_1)
	s_and_not1_b32 exec_lo, exec_lo, s1
	s_cbranch_execnz .LBB119_227
; %bb.228:
	s_or_b32 exec_lo, exec_lo, s1
	v_mov_b32_e32 v1, 0
	ds_load_b32 v1, v1 offset:220
	s_waitcnt lgkmcnt(0)
	v_mul_f32_e32 v1, v3, v1
	scratch_store_b32 off, v1, off offset:220
.LBB119_229:
	s_or_b32 exec_lo, exec_lo, s0
	s_mov_b32 s1, -1
	s_waitcnt_vscnt null, 0x0
	s_barrier
	buffer_gl0_inv
.LBB119_230:
	s_and_b32 vcc_lo, exec_lo, s1
	s_cbranch_vccz .LBB119_232
; %bb.231:
	s_lshl_b64 s[0:1], s[8:9], 2
	v_mov_b32_e32 v1, 0
	s_add_u32 s0, s6, s0
	s_addc_u32 s1, s7, s1
	global_load_b32 v1, v1, s[0:1]
	s_waitcnt vmcnt(0)
	v_cmp_ne_u32_e32 vcc_lo, 0, v1
	s_cbranch_vccz .LBB119_233
.LBB119_232:
	s_endpgm
.LBB119_233:
	v_lshl_add_u32 v1, v0, 2, 0xe0
	s_mov_b32 s0, exec_lo
	v_cmpx_eq_u32_e32 55, v0
	s_cbranch_execz .LBB119_235
; %bb.234:
	scratch_load_b32 v2, off, off offset:216
	v_mov_b32_e32 v3, 0
	scratch_store_b32 off, v3, off offset:216
	s_waitcnt vmcnt(0)
	ds_store_b32 v1, v2
.LBB119_235:
	s_or_b32 exec_lo, exec_lo, s0
	s_waitcnt lgkmcnt(0)
	s_waitcnt_vscnt null, 0x0
	s_barrier
	buffer_gl0_inv
	scratch_load_b64 v[116:117], off, off offset:216
	v_mov_b32_e32 v2, 0
	s_mov_b32 s0, exec_lo
	ds_load_b32 v3, v2 offset:444
	s_waitcnt vmcnt(0) lgkmcnt(0)
	v_fma_f32 v3, v117, v3, 0
	s_delay_alu instid0(VALU_DEP_1)
	v_sub_f32_e32 v3, v116, v3
	scratch_store_b32 off, v3, off offset:216
	v_cmpx_lt_u32_e32 53, v0
	s_cbranch_execz .LBB119_237
; %bb.236:
	scratch_load_b32 v3, off, off offset:212
	scratch_store_b32 off, v2, off offset:212
	s_waitcnt vmcnt(0)
	ds_store_b32 v1, v3
.LBB119_237:
	s_or_b32 exec_lo, exec_lo, s0
	s_waitcnt lgkmcnt(0)
	s_waitcnt_vscnt null, 0x0
	s_barrier
	buffer_gl0_inv
	scratch_load_b96 v[116:118], off, off offset:212
	ds_load_b64 v[2:3], v2 offset:440
	s_mov_b32 s0, exec_lo
	s_waitcnt vmcnt(0) lgkmcnt(0)
	v_fma_f32 v2, v117, v2, 0
	s_delay_alu instid0(VALU_DEP_1) | instskip(NEXT) | instid1(VALU_DEP_1)
	v_fmac_f32_e32 v2, v118, v3
	v_sub_f32_e32 v2, v116, v2
	scratch_store_b32 off, v2, off offset:212
	v_cmpx_lt_u32_e32 52, v0
	s_cbranch_execz .LBB119_239
; %bb.238:
	scratch_load_b32 v2, off, off offset:208
	v_mov_b32_e32 v3, 0
	scratch_store_b32 off, v3, off offset:208
	s_waitcnt vmcnt(0)
	ds_store_b32 v1, v2
.LBB119_239:
	s_or_b32 exec_lo, exec_lo, s0
	s_waitcnt lgkmcnt(0)
	s_waitcnt_vscnt null, 0x0
	s_barrier
	buffer_gl0_inv
	scratch_load_b128 v[116:119], off, off offset:208
	v_mov_b32_e32 v2, 0
	ds_load_2addr_b32 v[120:121], v2 offset0:109 offset1:110
	ds_load_b32 v3, v2 offset:444
	s_mov_b32 s0, exec_lo
	s_waitcnt vmcnt(0) lgkmcnt(1)
	v_fma_f32 v117, v117, v120, 0
	s_delay_alu instid0(VALU_DEP_1) | instskip(SKIP_1) | instid1(VALU_DEP_1)
	v_fmac_f32_e32 v117, v118, v121
	s_waitcnt lgkmcnt(0)
	v_fmac_f32_e32 v117, v119, v3
	s_delay_alu instid0(VALU_DEP_1)
	v_sub_f32_e32 v3, v116, v117
	scratch_store_b32 off, v3, off offset:208
	v_cmpx_lt_u32_e32 51, v0
	s_cbranch_execz .LBB119_241
; %bb.240:
	scratch_load_b32 v3, off, off offset:204
	scratch_store_b32 off, v2, off offset:204
	s_waitcnt vmcnt(0)
	ds_store_b32 v1, v3
.LBB119_241:
	s_or_b32 exec_lo, exec_lo, s0
	s_waitcnt lgkmcnt(0)
	s_waitcnt_vscnt null, 0x0
	s_barrier
	buffer_gl0_inv
	s_clause 0x1
	scratch_load_b128 v[116:119], off, off offset:204
	scratch_load_b32 v3, off, off offset:220
	ds_load_b128 v[120:123], v2 offset:432
	s_mov_b32 s0, exec_lo
	s_waitcnt vmcnt(1) lgkmcnt(0)
	v_fma_f32 v2, v117, v120, 0
	s_delay_alu instid0(VALU_DEP_1) | instskip(NEXT) | instid1(VALU_DEP_1)
	v_fmac_f32_e32 v2, v118, v121
	v_fmac_f32_e32 v2, v119, v122
	s_waitcnt vmcnt(0)
	s_delay_alu instid0(VALU_DEP_1) | instskip(NEXT) | instid1(VALU_DEP_1)
	v_fmac_f32_e32 v2, v3, v123
	v_sub_f32_e32 v2, v116, v2
	scratch_store_b32 off, v2, off offset:204
	v_cmpx_lt_u32_e32 50, v0
	s_cbranch_execz .LBB119_243
; %bb.242:
	scratch_load_b32 v2, off, off offset:200
	v_mov_b32_e32 v3, 0
	scratch_store_b32 off, v3, off offset:200
	s_waitcnt vmcnt(0)
	ds_store_b32 v1, v2
.LBB119_243:
	s_or_b32 exec_lo, exec_lo, s0
	s_waitcnt lgkmcnt(0)
	s_waitcnt_vscnt null, 0x0
	s_barrier
	buffer_gl0_inv
	s_clause 0x1
	scratch_load_b128 v[116:119], off, off offset:200
	scratch_load_b64 v[120:121], off, off offset:216
	v_mov_b32_e32 v2, 0
	ds_load_2addr_b32 v[122:123], v2 offset0:107 offset1:108
	ds_load_2addr_b32 v[124:125], v2 offset0:109 offset1:110
	ds_load_b32 v3, v2 offset:444
	s_mov_b32 s0, exec_lo
	s_waitcnt vmcnt(1) lgkmcnt(2)
	v_fma_f32 v117, v117, v122, 0
	s_delay_alu instid0(VALU_DEP_1) | instskip(SKIP_1) | instid1(VALU_DEP_1)
	v_fmac_f32_e32 v117, v118, v123
	s_waitcnt lgkmcnt(1)
	v_fmac_f32_e32 v117, v119, v124
	s_waitcnt vmcnt(0)
	s_delay_alu instid0(VALU_DEP_1) | instskip(SKIP_1) | instid1(VALU_DEP_1)
	v_fmac_f32_e32 v117, v120, v125
	s_waitcnt lgkmcnt(0)
	v_fmac_f32_e32 v117, v121, v3
	s_delay_alu instid0(VALU_DEP_1)
	v_sub_f32_e32 v3, v116, v117
	scratch_store_b32 off, v3, off offset:200
	v_cmpx_lt_u32_e32 49, v0
	s_cbranch_execz .LBB119_245
; %bb.244:
	scratch_load_b32 v3, off, off offset:196
	scratch_store_b32 off, v2, off offset:196
	s_waitcnt vmcnt(0)
	ds_store_b32 v1, v3
.LBB119_245:
	s_or_b32 exec_lo, exec_lo, s0
	s_waitcnt lgkmcnt(0)
	s_waitcnt_vscnt null, 0x0
	s_barrier
	buffer_gl0_inv
	s_clause 0x1
	scratch_load_b128 v[116:119], off, off offset:196
	scratch_load_b96 v[124:126], off, off offset:212
	ds_load_2addr_b64 v[120:123], v2 offset0:53 offset1:54
	ds_load_b64 v[2:3], v2 offset:440
	s_mov_b32 s0, exec_lo
	s_waitcnt vmcnt(1) lgkmcnt(1)
	v_fma_f32 v117, v117, v120, 0
	s_delay_alu instid0(VALU_DEP_1) | instskip(NEXT) | instid1(VALU_DEP_1)
	v_fmac_f32_e32 v117, v118, v121
	v_fmac_f32_e32 v117, v119, v122
	s_waitcnt vmcnt(0)
	s_delay_alu instid0(VALU_DEP_1) | instskip(SKIP_1) | instid1(VALU_DEP_1)
	v_fmac_f32_e32 v117, v124, v123
	s_waitcnt lgkmcnt(0)
	v_fmac_f32_e32 v117, v125, v2
	s_delay_alu instid0(VALU_DEP_1) | instskip(NEXT) | instid1(VALU_DEP_1)
	v_fmac_f32_e32 v117, v126, v3
	v_sub_f32_e32 v2, v116, v117
	scratch_store_b32 off, v2, off offset:196
	v_cmpx_lt_u32_e32 48, v0
	s_cbranch_execz .LBB119_247
; %bb.246:
	scratch_load_b32 v2, off, off offset:192
	v_mov_b32_e32 v3, 0
	scratch_store_b32 off, v3, off offset:192
	s_waitcnt vmcnt(0)
	ds_store_b32 v1, v2
.LBB119_247:
	s_or_b32 exec_lo, exec_lo, s0
	s_waitcnt lgkmcnt(0)
	s_waitcnt_vscnt null, 0x0
	s_barrier
	buffer_gl0_inv
	s_clause 0x1
	scratch_load_b128 v[116:119], off, off offset:192
	scratch_load_b128 v[120:123], off, off offset:208
	v_mov_b32_e32 v2, 0
	ds_load_2addr_b32 v[124:125], v2 offset0:105 offset1:106
	ds_load_2addr_b32 v[126:127], v2 offset0:107 offset1:108
	;; [unrolled: 1-line block ×3, first 2 shown]
	ds_load_b32 v3, v2 offset:444
	s_mov_b32 s0, exec_lo
	s_waitcnt vmcnt(1) lgkmcnt(3)
	v_fma_f32 v117, v117, v124, 0
	s_delay_alu instid0(VALU_DEP_1) | instskip(SKIP_1) | instid1(VALU_DEP_1)
	v_fmac_f32_e32 v117, v118, v125
	s_waitcnt lgkmcnt(2)
	v_fmac_f32_e32 v117, v119, v126
	s_waitcnt vmcnt(0)
	s_delay_alu instid0(VALU_DEP_1) | instskip(SKIP_1) | instid1(VALU_DEP_1)
	v_fmac_f32_e32 v117, v120, v127
	s_waitcnt lgkmcnt(1)
	v_fmac_f32_e32 v117, v121, v128
	s_delay_alu instid0(VALU_DEP_1) | instskip(SKIP_1) | instid1(VALU_DEP_1)
	v_fmac_f32_e32 v117, v122, v129
	s_waitcnt lgkmcnt(0)
	v_fmac_f32_e32 v117, v123, v3
	s_delay_alu instid0(VALU_DEP_1)
	v_sub_f32_e32 v3, v116, v117
	scratch_store_b32 off, v3, off offset:192
	v_cmpx_lt_u32_e32 47, v0
	s_cbranch_execz .LBB119_249
; %bb.248:
	scratch_load_b32 v3, off, off offset:188
	scratch_store_b32 off, v2, off offset:188
	s_waitcnt vmcnt(0)
	ds_store_b32 v1, v3
.LBB119_249:
	s_or_b32 exec_lo, exec_lo, s0
	s_waitcnt lgkmcnt(0)
	s_waitcnt_vscnt null, 0x0
	s_barrier
	buffer_gl0_inv
	s_clause 0x2
	scratch_load_b128 v[116:119], off, off offset:188
	scratch_load_b128 v[120:123], off, off offset:204
	scratch_load_b32 v3, off, off offset:220
	ds_load_b128 v[124:127], v2 offset:416
	ds_load_b128 v[128:131], v2 offset:432
	s_mov_b32 s0, exec_lo
	s_waitcnt vmcnt(2) lgkmcnt(1)
	v_fma_f32 v2, v117, v124, 0
	s_delay_alu instid0(VALU_DEP_1) | instskip(NEXT) | instid1(VALU_DEP_1)
	v_fmac_f32_e32 v2, v118, v125
	v_fmac_f32_e32 v2, v119, v126
	s_waitcnt vmcnt(1)
	s_delay_alu instid0(VALU_DEP_1) | instskip(SKIP_1) | instid1(VALU_DEP_1)
	v_fmac_f32_e32 v2, v120, v127
	s_waitcnt lgkmcnt(0)
	v_fmac_f32_e32 v2, v121, v128
	s_delay_alu instid0(VALU_DEP_1) | instskip(NEXT) | instid1(VALU_DEP_1)
	v_fmac_f32_e32 v2, v122, v129
	v_fmac_f32_e32 v2, v123, v130
	s_waitcnt vmcnt(0)
	s_delay_alu instid0(VALU_DEP_1) | instskip(NEXT) | instid1(VALU_DEP_1)
	v_fmac_f32_e32 v2, v3, v131
	v_sub_f32_e32 v2, v116, v2
	scratch_store_b32 off, v2, off offset:188
	v_cmpx_lt_u32_e32 46, v0
	s_cbranch_execz .LBB119_251
; %bb.250:
	scratch_load_b32 v2, off, off offset:184
	v_mov_b32_e32 v3, 0
	scratch_store_b32 off, v3, off offset:184
	s_waitcnt vmcnt(0)
	ds_store_b32 v1, v2
.LBB119_251:
	s_or_b32 exec_lo, exec_lo, s0
	s_waitcnt lgkmcnt(0)
	s_waitcnt_vscnt null, 0x0
	s_barrier
	buffer_gl0_inv
	s_clause 0x2
	scratch_load_b128 v[116:119], off, off offset:184
	scratch_load_b128 v[120:123], off, off offset:200
	scratch_load_b64 v[124:125], off, off offset:216
	v_mov_b32_e32 v2, 0
	ds_load_2addr_b32 v[126:127], v2 offset0:103 offset1:104
	ds_load_2addr_b32 v[128:129], v2 offset0:105 offset1:106
	;; [unrolled: 1-line block ×4, first 2 shown]
	s_mov_b32 s0, exec_lo
	s_waitcnt vmcnt(2) lgkmcnt(3)
	v_fma_f32 v3, v117, v126, 0
	s_delay_alu instid0(VALU_DEP_1) | instskip(SKIP_4) | instid1(VALU_DEP_1)
	v_fmac_f32_e32 v3, v118, v127
	ds_load_b32 v117, v2 offset:444
	s_waitcnt lgkmcnt(3)
	v_fmac_f32_e32 v3, v119, v128
	s_waitcnt vmcnt(1)
	v_fmac_f32_e32 v3, v120, v129
	s_waitcnt lgkmcnt(2)
	s_delay_alu instid0(VALU_DEP_1) | instskip(NEXT) | instid1(VALU_DEP_1)
	v_fmac_f32_e32 v3, v121, v130
	v_fmac_f32_e32 v3, v122, v131
	s_waitcnt lgkmcnt(1)
	s_delay_alu instid0(VALU_DEP_1) | instskip(SKIP_1) | instid1(VALU_DEP_1)
	v_fmac_f32_e32 v3, v123, v132
	s_waitcnt vmcnt(0)
	v_fmac_f32_e32 v3, v124, v133
	s_waitcnt lgkmcnt(0)
	s_delay_alu instid0(VALU_DEP_1) | instskip(NEXT) | instid1(VALU_DEP_1)
	v_fmac_f32_e32 v3, v125, v117
	v_sub_f32_e32 v3, v116, v3
	scratch_store_b32 off, v3, off offset:184
	v_cmpx_lt_u32_e32 45, v0
	s_cbranch_execz .LBB119_253
; %bb.252:
	scratch_load_b32 v3, off, off offset:180
	scratch_store_b32 off, v2, off offset:180
	s_waitcnt vmcnt(0)
	ds_store_b32 v1, v3
.LBB119_253:
	s_or_b32 exec_lo, exec_lo, s0
	s_waitcnt lgkmcnt(0)
	s_waitcnt_vscnt null, 0x0
	s_barrier
	buffer_gl0_inv
	s_clause 0x2
	scratch_load_b128 v[116:119], off, off offset:180
	scratch_load_b128 v[120:123], off, off offset:196
	scratch_load_b96 v[132:134], off, off offset:212
	ds_load_2addr_b64 v[124:127], v2 offset0:51 offset1:52
	ds_load_2addr_b64 v[128:131], v2 offset0:53 offset1:54
	ds_load_b64 v[2:3], v2 offset:440
	s_mov_b32 s0, exec_lo
	s_waitcnt vmcnt(2) lgkmcnt(2)
	v_fma_f32 v117, v117, v124, 0
	s_delay_alu instid0(VALU_DEP_1) | instskip(NEXT) | instid1(VALU_DEP_1)
	v_fmac_f32_e32 v117, v118, v125
	v_fmac_f32_e32 v117, v119, v126
	s_waitcnt vmcnt(1)
	s_delay_alu instid0(VALU_DEP_1) | instskip(SKIP_1) | instid1(VALU_DEP_1)
	v_fmac_f32_e32 v117, v120, v127
	s_waitcnt lgkmcnt(1)
	v_fmac_f32_e32 v117, v121, v128
	s_delay_alu instid0(VALU_DEP_1) | instskip(NEXT) | instid1(VALU_DEP_1)
	v_fmac_f32_e32 v117, v122, v129
	v_fmac_f32_e32 v117, v123, v130
	s_waitcnt vmcnt(0)
	s_delay_alu instid0(VALU_DEP_1) | instskip(SKIP_1) | instid1(VALU_DEP_1)
	v_fmac_f32_e32 v117, v132, v131
	s_waitcnt lgkmcnt(0)
	v_fmac_f32_e32 v117, v133, v2
	s_delay_alu instid0(VALU_DEP_1) | instskip(NEXT) | instid1(VALU_DEP_1)
	v_fmac_f32_e32 v117, v134, v3
	v_sub_f32_e32 v2, v116, v117
	scratch_store_b32 off, v2, off offset:180
	v_cmpx_lt_u32_e32 44, v0
	s_cbranch_execz .LBB119_255
; %bb.254:
	scratch_load_b32 v2, off, off offset:176
	v_mov_b32_e32 v3, 0
	scratch_store_b32 off, v3, off offset:176
	s_waitcnt vmcnt(0)
	ds_store_b32 v1, v2
.LBB119_255:
	s_or_b32 exec_lo, exec_lo, s0
	s_waitcnt lgkmcnt(0)
	s_waitcnt_vscnt null, 0x0
	s_barrier
	buffer_gl0_inv
	s_clause 0x2
	scratch_load_b128 v[116:119], off, off offset:176
	scratch_load_b128 v[120:123], off, off offset:192
	;; [unrolled: 1-line block ×3, first 2 shown]
	v_mov_b32_e32 v2, 0
	ds_load_2addr_b32 v[128:129], v2 offset0:101 offset1:102
	ds_load_2addr_b32 v[130:131], v2 offset0:103 offset1:104
	;; [unrolled: 1-line block ×4, first 2 shown]
	s_mov_b32 s0, exec_lo
	s_waitcnt vmcnt(2) lgkmcnt(3)
	v_fma_f32 v3, v117, v128, 0
	s_delay_alu instid0(VALU_DEP_1)
	v_fmac_f32_e32 v3, v118, v129
	ds_load_2addr_b32 v[117:118], v2 offset0:109 offset1:110
	s_waitcnt lgkmcnt(3)
	v_fmac_f32_e32 v3, v119, v130
	ds_load_b32 v119, v2 offset:444
	s_waitcnt vmcnt(1)
	v_fmac_f32_e32 v3, v120, v131
	s_waitcnt lgkmcnt(3)
	s_delay_alu instid0(VALU_DEP_1) | instskip(NEXT) | instid1(VALU_DEP_1)
	v_fmac_f32_e32 v3, v121, v132
	v_fmac_f32_e32 v3, v122, v133
	s_waitcnt lgkmcnt(2)
	s_delay_alu instid0(VALU_DEP_1) | instskip(SKIP_1) | instid1(VALU_DEP_1)
	v_fmac_f32_e32 v3, v123, v134
	s_waitcnt vmcnt(0)
	v_fmac_f32_e32 v3, v124, v135
	s_waitcnt lgkmcnt(1)
	s_delay_alu instid0(VALU_DEP_1) | instskip(NEXT) | instid1(VALU_DEP_1)
	v_fmac_f32_e32 v3, v125, v117
	v_fmac_f32_e32 v3, v126, v118
	s_waitcnt lgkmcnt(0)
	s_delay_alu instid0(VALU_DEP_1) | instskip(NEXT) | instid1(VALU_DEP_1)
	v_fmac_f32_e32 v3, v127, v119
	v_sub_f32_e32 v3, v116, v3
	scratch_store_b32 off, v3, off offset:176
	v_cmpx_lt_u32_e32 43, v0
	s_cbranch_execz .LBB119_257
; %bb.256:
	scratch_load_b32 v3, off, off offset:172
	scratch_store_b32 off, v2, off offset:172
	s_waitcnt vmcnt(0)
	ds_store_b32 v1, v3
.LBB119_257:
	s_or_b32 exec_lo, exec_lo, s0
	s_waitcnt lgkmcnt(0)
	s_waitcnt_vscnt null, 0x0
	s_barrier
	buffer_gl0_inv
	s_clause 0x3
	scratch_load_b128 v[116:119], off, off offset:172
	scratch_load_b128 v[120:123], off, off offset:188
	;; [unrolled: 1-line block ×3, first 2 shown]
	scratch_load_b32 v3, off, off offset:220
	ds_load_b128 v[128:131], v2 offset:400
	ds_load_b128 v[132:135], v2 offset:416
	s_mov_b32 s0, exec_lo
	s_waitcnt vmcnt(3) lgkmcnt(1)
	v_fma_f32 v128, v117, v128, 0
	s_delay_alu instid0(VALU_DEP_1) | instskip(NEXT) | instid1(VALU_DEP_1)
	v_fmac_f32_e32 v128, v118, v129
	v_fmac_f32_e32 v128, v119, v130
	s_waitcnt vmcnt(2)
	s_delay_alu instid0(VALU_DEP_1) | instskip(SKIP_3) | instid1(VALU_DEP_1)
	v_fmac_f32_e32 v128, v120, v131
	ds_load_b128 v[117:120], v2 offset:432
	s_waitcnt lgkmcnt(1)
	v_fmac_f32_e32 v128, v121, v132
	v_fmac_f32_e32 v128, v122, v133
	s_delay_alu instid0(VALU_DEP_1) | instskip(SKIP_1) | instid1(VALU_DEP_1)
	v_fmac_f32_e32 v128, v123, v134
	s_waitcnt vmcnt(1)
	v_fmac_f32_e32 v128, v124, v135
	s_waitcnt lgkmcnt(0)
	s_delay_alu instid0(VALU_DEP_1) | instskip(NEXT) | instid1(VALU_DEP_1)
	v_fmac_f32_e32 v128, v125, v117
	v_fmac_f32_e32 v128, v126, v118
	s_delay_alu instid0(VALU_DEP_1) | instskip(SKIP_1) | instid1(VALU_DEP_1)
	v_fmac_f32_e32 v128, v127, v119
	s_waitcnt vmcnt(0)
	v_fmac_f32_e32 v128, v3, v120
	s_delay_alu instid0(VALU_DEP_1)
	v_sub_f32_e32 v2, v116, v128
	scratch_store_b32 off, v2, off offset:172
	v_cmpx_lt_u32_e32 42, v0
	s_cbranch_execz .LBB119_259
; %bb.258:
	scratch_load_b32 v2, off, off offset:168
	v_mov_b32_e32 v3, 0
	scratch_store_b32 off, v3, off offset:168
	s_waitcnt vmcnt(0)
	ds_store_b32 v1, v2
.LBB119_259:
	s_or_b32 exec_lo, exec_lo, s0
	s_waitcnt lgkmcnt(0)
	s_waitcnt_vscnt null, 0x0
	s_barrier
	buffer_gl0_inv
	s_clause 0x3
	scratch_load_b128 v[116:119], off, off offset:168
	scratch_load_b128 v[120:123], off, off offset:184
	;; [unrolled: 1-line block ×3, first 2 shown]
	scratch_load_b64 v[128:129], off, off offset:216
	v_mov_b32_e32 v2, 0
	ds_load_2addr_b32 v[130:131], v2 offset0:99 offset1:100
	ds_load_2addr_b32 v[132:133], v2 offset0:101 offset1:102
	;; [unrolled: 1-line block ×4, first 2 shown]
	s_mov_b32 s0, exec_lo
	s_waitcnt vmcnt(3) lgkmcnt(3)
	v_fma_f32 v3, v117, v130, 0
	s_delay_alu instid0(VALU_DEP_1) | instskip(SKIP_4) | instid1(VALU_DEP_1)
	v_fmac_f32_e32 v3, v118, v131
	ds_load_2addr_b32 v[117:118], v2 offset0:107 offset1:108
	s_waitcnt lgkmcnt(3)
	v_fmac_f32_e32 v3, v119, v132
	s_waitcnt vmcnt(2)
	v_fmac_f32_e32 v3, v120, v133
	ds_load_2addr_b32 v[119:120], v2 offset0:109 offset1:110
	s_waitcnt lgkmcnt(3)
	v_fmac_f32_e32 v3, v121, v134
	ds_load_b32 v121, v2 offset:444
	v_fmac_f32_e32 v3, v122, v135
	s_waitcnt lgkmcnt(3)
	s_delay_alu instid0(VALU_DEP_1) | instskip(SKIP_1) | instid1(VALU_DEP_1)
	v_fmac_f32_e32 v3, v123, v136
	s_waitcnt vmcnt(1)
	v_fmac_f32_e32 v3, v124, v137
	s_waitcnt lgkmcnt(2)
	s_delay_alu instid0(VALU_DEP_1) | instskip(NEXT) | instid1(VALU_DEP_1)
	v_fmac_f32_e32 v3, v125, v117
	v_fmac_f32_e32 v3, v126, v118
	s_waitcnt lgkmcnt(1)
	s_delay_alu instid0(VALU_DEP_1) | instskip(SKIP_1) | instid1(VALU_DEP_1)
	v_fmac_f32_e32 v3, v127, v119
	s_waitcnt vmcnt(0)
	v_fmac_f32_e32 v3, v128, v120
	s_waitcnt lgkmcnt(0)
	s_delay_alu instid0(VALU_DEP_1) | instskip(NEXT) | instid1(VALU_DEP_1)
	v_fmac_f32_e32 v3, v129, v121
	v_sub_f32_e32 v3, v116, v3
	scratch_store_b32 off, v3, off offset:168
	v_cmpx_lt_u32_e32 41, v0
	s_cbranch_execz .LBB119_261
; %bb.260:
	scratch_load_b32 v3, off, off offset:164
	scratch_store_b32 off, v2, off offset:164
	s_waitcnt vmcnt(0)
	ds_store_b32 v1, v3
.LBB119_261:
	s_or_b32 exec_lo, exec_lo, s0
	s_waitcnt lgkmcnt(0)
	s_waitcnt_vscnt null, 0x0
	s_barrier
	buffer_gl0_inv
	s_clause 0x3
	scratch_load_b128 v[116:119], off, off offset:164
	scratch_load_b128 v[120:123], off, off offset:180
	;; [unrolled: 1-line block ×3, first 2 shown]
	scratch_load_b96 v[136:138], off, off offset:212
	ds_load_2addr_b64 v[128:131], v2 offset0:49 offset1:50
	ds_load_2addr_b64 v[132:135], v2 offset0:51 offset1:52
	s_mov_b32 s0, exec_lo
	s_waitcnt vmcnt(3) lgkmcnt(1)
	v_fma_f32 v128, v117, v128, 0
	s_delay_alu instid0(VALU_DEP_1) | instskip(NEXT) | instid1(VALU_DEP_1)
	v_fmac_f32_e32 v128, v118, v129
	v_fmac_f32_e32 v128, v119, v130
	s_waitcnt vmcnt(2)
	s_delay_alu instid0(VALU_DEP_1) | instskip(SKIP_4) | instid1(VALU_DEP_1)
	v_fmac_f32_e32 v128, v120, v131
	ds_load_2addr_b64 v[117:120], v2 offset0:53 offset1:54
	ds_load_b64 v[2:3], v2 offset:440
	s_waitcnt lgkmcnt(2)
	v_fmac_f32_e32 v128, v121, v132
	v_fmac_f32_e32 v128, v122, v133
	s_delay_alu instid0(VALU_DEP_1) | instskip(SKIP_1) | instid1(VALU_DEP_1)
	v_fmac_f32_e32 v128, v123, v134
	s_waitcnt vmcnt(1)
	v_fmac_f32_e32 v128, v124, v135
	s_waitcnt lgkmcnt(1)
	s_delay_alu instid0(VALU_DEP_1) | instskip(NEXT) | instid1(VALU_DEP_1)
	v_fmac_f32_e32 v128, v125, v117
	v_fmac_f32_e32 v128, v126, v118
	s_delay_alu instid0(VALU_DEP_1) | instskip(SKIP_1) | instid1(VALU_DEP_1)
	v_fmac_f32_e32 v128, v127, v119
	s_waitcnt vmcnt(0)
	v_fmac_f32_e32 v128, v136, v120
	s_waitcnt lgkmcnt(0)
	s_delay_alu instid0(VALU_DEP_1) | instskip(NEXT) | instid1(VALU_DEP_1)
	v_fmac_f32_e32 v128, v137, v2
	v_fmac_f32_e32 v128, v138, v3
	s_delay_alu instid0(VALU_DEP_1)
	v_sub_f32_e32 v2, v116, v128
	scratch_store_b32 off, v2, off offset:164
	v_cmpx_lt_u32_e32 40, v0
	s_cbranch_execz .LBB119_263
; %bb.262:
	scratch_load_b32 v2, off, off offset:160
	v_mov_b32_e32 v3, 0
	scratch_store_b32 off, v3, off offset:160
	s_waitcnt vmcnt(0)
	ds_store_b32 v1, v2
.LBB119_263:
	s_or_b32 exec_lo, exec_lo, s0
	s_waitcnt lgkmcnt(0)
	s_waitcnt_vscnt null, 0x0
	s_barrier
	buffer_gl0_inv
	s_clause 0x3
	scratch_load_b128 v[116:119], off, off offset:160
	scratch_load_b128 v[120:123], off, off offset:176
	;; [unrolled: 1-line block ×4, first 2 shown]
	v_mov_b32_e32 v2, 0
	ds_load_2addr_b32 v[132:133], v2 offset0:97 offset1:98
	ds_load_2addr_b32 v[134:135], v2 offset0:99 offset1:100
	;; [unrolled: 1-line block ×4, first 2 shown]
	s_mov_b32 s0, exec_lo
	s_waitcnt vmcnt(3) lgkmcnt(3)
	v_fma_f32 v3, v117, v132, 0
	s_delay_alu instid0(VALU_DEP_1) | instskip(SKIP_4) | instid1(VALU_DEP_1)
	v_fmac_f32_e32 v3, v118, v133
	ds_load_2addr_b32 v[117:118], v2 offset0:105 offset1:106
	s_waitcnt lgkmcnt(3)
	v_fmac_f32_e32 v3, v119, v134
	s_waitcnt vmcnt(2)
	v_fmac_f32_e32 v3, v120, v135
	ds_load_2addr_b32 v[119:120], v2 offset0:107 offset1:108
	s_waitcnt lgkmcnt(3)
	v_fmac_f32_e32 v3, v121, v136
	s_delay_alu instid0(VALU_DEP_1) | instskip(SKIP_1) | instid1(VALU_DEP_1)
	v_fmac_f32_e32 v3, v122, v137
	s_waitcnt lgkmcnt(2)
	v_fmac_f32_e32 v3, v123, v138
	ds_load_2addr_b32 v[121:122], v2 offset0:109 offset1:110
	ds_load_b32 v123, v2 offset:444
	s_waitcnt vmcnt(1)
	v_fmac_f32_e32 v3, v124, v139
	s_waitcnt lgkmcnt(3)
	s_delay_alu instid0(VALU_DEP_1) | instskip(NEXT) | instid1(VALU_DEP_1)
	v_fmac_f32_e32 v3, v125, v117
	v_fmac_f32_e32 v3, v126, v118
	s_waitcnt lgkmcnt(2)
	s_delay_alu instid0(VALU_DEP_1) | instskip(SKIP_1) | instid1(VALU_DEP_1)
	v_fmac_f32_e32 v3, v127, v119
	s_waitcnt vmcnt(0)
	v_fmac_f32_e32 v3, v128, v120
	s_waitcnt lgkmcnt(1)
	s_delay_alu instid0(VALU_DEP_1) | instskip(NEXT) | instid1(VALU_DEP_1)
	v_fmac_f32_e32 v3, v129, v121
	v_fmac_f32_e32 v3, v130, v122
	s_waitcnt lgkmcnt(0)
	s_delay_alu instid0(VALU_DEP_1) | instskip(NEXT) | instid1(VALU_DEP_1)
	v_fmac_f32_e32 v3, v131, v123
	v_sub_f32_e32 v3, v116, v3
	scratch_store_b32 off, v3, off offset:160
	v_cmpx_lt_u32_e32 39, v0
	s_cbranch_execz .LBB119_265
; %bb.264:
	scratch_load_b32 v3, off, off offset:156
	scratch_store_b32 off, v2, off offset:156
	s_waitcnt vmcnt(0)
	ds_store_b32 v1, v3
.LBB119_265:
	s_or_b32 exec_lo, exec_lo, s0
	s_waitcnt lgkmcnt(0)
	s_waitcnt_vscnt null, 0x0
	s_barrier
	buffer_gl0_inv
	s_clause 0x4
	scratch_load_b128 v[116:119], off, off offset:156
	scratch_load_b128 v[120:123], off, off offset:172
	;; [unrolled: 1-line block ×4, first 2 shown]
	scratch_load_b32 v3, off, off offset:220
	ds_load_b128 v[132:135], v2 offset:384
	ds_load_b128 v[136:139], v2 offset:400
	s_mov_b32 s0, exec_lo
	s_waitcnt vmcnt(4) lgkmcnt(1)
	v_fma_f32 v132, v117, v132, 0
	s_delay_alu instid0(VALU_DEP_1) | instskip(NEXT) | instid1(VALU_DEP_1)
	v_fmac_f32_e32 v132, v118, v133
	v_fmac_f32_e32 v132, v119, v134
	s_waitcnt vmcnt(3)
	s_delay_alu instid0(VALU_DEP_1) | instskip(SKIP_3) | instid1(VALU_DEP_1)
	v_fmac_f32_e32 v132, v120, v135
	ds_load_b128 v[117:120], v2 offset:416
	s_waitcnt lgkmcnt(1)
	v_fmac_f32_e32 v132, v121, v136
	v_fmac_f32_e32 v132, v122, v137
	s_delay_alu instid0(VALU_DEP_1) | instskip(SKIP_1) | instid1(VALU_DEP_1)
	v_fmac_f32_e32 v132, v123, v138
	s_waitcnt vmcnt(2)
	v_fmac_f32_e32 v132, v124, v139
	ds_load_b128 v[121:124], v2 offset:432
	s_waitcnt lgkmcnt(1)
	v_fmac_f32_e32 v132, v125, v117
	s_delay_alu instid0(VALU_DEP_1) | instskip(NEXT) | instid1(VALU_DEP_1)
	v_fmac_f32_e32 v132, v126, v118
	v_fmac_f32_e32 v132, v127, v119
	s_waitcnt vmcnt(1)
	s_delay_alu instid0(VALU_DEP_1) | instskip(SKIP_1) | instid1(VALU_DEP_1)
	v_fmac_f32_e32 v132, v128, v120
	s_waitcnt lgkmcnt(0)
	v_fmac_f32_e32 v132, v129, v121
	s_delay_alu instid0(VALU_DEP_1) | instskip(NEXT) | instid1(VALU_DEP_1)
	v_fmac_f32_e32 v132, v130, v122
	v_fmac_f32_e32 v132, v131, v123
	s_waitcnt vmcnt(0)
	s_delay_alu instid0(VALU_DEP_1) | instskip(NEXT) | instid1(VALU_DEP_1)
	v_fmac_f32_e32 v132, v3, v124
	v_sub_f32_e32 v2, v116, v132
	scratch_store_b32 off, v2, off offset:156
	v_cmpx_lt_u32_e32 38, v0
	s_cbranch_execz .LBB119_267
; %bb.266:
	scratch_load_b32 v2, off, off offset:152
	v_mov_b32_e32 v3, 0
	scratch_store_b32 off, v3, off offset:152
	s_waitcnt vmcnt(0)
	ds_store_b32 v1, v2
.LBB119_267:
	s_or_b32 exec_lo, exec_lo, s0
	s_waitcnt lgkmcnt(0)
	s_waitcnt_vscnt null, 0x0
	s_barrier
	buffer_gl0_inv
	s_clause 0x4
	scratch_load_b128 v[116:119], off, off offset:152
	scratch_load_b128 v[120:123], off, off offset:168
	scratch_load_b128 v[124:127], off, off offset:184
	scratch_load_b128 v[128:131], off, off offset:200
	scratch_load_b64 v[132:133], off, off offset:216
	v_mov_b32_e32 v2, 0
	ds_load_2addr_b32 v[134:135], v2 offset0:95 offset1:96
	ds_load_2addr_b32 v[136:137], v2 offset0:97 offset1:98
	;; [unrolled: 1-line block ×4, first 2 shown]
	s_mov_b32 s0, exec_lo
	s_waitcnt vmcnt(4) lgkmcnt(3)
	v_fma_f32 v3, v117, v134, 0
	s_delay_alu instid0(VALU_DEP_1) | instskip(SKIP_4) | instid1(VALU_DEP_1)
	v_fmac_f32_e32 v3, v118, v135
	ds_load_2addr_b32 v[117:118], v2 offset0:103 offset1:104
	s_waitcnt lgkmcnt(3)
	v_fmac_f32_e32 v3, v119, v136
	s_waitcnt vmcnt(3)
	v_fmac_f32_e32 v3, v120, v137
	ds_load_2addr_b32 v[119:120], v2 offset0:105 offset1:106
	s_waitcnt lgkmcnt(3)
	v_fmac_f32_e32 v3, v121, v138
	s_delay_alu instid0(VALU_DEP_1) | instskip(SKIP_1) | instid1(VALU_DEP_1)
	v_fmac_f32_e32 v3, v122, v139
	s_waitcnt lgkmcnt(2)
	v_fmac_f32_e32 v3, v123, v140
	s_waitcnt vmcnt(2)
	s_delay_alu instid0(VALU_DEP_1)
	v_fmac_f32_e32 v3, v124, v141
	ds_load_2addr_b32 v[121:122], v2 offset0:107 offset1:108
	ds_load_2addr_b32 v[123:124], v2 offset0:109 offset1:110
	s_waitcnt lgkmcnt(3)
	v_fmac_f32_e32 v3, v125, v117
	ds_load_b32 v117, v2 offset:444
	v_fmac_f32_e32 v3, v126, v118
	s_waitcnt lgkmcnt(3)
	s_delay_alu instid0(VALU_DEP_1) | instskip(SKIP_1) | instid1(VALU_DEP_1)
	v_fmac_f32_e32 v3, v127, v119
	s_waitcnt vmcnt(1)
	v_fmac_f32_e32 v3, v128, v120
	s_waitcnt lgkmcnt(2)
	s_delay_alu instid0(VALU_DEP_1) | instskip(NEXT) | instid1(VALU_DEP_1)
	v_fmac_f32_e32 v3, v129, v121
	v_fmac_f32_e32 v3, v130, v122
	s_waitcnt lgkmcnt(1)
	s_delay_alu instid0(VALU_DEP_1) | instskip(SKIP_1) | instid1(VALU_DEP_1)
	v_fmac_f32_e32 v3, v131, v123
	s_waitcnt vmcnt(0)
	v_fmac_f32_e32 v3, v132, v124
	s_waitcnt lgkmcnt(0)
	s_delay_alu instid0(VALU_DEP_1) | instskip(NEXT) | instid1(VALU_DEP_1)
	v_fmac_f32_e32 v3, v133, v117
	v_sub_f32_e32 v3, v116, v3
	scratch_store_b32 off, v3, off offset:152
	v_cmpx_lt_u32_e32 37, v0
	s_cbranch_execz .LBB119_269
; %bb.268:
	scratch_load_b32 v3, off, off offset:148
	scratch_store_b32 off, v2, off offset:148
	s_waitcnt vmcnt(0)
	ds_store_b32 v1, v3
.LBB119_269:
	s_or_b32 exec_lo, exec_lo, s0
	s_waitcnt lgkmcnt(0)
	s_waitcnt_vscnt null, 0x0
	s_barrier
	buffer_gl0_inv
	s_clause 0x4
	scratch_load_b128 v[116:119], off, off offset:148
	scratch_load_b128 v[120:123], off, off offset:164
	;; [unrolled: 1-line block ×4, first 2 shown]
	scratch_load_b96 v[140:142], off, off offset:212
	ds_load_2addr_b64 v[132:135], v2 offset0:47 offset1:48
	ds_load_2addr_b64 v[136:139], v2 offset0:49 offset1:50
	s_mov_b32 s0, exec_lo
	s_waitcnt vmcnt(4) lgkmcnt(1)
	v_fma_f32 v132, v117, v132, 0
	s_delay_alu instid0(VALU_DEP_1) | instskip(NEXT) | instid1(VALU_DEP_1)
	v_fmac_f32_e32 v132, v118, v133
	v_fmac_f32_e32 v132, v119, v134
	s_waitcnt vmcnt(3)
	s_delay_alu instid0(VALU_DEP_1) | instskip(SKIP_3) | instid1(VALU_DEP_1)
	v_fmac_f32_e32 v132, v120, v135
	ds_load_2addr_b64 v[117:120], v2 offset0:51 offset1:52
	s_waitcnt lgkmcnt(1)
	v_fmac_f32_e32 v132, v121, v136
	v_fmac_f32_e32 v132, v122, v137
	s_delay_alu instid0(VALU_DEP_1) | instskip(SKIP_1) | instid1(VALU_DEP_1)
	v_fmac_f32_e32 v132, v123, v138
	s_waitcnt vmcnt(2)
	v_fmac_f32_e32 v132, v124, v139
	ds_load_2addr_b64 v[121:124], v2 offset0:53 offset1:54
	ds_load_b64 v[2:3], v2 offset:440
	s_waitcnt lgkmcnt(2)
	v_fmac_f32_e32 v132, v125, v117
	s_delay_alu instid0(VALU_DEP_1) | instskip(NEXT) | instid1(VALU_DEP_1)
	v_fmac_f32_e32 v132, v126, v118
	v_fmac_f32_e32 v132, v127, v119
	s_waitcnt vmcnt(1)
	s_delay_alu instid0(VALU_DEP_1) | instskip(SKIP_1) | instid1(VALU_DEP_1)
	v_fmac_f32_e32 v132, v128, v120
	s_waitcnt lgkmcnt(1)
	v_fmac_f32_e32 v132, v129, v121
	s_delay_alu instid0(VALU_DEP_1) | instskip(NEXT) | instid1(VALU_DEP_1)
	v_fmac_f32_e32 v132, v130, v122
	v_fmac_f32_e32 v132, v131, v123
	s_waitcnt vmcnt(0)
	s_delay_alu instid0(VALU_DEP_1) | instskip(SKIP_1) | instid1(VALU_DEP_1)
	v_fmac_f32_e32 v132, v140, v124
	s_waitcnt lgkmcnt(0)
	v_fmac_f32_e32 v132, v141, v2
	s_delay_alu instid0(VALU_DEP_1) | instskip(NEXT) | instid1(VALU_DEP_1)
	v_fmac_f32_e32 v132, v142, v3
	v_sub_f32_e32 v2, v116, v132
	scratch_store_b32 off, v2, off offset:148
	v_cmpx_lt_u32_e32 36, v0
	s_cbranch_execz .LBB119_271
; %bb.270:
	scratch_load_b32 v2, off, off offset:144
	v_mov_b32_e32 v3, 0
	scratch_store_b32 off, v3, off offset:144
	s_waitcnt vmcnt(0)
	ds_store_b32 v1, v2
.LBB119_271:
	s_or_b32 exec_lo, exec_lo, s0
	s_waitcnt lgkmcnt(0)
	s_waitcnt_vscnt null, 0x0
	s_barrier
	buffer_gl0_inv
	s_clause 0x4
	scratch_load_b128 v[116:119], off, off offset:144
	scratch_load_b128 v[120:123], off, off offset:160
	;; [unrolled: 1-line block ×5, first 2 shown]
	v_mov_b32_e32 v2, 0
	ds_load_2addr_b32 v[136:137], v2 offset0:93 offset1:94
	ds_load_2addr_b32 v[138:139], v2 offset0:95 offset1:96
	;; [unrolled: 1-line block ×4, first 2 shown]
	s_mov_b32 s0, exec_lo
	s_waitcnt vmcnt(4) lgkmcnt(3)
	v_fma_f32 v3, v117, v136, 0
	s_delay_alu instid0(VALU_DEP_1) | instskip(SKIP_4) | instid1(VALU_DEP_1)
	v_fmac_f32_e32 v3, v118, v137
	ds_load_2addr_b32 v[117:118], v2 offset0:101 offset1:102
	s_waitcnt lgkmcnt(3)
	v_fmac_f32_e32 v3, v119, v138
	s_waitcnt vmcnt(3)
	v_fmac_f32_e32 v3, v120, v139
	ds_load_2addr_b32 v[119:120], v2 offset0:103 offset1:104
	s_waitcnt lgkmcnt(3)
	v_fmac_f32_e32 v3, v121, v140
	s_delay_alu instid0(VALU_DEP_1) | instskip(SKIP_1) | instid1(VALU_DEP_1)
	v_fmac_f32_e32 v3, v122, v141
	s_waitcnt lgkmcnt(2)
	v_fmac_f32_e32 v3, v123, v142
	s_waitcnt vmcnt(2)
	s_delay_alu instid0(VALU_DEP_1) | instskip(SKIP_4) | instid1(VALU_DEP_1)
	v_fmac_f32_e32 v3, v124, v143
	ds_load_2addr_b32 v[121:122], v2 offset0:105 offset1:106
	ds_load_2addr_b32 v[123:124], v2 offset0:107 offset1:108
	s_waitcnt lgkmcnt(3)
	v_fmac_f32_e32 v3, v125, v117
	v_fmac_f32_e32 v3, v126, v118
	ds_load_2addr_b32 v[117:118], v2 offset0:109 offset1:110
	s_waitcnt lgkmcnt(3)
	v_fmac_f32_e32 v3, v127, v119
	ds_load_b32 v119, v2 offset:444
	s_waitcnt vmcnt(1)
	v_fmac_f32_e32 v3, v128, v120
	s_waitcnt lgkmcnt(3)
	s_delay_alu instid0(VALU_DEP_1) | instskip(NEXT) | instid1(VALU_DEP_1)
	v_fmac_f32_e32 v3, v129, v121
	v_fmac_f32_e32 v3, v130, v122
	s_waitcnt lgkmcnt(2)
	s_delay_alu instid0(VALU_DEP_1) | instskip(SKIP_1) | instid1(VALU_DEP_1)
	v_fmac_f32_e32 v3, v131, v123
	s_waitcnt vmcnt(0)
	v_fmac_f32_e32 v3, v132, v124
	s_waitcnt lgkmcnt(1)
	s_delay_alu instid0(VALU_DEP_1) | instskip(NEXT) | instid1(VALU_DEP_1)
	v_fmac_f32_e32 v3, v133, v117
	v_fmac_f32_e32 v3, v134, v118
	s_waitcnt lgkmcnt(0)
	s_delay_alu instid0(VALU_DEP_1) | instskip(NEXT) | instid1(VALU_DEP_1)
	v_fmac_f32_e32 v3, v135, v119
	v_sub_f32_e32 v3, v116, v3
	scratch_store_b32 off, v3, off offset:144
	v_cmpx_lt_u32_e32 35, v0
	s_cbranch_execz .LBB119_273
; %bb.272:
	scratch_load_b32 v3, off, off offset:140
	scratch_store_b32 off, v2, off offset:140
	s_waitcnt vmcnt(0)
	ds_store_b32 v1, v3
.LBB119_273:
	s_or_b32 exec_lo, exec_lo, s0
	s_waitcnt lgkmcnt(0)
	s_waitcnt_vscnt null, 0x0
	s_barrier
	buffer_gl0_inv
	s_clause 0x5
	scratch_load_b128 v[116:119], off, off offset:140
	scratch_load_b128 v[120:123], off, off offset:156
	;; [unrolled: 1-line block ×5, first 2 shown]
	scratch_load_b32 v3, off, off offset:220
	ds_load_b128 v[136:139], v2 offset:368
	ds_load_b128 v[140:143], v2 offset:384
	s_mov_b32 s0, exec_lo
	s_waitcnt vmcnt(5) lgkmcnt(1)
	v_fma_f32 v136, v117, v136, 0
	s_delay_alu instid0(VALU_DEP_1) | instskip(NEXT) | instid1(VALU_DEP_1)
	v_fmac_f32_e32 v136, v118, v137
	v_fmac_f32_e32 v136, v119, v138
	s_waitcnt vmcnt(4)
	s_delay_alu instid0(VALU_DEP_1) | instskip(SKIP_3) | instid1(VALU_DEP_1)
	v_fmac_f32_e32 v136, v120, v139
	ds_load_b128 v[117:120], v2 offset:400
	s_waitcnt lgkmcnt(1)
	v_fmac_f32_e32 v136, v121, v140
	v_fmac_f32_e32 v136, v122, v141
	s_delay_alu instid0(VALU_DEP_1) | instskip(SKIP_1) | instid1(VALU_DEP_1)
	v_fmac_f32_e32 v136, v123, v142
	s_waitcnt vmcnt(3)
	v_fmac_f32_e32 v136, v124, v143
	ds_load_b128 v[121:124], v2 offset:416
	s_waitcnt lgkmcnt(1)
	v_fmac_f32_e32 v136, v125, v117
	s_delay_alu instid0(VALU_DEP_1) | instskip(NEXT) | instid1(VALU_DEP_1)
	v_fmac_f32_e32 v136, v126, v118
	v_fmac_f32_e32 v136, v127, v119
	s_waitcnt vmcnt(2)
	s_delay_alu instid0(VALU_DEP_1) | instskip(SKIP_3) | instid1(VALU_DEP_1)
	v_fmac_f32_e32 v136, v128, v120
	ds_load_b128 v[117:120], v2 offset:432
	s_waitcnt lgkmcnt(1)
	v_fmac_f32_e32 v136, v129, v121
	v_fmac_f32_e32 v136, v130, v122
	s_delay_alu instid0(VALU_DEP_1) | instskip(SKIP_1) | instid1(VALU_DEP_1)
	v_fmac_f32_e32 v136, v131, v123
	s_waitcnt vmcnt(1)
	v_fmac_f32_e32 v136, v132, v124
	s_waitcnt lgkmcnt(0)
	s_delay_alu instid0(VALU_DEP_1) | instskip(NEXT) | instid1(VALU_DEP_1)
	v_fmac_f32_e32 v136, v133, v117
	v_fmac_f32_e32 v136, v134, v118
	s_delay_alu instid0(VALU_DEP_1) | instskip(SKIP_1) | instid1(VALU_DEP_1)
	v_fmac_f32_e32 v136, v135, v119
	s_waitcnt vmcnt(0)
	v_fmac_f32_e32 v136, v3, v120
	s_delay_alu instid0(VALU_DEP_1)
	v_sub_f32_e32 v2, v116, v136
	scratch_store_b32 off, v2, off offset:140
	v_cmpx_lt_u32_e32 34, v0
	s_cbranch_execz .LBB119_275
; %bb.274:
	scratch_load_b32 v2, off, off offset:136
	v_mov_b32_e32 v3, 0
	scratch_store_b32 off, v3, off offset:136
	s_waitcnt vmcnt(0)
	ds_store_b32 v1, v2
.LBB119_275:
	s_or_b32 exec_lo, exec_lo, s0
	s_waitcnt lgkmcnt(0)
	s_waitcnt_vscnt null, 0x0
	s_barrier
	buffer_gl0_inv
	s_clause 0x5
	scratch_load_b128 v[116:119], off, off offset:136
	scratch_load_b128 v[120:123], off, off offset:152
	;; [unrolled: 1-line block ×5, first 2 shown]
	scratch_load_b64 v[136:137], off, off offset:216
	v_mov_b32_e32 v2, 0
	ds_load_2addr_b32 v[138:139], v2 offset0:91 offset1:92
	ds_load_2addr_b32 v[140:141], v2 offset0:93 offset1:94
	;; [unrolled: 1-line block ×4, first 2 shown]
	s_mov_b32 s0, exec_lo
	s_waitcnt vmcnt(5) lgkmcnt(3)
	v_fma_f32 v3, v117, v138, 0
	s_delay_alu instid0(VALU_DEP_1) | instskip(SKIP_4) | instid1(VALU_DEP_1)
	v_fmac_f32_e32 v3, v118, v139
	ds_load_2addr_b32 v[117:118], v2 offset0:99 offset1:100
	s_waitcnt lgkmcnt(3)
	v_fmac_f32_e32 v3, v119, v140
	s_waitcnt vmcnt(4)
	v_fmac_f32_e32 v3, v120, v141
	ds_load_2addr_b32 v[119:120], v2 offset0:101 offset1:102
	s_waitcnt lgkmcnt(3)
	v_fmac_f32_e32 v3, v121, v142
	s_delay_alu instid0(VALU_DEP_1) | instskip(SKIP_1) | instid1(VALU_DEP_1)
	v_fmac_f32_e32 v3, v122, v143
	s_waitcnt lgkmcnt(2)
	v_fmac_f32_e32 v3, v123, v144
	s_waitcnt vmcnt(3)
	s_delay_alu instid0(VALU_DEP_1) | instskip(SKIP_4) | instid1(VALU_DEP_1)
	v_fmac_f32_e32 v3, v124, v145
	ds_load_2addr_b32 v[121:122], v2 offset0:103 offset1:104
	ds_load_2addr_b32 v[123:124], v2 offset0:105 offset1:106
	s_waitcnt lgkmcnt(3)
	v_fmac_f32_e32 v3, v125, v117
	v_fmac_f32_e32 v3, v126, v118
	ds_load_2addr_b32 v[117:118], v2 offset0:107 offset1:108
	s_waitcnt lgkmcnt(3)
	v_fmac_f32_e32 v3, v127, v119
	s_waitcnt vmcnt(2)
	s_delay_alu instid0(VALU_DEP_1)
	v_fmac_f32_e32 v3, v128, v120
	ds_load_2addr_b32 v[119:120], v2 offset0:109 offset1:110
	s_waitcnt lgkmcnt(3)
	v_fmac_f32_e32 v3, v129, v121
	ds_load_b32 v121, v2 offset:444
	v_fmac_f32_e32 v3, v130, v122
	s_waitcnt lgkmcnt(3)
	s_delay_alu instid0(VALU_DEP_1) | instskip(SKIP_1) | instid1(VALU_DEP_1)
	v_fmac_f32_e32 v3, v131, v123
	s_waitcnt vmcnt(1)
	v_fmac_f32_e32 v3, v132, v124
	s_waitcnt lgkmcnt(2)
	s_delay_alu instid0(VALU_DEP_1) | instskip(NEXT) | instid1(VALU_DEP_1)
	v_fmac_f32_e32 v3, v133, v117
	v_fmac_f32_e32 v3, v134, v118
	s_waitcnt lgkmcnt(1)
	s_delay_alu instid0(VALU_DEP_1) | instskip(SKIP_1) | instid1(VALU_DEP_1)
	v_fmac_f32_e32 v3, v135, v119
	s_waitcnt vmcnt(0)
	v_fmac_f32_e32 v3, v136, v120
	s_waitcnt lgkmcnt(0)
	s_delay_alu instid0(VALU_DEP_1) | instskip(NEXT) | instid1(VALU_DEP_1)
	v_fmac_f32_e32 v3, v137, v121
	v_sub_f32_e32 v3, v116, v3
	scratch_store_b32 off, v3, off offset:136
	v_cmpx_lt_u32_e32 33, v0
	s_cbranch_execz .LBB119_277
; %bb.276:
	scratch_load_b32 v3, off, off offset:132
	scratch_store_b32 off, v2, off offset:132
	s_waitcnt vmcnt(0)
	ds_store_b32 v1, v3
.LBB119_277:
	s_or_b32 exec_lo, exec_lo, s0
	s_waitcnt lgkmcnt(0)
	s_waitcnt_vscnt null, 0x0
	s_barrier
	buffer_gl0_inv
	s_clause 0x5
	scratch_load_b128 v[116:119], off, off offset:132
	scratch_load_b128 v[120:123], off, off offset:148
	;; [unrolled: 1-line block ×5, first 2 shown]
	scratch_load_b96 v[144:146], off, off offset:212
	ds_load_2addr_b64 v[136:139], v2 offset0:45 offset1:46
	ds_load_2addr_b64 v[140:143], v2 offset0:47 offset1:48
	s_mov_b32 s0, exec_lo
	s_waitcnt vmcnt(5) lgkmcnt(1)
	v_fma_f32 v136, v117, v136, 0
	s_delay_alu instid0(VALU_DEP_1) | instskip(NEXT) | instid1(VALU_DEP_1)
	v_fmac_f32_e32 v136, v118, v137
	v_fmac_f32_e32 v136, v119, v138
	s_waitcnt vmcnt(4)
	s_delay_alu instid0(VALU_DEP_1) | instskip(SKIP_3) | instid1(VALU_DEP_1)
	v_fmac_f32_e32 v136, v120, v139
	ds_load_2addr_b64 v[117:120], v2 offset0:49 offset1:50
	s_waitcnt lgkmcnt(1)
	v_fmac_f32_e32 v136, v121, v140
	v_fmac_f32_e32 v136, v122, v141
	s_delay_alu instid0(VALU_DEP_1) | instskip(SKIP_1) | instid1(VALU_DEP_1)
	v_fmac_f32_e32 v136, v123, v142
	s_waitcnt vmcnt(3)
	v_fmac_f32_e32 v136, v124, v143
	ds_load_2addr_b64 v[121:124], v2 offset0:51 offset1:52
	s_waitcnt lgkmcnt(1)
	v_fmac_f32_e32 v136, v125, v117
	s_delay_alu instid0(VALU_DEP_1) | instskip(NEXT) | instid1(VALU_DEP_1)
	v_fmac_f32_e32 v136, v126, v118
	v_fmac_f32_e32 v136, v127, v119
	s_waitcnt vmcnt(2)
	s_delay_alu instid0(VALU_DEP_1) | instskip(SKIP_4) | instid1(VALU_DEP_1)
	v_fmac_f32_e32 v136, v128, v120
	ds_load_2addr_b64 v[117:120], v2 offset0:53 offset1:54
	ds_load_b64 v[2:3], v2 offset:440
	s_waitcnt lgkmcnt(2)
	v_fmac_f32_e32 v136, v129, v121
	v_fmac_f32_e32 v136, v130, v122
	s_delay_alu instid0(VALU_DEP_1) | instskip(SKIP_1) | instid1(VALU_DEP_1)
	v_fmac_f32_e32 v136, v131, v123
	s_waitcnt vmcnt(1)
	v_fmac_f32_e32 v136, v132, v124
	s_waitcnt lgkmcnt(1)
	s_delay_alu instid0(VALU_DEP_1) | instskip(NEXT) | instid1(VALU_DEP_1)
	v_fmac_f32_e32 v136, v133, v117
	v_fmac_f32_e32 v136, v134, v118
	s_delay_alu instid0(VALU_DEP_1) | instskip(SKIP_1) | instid1(VALU_DEP_1)
	v_fmac_f32_e32 v136, v135, v119
	s_waitcnt vmcnt(0)
	v_fmac_f32_e32 v136, v144, v120
	s_waitcnt lgkmcnt(0)
	s_delay_alu instid0(VALU_DEP_1) | instskip(NEXT) | instid1(VALU_DEP_1)
	v_fmac_f32_e32 v136, v145, v2
	v_fmac_f32_e32 v136, v146, v3
	s_delay_alu instid0(VALU_DEP_1)
	v_sub_f32_e32 v2, v116, v136
	scratch_store_b32 off, v2, off offset:132
	v_cmpx_lt_u32_e32 32, v0
	s_cbranch_execz .LBB119_279
; %bb.278:
	scratch_load_b32 v2, off, off offset:128
	v_mov_b32_e32 v3, 0
	scratch_store_b32 off, v3, off offset:128
	s_waitcnt vmcnt(0)
	ds_store_b32 v1, v2
.LBB119_279:
	s_or_b32 exec_lo, exec_lo, s0
	s_waitcnt lgkmcnt(0)
	s_waitcnt_vscnt null, 0x0
	s_barrier
	buffer_gl0_inv
	s_clause 0x5
	scratch_load_b128 v[116:119], off, off offset:128
	scratch_load_b128 v[120:123], off, off offset:144
	;; [unrolled: 1-line block ×6, first 2 shown]
	v_mov_b32_e32 v2, 0
	ds_load_2addr_b32 v[140:141], v2 offset0:89 offset1:90
	ds_load_2addr_b32 v[142:143], v2 offset0:91 offset1:92
	ds_load_2addr_b32 v[144:145], v2 offset0:93 offset1:94
	ds_load_2addr_b32 v[146:147], v2 offset0:95 offset1:96
	s_mov_b32 s0, exec_lo
	s_waitcnt vmcnt(5) lgkmcnt(3)
	v_fma_f32 v3, v117, v140, 0
	s_delay_alu instid0(VALU_DEP_1) | instskip(SKIP_4) | instid1(VALU_DEP_1)
	v_fmac_f32_e32 v3, v118, v141
	ds_load_2addr_b32 v[117:118], v2 offset0:97 offset1:98
	s_waitcnt lgkmcnt(3)
	v_fmac_f32_e32 v3, v119, v142
	s_waitcnt vmcnt(4)
	v_fmac_f32_e32 v3, v120, v143
	ds_load_2addr_b32 v[119:120], v2 offset0:99 offset1:100
	s_waitcnt lgkmcnt(3)
	v_fmac_f32_e32 v3, v121, v144
	s_delay_alu instid0(VALU_DEP_1) | instskip(SKIP_1) | instid1(VALU_DEP_1)
	v_fmac_f32_e32 v3, v122, v145
	s_waitcnt lgkmcnt(2)
	v_fmac_f32_e32 v3, v123, v146
	s_waitcnt vmcnt(3)
	s_delay_alu instid0(VALU_DEP_1) | instskip(SKIP_4) | instid1(VALU_DEP_1)
	v_fmac_f32_e32 v3, v124, v147
	ds_load_2addr_b32 v[121:122], v2 offset0:101 offset1:102
	ds_load_2addr_b32 v[123:124], v2 offset0:103 offset1:104
	s_waitcnt lgkmcnt(3)
	v_fmac_f32_e32 v3, v125, v117
	v_fmac_f32_e32 v3, v126, v118
	ds_load_2addr_b32 v[117:118], v2 offset0:105 offset1:106
	s_waitcnt lgkmcnt(3)
	v_fmac_f32_e32 v3, v127, v119
	s_waitcnt vmcnt(2)
	s_delay_alu instid0(VALU_DEP_1) | instskip(SKIP_3) | instid1(VALU_DEP_1)
	v_fmac_f32_e32 v3, v128, v120
	ds_load_2addr_b32 v[119:120], v2 offset0:107 offset1:108
	s_waitcnt lgkmcnt(3)
	v_fmac_f32_e32 v3, v129, v121
	v_fmac_f32_e32 v3, v130, v122
	s_waitcnt lgkmcnt(2)
	s_delay_alu instid0(VALU_DEP_1)
	v_fmac_f32_e32 v3, v131, v123
	ds_load_2addr_b32 v[121:122], v2 offset0:109 offset1:110
	ds_load_b32 v123, v2 offset:444
	s_waitcnt vmcnt(1)
	v_fmac_f32_e32 v3, v132, v124
	s_waitcnt lgkmcnt(3)
	s_delay_alu instid0(VALU_DEP_1) | instskip(NEXT) | instid1(VALU_DEP_1)
	v_fmac_f32_e32 v3, v133, v117
	v_fmac_f32_e32 v3, v134, v118
	s_waitcnt lgkmcnt(2)
	s_delay_alu instid0(VALU_DEP_1) | instskip(SKIP_1) | instid1(VALU_DEP_1)
	v_fmac_f32_e32 v3, v135, v119
	s_waitcnt vmcnt(0)
	v_fmac_f32_e32 v3, v136, v120
	s_waitcnt lgkmcnt(1)
	s_delay_alu instid0(VALU_DEP_1) | instskip(NEXT) | instid1(VALU_DEP_1)
	v_fmac_f32_e32 v3, v137, v121
	v_fmac_f32_e32 v3, v138, v122
	s_waitcnt lgkmcnt(0)
	s_delay_alu instid0(VALU_DEP_1) | instskip(NEXT) | instid1(VALU_DEP_1)
	v_fmac_f32_e32 v3, v139, v123
	v_sub_f32_e32 v3, v116, v3
	scratch_store_b32 off, v3, off offset:128
	v_cmpx_lt_u32_e32 31, v0
	s_cbranch_execz .LBB119_281
; %bb.280:
	scratch_load_b32 v3, off, off offset:124
	scratch_store_b32 off, v2, off offset:124
	s_waitcnt vmcnt(0)
	ds_store_b32 v1, v3
.LBB119_281:
	s_or_b32 exec_lo, exec_lo, s0
	s_waitcnt lgkmcnt(0)
	s_waitcnt_vscnt null, 0x0
	s_barrier
	buffer_gl0_inv
	s_clause 0x6
	scratch_load_b128 v[116:119], off, off offset:124
	scratch_load_b128 v[120:123], off, off offset:140
	;; [unrolled: 1-line block ×6, first 2 shown]
	scratch_load_b32 v3, off, off offset:220
	ds_load_b128 v[140:143], v2 offset:352
	ds_load_b128 v[144:147], v2 offset:368
	s_mov_b32 s0, exec_lo
	s_waitcnt vmcnt(6) lgkmcnt(1)
	v_fma_f32 v140, v117, v140, 0
	s_delay_alu instid0(VALU_DEP_1) | instskip(NEXT) | instid1(VALU_DEP_1)
	v_fmac_f32_e32 v140, v118, v141
	v_fmac_f32_e32 v140, v119, v142
	s_waitcnt vmcnt(5)
	s_delay_alu instid0(VALU_DEP_1) | instskip(SKIP_3) | instid1(VALU_DEP_1)
	v_fmac_f32_e32 v140, v120, v143
	ds_load_b128 v[117:120], v2 offset:384
	s_waitcnt lgkmcnt(1)
	v_fmac_f32_e32 v140, v121, v144
	v_fmac_f32_e32 v140, v122, v145
	s_delay_alu instid0(VALU_DEP_1) | instskip(SKIP_1) | instid1(VALU_DEP_1)
	v_fmac_f32_e32 v140, v123, v146
	s_waitcnt vmcnt(4)
	v_fmac_f32_e32 v140, v124, v147
	ds_load_b128 v[121:124], v2 offset:400
	s_waitcnt lgkmcnt(1)
	v_fmac_f32_e32 v140, v125, v117
	s_delay_alu instid0(VALU_DEP_1) | instskip(NEXT) | instid1(VALU_DEP_1)
	v_fmac_f32_e32 v140, v126, v118
	v_fmac_f32_e32 v140, v127, v119
	s_waitcnt vmcnt(3)
	s_delay_alu instid0(VALU_DEP_1) | instskip(SKIP_3) | instid1(VALU_DEP_1)
	v_fmac_f32_e32 v140, v128, v120
	ds_load_b128 v[117:120], v2 offset:416
	s_waitcnt lgkmcnt(1)
	v_fmac_f32_e32 v140, v129, v121
	v_fmac_f32_e32 v140, v130, v122
	s_delay_alu instid0(VALU_DEP_1) | instskip(SKIP_1) | instid1(VALU_DEP_1)
	v_fmac_f32_e32 v140, v131, v123
	s_waitcnt vmcnt(2)
	v_fmac_f32_e32 v140, v132, v124
	ds_load_b128 v[121:124], v2 offset:432
	s_waitcnt lgkmcnt(1)
	v_fmac_f32_e32 v140, v133, v117
	s_delay_alu instid0(VALU_DEP_1) | instskip(NEXT) | instid1(VALU_DEP_1)
	v_fmac_f32_e32 v140, v134, v118
	v_fmac_f32_e32 v140, v135, v119
	s_waitcnt vmcnt(1)
	s_delay_alu instid0(VALU_DEP_1) | instskip(SKIP_1) | instid1(VALU_DEP_1)
	v_fmac_f32_e32 v140, v136, v120
	s_waitcnt lgkmcnt(0)
	v_fmac_f32_e32 v140, v137, v121
	s_delay_alu instid0(VALU_DEP_1) | instskip(NEXT) | instid1(VALU_DEP_1)
	v_fmac_f32_e32 v140, v138, v122
	v_fmac_f32_e32 v140, v139, v123
	s_waitcnt vmcnt(0)
	s_delay_alu instid0(VALU_DEP_1) | instskip(NEXT) | instid1(VALU_DEP_1)
	v_fmac_f32_e32 v140, v3, v124
	v_sub_f32_e32 v2, v116, v140
	scratch_store_b32 off, v2, off offset:124
	v_cmpx_lt_u32_e32 30, v0
	s_cbranch_execz .LBB119_283
; %bb.282:
	scratch_load_b32 v2, off, off offset:120
	v_mov_b32_e32 v3, 0
	scratch_store_b32 off, v3, off offset:120
	s_waitcnt vmcnt(0)
	ds_store_b32 v1, v2
.LBB119_283:
	s_or_b32 exec_lo, exec_lo, s0
	s_waitcnt lgkmcnt(0)
	s_waitcnt_vscnt null, 0x0
	s_barrier
	buffer_gl0_inv
	s_clause 0x6
	scratch_load_b128 v[116:119], off, off offset:120
	scratch_load_b128 v[120:123], off, off offset:136
	;; [unrolled: 1-line block ×6, first 2 shown]
	scratch_load_b64 v[140:141], off, off offset:216
	v_mov_b32_e32 v2, 0
	ds_load_2addr_b32 v[142:143], v2 offset0:87 offset1:88
	ds_load_2addr_b32 v[144:145], v2 offset0:89 offset1:90
	;; [unrolled: 1-line block ×4, first 2 shown]
	s_mov_b32 s0, exec_lo
	s_waitcnt vmcnt(6) lgkmcnt(3)
	v_fma_f32 v3, v117, v142, 0
	s_delay_alu instid0(VALU_DEP_1) | instskip(SKIP_4) | instid1(VALU_DEP_1)
	v_fmac_f32_e32 v3, v118, v143
	ds_load_2addr_b32 v[117:118], v2 offset0:95 offset1:96
	s_waitcnt lgkmcnt(3)
	v_fmac_f32_e32 v3, v119, v144
	s_waitcnt vmcnt(5)
	v_fmac_f32_e32 v3, v120, v145
	ds_load_2addr_b32 v[119:120], v2 offset0:97 offset1:98
	s_waitcnt lgkmcnt(3)
	v_fmac_f32_e32 v3, v121, v146
	s_delay_alu instid0(VALU_DEP_1) | instskip(SKIP_1) | instid1(VALU_DEP_1)
	v_fmac_f32_e32 v3, v122, v147
	s_waitcnt lgkmcnt(2)
	v_fmac_f32_e32 v3, v123, v148
	s_waitcnt vmcnt(4)
	s_delay_alu instid0(VALU_DEP_1) | instskip(SKIP_4) | instid1(VALU_DEP_1)
	v_fmac_f32_e32 v3, v124, v149
	ds_load_2addr_b32 v[121:122], v2 offset0:99 offset1:100
	ds_load_2addr_b32 v[123:124], v2 offset0:101 offset1:102
	s_waitcnt lgkmcnt(3)
	v_fmac_f32_e32 v3, v125, v117
	v_fmac_f32_e32 v3, v126, v118
	ds_load_2addr_b32 v[117:118], v2 offset0:103 offset1:104
	s_waitcnt lgkmcnt(3)
	v_fmac_f32_e32 v3, v127, v119
	s_waitcnt vmcnt(3)
	s_delay_alu instid0(VALU_DEP_1) | instskip(SKIP_3) | instid1(VALU_DEP_1)
	v_fmac_f32_e32 v3, v128, v120
	ds_load_2addr_b32 v[119:120], v2 offset0:105 offset1:106
	s_waitcnt lgkmcnt(3)
	v_fmac_f32_e32 v3, v129, v121
	v_fmac_f32_e32 v3, v130, v122
	s_waitcnt lgkmcnt(2)
	s_delay_alu instid0(VALU_DEP_1) | instskip(SKIP_1) | instid1(VALU_DEP_1)
	v_fmac_f32_e32 v3, v131, v123
	s_waitcnt vmcnt(2)
	v_fmac_f32_e32 v3, v132, v124
	ds_load_2addr_b32 v[121:122], v2 offset0:107 offset1:108
	ds_load_2addr_b32 v[123:124], v2 offset0:109 offset1:110
	s_waitcnt lgkmcnt(3)
	v_fmac_f32_e32 v3, v133, v117
	ds_load_b32 v117, v2 offset:444
	v_fmac_f32_e32 v3, v134, v118
	s_waitcnt lgkmcnt(3)
	s_delay_alu instid0(VALU_DEP_1) | instskip(SKIP_1) | instid1(VALU_DEP_1)
	v_fmac_f32_e32 v3, v135, v119
	s_waitcnt vmcnt(1)
	v_fmac_f32_e32 v3, v136, v120
	s_waitcnt lgkmcnt(2)
	s_delay_alu instid0(VALU_DEP_1) | instskip(NEXT) | instid1(VALU_DEP_1)
	v_fmac_f32_e32 v3, v137, v121
	v_fmac_f32_e32 v3, v138, v122
	s_waitcnt lgkmcnt(1)
	s_delay_alu instid0(VALU_DEP_1) | instskip(SKIP_1) | instid1(VALU_DEP_1)
	v_fmac_f32_e32 v3, v139, v123
	s_waitcnt vmcnt(0)
	v_fmac_f32_e32 v3, v140, v124
	s_waitcnt lgkmcnt(0)
	s_delay_alu instid0(VALU_DEP_1) | instskip(NEXT) | instid1(VALU_DEP_1)
	v_fmac_f32_e32 v3, v141, v117
	v_sub_f32_e32 v3, v116, v3
	scratch_store_b32 off, v3, off offset:120
	v_cmpx_lt_u32_e32 29, v0
	s_cbranch_execz .LBB119_285
; %bb.284:
	scratch_load_b32 v3, off, off offset:116
	scratch_store_b32 off, v2, off offset:116
	s_waitcnt vmcnt(0)
	ds_store_b32 v1, v3
.LBB119_285:
	s_or_b32 exec_lo, exec_lo, s0
	s_waitcnt lgkmcnt(0)
	s_waitcnt_vscnt null, 0x0
	s_barrier
	buffer_gl0_inv
	s_clause 0x6
	scratch_load_b128 v[116:119], off, off offset:116
	scratch_load_b128 v[120:123], off, off offset:132
	;; [unrolled: 1-line block ×6, first 2 shown]
	scratch_load_b96 v[148:150], off, off offset:212
	ds_load_2addr_b64 v[140:143], v2 offset0:43 offset1:44
	ds_load_2addr_b64 v[144:147], v2 offset0:45 offset1:46
	s_mov_b32 s0, exec_lo
	s_waitcnt vmcnt(6) lgkmcnt(1)
	v_fma_f32 v140, v117, v140, 0
	s_delay_alu instid0(VALU_DEP_1) | instskip(NEXT) | instid1(VALU_DEP_1)
	v_fmac_f32_e32 v140, v118, v141
	v_fmac_f32_e32 v140, v119, v142
	s_waitcnt vmcnt(5)
	s_delay_alu instid0(VALU_DEP_1) | instskip(SKIP_3) | instid1(VALU_DEP_1)
	v_fmac_f32_e32 v140, v120, v143
	ds_load_2addr_b64 v[117:120], v2 offset0:47 offset1:48
	s_waitcnt lgkmcnt(1)
	v_fmac_f32_e32 v140, v121, v144
	v_fmac_f32_e32 v140, v122, v145
	s_delay_alu instid0(VALU_DEP_1) | instskip(SKIP_1) | instid1(VALU_DEP_1)
	v_fmac_f32_e32 v140, v123, v146
	s_waitcnt vmcnt(4)
	v_fmac_f32_e32 v140, v124, v147
	ds_load_2addr_b64 v[121:124], v2 offset0:49 offset1:50
	s_waitcnt lgkmcnt(1)
	v_fmac_f32_e32 v140, v125, v117
	s_delay_alu instid0(VALU_DEP_1) | instskip(NEXT) | instid1(VALU_DEP_1)
	v_fmac_f32_e32 v140, v126, v118
	v_fmac_f32_e32 v140, v127, v119
	s_waitcnt vmcnt(3)
	s_delay_alu instid0(VALU_DEP_1) | instskip(SKIP_3) | instid1(VALU_DEP_1)
	v_fmac_f32_e32 v140, v128, v120
	ds_load_2addr_b64 v[117:120], v2 offset0:51 offset1:52
	s_waitcnt lgkmcnt(1)
	v_fmac_f32_e32 v140, v129, v121
	v_fmac_f32_e32 v140, v130, v122
	s_delay_alu instid0(VALU_DEP_1) | instskip(SKIP_1) | instid1(VALU_DEP_1)
	v_fmac_f32_e32 v140, v131, v123
	s_waitcnt vmcnt(2)
	v_fmac_f32_e32 v140, v132, v124
	ds_load_2addr_b64 v[121:124], v2 offset0:53 offset1:54
	ds_load_b64 v[2:3], v2 offset:440
	s_waitcnt lgkmcnt(2)
	v_fmac_f32_e32 v140, v133, v117
	s_delay_alu instid0(VALU_DEP_1) | instskip(NEXT) | instid1(VALU_DEP_1)
	v_fmac_f32_e32 v140, v134, v118
	v_fmac_f32_e32 v140, v135, v119
	s_waitcnt vmcnt(1)
	s_delay_alu instid0(VALU_DEP_1) | instskip(SKIP_1) | instid1(VALU_DEP_1)
	v_fmac_f32_e32 v140, v136, v120
	s_waitcnt lgkmcnt(1)
	v_fmac_f32_e32 v140, v137, v121
	s_delay_alu instid0(VALU_DEP_1) | instskip(NEXT) | instid1(VALU_DEP_1)
	v_fmac_f32_e32 v140, v138, v122
	v_fmac_f32_e32 v140, v139, v123
	s_waitcnt vmcnt(0)
	s_delay_alu instid0(VALU_DEP_1) | instskip(SKIP_1) | instid1(VALU_DEP_1)
	v_fmac_f32_e32 v140, v148, v124
	s_waitcnt lgkmcnt(0)
	v_fmac_f32_e32 v140, v149, v2
	s_delay_alu instid0(VALU_DEP_1) | instskip(NEXT) | instid1(VALU_DEP_1)
	v_fmac_f32_e32 v140, v150, v3
	v_sub_f32_e32 v2, v116, v140
	scratch_store_b32 off, v2, off offset:116
	v_cmpx_lt_u32_e32 28, v0
	s_cbranch_execz .LBB119_287
; %bb.286:
	scratch_load_b32 v2, off, off offset:112
	v_mov_b32_e32 v3, 0
	scratch_store_b32 off, v3, off offset:112
	s_waitcnt vmcnt(0)
	ds_store_b32 v1, v2
.LBB119_287:
	s_or_b32 exec_lo, exec_lo, s0
	s_waitcnt lgkmcnt(0)
	s_waitcnt_vscnt null, 0x0
	s_barrier
	buffer_gl0_inv
	s_clause 0x6
	scratch_load_b128 v[116:119], off, off offset:112
	scratch_load_b128 v[120:123], off, off offset:128
	;; [unrolled: 1-line block ×7, first 2 shown]
	v_mov_b32_e32 v2, 0
	ds_load_2addr_b32 v[144:145], v2 offset0:85 offset1:86
	ds_load_2addr_b32 v[146:147], v2 offset0:87 offset1:88
	;; [unrolled: 1-line block ×4, first 2 shown]
	s_mov_b32 s0, exec_lo
	s_waitcnt vmcnt(6) lgkmcnt(3)
	v_fma_f32 v3, v117, v144, 0
	s_delay_alu instid0(VALU_DEP_1) | instskip(SKIP_4) | instid1(VALU_DEP_1)
	v_fmac_f32_e32 v3, v118, v145
	ds_load_2addr_b32 v[117:118], v2 offset0:93 offset1:94
	s_waitcnt lgkmcnt(3)
	v_fmac_f32_e32 v3, v119, v146
	s_waitcnt vmcnt(5)
	v_fmac_f32_e32 v3, v120, v147
	ds_load_2addr_b32 v[119:120], v2 offset0:95 offset1:96
	s_waitcnt lgkmcnt(3)
	v_fmac_f32_e32 v3, v121, v148
	s_delay_alu instid0(VALU_DEP_1) | instskip(SKIP_1) | instid1(VALU_DEP_1)
	v_fmac_f32_e32 v3, v122, v149
	s_waitcnt lgkmcnt(2)
	v_fmac_f32_e32 v3, v123, v150
	s_waitcnt vmcnt(4)
	s_delay_alu instid0(VALU_DEP_1) | instskip(SKIP_4) | instid1(VALU_DEP_1)
	v_fmac_f32_e32 v3, v124, v151
	ds_load_2addr_b32 v[121:122], v2 offset0:97 offset1:98
	ds_load_2addr_b32 v[123:124], v2 offset0:99 offset1:100
	s_waitcnt lgkmcnt(3)
	v_fmac_f32_e32 v3, v125, v117
	v_fmac_f32_e32 v3, v126, v118
	ds_load_2addr_b32 v[117:118], v2 offset0:101 offset1:102
	s_waitcnt lgkmcnt(3)
	v_fmac_f32_e32 v3, v127, v119
	s_waitcnt vmcnt(3)
	s_delay_alu instid0(VALU_DEP_1) | instskip(SKIP_3) | instid1(VALU_DEP_1)
	v_fmac_f32_e32 v3, v128, v120
	ds_load_2addr_b32 v[119:120], v2 offset0:103 offset1:104
	s_waitcnt lgkmcnt(3)
	v_fmac_f32_e32 v3, v129, v121
	v_fmac_f32_e32 v3, v130, v122
	s_waitcnt lgkmcnt(2)
	s_delay_alu instid0(VALU_DEP_1) | instskip(SKIP_1) | instid1(VALU_DEP_1)
	v_fmac_f32_e32 v3, v131, v123
	s_waitcnt vmcnt(2)
	v_fmac_f32_e32 v3, v132, v124
	ds_load_2addr_b32 v[121:122], v2 offset0:105 offset1:106
	ds_load_2addr_b32 v[123:124], v2 offset0:107 offset1:108
	s_waitcnt lgkmcnt(3)
	v_fmac_f32_e32 v3, v133, v117
	s_delay_alu instid0(VALU_DEP_1)
	v_fmac_f32_e32 v3, v134, v118
	ds_load_2addr_b32 v[117:118], v2 offset0:109 offset1:110
	s_waitcnt lgkmcnt(3)
	v_fmac_f32_e32 v3, v135, v119
	ds_load_b32 v119, v2 offset:444
	s_waitcnt vmcnt(1)
	v_fmac_f32_e32 v3, v136, v120
	s_waitcnt lgkmcnt(3)
	s_delay_alu instid0(VALU_DEP_1) | instskip(NEXT) | instid1(VALU_DEP_1)
	v_fmac_f32_e32 v3, v137, v121
	v_fmac_f32_e32 v3, v138, v122
	s_waitcnt lgkmcnt(2)
	s_delay_alu instid0(VALU_DEP_1) | instskip(SKIP_1) | instid1(VALU_DEP_1)
	v_fmac_f32_e32 v3, v139, v123
	s_waitcnt vmcnt(0)
	v_fmac_f32_e32 v3, v140, v124
	s_waitcnt lgkmcnt(1)
	s_delay_alu instid0(VALU_DEP_1) | instskip(NEXT) | instid1(VALU_DEP_1)
	v_fmac_f32_e32 v3, v141, v117
	v_fmac_f32_e32 v3, v142, v118
	s_waitcnt lgkmcnt(0)
	s_delay_alu instid0(VALU_DEP_1) | instskip(NEXT) | instid1(VALU_DEP_1)
	v_fmac_f32_e32 v3, v143, v119
	v_sub_f32_e32 v3, v116, v3
	scratch_store_b32 off, v3, off offset:112
	v_cmpx_lt_u32_e32 27, v0
	s_cbranch_execz .LBB119_289
; %bb.288:
	scratch_load_b32 v3, off, off offset:108
	scratch_store_b32 off, v2, off offset:108
	s_waitcnt vmcnt(0)
	ds_store_b32 v1, v3
.LBB119_289:
	s_or_b32 exec_lo, exec_lo, s0
	s_waitcnt lgkmcnt(0)
	s_waitcnt_vscnt null, 0x0
	s_barrier
	buffer_gl0_inv
	s_clause 0x7
	scratch_load_b128 v[116:119], off, off offset:108
	scratch_load_b128 v[120:123], off, off offset:124
	;; [unrolled: 1-line block ×7, first 2 shown]
	scratch_load_b32 v3, off, off offset:220
	ds_load_b128 v[144:147], v2 offset:336
	ds_load_b128 v[148:151], v2 offset:352
	s_mov_b32 s0, exec_lo
	s_waitcnt vmcnt(7) lgkmcnt(1)
	v_fma_f32 v144, v117, v144, 0
	s_delay_alu instid0(VALU_DEP_1) | instskip(NEXT) | instid1(VALU_DEP_1)
	v_fmac_f32_e32 v144, v118, v145
	v_fmac_f32_e32 v144, v119, v146
	s_waitcnt vmcnt(6)
	s_delay_alu instid0(VALU_DEP_1) | instskip(SKIP_3) | instid1(VALU_DEP_1)
	v_fmac_f32_e32 v144, v120, v147
	ds_load_b128 v[117:120], v2 offset:368
	s_waitcnt lgkmcnt(1)
	v_fmac_f32_e32 v144, v121, v148
	v_fmac_f32_e32 v144, v122, v149
	s_delay_alu instid0(VALU_DEP_1) | instskip(SKIP_1) | instid1(VALU_DEP_1)
	v_fmac_f32_e32 v144, v123, v150
	s_waitcnt vmcnt(5)
	v_fmac_f32_e32 v144, v124, v151
	ds_load_b128 v[121:124], v2 offset:384
	s_waitcnt lgkmcnt(1)
	v_fmac_f32_e32 v144, v125, v117
	s_delay_alu instid0(VALU_DEP_1) | instskip(NEXT) | instid1(VALU_DEP_1)
	v_fmac_f32_e32 v144, v126, v118
	v_fmac_f32_e32 v144, v127, v119
	s_waitcnt vmcnt(4)
	s_delay_alu instid0(VALU_DEP_1) | instskip(SKIP_3) | instid1(VALU_DEP_1)
	v_fmac_f32_e32 v144, v128, v120
	ds_load_b128 v[117:120], v2 offset:400
	s_waitcnt lgkmcnt(1)
	v_fmac_f32_e32 v144, v129, v121
	v_fmac_f32_e32 v144, v130, v122
	s_delay_alu instid0(VALU_DEP_1) | instskip(SKIP_1) | instid1(VALU_DEP_1)
	v_fmac_f32_e32 v144, v131, v123
	s_waitcnt vmcnt(3)
	v_fmac_f32_e32 v144, v132, v124
	ds_load_b128 v[121:124], v2 offset:416
	s_waitcnt lgkmcnt(1)
	v_fmac_f32_e32 v144, v133, v117
	s_delay_alu instid0(VALU_DEP_1) | instskip(NEXT) | instid1(VALU_DEP_1)
	v_fmac_f32_e32 v144, v134, v118
	v_fmac_f32_e32 v144, v135, v119
	s_waitcnt vmcnt(2)
	s_delay_alu instid0(VALU_DEP_1) | instskip(SKIP_3) | instid1(VALU_DEP_1)
	v_fmac_f32_e32 v144, v136, v120
	ds_load_b128 v[117:120], v2 offset:432
	s_waitcnt lgkmcnt(1)
	v_fmac_f32_e32 v144, v137, v121
	v_fmac_f32_e32 v144, v138, v122
	s_delay_alu instid0(VALU_DEP_1) | instskip(SKIP_1) | instid1(VALU_DEP_1)
	v_fmac_f32_e32 v144, v139, v123
	s_waitcnt vmcnt(1)
	v_fmac_f32_e32 v144, v140, v124
	s_waitcnt lgkmcnt(0)
	s_delay_alu instid0(VALU_DEP_1) | instskip(NEXT) | instid1(VALU_DEP_1)
	v_fmac_f32_e32 v144, v141, v117
	v_fmac_f32_e32 v144, v142, v118
	s_delay_alu instid0(VALU_DEP_1) | instskip(SKIP_1) | instid1(VALU_DEP_1)
	v_fmac_f32_e32 v144, v143, v119
	s_waitcnt vmcnt(0)
	v_fmac_f32_e32 v144, v3, v120
	s_delay_alu instid0(VALU_DEP_1)
	v_sub_f32_e32 v2, v116, v144
	scratch_store_b32 off, v2, off offset:108
	v_cmpx_lt_u32_e32 26, v0
	s_cbranch_execz .LBB119_291
; %bb.290:
	scratch_load_b32 v2, off, off offset:104
	v_mov_b32_e32 v3, 0
	scratch_store_b32 off, v3, off offset:104
	s_waitcnt vmcnt(0)
	ds_store_b32 v1, v2
.LBB119_291:
	s_or_b32 exec_lo, exec_lo, s0
	s_waitcnt lgkmcnt(0)
	s_waitcnt_vscnt null, 0x0
	s_barrier
	buffer_gl0_inv
	s_clause 0x7
	scratch_load_b128 v[116:119], off, off offset:104
	scratch_load_b128 v[120:123], off, off offset:120
	;; [unrolled: 1-line block ×7, first 2 shown]
	scratch_load_b64 v[144:145], off, off offset:216
	v_mov_b32_e32 v2, 0
	ds_load_2addr_b32 v[146:147], v2 offset0:83 offset1:84
	ds_load_2addr_b32 v[148:149], v2 offset0:85 offset1:86
	;; [unrolled: 1-line block ×4, first 2 shown]
	s_mov_b32 s0, exec_lo
	s_waitcnt vmcnt(7) lgkmcnt(3)
	v_fma_f32 v3, v117, v146, 0
	s_delay_alu instid0(VALU_DEP_1) | instskip(SKIP_4) | instid1(VALU_DEP_1)
	v_fmac_f32_e32 v3, v118, v147
	ds_load_2addr_b32 v[117:118], v2 offset0:91 offset1:92
	s_waitcnt lgkmcnt(3)
	v_fmac_f32_e32 v3, v119, v148
	s_waitcnt vmcnt(6)
	v_fmac_f32_e32 v3, v120, v149
	ds_load_2addr_b32 v[119:120], v2 offset0:93 offset1:94
	s_waitcnt lgkmcnt(3)
	v_fmac_f32_e32 v3, v121, v150
	s_delay_alu instid0(VALU_DEP_1) | instskip(SKIP_1) | instid1(VALU_DEP_1)
	v_fmac_f32_e32 v3, v122, v151
	s_waitcnt lgkmcnt(2)
	v_fmac_f32_e32 v3, v123, v152
	s_waitcnt vmcnt(5)
	s_delay_alu instid0(VALU_DEP_1) | instskip(SKIP_4) | instid1(VALU_DEP_1)
	v_fmac_f32_e32 v3, v124, v153
	ds_load_2addr_b32 v[121:122], v2 offset0:95 offset1:96
	ds_load_2addr_b32 v[123:124], v2 offset0:97 offset1:98
	s_waitcnt lgkmcnt(3)
	v_fmac_f32_e32 v3, v125, v117
	v_fmac_f32_e32 v3, v126, v118
	ds_load_2addr_b32 v[117:118], v2 offset0:99 offset1:100
	s_waitcnt lgkmcnt(3)
	v_fmac_f32_e32 v3, v127, v119
	s_waitcnt vmcnt(4)
	s_delay_alu instid0(VALU_DEP_1) | instskip(SKIP_3) | instid1(VALU_DEP_1)
	v_fmac_f32_e32 v3, v128, v120
	ds_load_2addr_b32 v[119:120], v2 offset0:101 offset1:102
	s_waitcnt lgkmcnt(3)
	v_fmac_f32_e32 v3, v129, v121
	v_fmac_f32_e32 v3, v130, v122
	s_waitcnt lgkmcnt(2)
	s_delay_alu instid0(VALU_DEP_1) | instskip(SKIP_1) | instid1(VALU_DEP_1)
	v_fmac_f32_e32 v3, v131, v123
	s_waitcnt vmcnt(3)
	v_fmac_f32_e32 v3, v132, v124
	ds_load_2addr_b32 v[121:122], v2 offset0:103 offset1:104
	ds_load_2addr_b32 v[123:124], v2 offset0:105 offset1:106
	s_waitcnt lgkmcnt(3)
	v_fmac_f32_e32 v3, v133, v117
	s_delay_alu instid0(VALU_DEP_1) | instskip(SKIP_4) | instid1(VALU_DEP_1)
	v_fmac_f32_e32 v3, v134, v118
	ds_load_2addr_b32 v[117:118], v2 offset0:107 offset1:108
	s_waitcnt lgkmcnt(3)
	v_fmac_f32_e32 v3, v135, v119
	s_waitcnt vmcnt(2)
	v_fmac_f32_e32 v3, v136, v120
	ds_load_2addr_b32 v[119:120], v2 offset0:109 offset1:110
	s_waitcnt lgkmcnt(3)
	v_fmac_f32_e32 v3, v137, v121
	ds_load_b32 v121, v2 offset:444
	v_fmac_f32_e32 v3, v138, v122
	s_waitcnt lgkmcnt(3)
	s_delay_alu instid0(VALU_DEP_1) | instskip(SKIP_1) | instid1(VALU_DEP_1)
	v_fmac_f32_e32 v3, v139, v123
	s_waitcnt vmcnt(1)
	v_fmac_f32_e32 v3, v140, v124
	s_waitcnt lgkmcnt(2)
	s_delay_alu instid0(VALU_DEP_1) | instskip(NEXT) | instid1(VALU_DEP_1)
	v_fmac_f32_e32 v3, v141, v117
	v_fmac_f32_e32 v3, v142, v118
	s_waitcnt lgkmcnt(1)
	s_delay_alu instid0(VALU_DEP_1) | instskip(SKIP_1) | instid1(VALU_DEP_1)
	v_fmac_f32_e32 v3, v143, v119
	s_waitcnt vmcnt(0)
	v_fmac_f32_e32 v3, v144, v120
	s_waitcnt lgkmcnt(0)
	s_delay_alu instid0(VALU_DEP_1) | instskip(NEXT) | instid1(VALU_DEP_1)
	v_fmac_f32_e32 v3, v145, v121
	v_sub_f32_e32 v3, v116, v3
	scratch_store_b32 off, v3, off offset:104
	v_cmpx_lt_u32_e32 25, v0
	s_cbranch_execz .LBB119_293
; %bb.292:
	scratch_load_b32 v3, off, off offset:100
	scratch_store_b32 off, v2, off offset:100
	s_waitcnt vmcnt(0)
	ds_store_b32 v1, v3
.LBB119_293:
	s_or_b32 exec_lo, exec_lo, s0
	s_waitcnt lgkmcnt(0)
	s_waitcnt_vscnt null, 0x0
	s_barrier
	buffer_gl0_inv
	s_clause 0x7
	scratch_load_b128 v[116:119], off, off offset:100
	scratch_load_b128 v[120:123], off, off offset:116
	;; [unrolled: 1-line block ×7, first 2 shown]
	scratch_load_b96 v[152:154], off, off offset:212
	ds_load_2addr_b64 v[144:147], v2 offset0:41 offset1:42
	ds_load_2addr_b64 v[148:151], v2 offset0:43 offset1:44
	s_mov_b32 s0, exec_lo
	s_waitcnt vmcnt(7) lgkmcnt(1)
	v_fma_f32 v144, v117, v144, 0
	s_delay_alu instid0(VALU_DEP_1) | instskip(NEXT) | instid1(VALU_DEP_1)
	v_fmac_f32_e32 v144, v118, v145
	v_fmac_f32_e32 v144, v119, v146
	s_waitcnt vmcnt(6)
	s_delay_alu instid0(VALU_DEP_1) | instskip(SKIP_3) | instid1(VALU_DEP_1)
	v_fmac_f32_e32 v144, v120, v147
	ds_load_2addr_b64 v[117:120], v2 offset0:45 offset1:46
	s_waitcnt lgkmcnt(1)
	v_fmac_f32_e32 v144, v121, v148
	v_fmac_f32_e32 v144, v122, v149
	s_delay_alu instid0(VALU_DEP_1) | instskip(SKIP_1) | instid1(VALU_DEP_1)
	v_fmac_f32_e32 v144, v123, v150
	s_waitcnt vmcnt(5)
	v_fmac_f32_e32 v144, v124, v151
	ds_load_2addr_b64 v[121:124], v2 offset0:47 offset1:48
	s_waitcnt lgkmcnt(1)
	v_fmac_f32_e32 v144, v125, v117
	s_delay_alu instid0(VALU_DEP_1) | instskip(NEXT) | instid1(VALU_DEP_1)
	v_fmac_f32_e32 v144, v126, v118
	v_fmac_f32_e32 v144, v127, v119
	s_waitcnt vmcnt(4)
	s_delay_alu instid0(VALU_DEP_1) | instskip(SKIP_3) | instid1(VALU_DEP_1)
	v_fmac_f32_e32 v144, v128, v120
	ds_load_2addr_b64 v[117:120], v2 offset0:49 offset1:50
	s_waitcnt lgkmcnt(1)
	v_fmac_f32_e32 v144, v129, v121
	v_fmac_f32_e32 v144, v130, v122
	s_delay_alu instid0(VALU_DEP_1) | instskip(SKIP_1) | instid1(VALU_DEP_1)
	v_fmac_f32_e32 v144, v131, v123
	s_waitcnt vmcnt(3)
	v_fmac_f32_e32 v144, v132, v124
	ds_load_2addr_b64 v[121:124], v2 offset0:51 offset1:52
	s_waitcnt lgkmcnt(1)
	v_fmac_f32_e32 v144, v133, v117
	s_delay_alu instid0(VALU_DEP_1) | instskip(NEXT) | instid1(VALU_DEP_1)
	v_fmac_f32_e32 v144, v134, v118
	v_fmac_f32_e32 v144, v135, v119
	s_waitcnt vmcnt(2)
	s_delay_alu instid0(VALU_DEP_1) | instskip(SKIP_4) | instid1(VALU_DEP_1)
	v_fmac_f32_e32 v144, v136, v120
	ds_load_2addr_b64 v[117:120], v2 offset0:53 offset1:54
	ds_load_b64 v[2:3], v2 offset:440
	s_waitcnt lgkmcnt(2)
	v_fmac_f32_e32 v144, v137, v121
	v_fmac_f32_e32 v144, v138, v122
	s_delay_alu instid0(VALU_DEP_1) | instskip(SKIP_1) | instid1(VALU_DEP_1)
	v_fmac_f32_e32 v144, v139, v123
	s_waitcnt vmcnt(1)
	v_fmac_f32_e32 v144, v140, v124
	s_waitcnt lgkmcnt(1)
	s_delay_alu instid0(VALU_DEP_1) | instskip(NEXT) | instid1(VALU_DEP_1)
	v_fmac_f32_e32 v144, v141, v117
	v_fmac_f32_e32 v144, v142, v118
	s_delay_alu instid0(VALU_DEP_1) | instskip(SKIP_1) | instid1(VALU_DEP_1)
	v_fmac_f32_e32 v144, v143, v119
	s_waitcnt vmcnt(0)
	v_fmac_f32_e32 v144, v152, v120
	s_waitcnt lgkmcnt(0)
	s_delay_alu instid0(VALU_DEP_1) | instskip(NEXT) | instid1(VALU_DEP_1)
	v_fmac_f32_e32 v144, v153, v2
	v_fmac_f32_e32 v144, v154, v3
	s_delay_alu instid0(VALU_DEP_1)
	v_sub_f32_e32 v2, v116, v144
	scratch_store_b32 off, v2, off offset:100
	v_cmpx_lt_u32_e32 24, v0
	s_cbranch_execz .LBB119_295
; %bb.294:
	scratch_load_b32 v2, off, off offset:96
	v_mov_b32_e32 v3, 0
	scratch_store_b32 off, v3, off offset:96
	s_waitcnt vmcnt(0)
	ds_store_b32 v1, v2
.LBB119_295:
	s_or_b32 exec_lo, exec_lo, s0
	s_waitcnt lgkmcnt(0)
	s_waitcnt_vscnt null, 0x0
	s_barrier
	buffer_gl0_inv
	s_clause 0x7
	scratch_load_b128 v[116:119], off, off offset:96
	scratch_load_b128 v[120:123], off, off offset:112
	;; [unrolled: 1-line block ×8, first 2 shown]
	v_mov_b32_e32 v2, 0
	ds_load_2addr_b32 v[148:149], v2 offset0:81 offset1:82
	ds_load_2addr_b32 v[150:151], v2 offset0:83 offset1:84
	;; [unrolled: 1-line block ×4, first 2 shown]
	s_mov_b32 s0, exec_lo
	s_waitcnt vmcnt(7) lgkmcnt(3)
	v_fma_f32 v3, v117, v148, 0
	s_delay_alu instid0(VALU_DEP_1) | instskip(SKIP_4) | instid1(VALU_DEP_1)
	v_fmac_f32_e32 v3, v118, v149
	ds_load_2addr_b32 v[117:118], v2 offset0:89 offset1:90
	s_waitcnt lgkmcnt(3)
	v_fmac_f32_e32 v3, v119, v150
	s_waitcnt vmcnt(6)
	v_fmac_f32_e32 v3, v120, v151
	ds_load_2addr_b32 v[119:120], v2 offset0:91 offset1:92
	s_waitcnt lgkmcnt(3)
	v_fmac_f32_e32 v3, v121, v152
	s_delay_alu instid0(VALU_DEP_1) | instskip(SKIP_1) | instid1(VALU_DEP_1)
	v_fmac_f32_e32 v3, v122, v153
	s_waitcnt lgkmcnt(2)
	v_fmac_f32_e32 v3, v123, v154
	s_waitcnt vmcnt(5)
	s_delay_alu instid0(VALU_DEP_1) | instskip(SKIP_4) | instid1(VALU_DEP_1)
	v_fmac_f32_e32 v3, v124, v155
	ds_load_2addr_b32 v[121:122], v2 offset0:93 offset1:94
	ds_load_2addr_b32 v[123:124], v2 offset0:95 offset1:96
	s_waitcnt lgkmcnt(3)
	v_fmac_f32_e32 v3, v125, v117
	v_fmac_f32_e32 v3, v126, v118
	ds_load_2addr_b32 v[117:118], v2 offset0:97 offset1:98
	s_waitcnt lgkmcnt(3)
	v_fmac_f32_e32 v3, v127, v119
	s_waitcnt vmcnt(4)
	s_delay_alu instid0(VALU_DEP_1) | instskip(SKIP_3) | instid1(VALU_DEP_1)
	v_fmac_f32_e32 v3, v128, v120
	ds_load_2addr_b32 v[119:120], v2 offset0:99 offset1:100
	s_waitcnt lgkmcnt(3)
	v_fmac_f32_e32 v3, v129, v121
	v_fmac_f32_e32 v3, v130, v122
	s_waitcnt lgkmcnt(2)
	s_delay_alu instid0(VALU_DEP_1) | instskip(SKIP_1) | instid1(VALU_DEP_1)
	v_fmac_f32_e32 v3, v131, v123
	s_waitcnt vmcnt(3)
	v_fmac_f32_e32 v3, v132, v124
	ds_load_2addr_b32 v[121:122], v2 offset0:101 offset1:102
	ds_load_2addr_b32 v[123:124], v2 offset0:103 offset1:104
	s_waitcnt lgkmcnt(3)
	v_fmac_f32_e32 v3, v133, v117
	s_delay_alu instid0(VALU_DEP_1) | instskip(SKIP_4) | instid1(VALU_DEP_1)
	v_fmac_f32_e32 v3, v134, v118
	ds_load_2addr_b32 v[117:118], v2 offset0:105 offset1:106
	s_waitcnt lgkmcnt(3)
	v_fmac_f32_e32 v3, v135, v119
	s_waitcnt vmcnt(2)
	v_fmac_f32_e32 v3, v136, v120
	ds_load_2addr_b32 v[119:120], v2 offset0:107 offset1:108
	s_waitcnt lgkmcnt(3)
	v_fmac_f32_e32 v3, v137, v121
	s_delay_alu instid0(VALU_DEP_1) | instskip(SKIP_1) | instid1(VALU_DEP_1)
	v_fmac_f32_e32 v3, v138, v122
	s_waitcnt lgkmcnt(2)
	v_fmac_f32_e32 v3, v139, v123
	ds_load_2addr_b32 v[121:122], v2 offset0:109 offset1:110
	ds_load_b32 v123, v2 offset:444
	s_waitcnt vmcnt(1)
	v_fmac_f32_e32 v3, v140, v124
	s_waitcnt lgkmcnt(3)
	s_delay_alu instid0(VALU_DEP_1) | instskip(NEXT) | instid1(VALU_DEP_1)
	v_fmac_f32_e32 v3, v141, v117
	v_fmac_f32_e32 v3, v142, v118
	s_waitcnt lgkmcnt(2)
	s_delay_alu instid0(VALU_DEP_1) | instskip(SKIP_1) | instid1(VALU_DEP_1)
	v_fmac_f32_e32 v3, v143, v119
	s_waitcnt vmcnt(0)
	v_fmac_f32_e32 v3, v144, v120
	s_waitcnt lgkmcnt(1)
	s_delay_alu instid0(VALU_DEP_1) | instskip(NEXT) | instid1(VALU_DEP_1)
	v_fmac_f32_e32 v3, v145, v121
	v_fmac_f32_e32 v3, v146, v122
	s_waitcnt lgkmcnt(0)
	s_delay_alu instid0(VALU_DEP_1) | instskip(NEXT) | instid1(VALU_DEP_1)
	v_fmac_f32_e32 v3, v147, v123
	v_sub_f32_e32 v3, v116, v3
	scratch_store_b32 off, v3, off offset:96
	v_cmpx_lt_u32_e32 23, v0
	s_cbranch_execz .LBB119_297
; %bb.296:
	scratch_load_b32 v3, off, off offset:92
	scratch_store_b32 off, v2, off offset:92
	s_waitcnt vmcnt(0)
	ds_store_b32 v1, v3
.LBB119_297:
	s_or_b32 exec_lo, exec_lo, s0
	s_waitcnt lgkmcnt(0)
	s_waitcnt_vscnt null, 0x0
	s_barrier
	buffer_gl0_inv
	s_clause 0x8
	scratch_load_b128 v[116:119], off, off offset:92
	scratch_load_b128 v[120:123], off, off offset:108
	;; [unrolled: 1-line block ×8, first 2 shown]
	scratch_load_b32 v3, off, off offset:220
	ds_load_b128 v[148:151], v2 offset:320
	ds_load_b128 v[152:155], v2 offset:336
	s_mov_b32 s0, exec_lo
	s_waitcnt vmcnt(8) lgkmcnt(1)
	v_fma_f32 v148, v117, v148, 0
	s_delay_alu instid0(VALU_DEP_1) | instskip(NEXT) | instid1(VALU_DEP_1)
	v_fmac_f32_e32 v148, v118, v149
	v_fmac_f32_e32 v148, v119, v150
	s_waitcnt vmcnt(7)
	s_delay_alu instid0(VALU_DEP_1) | instskip(SKIP_3) | instid1(VALU_DEP_1)
	v_fmac_f32_e32 v148, v120, v151
	ds_load_b128 v[117:120], v2 offset:352
	s_waitcnt lgkmcnt(1)
	v_fmac_f32_e32 v148, v121, v152
	v_fmac_f32_e32 v148, v122, v153
	s_delay_alu instid0(VALU_DEP_1) | instskip(SKIP_1) | instid1(VALU_DEP_1)
	v_fmac_f32_e32 v148, v123, v154
	s_waitcnt vmcnt(6)
	v_fmac_f32_e32 v148, v124, v155
	ds_load_b128 v[121:124], v2 offset:368
	s_waitcnt lgkmcnt(1)
	v_fmac_f32_e32 v148, v125, v117
	s_delay_alu instid0(VALU_DEP_1) | instskip(NEXT) | instid1(VALU_DEP_1)
	v_fmac_f32_e32 v148, v126, v118
	v_fmac_f32_e32 v148, v127, v119
	s_waitcnt vmcnt(5)
	s_delay_alu instid0(VALU_DEP_1) | instskip(SKIP_3) | instid1(VALU_DEP_1)
	v_fmac_f32_e32 v148, v128, v120
	ds_load_b128 v[117:120], v2 offset:384
	s_waitcnt lgkmcnt(1)
	v_fmac_f32_e32 v148, v129, v121
	v_fmac_f32_e32 v148, v130, v122
	s_delay_alu instid0(VALU_DEP_1) | instskip(SKIP_1) | instid1(VALU_DEP_1)
	v_fmac_f32_e32 v148, v131, v123
	s_waitcnt vmcnt(4)
	v_fmac_f32_e32 v148, v132, v124
	ds_load_b128 v[121:124], v2 offset:400
	s_waitcnt lgkmcnt(1)
	v_fmac_f32_e32 v148, v133, v117
	;; [unrolled: 17-line block ×3, first 2 shown]
	s_delay_alu instid0(VALU_DEP_1) | instskip(NEXT) | instid1(VALU_DEP_1)
	v_fmac_f32_e32 v148, v142, v118
	v_fmac_f32_e32 v148, v143, v119
	s_waitcnt vmcnt(1)
	s_delay_alu instid0(VALU_DEP_1) | instskip(SKIP_1) | instid1(VALU_DEP_1)
	v_fmac_f32_e32 v148, v144, v120
	s_waitcnt lgkmcnt(0)
	v_fmac_f32_e32 v148, v145, v121
	s_delay_alu instid0(VALU_DEP_1) | instskip(NEXT) | instid1(VALU_DEP_1)
	v_fmac_f32_e32 v148, v146, v122
	v_fmac_f32_e32 v148, v147, v123
	s_waitcnt vmcnt(0)
	s_delay_alu instid0(VALU_DEP_1) | instskip(NEXT) | instid1(VALU_DEP_1)
	v_fmac_f32_e32 v148, v3, v124
	v_sub_f32_e32 v2, v116, v148
	scratch_store_b32 off, v2, off offset:92
	v_cmpx_lt_u32_e32 22, v0
	s_cbranch_execz .LBB119_299
; %bb.298:
	scratch_load_b32 v2, off, off offset:88
	v_mov_b32_e32 v3, 0
	scratch_store_b32 off, v3, off offset:88
	s_waitcnt vmcnt(0)
	ds_store_b32 v1, v2
.LBB119_299:
	s_or_b32 exec_lo, exec_lo, s0
	s_waitcnt lgkmcnt(0)
	s_waitcnt_vscnt null, 0x0
	s_barrier
	buffer_gl0_inv
	s_clause 0x8
	scratch_load_b128 v[116:119], off, off offset:88
	scratch_load_b128 v[120:123], off, off offset:104
	scratch_load_b128 v[124:127], off, off offset:120
	scratch_load_b128 v[128:131], off, off offset:136
	scratch_load_b128 v[132:135], off, off offset:152
	scratch_load_b128 v[136:139], off, off offset:168
	scratch_load_b128 v[140:143], off, off offset:184
	scratch_load_b128 v[144:147], off, off offset:200
	scratch_load_b64 v[148:149], off, off offset:216
	v_mov_b32_e32 v2, 0
	ds_load_2addr_b32 v[150:151], v2 offset0:79 offset1:80
	ds_load_2addr_b32 v[152:153], v2 offset0:81 offset1:82
	;; [unrolled: 1-line block ×4, first 2 shown]
	s_mov_b32 s0, exec_lo
	s_waitcnt vmcnt(8) lgkmcnt(3)
	v_fma_f32 v3, v117, v150, 0
	s_delay_alu instid0(VALU_DEP_1) | instskip(SKIP_4) | instid1(VALU_DEP_1)
	v_fmac_f32_e32 v3, v118, v151
	ds_load_2addr_b32 v[117:118], v2 offset0:87 offset1:88
	s_waitcnt lgkmcnt(3)
	v_fmac_f32_e32 v3, v119, v152
	s_waitcnt vmcnt(7)
	v_fmac_f32_e32 v3, v120, v153
	ds_load_2addr_b32 v[119:120], v2 offset0:89 offset1:90
	s_waitcnt lgkmcnt(3)
	v_fmac_f32_e32 v3, v121, v154
	s_delay_alu instid0(VALU_DEP_1) | instskip(SKIP_1) | instid1(VALU_DEP_1)
	v_fmac_f32_e32 v3, v122, v155
	s_waitcnt lgkmcnt(2)
	v_fmac_f32_e32 v3, v123, v156
	s_waitcnt vmcnt(6)
	s_delay_alu instid0(VALU_DEP_1) | instskip(SKIP_4) | instid1(VALU_DEP_1)
	v_fmac_f32_e32 v3, v124, v157
	ds_load_2addr_b32 v[121:122], v2 offset0:91 offset1:92
	ds_load_2addr_b32 v[123:124], v2 offset0:93 offset1:94
	s_waitcnt lgkmcnt(3)
	v_fmac_f32_e32 v3, v125, v117
	v_fmac_f32_e32 v3, v126, v118
	ds_load_2addr_b32 v[117:118], v2 offset0:95 offset1:96
	s_waitcnt lgkmcnt(3)
	v_fmac_f32_e32 v3, v127, v119
	s_waitcnt vmcnt(5)
	s_delay_alu instid0(VALU_DEP_1) | instskip(SKIP_3) | instid1(VALU_DEP_1)
	v_fmac_f32_e32 v3, v128, v120
	ds_load_2addr_b32 v[119:120], v2 offset0:97 offset1:98
	s_waitcnt lgkmcnt(3)
	v_fmac_f32_e32 v3, v129, v121
	v_fmac_f32_e32 v3, v130, v122
	s_waitcnt lgkmcnt(2)
	s_delay_alu instid0(VALU_DEP_1) | instskip(SKIP_1) | instid1(VALU_DEP_1)
	v_fmac_f32_e32 v3, v131, v123
	s_waitcnt vmcnt(4)
	v_fmac_f32_e32 v3, v132, v124
	ds_load_2addr_b32 v[121:122], v2 offset0:99 offset1:100
	ds_load_2addr_b32 v[123:124], v2 offset0:101 offset1:102
	s_waitcnt lgkmcnt(3)
	v_fmac_f32_e32 v3, v133, v117
	s_delay_alu instid0(VALU_DEP_1) | instskip(SKIP_4) | instid1(VALU_DEP_1)
	v_fmac_f32_e32 v3, v134, v118
	ds_load_2addr_b32 v[117:118], v2 offset0:103 offset1:104
	s_waitcnt lgkmcnt(3)
	v_fmac_f32_e32 v3, v135, v119
	s_waitcnt vmcnt(3)
	v_fmac_f32_e32 v3, v136, v120
	ds_load_2addr_b32 v[119:120], v2 offset0:105 offset1:106
	s_waitcnt lgkmcnt(3)
	v_fmac_f32_e32 v3, v137, v121
	s_delay_alu instid0(VALU_DEP_1) | instskip(SKIP_1) | instid1(VALU_DEP_1)
	v_fmac_f32_e32 v3, v138, v122
	s_waitcnt lgkmcnt(2)
	v_fmac_f32_e32 v3, v139, v123
	s_waitcnt vmcnt(2)
	s_delay_alu instid0(VALU_DEP_1)
	v_fmac_f32_e32 v3, v140, v124
	ds_load_2addr_b32 v[121:122], v2 offset0:107 offset1:108
	ds_load_2addr_b32 v[123:124], v2 offset0:109 offset1:110
	s_waitcnt lgkmcnt(3)
	v_fmac_f32_e32 v3, v141, v117
	ds_load_b32 v117, v2 offset:444
	v_fmac_f32_e32 v3, v142, v118
	s_waitcnt lgkmcnt(3)
	s_delay_alu instid0(VALU_DEP_1) | instskip(SKIP_1) | instid1(VALU_DEP_1)
	v_fmac_f32_e32 v3, v143, v119
	s_waitcnt vmcnt(1)
	v_fmac_f32_e32 v3, v144, v120
	s_waitcnt lgkmcnt(2)
	s_delay_alu instid0(VALU_DEP_1) | instskip(NEXT) | instid1(VALU_DEP_1)
	v_fmac_f32_e32 v3, v145, v121
	v_fmac_f32_e32 v3, v146, v122
	s_waitcnt lgkmcnt(1)
	s_delay_alu instid0(VALU_DEP_1) | instskip(SKIP_1) | instid1(VALU_DEP_1)
	v_fmac_f32_e32 v3, v147, v123
	s_waitcnt vmcnt(0)
	v_fmac_f32_e32 v3, v148, v124
	s_waitcnt lgkmcnt(0)
	s_delay_alu instid0(VALU_DEP_1) | instskip(NEXT) | instid1(VALU_DEP_1)
	v_fmac_f32_e32 v3, v149, v117
	v_sub_f32_e32 v3, v116, v3
	scratch_store_b32 off, v3, off offset:88
	v_cmpx_lt_u32_e32 21, v0
	s_cbranch_execz .LBB119_301
; %bb.300:
	scratch_load_b32 v3, off, off offset:84
	scratch_store_b32 off, v2, off offset:84
	s_waitcnt vmcnt(0)
	ds_store_b32 v1, v3
.LBB119_301:
	s_or_b32 exec_lo, exec_lo, s0
	s_waitcnt lgkmcnt(0)
	s_waitcnt_vscnt null, 0x0
	s_barrier
	buffer_gl0_inv
	s_clause 0x8
	scratch_load_b128 v[116:119], off, off offset:84
	scratch_load_b128 v[120:123], off, off offset:100
	;; [unrolled: 1-line block ×8, first 2 shown]
	scratch_load_b96 v[156:158], off, off offset:212
	ds_load_2addr_b64 v[148:151], v2 offset0:39 offset1:40
	ds_load_2addr_b64 v[152:155], v2 offset0:41 offset1:42
	s_mov_b32 s0, exec_lo
	s_waitcnt vmcnt(8) lgkmcnt(1)
	v_fma_f32 v148, v117, v148, 0
	s_delay_alu instid0(VALU_DEP_1) | instskip(NEXT) | instid1(VALU_DEP_1)
	v_fmac_f32_e32 v148, v118, v149
	v_fmac_f32_e32 v148, v119, v150
	s_waitcnt vmcnt(7)
	s_delay_alu instid0(VALU_DEP_1) | instskip(SKIP_3) | instid1(VALU_DEP_1)
	v_fmac_f32_e32 v148, v120, v151
	ds_load_2addr_b64 v[117:120], v2 offset0:43 offset1:44
	s_waitcnt lgkmcnt(1)
	v_fmac_f32_e32 v148, v121, v152
	v_fmac_f32_e32 v148, v122, v153
	s_delay_alu instid0(VALU_DEP_1) | instskip(SKIP_1) | instid1(VALU_DEP_1)
	v_fmac_f32_e32 v148, v123, v154
	s_waitcnt vmcnt(6)
	v_fmac_f32_e32 v148, v124, v155
	ds_load_2addr_b64 v[121:124], v2 offset0:45 offset1:46
	s_waitcnt lgkmcnt(1)
	v_fmac_f32_e32 v148, v125, v117
	s_delay_alu instid0(VALU_DEP_1) | instskip(NEXT) | instid1(VALU_DEP_1)
	v_fmac_f32_e32 v148, v126, v118
	v_fmac_f32_e32 v148, v127, v119
	s_waitcnt vmcnt(5)
	s_delay_alu instid0(VALU_DEP_1) | instskip(SKIP_3) | instid1(VALU_DEP_1)
	v_fmac_f32_e32 v148, v128, v120
	ds_load_2addr_b64 v[117:120], v2 offset0:47 offset1:48
	s_waitcnt lgkmcnt(1)
	v_fmac_f32_e32 v148, v129, v121
	v_fmac_f32_e32 v148, v130, v122
	s_delay_alu instid0(VALU_DEP_1) | instskip(SKIP_1) | instid1(VALU_DEP_1)
	v_fmac_f32_e32 v148, v131, v123
	s_waitcnt vmcnt(4)
	v_fmac_f32_e32 v148, v132, v124
	ds_load_2addr_b64 v[121:124], v2 offset0:49 offset1:50
	s_waitcnt lgkmcnt(1)
	v_fmac_f32_e32 v148, v133, v117
	s_delay_alu instid0(VALU_DEP_1) | instskip(NEXT) | instid1(VALU_DEP_1)
	v_fmac_f32_e32 v148, v134, v118
	v_fmac_f32_e32 v148, v135, v119
	s_waitcnt vmcnt(3)
	s_delay_alu instid0(VALU_DEP_1) | instskip(SKIP_3) | instid1(VALU_DEP_1)
	v_fmac_f32_e32 v148, v136, v120
	ds_load_2addr_b64 v[117:120], v2 offset0:51 offset1:52
	s_waitcnt lgkmcnt(1)
	v_fmac_f32_e32 v148, v137, v121
	v_fmac_f32_e32 v148, v138, v122
	s_delay_alu instid0(VALU_DEP_1) | instskip(SKIP_1) | instid1(VALU_DEP_1)
	v_fmac_f32_e32 v148, v139, v123
	s_waitcnt vmcnt(2)
	v_fmac_f32_e32 v148, v140, v124
	ds_load_2addr_b64 v[121:124], v2 offset0:53 offset1:54
	ds_load_b64 v[2:3], v2 offset:440
	s_waitcnt lgkmcnt(2)
	v_fmac_f32_e32 v148, v141, v117
	s_delay_alu instid0(VALU_DEP_1) | instskip(NEXT) | instid1(VALU_DEP_1)
	v_fmac_f32_e32 v148, v142, v118
	v_fmac_f32_e32 v148, v143, v119
	s_waitcnt vmcnt(1)
	s_delay_alu instid0(VALU_DEP_1) | instskip(SKIP_1) | instid1(VALU_DEP_1)
	v_fmac_f32_e32 v148, v144, v120
	s_waitcnt lgkmcnt(1)
	v_fmac_f32_e32 v148, v145, v121
	s_delay_alu instid0(VALU_DEP_1) | instskip(NEXT) | instid1(VALU_DEP_1)
	v_fmac_f32_e32 v148, v146, v122
	v_fmac_f32_e32 v148, v147, v123
	s_waitcnt vmcnt(0)
	s_delay_alu instid0(VALU_DEP_1) | instskip(SKIP_1) | instid1(VALU_DEP_1)
	v_fmac_f32_e32 v148, v156, v124
	s_waitcnt lgkmcnt(0)
	v_fmac_f32_e32 v148, v157, v2
	s_delay_alu instid0(VALU_DEP_1) | instskip(NEXT) | instid1(VALU_DEP_1)
	v_fmac_f32_e32 v148, v158, v3
	v_sub_f32_e32 v2, v116, v148
	scratch_store_b32 off, v2, off offset:84
	v_cmpx_lt_u32_e32 20, v0
	s_cbranch_execz .LBB119_303
; %bb.302:
	scratch_load_b32 v2, off, off offset:80
	v_mov_b32_e32 v3, 0
	scratch_store_b32 off, v3, off offset:80
	s_waitcnt vmcnt(0)
	ds_store_b32 v1, v2
.LBB119_303:
	s_or_b32 exec_lo, exec_lo, s0
	s_waitcnt lgkmcnt(0)
	s_waitcnt_vscnt null, 0x0
	s_barrier
	buffer_gl0_inv
	s_clause 0x8
	scratch_load_b128 v[116:119], off, off offset:80
	scratch_load_b128 v[120:123], off, off offset:96
	;; [unrolled: 1-line block ×9, first 2 shown]
	v_mov_b32_e32 v2, 0
	ds_load_2addr_b32 v[152:153], v2 offset0:77 offset1:78
	ds_load_2addr_b32 v[154:155], v2 offset0:79 offset1:80
	;; [unrolled: 1-line block ×4, first 2 shown]
	s_mov_b32 s0, exec_lo
	s_waitcnt vmcnt(8) lgkmcnt(3)
	v_fma_f32 v3, v117, v152, 0
	s_delay_alu instid0(VALU_DEP_1) | instskip(SKIP_4) | instid1(VALU_DEP_1)
	v_fmac_f32_e32 v3, v118, v153
	ds_load_2addr_b32 v[117:118], v2 offset0:85 offset1:86
	s_waitcnt lgkmcnt(3)
	v_fmac_f32_e32 v3, v119, v154
	s_waitcnt vmcnt(7)
	v_fmac_f32_e32 v3, v120, v155
	ds_load_2addr_b32 v[119:120], v2 offset0:87 offset1:88
	s_waitcnt lgkmcnt(3)
	v_fmac_f32_e32 v3, v121, v156
	s_delay_alu instid0(VALU_DEP_1) | instskip(SKIP_1) | instid1(VALU_DEP_1)
	v_fmac_f32_e32 v3, v122, v157
	s_waitcnt lgkmcnt(2)
	v_fmac_f32_e32 v3, v123, v158
	s_waitcnt vmcnt(6)
	s_delay_alu instid0(VALU_DEP_1) | instskip(SKIP_4) | instid1(VALU_DEP_1)
	v_fmac_f32_e32 v3, v124, v159
	ds_load_2addr_b32 v[121:122], v2 offset0:89 offset1:90
	ds_load_2addr_b32 v[123:124], v2 offset0:91 offset1:92
	s_waitcnt lgkmcnt(3)
	v_fmac_f32_e32 v3, v125, v117
	v_fmac_f32_e32 v3, v126, v118
	ds_load_2addr_b32 v[117:118], v2 offset0:93 offset1:94
	s_waitcnt lgkmcnt(3)
	v_fmac_f32_e32 v3, v127, v119
	s_waitcnt vmcnt(5)
	s_delay_alu instid0(VALU_DEP_1) | instskip(SKIP_3) | instid1(VALU_DEP_1)
	v_fmac_f32_e32 v3, v128, v120
	ds_load_2addr_b32 v[119:120], v2 offset0:95 offset1:96
	s_waitcnt lgkmcnt(3)
	v_fmac_f32_e32 v3, v129, v121
	v_fmac_f32_e32 v3, v130, v122
	s_waitcnt lgkmcnt(2)
	s_delay_alu instid0(VALU_DEP_1) | instskip(SKIP_1) | instid1(VALU_DEP_1)
	v_fmac_f32_e32 v3, v131, v123
	s_waitcnt vmcnt(4)
	v_fmac_f32_e32 v3, v132, v124
	ds_load_2addr_b32 v[121:122], v2 offset0:97 offset1:98
	ds_load_2addr_b32 v[123:124], v2 offset0:99 offset1:100
	s_waitcnt lgkmcnt(3)
	v_fmac_f32_e32 v3, v133, v117
	s_delay_alu instid0(VALU_DEP_1) | instskip(SKIP_4) | instid1(VALU_DEP_1)
	v_fmac_f32_e32 v3, v134, v118
	ds_load_2addr_b32 v[117:118], v2 offset0:101 offset1:102
	s_waitcnt lgkmcnt(3)
	v_fmac_f32_e32 v3, v135, v119
	s_waitcnt vmcnt(3)
	v_fmac_f32_e32 v3, v136, v120
	ds_load_2addr_b32 v[119:120], v2 offset0:103 offset1:104
	s_waitcnt lgkmcnt(3)
	v_fmac_f32_e32 v3, v137, v121
	s_delay_alu instid0(VALU_DEP_1) | instskip(SKIP_1) | instid1(VALU_DEP_1)
	v_fmac_f32_e32 v3, v138, v122
	s_waitcnt lgkmcnt(2)
	v_fmac_f32_e32 v3, v139, v123
	s_waitcnt vmcnt(2)
	s_delay_alu instid0(VALU_DEP_1) | instskip(SKIP_4) | instid1(VALU_DEP_1)
	v_fmac_f32_e32 v3, v140, v124
	ds_load_2addr_b32 v[121:122], v2 offset0:105 offset1:106
	ds_load_2addr_b32 v[123:124], v2 offset0:107 offset1:108
	s_waitcnt lgkmcnt(3)
	v_fmac_f32_e32 v3, v141, v117
	v_fmac_f32_e32 v3, v142, v118
	ds_load_2addr_b32 v[117:118], v2 offset0:109 offset1:110
	s_waitcnt lgkmcnt(3)
	v_fmac_f32_e32 v3, v143, v119
	ds_load_b32 v119, v2 offset:444
	s_waitcnt vmcnt(1)
	v_fmac_f32_e32 v3, v144, v120
	s_waitcnt lgkmcnt(3)
	s_delay_alu instid0(VALU_DEP_1) | instskip(NEXT) | instid1(VALU_DEP_1)
	v_fmac_f32_e32 v3, v145, v121
	v_fmac_f32_e32 v3, v146, v122
	s_waitcnt lgkmcnt(2)
	s_delay_alu instid0(VALU_DEP_1) | instskip(SKIP_1) | instid1(VALU_DEP_1)
	v_fmac_f32_e32 v3, v147, v123
	s_waitcnt vmcnt(0)
	v_fmac_f32_e32 v3, v148, v124
	s_waitcnt lgkmcnt(1)
	s_delay_alu instid0(VALU_DEP_1) | instskip(NEXT) | instid1(VALU_DEP_1)
	v_fmac_f32_e32 v3, v149, v117
	v_fmac_f32_e32 v3, v150, v118
	s_waitcnt lgkmcnt(0)
	s_delay_alu instid0(VALU_DEP_1) | instskip(NEXT) | instid1(VALU_DEP_1)
	v_fmac_f32_e32 v3, v151, v119
	v_sub_f32_e32 v3, v116, v3
	scratch_store_b32 off, v3, off offset:80
	v_cmpx_lt_u32_e32 19, v0
	s_cbranch_execz .LBB119_305
; %bb.304:
	scratch_load_b32 v3, off, off offset:76
	scratch_store_b32 off, v2, off offset:76
	s_waitcnt vmcnt(0)
	ds_store_b32 v1, v3
.LBB119_305:
	s_or_b32 exec_lo, exec_lo, s0
	s_waitcnt lgkmcnt(0)
	s_waitcnt_vscnt null, 0x0
	s_barrier
	buffer_gl0_inv
	s_clause 0x9
	scratch_load_b128 v[116:119], off, off offset:76
	scratch_load_b128 v[120:123], off, off offset:92
	;; [unrolled: 1-line block ×9, first 2 shown]
	scratch_load_b32 v3, off, off offset:220
	ds_load_b128 v[152:155], v2 offset:304
	ds_load_b128 v[156:159], v2 offset:320
	s_mov_b32 s0, exec_lo
	s_waitcnt vmcnt(9) lgkmcnt(1)
	v_fma_f32 v152, v117, v152, 0
	s_delay_alu instid0(VALU_DEP_1) | instskip(NEXT) | instid1(VALU_DEP_1)
	v_fmac_f32_e32 v152, v118, v153
	v_fmac_f32_e32 v152, v119, v154
	s_waitcnt vmcnt(8)
	s_delay_alu instid0(VALU_DEP_1) | instskip(SKIP_3) | instid1(VALU_DEP_1)
	v_fmac_f32_e32 v152, v120, v155
	ds_load_b128 v[117:120], v2 offset:336
	s_waitcnt lgkmcnt(1)
	v_fmac_f32_e32 v152, v121, v156
	v_fmac_f32_e32 v152, v122, v157
	s_delay_alu instid0(VALU_DEP_1) | instskip(SKIP_1) | instid1(VALU_DEP_1)
	v_fmac_f32_e32 v152, v123, v158
	s_waitcnt vmcnt(7)
	v_fmac_f32_e32 v152, v124, v159
	ds_load_b128 v[121:124], v2 offset:352
	s_waitcnt lgkmcnt(1)
	v_fmac_f32_e32 v152, v125, v117
	s_delay_alu instid0(VALU_DEP_1) | instskip(NEXT) | instid1(VALU_DEP_1)
	v_fmac_f32_e32 v152, v126, v118
	v_fmac_f32_e32 v152, v127, v119
	s_waitcnt vmcnt(6)
	s_delay_alu instid0(VALU_DEP_1) | instskip(SKIP_3) | instid1(VALU_DEP_1)
	v_fmac_f32_e32 v152, v128, v120
	ds_load_b128 v[117:120], v2 offset:368
	s_waitcnt lgkmcnt(1)
	v_fmac_f32_e32 v152, v129, v121
	v_fmac_f32_e32 v152, v130, v122
	s_delay_alu instid0(VALU_DEP_1) | instskip(SKIP_1) | instid1(VALU_DEP_1)
	v_fmac_f32_e32 v152, v131, v123
	s_waitcnt vmcnt(5)
	v_fmac_f32_e32 v152, v132, v124
	ds_load_b128 v[121:124], v2 offset:384
	s_waitcnt lgkmcnt(1)
	v_fmac_f32_e32 v152, v133, v117
	;; [unrolled: 17-line block ×3, first 2 shown]
	s_delay_alu instid0(VALU_DEP_1) | instskip(NEXT) | instid1(VALU_DEP_1)
	v_fmac_f32_e32 v152, v142, v118
	v_fmac_f32_e32 v152, v143, v119
	s_waitcnt vmcnt(2)
	s_delay_alu instid0(VALU_DEP_1) | instskip(SKIP_3) | instid1(VALU_DEP_1)
	v_fmac_f32_e32 v152, v144, v120
	ds_load_b128 v[117:120], v2 offset:432
	s_waitcnt lgkmcnt(1)
	v_fmac_f32_e32 v152, v145, v121
	v_fmac_f32_e32 v152, v146, v122
	s_delay_alu instid0(VALU_DEP_1) | instskip(SKIP_1) | instid1(VALU_DEP_1)
	v_fmac_f32_e32 v152, v147, v123
	s_waitcnt vmcnt(1)
	v_fmac_f32_e32 v152, v148, v124
	s_waitcnt lgkmcnt(0)
	s_delay_alu instid0(VALU_DEP_1) | instskip(NEXT) | instid1(VALU_DEP_1)
	v_fmac_f32_e32 v152, v149, v117
	v_fmac_f32_e32 v152, v150, v118
	s_delay_alu instid0(VALU_DEP_1) | instskip(SKIP_1) | instid1(VALU_DEP_1)
	v_fmac_f32_e32 v152, v151, v119
	s_waitcnt vmcnt(0)
	v_fmac_f32_e32 v152, v3, v120
	s_delay_alu instid0(VALU_DEP_1)
	v_sub_f32_e32 v2, v116, v152
	scratch_store_b32 off, v2, off offset:76
	v_cmpx_lt_u32_e32 18, v0
	s_cbranch_execz .LBB119_307
; %bb.306:
	scratch_load_b32 v2, off, off offset:72
	v_mov_b32_e32 v3, 0
	scratch_store_b32 off, v3, off offset:72
	s_waitcnt vmcnt(0)
	ds_store_b32 v1, v2
.LBB119_307:
	s_or_b32 exec_lo, exec_lo, s0
	s_waitcnt lgkmcnt(0)
	s_waitcnt_vscnt null, 0x0
	s_barrier
	buffer_gl0_inv
	s_clause 0x9
	scratch_load_b128 v[116:119], off, off offset:72
	scratch_load_b128 v[120:123], off, off offset:88
	;; [unrolled: 1-line block ×9, first 2 shown]
	scratch_load_b64 v[152:153], off, off offset:216
	v_mov_b32_e32 v2, 0
	ds_load_2addr_b32 v[154:155], v2 offset0:75 offset1:76
	ds_load_2addr_b32 v[156:157], v2 offset0:77 offset1:78
	ds_load_2addr_b32 v[158:159], v2 offset0:79 offset1:80
	ds_load_2addr_b32 v[160:161], v2 offset0:81 offset1:82
	s_mov_b32 s0, exec_lo
	s_waitcnt vmcnt(9) lgkmcnt(3)
	v_fma_f32 v3, v117, v154, 0
	s_delay_alu instid0(VALU_DEP_1) | instskip(SKIP_4) | instid1(VALU_DEP_1)
	v_fmac_f32_e32 v3, v118, v155
	ds_load_2addr_b32 v[117:118], v2 offset0:83 offset1:84
	s_waitcnt lgkmcnt(3)
	v_fmac_f32_e32 v3, v119, v156
	s_waitcnt vmcnt(8)
	v_fmac_f32_e32 v3, v120, v157
	ds_load_2addr_b32 v[119:120], v2 offset0:85 offset1:86
	s_waitcnt lgkmcnt(3)
	v_fmac_f32_e32 v3, v121, v158
	s_delay_alu instid0(VALU_DEP_1) | instskip(SKIP_1) | instid1(VALU_DEP_1)
	v_fmac_f32_e32 v3, v122, v159
	s_waitcnt lgkmcnt(2)
	v_fmac_f32_e32 v3, v123, v160
	s_waitcnt vmcnt(7)
	s_delay_alu instid0(VALU_DEP_1) | instskip(SKIP_4) | instid1(VALU_DEP_1)
	v_fmac_f32_e32 v3, v124, v161
	ds_load_2addr_b32 v[121:122], v2 offset0:87 offset1:88
	ds_load_2addr_b32 v[123:124], v2 offset0:89 offset1:90
	s_waitcnt lgkmcnt(3)
	v_fmac_f32_e32 v3, v125, v117
	v_fmac_f32_e32 v3, v126, v118
	ds_load_2addr_b32 v[117:118], v2 offset0:91 offset1:92
	s_waitcnt lgkmcnt(3)
	v_fmac_f32_e32 v3, v127, v119
	s_waitcnt vmcnt(6)
	s_delay_alu instid0(VALU_DEP_1) | instskip(SKIP_3) | instid1(VALU_DEP_1)
	v_fmac_f32_e32 v3, v128, v120
	ds_load_2addr_b32 v[119:120], v2 offset0:93 offset1:94
	s_waitcnt lgkmcnt(3)
	v_fmac_f32_e32 v3, v129, v121
	v_fmac_f32_e32 v3, v130, v122
	s_waitcnt lgkmcnt(2)
	s_delay_alu instid0(VALU_DEP_1) | instskip(SKIP_1) | instid1(VALU_DEP_1)
	v_fmac_f32_e32 v3, v131, v123
	s_waitcnt vmcnt(5)
	v_fmac_f32_e32 v3, v132, v124
	ds_load_2addr_b32 v[121:122], v2 offset0:95 offset1:96
	ds_load_2addr_b32 v[123:124], v2 offset0:97 offset1:98
	s_waitcnt lgkmcnt(3)
	v_fmac_f32_e32 v3, v133, v117
	s_delay_alu instid0(VALU_DEP_1) | instskip(SKIP_4) | instid1(VALU_DEP_1)
	v_fmac_f32_e32 v3, v134, v118
	ds_load_2addr_b32 v[117:118], v2 offset0:99 offset1:100
	s_waitcnt lgkmcnt(3)
	v_fmac_f32_e32 v3, v135, v119
	s_waitcnt vmcnt(4)
	v_fmac_f32_e32 v3, v136, v120
	ds_load_2addr_b32 v[119:120], v2 offset0:101 offset1:102
	s_waitcnt lgkmcnt(3)
	v_fmac_f32_e32 v3, v137, v121
	s_delay_alu instid0(VALU_DEP_1) | instskip(SKIP_1) | instid1(VALU_DEP_1)
	v_fmac_f32_e32 v3, v138, v122
	s_waitcnt lgkmcnt(2)
	v_fmac_f32_e32 v3, v139, v123
	s_waitcnt vmcnt(3)
	s_delay_alu instid0(VALU_DEP_1) | instskip(SKIP_4) | instid1(VALU_DEP_1)
	v_fmac_f32_e32 v3, v140, v124
	ds_load_2addr_b32 v[121:122], v2 offset0:103 offset1:104
	ds_load_2addr_b32 v[123:124], v2 offset0:105 offset1:106
	s_waitcnt lgkmcnt(3)
	v_fmac_f32_e32 v3, v141, v117
	v_fmac_f32_e32 v3, v142, v118
	ds_load_2addr_b32 v[117:118], v2 offset0:107 offset1:108
	s_waitcnt lgkmcnt(3)
	v_fmac_f32_e32 v3, v143, v119
	s_waitcnt vmcnt(2)
	s_delay_alu instid0(VALU_DEP_1)
	v_fmac_f32_e32 v3, v144, v120
	ds_load_2addr_b32 v[119:120], v2 offset0:109 offset1:110
	s_waitcnt lgkmcnt(3)
	v_fmac_f32_e32 v3, v145, v121
	ds_load_b32 v121, v2 offset:444
	v_fmac_f32_e32 v3, v146, v122
	s_waitcnt lgkmcnt(3)
	s_delay_alu instid0(VALU_DEP_1) | instskip(SKIP_1) | instid1(VALU_DEP_1)
	v_fmac_f32_e32 v3, v147, v123
	s_waitcnt vmcnt(1)
	v_fmac_f32_e32 v3, v148, v124
	s_waitcnt lgkmcnt(2)
	s_delay_alu instid0(VALU_DEP_1) | instskip(NEXT) | instid1(VALU_DEP_1)
	v_fmac_f32_e32 v3, v149, v117
	v_fmac_f32_e32 v3, v150, v118
	s_waitcnt lgkmcnt(1)
	s_delay_alu instid0(VALU_DEP_1) | instskip(SKIP_1) | instid1(VALU_DEP_1)
	v_fmac_f32_e32 v3, v151, v119
	s_waitcnt vmcnt(0)
	v_fmac_f32_e32 v3, v152, v120
	s_waitcnt lgkmcnt(0)
	s_delay_alu instid0(VALU_DEP_1) | instskip(NEXT) | instid1(VALU_DEP_1)
	v_fmac_f32_e32 v3, v153, v121
	v_sub_f32_e32 v3, v116, v3
	scratch_store_b32 off, v3, off offset:72
	v_cmpx_lt_u32_e32 17, v0
	s_cbranch_execz .LBB119_309
; %bb.308:
	scratch_load_b32 v3, off, off offset:68
	scratch_store_b32 off, v2, off offset:68
	s_waitcnt vmcnt(0)
	ds_store_b32 v1, v3
.LBB119_309:
	s_or_b32 exec_lo, exec_lo, s0
	s_waitcnt lgkmcnt(0)
	s_waitcnt_vscnt null, 0x0
	s_barrier
	buffer_gl0_inv
	s_clause 0x9
	scratch_load_b128 v[116:119], off, off offset:68
	scratch_load_b128 v[120:123], off, off offset:84
	;; [unrolled: 1-line block ×9, first 2 shown]
	scratch_load_b96 v[160:162], off, off offset:212
	ds_load_2addr_b64 v[152:155], v2 offset0:37 offset1:38
	ds_load_2addr_b64 v[156:159], v2 offset0:39 offset1:40
	s_mov_b32 s0, exec_lo
	s_waitcnt vmcnt(9) lgkmcnt(1)
	v_fma_f32 v152, v117, v152, 0
	s_delay_alu instid0(VALU_DEP_1) | instskip(NEXT) | instid1(VALU_DEP_1)
	v_fmac_f32_e32 v152, v118, v153
	v_fmac_f32_e32 v152, v119, v154
	s_waitcnt vmcnt(8)
	s_delay_alu instid0(VALU_DEP_1) | instskip(SKIP_3) | instid1(VALU_DEP_1)
	v_fmac_f32_e32 v152, v120, v155
	ds_load_2addr_b64 v[117:120], v2 offset0:41 offset1:42
	s_waitcnt lgkmcnt(1)
	v_fmac_f32_e32 v152, v121, v156
	v_fmac_f32_e32 v152, v122, v157
	s_delay_alu instid0(VALU_DEP_1) | instskip(SKIP_1) | instid1(VALU_DEP_1)
	v_fmac_f32_e32 v152, v123, v158
	s_waitcnt vmcnt(7)
	v_fmac_f32_e32 v152, v124, v159
	ds_load_2addr_b64 v[121:124], v2 offset0:43 offset1:44
	s_waitcnt lgkmcnt(1)
	v_fmac_f32_e32 v152, v125, v117
	s_delay_alu instid0(VALU_DEP_1) | instskip(NEXT) | instid1(VALU_DEP_1)
	v_fmac_f32_e32 v152, v126, v118
	v_fmac_f32_e32 v152, v127, v119
	s_waitcnt vmcnt(6)
	s_delay_alu instid0(VALU_DEP_1) | instskip(SKIP_3) | instid1(VALU_DEP_1)
	v_fmac_f32_e32 v152, v128, v120
	ds_load_2addr_b64 v[117:120], v2 offset0:45 offset1:46
	s_waitcnt lgkmcnt(1)
	v_fmac_f32_e32 v152, v129, v121
	v_fmac_f32_e32 v152, v130, v122
	s_delay_alu instid0(VALU_DEP_1) | instskip(SKIP_1) | instid1(VALU_DEP_1)
	v_fmac_f32_e32 v152, v131, v123
	s_waitcnt vmcnt(5)
	v_fmac_f32_e32 v152, v132, v124
	ds_load_2addr_b64 v[121:124], v2 offset0:47 offset1:48
	s_waitcnt lgkmcnt(1)
	v_fmac_f32_e32 v152, v133, v117
	;; [unrolled: 17-line block ×3, first 2 shown]
	s_delay_alu instid0(VALU_DEP_1) | instskip(NEXT) | instid1(VALU_DEP_1)
	v_fmac_f32_e32 v152, v142, v118
	v_fmac_f32_e32 v152, v143, v119
	s_waitcnt vmcnt(2)
	s_delay_alu instid0(VALU_DEP_1) | instskip(SKIP_4) | instid1(VALU_DEP_1)
	v_fmac_f32_e32 v152, v144, v120
	ds_load_2addr_b64 v[117:120], v2 offset0:53 offset1:54
	ds_load_b64 v[2:3], v2 offset:440
	s_waitcnt lgkmcnt(2)
	v_fmac_f32_e32 v152, v145, v121
	v_fmac_f32_e32 v152, v146, v122
	s_delay_alu instid0(VALU_DEP_1) | instskip(SKIP_1) | instid1(VALU_DEP_1)
	v_fmac_f32_e32 v152, v147, v123
	s_waitcnt vmcnt(1)
	v_fmac_f32_e32 v152, v148, v124
	s_waitcnt lgkmcnt(1)
	s_delay_alu instid0(VALU_DEP_1) | instskip(NEXT) | instid1(VALU_DEP_1)
	v_fmac_f32_e32 v152, v149, v117
	v_fmac_f32_e32 v152, v150, v118
	s_delay_alu instid0(VALU_DEP_1) | instskip(SKIP_1) | instid1(VALU_DEP_1)
	v_fmac_f32_e32 v152, v151, v119
	s_waitcnt vmcnt(0)
	v_fmac_f32_e32 v152, v160, v120
	s_waitcnt lgkmcnt(0)
	s_delay_alu instid0(VALU_DEP_1) | instskip(NEXT) | instid1(VALU_DEP_1)
	v_fmac_f32_e32 v152, v161, v2
	v_fmac_f32_e32 v152, v162, v3
	s_delay_alu instid0(VALU_DEP_1)
	v_sub_f32_e32 v2, v116, v152
	scratch_store_b32 off, v2, off offset:68
	v_cmpx_lt_u32_e32 16, v0
	s_cbranch_execz .LBB119_311
; %bb.310:
	scratch_load_b32 v2, off, off offset:64
	v_mov_b32_e32 v3, 0
	scratch_store_b32 off, v3, off offset:64
	s_waitcnt vmcnt(0)
	ds_store_b32 v1, v2
.LBB119_311:
	s_or_b32 exec_lo, exec_lo, s0
	s_waitcnt lgkmcnt(0)
	s_waitcnt_vscnt null, 0x0
	s_barrier
	buffer_gl0_inv
	s_clause 0x9
	scratch_load_b128 v[116:119], off, off offset:64
	scratch_load_b128 v[120:123], off, off offset:80
	;; [unrolled: 1-line block ×10, first 2 shown]
	v_mov_b32_e32 v2, 0
	ds_load_2addr_b32 v[156:157], v2 offset0:73 offset1:74
	ds_load_2addr_b32 v[158:159], v2 offset0:75 offset1:76
	ds_load_2addr_b32 v[160:161], v2 offset0:77 offset1:78
	ds_load_2addr_b32 v[162:163], v2 offset0:79 offset1:80
	s_mov_b32 s0, exec_lo
	s_waitcnt vmcnt(9) lgkmcnt(3)
	v_fma_f32 v3, v117, v156, 0
	s_delay_alu instid0(VALU_DEP_1) | instskip(SKIP_4) | instid1(VALU_DEP_1)
	v_fmac_f32_e32 v3, v118, v157
	ds_load_2addr_b32 v[117:118], v2 offset0:81 offset1:82
	s_waitcnt lgkmcnt(3)
	v_fmac_f32_e32 v3, v119, v158
	s_waitcnt vmcnt(8)
	v_fmac_f32_e32 v3, v120, v159
	ds_load_2addr_b32 v[119:120], v2 offset0:83 offset1:84
	s_waitcnt lgkmcnt(3)
	v_fmac_f32_e32 v3, v121, v160
	s_delay_alu instid0(VALU_DEP_1) | instskip(SKIP_1) | instid1(VALU_DEP_1)
	v_fmac_f32_e32 v3, v122, v161
	s_waitcnt lgkmcnt(2)
	v_fmac_f32_e32 v3, v123, v162
	s_waitcnt vmcnt(7)
	s_delay_alu instid0(VALU_DEP_1) | instskip(SKIP_4) | instid1(VALU_DEP_1)
	v_fmac_f32_e32 v3, v124, v163
	ds_load_2addr_b32 v[121:122], v2 offset0:85 offset1:86
	ds_load_2addr_b32 v[123:124], v2 offset0:87 offset1:88
	s_waitcnt lgkmcnt(3)
	v_fmac_f32_e32 v3, v125, v117
	v_fmac_f32_e32 v3, v126, v118
	ds_load_2addr_b32 v[117:118], v2 offset0:89 offset1:90
	s_waitcnt lgkmcnt(3)
	v_fmac_f32_e32 v3, v127, v119
	s_waitcnt vmcnt(6)
	s_delay_alu instid0(VALU_DEP_1) | instskip(SKIP_3) | instid1(VALU_DEP_1)
	v_fmac_f32_e32 v3, v128, v120
	ds_load_2addr_b32 v[119:120], v2 offset0:91 offset1:92
	s_waitcnt lgkmcnt(3)
	v_fmac_f32_e32 v3, v129, v121
	v_fmac_f32_e32 v3, v130, v122
	s_waitcnt lgkmcnt(2)
	s_delay_alu instid0(VALU_DEP_1) | instskip(SKIP_1) | instid1(VALU_DEP_1)
	v_fmac_f32_e32 v3, v131, v123
	s_waitcnt vmcnt(5)
	v_fmac_f32_e32 v3, v132, v124
	ds_load_2addr_b32 v[121:122], v2 offset0:93 offset1:94
	ds_load_2addr_b32 v[123:124], v2 offset0:95 offset1:96
	s_waitcnt lgkmcnt(3)
	v_fmac_f32_e32 v3, v133, v117
	s_delay_alu instid0(VALU_DEP_1) | instskip(SKIP_4) | instid1(VALU_DEP_1)
	v_fmac_f32_e32 v3, v134, v118
	ds_load_2addr_b32 v[117:118], v2 offset0:97 offset1:98
	s_waitcnt lgkmcnt(3)
	v_fmac_f32_e32 v3, v135, v119
	s_waitcnt vmcnt(4)
	v_fmac_f32_e32 v3, v136, v120
	ds_load_2addr_b32 v[119:120], v2 offset0:99 offset1:100
	s_waitcnt lgkmcnt(3)
	v_fmac_f32_e32 v3, v137, v121
	s_delay_alu instid0(VALU_DEP_1) | instskip(SKIP_1) | instid1(VALU_DEP_1)
	v_fmac_f32_e32 v3, v138, v122
	s_waitcnt lgkmcnt(2)
	v_fmac_f32_e32 v3, v139, v123
	s_waitcnt vmcnt(3)
	s_delay_alu instid0(VALU_DEP_1) | instskip(SKIP_4) | instid1(VALU_DEP_1)
	v_fmac_f32_e32 v3, v140, v124
	ds_load_2addr_b32 v[121:122], v2 offset0:101 offset1:102
	ds_load_2addr_b32 v[123:124], v2 offset0:103 offset1:104
	s_waitcnt lgkmcnt(3)
	v_fmac_f32_e32 v3, v141, v117
	v_fmac_f32_e32 v3, v142, v118
	ds_load_2addr_b32 v[117:118], v2 offset0:105 offset1:106
	s_waitcnt lgkmcnt(3)
	v_fmac_f32_e32 v3, v143, v119
	s_waitcnt vmcnt(2)
	s_delay_alu instid0(VALU_DEP_1) | instskip(SKIP_3) | instid1(VALU_DEP_1)
	v_fmac_f32_e32 v3, v144, v120
	ds_load_2addr_b32 v[119:120], v2 offset0:107 offset1:108
	s_waitcnt lgkmcnt(3)
	v_fmac_f32_e32 v3, v145, v121
	v_fmac_f32_e32 v3, v146, v122
	s_waitcnt lgkmcnt(2)
	s_delay_alu instid0(VALU_DEP_1)
	v_fmac_f32_e32 v3, v147, v123
	ds_load_2addr_b32 v[121:122], v2 offset0:109 offset1:110
	ds_load_b32 v123, v2 offset:444
	s_waitcnt vmcnt(1)
	v_fmac_f32_e32 v3, v148, v124
	s_waitcnt lgkmcnt(3)
	s_delay_alu instid0(VALU_DEP_1) | instskip(NEXT) | instid1(VALU_DEP_1)
	v_fmac_f32_e32 v3, v149, v117
	v_fmac_f32_e32 v3, v150, v118
	s_waitcnt lgkmcnt(2)
	s_delay_alu instid0(VALU_DEP_1) | instskip(SKIP_1) | instid1(VALU_DEP_1)
	v_fmac_f32_e32 v3, v151, v119
	s_waitcnt vmcnt(0)
	v_fmac_f32_e32 v3, v152, v120
	s_waitcnt lgkmcnt(1)
	s_delay_alu instid0(VALU_DEP_1) | instskip(NEXT) | instid1(VALU_DEP_1)
	v_fmac_f32_e32 v3, v153, v121
	v_fmac_f32_e32 v3, v154, v122
	s_waitcnt lgkmcnt(0)
	s_delay_alu instid0(VALU_DEP_1) | instskip(NEXT) | instid1(VALU_DEP_1)
	v_fmac_f32_e32 v3, v155, v123
	v_sub_f32_e32 v3, v116, v3
	scratch_store_b32 off, v3, off offset:64
	v_cmpx_lt_u32_e32 15, v0
	s_cbranch_execz .LBB119_313
; %bb.312:
	scratch_load_b32 v3, off, off offset:60
	scratch_store_b32 off, v2, off offset:60
	s_waitcnt vmcnt(0)
	ds_store_b32 v1, v3
.LBB119_313:
	s_or_b32 exec_lo, exec_lo, s0
	s_waitcnt lgkmcnt(0)
	s_waitcnt_vscnt null, 0x0
	s_barrier
	buffer_gl0_inv
	s_clause 0xa
	scratch_load_b128 v[116:119], off, off offset:60
	scratch_load_b128 v[120:123], off, off offset:76
	;; [unrolled: 1-line block ×10, first 2 shown]
	scratch_load_b32 v3, off, off offset:220
	ds_load_b128 v[156:159], v2 offset:288
	ds_load_b128 v[160:163], v2 offset:304
	s_mov_b32 s0, exec_lo
	s_waitcnt vmcnt(10) lgkmcnt(1)
	v_fma_f32 v156, v117, v156, 0
	s_delay_alu instid0(VALU_DEP_1) | instskip(NEXT) | instid1(VALU_DEP_1)
	v_fmac_f32_e32 v156, v118, v157
	v_fmac_f32_e32 v156, v119, v158
	s_waitcnt vmcnt(9)
	s_delay_alu instid0(VALU_DEP_1) | instskip(SKIP_3) | instid1(VALU_DEP_1)
	v_fmac_f32_e32 v156, v120, v159
	ds_load_b128 v[117:120], v2 offset:320
	s_waitcnt lgkmcnt(1)
	v_fmac_f32_e32 v156, v121, v160
	v_fmac_f32_e32 v156, v122, v161
	s_delay_alu instid0(VALU_DEP_1) | instskip(SKIP_1) | instid1(VALU_DEP_1)
	v_fmac_f32_e32 v156, v123, v162
	s_waitcnt vmcnt(8)
	v_fmac_f32_e32 v156, v124, v163
	ds_load_b128 v[121:124], v2 offset:336
	s_waitcnt lgkmcnt(1)
	v_fmac_f32_e32 v156, v125, v117
	s_delay_alu instid0(VALU_DEP_1) | instskip(NEXT) | instid1(VALU_DEP_1)
	v_fmac_f32_e32 v156, v126, v118
	v_fmac_f32_e32 v156, v127, v119
	s_waitcnt vmcnt(7)
	s_delay_alu instid0(VALU_DEP_1) | instskip(SKIP_3) | instid1(VALU_DEP_1)
	v_fmac_f32_e32 v156, v128, v120
	ds_load_b128 v[117:120], v2 offset:352
	s_waitcnt lgkmcnt(1)
	v_fmac_f32_e32 v156, v129, v121
	v_fmac_f32_e32 v156, v130, v122
	s_delay_alu instid0(VALU_DEP_1) | instskip(SKIP_1) | instid1(VALU_DEP_1)
	v_fmac_f32_e32 v156, v131, v123
	s_waitcnt vmcnt(6)
	v_fmac_f32_e32 v156, v132, v124
	ds_load_b128 v[121:124], v2 offset:368
	s_waitcnt lgkmcnt(1)
	v_fmac_f32_e32 v156, v133, v117
	;; [unrolled: 17-line block ×4, first 2 shown]
	s_delay_alu instid0(VALU_DEP_1) | instskip(NEXT) | instid1(VALU_DEP_1)
	v_fmac_f32_e32 v156, v150, v118
	v_fmac_f32_e32 v156, v151, v119
	s_waitcnt vmcnt(1)
	s_delay_alu instid0(VALU_DEP_1) | instskip(SKIP_1) | instid1(VALU_DEP_1)
	v_fmac_f32_e32 v156, v152, v120
	s_waitcnt lgkmcnt(0)
	v_fmac_f32_e32 v156, v153, v121
	s_delay_alu instid0(VALU_DEP_1) | instskip(NEXT) | instid1(VALU_DEP_1)
	v_fmac_f32_e32 v156, v154, v122
	v_fmac_f32_e32 v156, v155, v123
	s_waitcnt vmcnt(0)
	s_delay_alu instid0(VALU_DEP_1) | instskip(NEXT) | instid1(VALU_DEP_1)
	v_fmac_f32_e32 v156, v3, v124
	v_sub_f32_e32 v2, v116, v156
	scratch_store_b32 off, v2, off offset:60
	v_cmpx_lt_u32_e32 14, v0
	s_cbranch_execz .LBB119_315
; %bb.314:
	scratch_load_b32 v2, off, off offset:56
	v_mov_b32_e32 v3, 0
	scratch_store_b32 off, v3, off offset:56
	s_waitcnt vmcnt(0)
	ds_store_b32 v1, v2
.LBB119_315:
	s_or_b32 exec_lo, exec_lo, s0
	s_waitcnt lgkmcnt(0)
	s_waitcnt_vscnt null, 0x0
	s_barrier
	buffer_gl0_inv
	s_clause 0xa
	scratch_load_b128 v[116:119], off, off offset:56
	scratch_load_b128 v[120:123], off, off offset:72
	;; [unrolled: 1-line block ×10, first 2 shown]
	scratch_load_b64 v[156:157], off, off offset:216
	v_mov_b32_e32 v2, 0
	ds_load_2addr_b32 v[158:159], v2 offset0:71 offset1:72
	ds_load_2addr_b32 v[160:161], v2 offset0:73 offset1:74
	;; [unrolled: 1-line block ×4, first 2 shown]
	s_mov_b32 s0, exec_lo
	s_waitcnt vmcnt(10) lgkmcnt(3)
	v_fma_f32 v3, v117, v158, 0
	s_delay_alu instid0(VALU_DEP_1) | instskip(SKIP_4) | instid1(VALU_DEP_1)
	v_fmac_f32_e32 v3, v118, v159
	ds_load_2addr_b32 v[117:118], v2 offset0:79 offset1:80
	s_waitcnt lgkmcnt(3)
	v_fmac_f32_e32 v3, v119, v160
	s_waitcnt vmcnt(9)
	v_fmac_f32_e32 v3, v120, v161
	ds_load_2addr_b32 v[119:120], v2 offset0:81 offset1:82
	s_waitcnt lgkmcnt(3)
	v_fmac_f32_e32 v3, v121, v162
	s_delay_alu instid0(VALU_DEP_1) | instskip(SKIP_1) | instid1(VALU_DEP_1)
	v_fmac_f32_e32 v3, v122, v163
	s_waitcnt lgkmcnt(2)
	v_fmac_f32_e32 v3, v123, v164
	s_waitcnt vmcnt(8)
	s_delay_alu instid0(VALU_DEP_1) | instskip(SKIP_4) | instid1(VALU_DEP_1)
	v_fmac_f32_e32 v3, v124, v165
	ds_load_2addr_b32 v[121:122], v2 offset0:83 offset1:84
	ds_load_2addr_b32 v[123:124], v2 offset0:85 offset1:86
	s_waitcnt lgkmcnt(3)
	v_fmac_f32_e32 v3, v125, v117
	v_fmac_f32_e32 v3, v126, v118
	ds_load_2addr_b32 v[117:118], v2 offset0:87 offset1:88
	s_waitcnt lgkmcnt(3)
	v_fmac_f32_e32 v3, v127, v119
	s_waitcnt vmcnt(7)
	s_delay_alu instid0(VALU_DEP_1) | instskip(SKIP_3) | instid1(VALU_DEP_1)
	v_fmac_f32_e32 v3, v128, v120
	ds_load_2addr_b32 v[119:120], v2 offset0:89 offset1:90
	s_waitcnt lgkmcnt(3)
	v_fmac_f32_e32 v3, v129, v121
	v_fmac_f32_e32 v3, v130, v122
	s_waitcnt lgkmcnt(2)
	s_delay_alu instid0(VALU_DEP_1) | instskip(SKIP_1) | instid1(VALU_DEP_1)
	v_fmac_f32_e32 v3, v131, v123
	s_waitcnt vmcnt(6)
	v_fmac_f32_e32 v3, v132, v124
	ds_load_2addr_b32 v[121:122], v2 offset0:91 offset1:92
	ds_load_2addr_b32 v[123:124], v2 offset0:93 offset1:94
	s_waitcnt lgkmcnt(3)
	v_fmac_f32_e32 v3, v133, v117
	s_delay_alu instid0(VALU_DEP_1) | instskip(SKIP_4) | instid1(VALU_DEP_1)
	v_fmac_f32_e32 v3, v134, v118
	ds_load_2addr_b32 v[117:118], v2 offset0:95 offset1:96
	s_waitcnt lgkmcnt(3)
	v_fmac_f32_e32 v3, v135, v119
	s_waitcnt vmcnt(5)
	v_fmac_f32_e32 v3, v136, v120
	ds_load_2addr_b32 v[119:120], v2 offset0:97 offset1:98
	s_waitcnt lgkmcnt(3)
	v_fmac_f32_e32 v3, v137, v121
	s_delay_alu instid0(VALU_DEP_1) | instskip(SKIP_1) | instid1(VALU_DEP_1)
	v_fmac_f32_e32 v3, v138, v122
	s_waitcnt lgkmcnt(2)
	v_fmac_f32_e32 v3, v139, v123
	s_waitcnt vmcnt(4)
	s_delay_alu instid0(VALU_DEP_1) | instskip(SKIP_4) | instid1(VALU_DEP_1)
	v_fmac_f32_e32 v3, v140, v124
	ds_load_2addr_b32 v[121:122], v2 offset0:99 offset1:100
	ds_load_2addr_b32 v[123:124], v2 offset0:101 offset1:102
	s_waitcnt lgkmcnt(3)
	v_fmac_f32_e32 v3, v141, v117
	v_fmac_f32_e32 v3, v142, v118
	ds_load_2addr_b32 v[117:118], v2 offset0:103 offset1:104
	s_waitcnt lgkmcnt(3)
	v_fmac_f32_e32 v3, v143, v119
	s_waitcnt vmcnt(3)
	s_delay_alu instid0(VALU_DEP_1) | instskip(SKIP_3) | instid1(VALU_DEP_1)
	v_fmac_f32_e32 v3, v144, v120
	ds_load_2addr_b32 v[119:120], v2 offset0:105 offset1:106
	s_waitcnt lgkmcnt(3)
	v_fmac_f32_e32 v3, v145, v121
	v_fmac_f32_e32 v3, v146, v122
	s_waitcnt lgkmcnt(2)
	s_delay_alu instid0(VALU_DEP_1) | instskip(SKIP_1) | instid1(VALU_DEP_1)
	v_fmac_f32_e32 v3, v147, v123
	s_waitcnt vmcnt(2)
	v_fmac_f32_e32 v3, v148, v124
	ds_load_2addr_b32 v[121:122], v2 offset0:107 offset1:108
	ds_load_2addr_b32 v[123:124], v2 offset0:109 offset1:110
	s_waitcnt lgkmcnt(3)
	v_fmac_f32_e32 v3, v149, v117
	ds_load_b32 v117, v2 offset:444
	v_fmac_f32_e32 v3, v150, v118
	s_waitcnt lgkmcnt(3)
	s_delay_alu instid0(VALU_DEP_1) | instskip(SKIP_1) | instid1(VALU_DEP_1)
	v_fmac_f32_e32 v3, v151, v119
	s_waitcnt vmcnt(1)
	v_fmac_f32_e32 v3, v152, v120
	s_waitcnt lgkmcnt(2)
	s_delay_alu instid0(VALU_DEP_1) | instskip(NEXT) | instid1(VALU_DEP_1)
	v_fmac_f32_e32 v3, v153, v121
	v_fmac_f32_e32 v3, v154, v122
	s_waitcnt lgkmcnt(1)
	s_delay_alu instid0(VALU_DEP_1) | instskip(SKIP_1) | instid1(VALU_DEP_1)
	v_fmac_f32_e32 v3, v155, v123
	s_waitcnt vmcnt(0)
	v_fmac_f32_e32 v3, v156, v124
	s_waitcnt lgkmcnt(0)
	s_delay_alu instid0(VALU_DEP_1) | instskip(NEXT) | instid1(VALU_DEP_1)
	v_fmac_f32_e32 v3, v157, v117
	v_sub_f32_e32 v3, v116, v3
	scratch_store_b32 off, v3, off offset:56
	v_cmpx_lt_u32_e32 13, v0
	s_cbranch_execz .LBB119_317
; %bb.316:
	scratch_load_b32 v3, off, off offset:52
	scratch_store_b32 off, v2, off offset:52
	s_waitcnt vmcnt(0)
	ds_store_b32 v1, v3
.LBB119_317:
	s_or_b32 exec_lo, exec_lo, s0
	s_waitcnt lgkmcnt(0)
	s_waitcnt_vscnt null, 0x0
	s_barrier
	buffer_gl0_inv
	s_clause 0xa
	scratch_load_b128 v[116:119], off, off offset:52
	scratch_load_b128 v[120:123], off, off offset:68
	;; [unrolled: 1-line block ×10, first 2 shown]
	scratch_load_b96 v[164:166], off, off offset:212
	ds_load_2addr_b64 v[156:159], v2 offset0:35 offset1:36
	ds_load_2addr_b64 v[160:163], v2 offset0:37 offset1:38
	s_mov_b32 s0, exec_lo
	s_waitcnt vmcnt(10) lgkmcnt(1)
	v_fma_f32 v156, v117, v156, 0
	s_delay_alu instid0(VALU_DEP_1) | instskip(NEXT) | instid1(VALU_DEP_1)
	v_fmac_f32_e32 v156, v118, v157
	v_fmac_f32_e32 v156, v119, v158
	s_waitcnt vmcnt(9)
	s_delay_alu instid0(VALU_DEP_1) | instskip(SKIP_3) | instid1(VALU_DEP_1)
	v_fmac_f32_e32 v156, v120, v159
	ds_load_2addr_b64 v[117:120], v2 offset0:39 offset1:40
	s_waitcnt lgkmcnt(1)
	v_fmac_f32_e32 v156, v121, v160
	v_fmac_f32_e32 v156, v122, v161
	s_delay_alu instid0(VALU_DEP_1) | instskip(SKIP_1) | instid1(VALU_DEP_1)
	v_fmac_f32_e32 v156, v123, v162
	s_waitcnt vmcnt(8)
	v_fmac_f32_e32 v156, v124, v163
	ds_load_2addr_b64 v[121:124], v2 offset0:41 offset1:42
	s_waitcnt lgkmcnt(1)
	v_fmac_f32_e32 v156, v125, v117
	s_delay_alu instid0(VALU_DEP_1) | instskip(NEXT) | instid1(VALU_DEP_1)
	v_fmac_f32_e32 v156, v126, v118
	v_fmac_f32_e32 v156, v127, v119
	s_waitcnt vmcnt(7)
	s_delay_alu instid0(VALU_DEP_1) | instskip(SKIP_3) | instid1(VALU_DEP_1)
	v_fmac_f32_e32 v156, v128, v120
	ds_load_2addr_b64 v[117:120], v2 offset0:43 offset1:44
	s_waitcnt lgkmcnt(1)
	v_fmac_f32_e32 v156, v129, v121
	v_fmac_f32_e32 v156, v130, v122
	s_delay_alu instid0(VALU_DEP_1) | instskip(SKIP_1) | instid1(VALU_DEP_1)
	v_fmac_f32_e32 v156, v131, v123
	s_waitcnt vmcnt(6)
	v_fmac_f32_e32 v156, v132, v124
	ds_load_2addr_b64 v[121:124], v2 offset0:45 offset1:46
	s_waitcnt lgkmcnt(1)
	v_fmac_f32_e32 v156, v133, v117
	;; [unrolled: 17-line block ×3, first 2 shown]
	s_delay_alu instid0(VALU_DEP_1) | instskip(NEXT) | instid1(VALU_DEP_1)
	v_fmac_f32_e32 v156, v142, v118
	v_fmac_f32_e32 v156, v143, v119
	s_waitcnt vmcnt(3)
	s_delay_alu instid0(VALU_DEP_1) | instskip(SKIP_3) | instid1(VALU_DEP_1)
	v_fmac_f32_e32 v156, v144, v120
	ds_load_2addr_b64 v[117:120], v2 offset0:51 offset1:52
	s_waitcnt lgkmcnt(1)
	v_fmac_f32_e32 v156, v145, v121
	v_fmac_f32_e32 v156, v146, v122
	s_delay_alu instid0(VALU_DEP_1) | instskip(SKIP_1) | instid1(VALU_DEP_1)
	v_fmac_f32_e32 v156, v147, v123
	s_waitcnt vmcnt(2)
	v_fmac_f32_e32 v156, v148, v124
	ds_load_2addr_b64 v[121:124], v2 offset0:53 offset1:54
	ds_load_b64 v[2:3], v2 offset:440
	s_waitcnt lgkmcnt(2)
	v_fmac_f32_e32 v156, v149, v117
	s_delay_alu instid0(VALU_DEP_1) | instskip(NEXT) | instid1(VALU_DEP_1)
	v_fmac_f32_e32 v156, v150, v118
	v_fmac_f32_e32 v156, v151, v119
	s_waitcnt vmcnt(1)
	s_delay_alu instid0(VALU_DEP_1) | instskip(SKIP_1) | instid1(VALU_DEP_1)
	v_fmac_f32_e32 v156, v152, v120
	s_waitcnt lgkmcnt(1)
	v_fmac_f32_e32 v156, v153, v121
	s_delay_alu instid0(VALU_DEP_1) | instskip(NEXT) | instid1(VALU_DEP_1)
	v_fmac_f32_e32 v156, v154, v122
	v_fmac_f32_e32 v156, v155, v123
	s_waitcnt vmcnt(0)
	s_delay_alu instid0(VALU_DEP_1) | instskip(SKIP_1) | instid1(VALU_DEP_1)
	v_fmac_f32_e32 v156, v164, v124
	s_waitcnt lgkmcnt(0)
	v_fmac_f32_e32 v156, v165, v2
	s_delay_alu instid0(VALU_DEP_1) | instskip(NEXT) | instid1(VALU_DEP_1)
	v_fmac_f32_e32 v156, v166, v3
	v_sub_f32_e32 v2, v116, v156
	scratch_store_b32 off, v2, off offset:52
	v_cmpx_lt_u32_e32 12, v0
	s_cbranch_execz .LBB119_319
; %bb.318:
	scratch_load_b32 v2, off, off offset:48
	v_mov_b32_e32 v3, 0
	scratch_store_b32 off, v3, off offset:48
	s_waitcnt vmcnt(0)
	ds_store_b32 v1, v2
.LBB119_319:
	s_or_b32 exec_lo, exec_lo, s0
	s_waitcnt lgkmcnt(0)
	s_waitcnt_vscnt null, 0x0
	s_barrier
	buffer_gl0_inv
	s_clause 0xa
	scratch_load_b128 v[116:119], off, off offset:48
	scratch_load_b128 v[120:123], off, off offset:64
	scratch_load_b128 v[124:127], off, off offset:80
	scratch_load_b128 v[128:131], off, off offset:96
	scratch_load_b128 v[132:135], off, off offset:112
	scratch_load_b128 v[136:139], off, off offset:128
	scratch_load_b128 v[140:143], off, off offset:144
	scratch_load_b128 v[144:147], off, off offset:160
	scratch_load_b128 v[148:151], off, off offset:176
	scratch_load_b128 v[152:155], off, off offset:192
	scratch_load_b128 v[156:159], off, off offset:208
	v_mov_b32_e32 v2, 0
	ds_load_2addr_b32 v[160:161], v2 offset0:69 offset1:70
	ds_load_2addr_b32 v[162:163], v2 offset0:71 offset1:72
	;; [unrolled: 1-line block ×4, first 2 shown]
	s_mov_b32 s0, exec_lo
	s_waitcnt vmcnt(10) lgkmcnt(3)
	v_fma_f32 v3, v117, v160, 0
	s_delay_alu instid0(VALU_DEP_1) | instskip(SKIP_4) | instid1(VALU_DEP_1)
	v_fmac_f32_e32 v3, v118, v161
	ds_load_2addr_b32 v[117:118], v2 offset0:77 offset1:78
	s_waitcnt lgkmcnt(3)
	v_fmac_f32_e32 v3, v119, v162
	s_waitcnt vmcnt(9)
	v_fmac_f32_e32 v3, v120, v163
	ds_load_2addr_b32 v[119:120], v2 offset0:79 offset1:80
	s_waitcnt lgkmcnt(3)
	v_fmac_f32_e32 v3, v121, v164
	s_delay_alu instid0(VALU_DEP_1) | instskip(SKIP_1) | instid1(VALU_DEP_1)
	v_fmac_f32_e32 v3, v122, v165
	s_waitcnt lgkmcnt(2)
	v_fmac_f32_e32 v3, v123, v166
	s_waitcnt vmcnt(8)
	s_delay_alu instid0(VALU_DEP_1) | instskip(SKIP_4) | instid1(VALU_DEP_1)
	v_fmac_f32_e32 v3, v124, v167
	ds_load_2addr_b32 v[121:122], v2 offset0:81 offset1:82
	ds_load_2addr_b32 v[123:124], v2 offset0:83 offset1:84
	s_waitcnt lgkmcnt(3)
	v_fmac_f32_e32 v3, v125, v117
	v_fmac_f32_e32 v3, v126, v118
	ds_load_2addr_b32 v[117:118], v2 offset0:85 offset1:86
	s_waitcnt lgkmcnt(3)
	v_fmac_f32_e32 v3, v127, v119
	s_waitcnt vmcnt(7)
	s_delay_alu instid0(VALU_DEP_1) | instskip(SKIP_3) | instid1(VALU_DEP_1)
	v_fmac_f32_e32 v3, v128, v120
	ds_load_2addr_b32 v[119:120], v2 offset0:87 offset1:88
	s_waitcnt lgkmcnt(3)
	v_fmac_f32_e32 v3, v129, v121
	v_fmac_f32_e32 v3, v130, v122
	s_waitcnt lgkmcnt(2)
	s_delay_alu instid0(VALU_DEP_1) | instskip(SKIP_1) | instid1(VALU_DEP_1)
	v_fmac_f32_e32 v3, v131, v123
	s_waitcnt vmcnt(6)
	v_fmac_f32_e32 v3, v132, v124
	ds_load_2addr_b32 v[121:122], v2 offset0:89 offset1:90
	ds_load_2addr_b32 v[123:124], v2 offset0:91 offset1:92
	s_waitcnt lgkmcnt(3)
	v_fmac_f32_e32 v3, v133, v117
	s_delay_alu instid0(VALU_DEP_1) | instskip(SKIP_4) | instid1(VALU_DEP_1)
	v_fmac_f32_e32 v3, v134, v118
	ds_load_2addr_b32 v[117:118], v2 offset0:93 offset1:94
	s_waitcnt lgkmcnt(3)
	v_fmac_f32_e32 v3, v135, v119
	s_waitcnt vmcnt(5)
	v_fmac_f32_e32 v3, v136, v120
	ds_load_2addr_b32 v[119:120], v2 offset0:95 offset1:96
	s_waitcnt lgkmcnt(3)
	v_fmac_f32_e32 v3, v137, v121
	s_delay_alu instid0(VALU_DEP_1) | instskip(SKIP_1) | instid1(VALU_DEP_1)
	v_fmac_f32_e32 v3, v138, v122
	s_waitcnt lgkmcnt(2)
	v_fmac_f32_e32 v3, v139, v123
	s_waitcnt vmcnt(4)
	s_delay_alu instid0(VALU_DEP_1) | instskip(SKIP_4) | instid1(VALU_DEP_1)
	v_fmac_f32_e32 v3, v140, v124
	ds_load_2addr_b32 v[121:122], v2 offset0:97 offset1:98
	ds_load_2addr_b32 v[123:124], v2 offset0:99 offset1:100
	s_waitcnt lgkmcnt(3)
	v_fmac_f32_e32 v3, v141, v117
	v_fmac_f32_e32 v3, v142, v118
	ds_load_2addr_b32 v[117:118], v2 offset0:101 offset1:102
	s_waitcnt lgkmcnt(3)
	v_fmac_f32_e32 v3, v143, v119
	s_waitcnt vmcnt(3)
	s_delay_alu instid0(VALU_DEP_1) | instskip(SKIP_3) | instid1(VALU_DEP_1)
	v_fmac_f32_e32 v3, v144, v120
	ds_load_2addr_b32 v[119:120], v2 offset0:103 offset1:104
	s_waitcnt lgkmcnt(3)
	v_fmac_f32_e32 v3, v145, v121
	v_fmac_f32_e32 v3, v146, v122
	s_waitcnt lgkmcnt(2)
	s_delay_alu instid0(VALU_DEP_1) | instskip(SKIP_1) | instid1(VALU_DEP_1)
	v_fmac_f32_e32 v3, v147, v123
	s_waitcnt vmcnt(2)
	v_fmac_f32_e32 v3, v148, v124
	ds_load_2addr_b32 v[121:122], v2 offset0:105 offset1:106
	ds_load_2addr_b32 v[123:124], v2 offset0:107 offset1:108
	s_waitcnt lgkmcnt(3)
	v_fmac_f32_e32 v3, v149, v117
	s_delay_alu instid0(VALU_DEP_1)
	v_fmac_f32_e32 v3, v150, v118
	ds_load_2addr_b32 v[117:118], v2 offset0:109 offset1:110
	s_waitcnt lgkmcnt(3)
	v_fmac_f32_e32 v3, v151, v119
	ds_load_b32 v119, v2 offset:444
	s_waitcnt vmcnt(1)
	v_fmac_f32_e32 v3, v152, v120
	s_waitcnt lgkmcnt(3)
	s_delay_alu instid0(VALU_DEP_1) | instskip(NEXT) | instid1(VALU_DEP_1)
	v_fmac_f32_e32 v3, v153, v121
	v_fmac_f32_e32 v3, v154, v122
	s_waitcnt lgkmcnt(2)
	s_delay_alu instid0(VALU_DEP_1) | instskip(SKIP_1) | instid1(VALU_DEP_1)
	v_fmac_f32_e32 v3, v155, v123
	s_waitcnt vmcnt(0)
	v_fmac_f32_e32 v3, v156, v124
	s_waitcnt lgkmcnt(1)
	s_delay_alu instid0(VALU_DEP_1) | instskip(NEXT) | instid1(VALU_DEP_1)
	v_fmac_f32_e32 v3, v157, v117
	v_fmac_f32_e32 v3, v158, v118
	s_waitcnt lgkmcnt(0)
	s_delay_alu instid0(VALU_DEP_1) | instskip(NEXT) | instid1(VALU_DEP_1)
	v_fmac_f32_e32 v3, v159, v119
	v_sub_f32_e32 v3, v116, v3
	scratch_store_b32 off, v3, off offset:48
	v_cmpx_lt_u32_e32 11, v0
	s_cbranch_execz .LBB119_321
; %bb.320:
	scratch_load_b32 v3, off, off offset:44
	scratch_store_b32 off, v2, off offset:44
	s_waitcnt vmcnt(0)
	ds_store_b32 v1, v3
.LBB119_321:
	s_or_b32 exec_lo, exec_lo, s0
	s_waitcnt lgkmcnt(0)
	s_waitcnt_vscnt null, 0x0
	s_barrier
	buffer_gl0_inv
	s_clause 0xb
	scratch_load_b128 v[116:119], off, off offset:44
	scratch_load_b128 v[120:123], off, off offset:60
	;; [unrolled: 1-line block ×11, first 2 shown]
	scratch_load_b32 v3, off, off offset:220
	ds_load_b128 v[160:163], v2 offset:272
	ds_load_b128 v[164:167], v2 offset:288
	s_mov_b32 s0, exec_lo
	s_waitcnt vmcnt(11) lgkmcnt(1)
	v_fma_f32 v160, v117, v160, 0
	s_delay_alu instid0(VALU_DEP_1) | instskip(NEXT) | instid1(VALU_DEP_1)
	v_fmac_f32_e32 v160, v118, v161
	v_fmac_f32_e32 v160, v119, v162
	s_waitcnt vmcnt(10)
	s_delay_alu instid0(VALU_DEP_1) | instskip(SKIP_3) | instid1(VALU_DEP_1)
	v_fmac_f32_e32 v160, v120, v163
	ds_load_b128 v[117:120], v2 offset:304
	s_waitcnt lgkmcnt(1)
	v_fmac_f32_e32 v160, v121, v164
	v_fmac_f32_e32 v160, v122, v165
	s_delay_alu instid0(VALU_DEP_1) | instskip(SKIP_1) | instid1(VALU_DEP_1)
	v_fmac_f32_e32 v160, v123, v166
	s_waitcnt vmcnt(9)
	v_fmac_f32_e32 v160, v124, v167
	ds_load_b128 v[121:124], v2 offset:320
	s_waitcnt lgkmcnt(1)
	v_fmac_f32_e32 v160, v125, v117
	s_delay_alu instid0(VALU_DEP_1) | instskip(NEXT) | instid1(VALU_DEP_1)
	v_fmac_f32_e32 v160, v126, v118
	v_fmac_f32_e32 v160, v127, v119
	s_waitcnt vmcnt(8)
	s_delay_alu instid0(VALU_DEP_1) | instskip(SKIP_3) | instid1(VALU_DEP_1)
	v_fmac_f32_e32 v160, v128, v120
	ds_load_b128 v[117:120], v2 offset:336
	s_waitcnt lgkmcnt(1)
	v_fmac_f32_e32 v160, v129, v121
	v_fmac_f32_e32 v160, v130, v122
	s_delay_alu instid0(VALU_DEP_1) | instskip(SKIP_1) | instid1(VALU_DEP_1)
	v_fmac_f32_e32 v160, v131, v123
	s_waitcnt vmcnt(7)
	v_fmac_f32_e32 v160, v132, v124
	ds_load_b128 v[121:124], v2 offset:352
	s_waitcnt lgkmcnt(1)
	v_fmac_f32_e32 v160, v133, v117
	;; [unrolled: 17-line block ×4, first 2 shown]
	s_delay_alu instid0(VALU_DEP_1) | instskip(NEXT) | instid1(VALU_DEP_1)
	v_fmac_f32_e32 v160, v150, v118
	v_fmac_f32_e32 v160, v151, v119
	s_waitcnt vmcnt(2)
	s_delay_alu instid0(VALU_DEP_1) | instskip(SKIP_3) | instid1(VALU_DEP_1)
	v_fmac_f32_e32 v160, v152, v120
	ds_load_b128 v[117:120], v2 offset:432
	s_waitcnt lgkmcnt(1)
	v_fmac_f32_e32 v160, v153, v121
	v_fmac_f32_e32 v160, v154, v122
	s_delay_alu instid0(VALU_DEP_1) | instskip(SKIP_1) | instid1(VALU_DEP_1)
	v_fmac_f32_e32 v160, v155, v123
	s_waitcnt vmcnt(1)
	v_fmac_f32_e32 v160, v156, v124
	s_waitcnt lgkmcnt(0)
	s_delay_alu instid0(VALU_DEP_1) | instskip(NEXT) | instid1(VALU_DEP_1)
	v_fmac_f32_e32 v160, v157, v117
	v_fmac_f32_e32 v160, v158, v118
	s_delay_alu instid0(VALU_DEP_1) | instskip(SKIP_1) | instid1(VALU_DEP_1)
	v_fmac_f32_e32 v160, v159, v119
	s_waitcnt vmcnt(0)
	v_fmac_f32_e32 v160, v3, v120
	s_delay_alu instid0(VALU_DEP_1)
	v_sub_f32_e32 v2, v116, v160
	scratch_store_b32 off, v2, off offset:44
	v_cmpx_lt_u32_e32 10, v0
	s_cbranch_execz .LBB119_323
; %bb.322:
	scratch_load_b32 v2, off, off offset:40
	v_mov_b32_e32 v3, 0
	scratch_store_b32 off, v3, off offset:40
	s_waitcnt vmcnt(0)
	ds_store_b32 v1, v2
.LBB119_323:
	s_or_b32 exec_lo, exec_lo, s0
	s_waitcnt lgkmcnt(0)
	s_waitcnt_vscnt null, 0x0
	s_barrier
	buffer_gl0_inv
	s_clause 0xb
	scratch_load_b128 v[116:119], off, off offset:40
	scratch_load_b128 v[120:123], off, off offset:56
	;; [unrolled: 1-line block ×11, first 2 shown]
	scratch_load_b64 v[160:161], off, off offset:216
	v_mov_b32_e32 v2, 0
	ds_load_2addr_b32 v[162:163], v2 offset0:67 offset1:68
	ds_load_2addr_b32 v[164:165], v2 offset0:69 offset1:70
	;; [unrolled: 1-line block ×4, first 2 shown]
	s_mov_b32 s0, exec_lo
	s_waitcnt vmcnt(11) lgkmcnt(3)
	v_fma_f32 v3, v117, v162, 0
	s_delay_alu instid0(VALU_DEP_1) | instskip(SKIP_4) | instid1(VALU_DEP_1)
	v_fmac_f32_e32 v3, v118, v163
	ds_load_2addr_b32 v[117:118], v2 offset0:75 offset1:76
	s_waitcnt lgkmcnt(3)
	v_fmac_f32_e32 v3, v119, v164
	s_waitcnt vmcnt(10)
	v_fmac_f32_e32 v3, v120, v165
	ds_load_2addr_b32 v[119:120], v2 offset0:77 offset1:78
	s_waitcnt lgkmcnt(3)
	v_fmac_f32_e32 v3, v121, v166
	s_delay_alu instid0(VALU_DEP_1) | instskip(SKIP_1) | instid1(VALU_DEP_1)
	v_fmac_f32_e32 v3, v122, v167
	s_waitcnt lgkmcnt(2)
	v_fmac_f32_e32 v3, v123, v168
	s_waitcnt vmcnt(9)
	s_delay_alu instid0(VALU_DEP_1) | instskip(SKIP_4) | instid1(VALU_DEP_1)
	v_fmac_f32_e32 v3, v124, v169
	ds_load_2addr_b32 v[121:122], v2 offset0:79 offset1:80
	ds_load_2addr_b32 v[123:124], v2 offset0:81 offset1:82
	s_waitcnt lgkmcnt(3)
	v_fmac_f32_e32 v3, v125, v117
	v_fmac_f32_e32 v3, v126, v118
	ds_load_2addr_b32 v[117:118], v2 offset0:83 offset1:84
	s_waitcnt lgkmcnt(3)
	v_fmac_f32_e32 v3, v127, v119
	s_waitcnt vmcnt(8)
	s_delay_alu instid0(VALU_DEP_1) | instskip(SKIP_3) | instid1(VALU_DEP_1)
	v_fmac_f32_e32 v3, v128, v120
	ds_load_2addr_b32 v[119:120], v2 offset0:85 offset1:86
	s_waitcnt lgkmcnt(3)
	v_fmac_f32_e32 v3, v129, v121
	v_fmac_f32_e32 v3, v130, v122
	s_waitcnt lgkmcnt(2)
	s_delay_alu instid0(VALU_DEP_1) | instskip(SKIP_1) | instid1(VALU_DEP_1)
	v_fmac_f32_e32 v3, v131, v123
	s_waitcnt vmcnt(7)
	v_fmac_f32_e32 v3, v132, v124
	ds_load_2addr_b32 v[121:122], v2 offset0:87 offset1:88
	ds_load_2addr_b32 v[123:124], v2 offset0:89 offset1:90
	s_waitcnt lgkmcnt(3)
	v_fmac_f32_e32 v3, v133, v117
	s_delay_alu instid0(VALU_DEP_1) | instskip(SKIP_4) | instid1(VALU_DEP_1)
	v_fmac_f32_e32 v3, v134, v118
	ds_load_2addr_b32 v[117:118], v2 offset0:91 offset1:92
	s_waitcnt lgkmcnt(3)
	v_fmac_f32_e32 v3, v135, v119
	s_waitcnt vmcnt(6)
	v_fmac_f32_e32 v3, v136, v120
	ds_load_2addr_b32 v[119:120], v2 offset0:93 offset1:94
	s_waitcnt lgkmcnt(3)
	v_fmac_f32_e32 v3, v137, v121
	s_delay_alu instid0(VALU_DEP_1) | instskip(SKIP_1) | instid1(VALU_DEP_1)
	v_fmac_f32_e32 v3, v138, v122
	s_waitcnt lgkmcnt(2)
	v_fmac_f32_e32 v3, v139, v123
	s_waitcnt vmcnt(5)
	s_delay_alu instid0(VALU_DEP_1) | instskip(SKIP_4) | instid1(VALU_DEP_1)
	v_fmac_f32_e32 v3, v140, v124
	ds_load_2addr_b32 v[121:122], v2 offset0:95 offset1:96
	ds_load_2addr_b32 v[123:124], v2 offset0:97 offset1:98
	s_waitcnt lgkmcnt(3)
	v_fmac_f32_e32 v3, v141, v117
	v_fmac_f32_e32 v3, v142, v118
	ds_load_2addr_b32 v[117:118], v2 offset0:99 offset1:100
	s_waitcnt lgkmcnt(3)
	v_fmac_f32_e32 v3, v143, v119
	s_waitcnt vmcnt(4)
	s_delay_alu instid0(VALU_DEP_1) | instskip(SKIP_3) | instid1(VALU_DEP_1)
	v_fmac_f32_e32 v3, v144, v120
	ds_load_2addr_b32 v[119:120], v2 offset0:101 offset1:102
	s_waitcnt lgkmcnt(3)
	v_fmac_f32_e32 v3, v145, v121
	v_fmac_f32_e32 v3, v146, v122
	s_waitcnt lgkmcnt(2)
	s_delay_alu instid0(VALU_DEP_1) | instskip(SKIP_1) | instid1(VALU_DEP_1)
	v_fmac_f32_e32 v3, v147, v123
	s_waitcnt vmcnt(3)
	v_fmac_f32_e32 v3, v148, v124
	ds_load_2addr_b32 v[121:122], v2 offset0:103 offset1:104
	ds_load_2addr_b32 v[123:124], v2 offset0:105 offset1:106
	s_waitcnt lgkmcnt(3)
	v_fmac_f32_e32 v3, v149, v117
	s_delay_alu instid0(VALU_DEP_1) | instskip(SKIP_4) | instid1(VALU_DEP_1)
	v_fmac_f32_e32 v3, v150, v118
	ds_load_2addr_b32 v[117:118], v2 offset0:107 offset1:108
	s_waitcnt lgkmcnt(3)
	v_fmac_f32_e32 v3, v151, v119
	s_waitcnt vmcnt(2)
	v_fmac_f32_e32 v3, v152, v120
	ds_load_2addr_b32 v[119:120], v2 offset0:109 offset1:110
	s_waitcnt lgkmcnt(3)
	v_fmac_f32_e32 v3, v153, v121
	ds_load_b32 v121, v2 offset:444
	v_fmac_f32_e32 v3, v154, v122
	s_waitcnt lgkmcnt(3)
	s_delay_alu instid0(VALU_DEP_1) | instskip(SKIP_1) | instid1(VALU_DEP_1)
	v_fmac_f32_e32 v3, v155, v123
	s_waitcnt vmcnt(1)
	v_fmac_f32_e32 v3, v156, v124
	s_waitcnt lgkmcnt(2)
	s_delay_alu instid0(VALU_DEP_1) | instskip(NEXT) | instid1(VALU_DEP_1)
	v_fmac_f32_e32 v3, v157, v117
	v_fmac_f32_e32 v3, v158, v118
	s_waitcnt lgkmcnt(1)
	s_delay_alu instid0(VALU_DEP_1) | instskip(SKIP_1) | instid1(VALU_DEP_1)
	v_fmac_f32_e32 v3, v159, v119
	s_waitcnt vmcnt(0)
	v_fmac_f32_e32 v3, v160, v120
	s_waitcnt lgkmcnt(0)
	s_delay_alu instid0(VALU_DEP_1) | instskip(NEXT) | instid1(VALU_DEP_1)
	v_fmac_f32_e32 v3, v161, v121
	v_sub_f32_e32 v3, v116, v3
	scratch_store_b32 off, v3, off offset:40
	v_cmpx_lt_u32_e32 9, v0
	s_cbranch_execz .LBB119_325
; %bb.324:
	scratch_load_b32 v3, off, off offset:36
	scratch_store_b32 off, v2, off offset:36
	s_waitcnt vmcnt(0)
	ds_store_b32 v1, v3
.LBB119_325:
	s_or_b32 exec_lo, exec_lo, s0
	s_waitcnt lgkmcnt(0)
	s_waitcnt_vscnt null, 0x0
	s_barrier
	buffer_gl0_inv
	s_clause 0xb
	scratch_load_b128 v[116:119], off, off offset:36
	scratch_load_b128 v[120:123], off, off offset:52
	;; [unrolled: 1-line block ×11, first 2 shown]
	scratch_load_b96 v[168:170], off, off offset:212
	ds_load_2addr_b64 v[160:163], v2 offset0:33 offset1:34
	ds_load_2addr_b64 v[164:167], v2 offset0:35 offset1:36
	s_mov_b32 s0, exec_lo
	s_waitcnt vmcnt(11) lgkmcnt(1)
	v_fma_f32 v160, v117, v160, 0
	s_delay_alu instid0(VALU_DEP_1) | instskip(NEXT) | instid1(VALU_DEP_1)
	v_fmac_f32_e32 v160, v118, v161
	v_fmac_f32_e32 v160, v119, v162
	s_waitcnt vmcnt(10)
	s_delay_alu instid0(VALU_DEP_1) | instskip(SKIP_3) | instid1(VALU_DEP_1)
	v_fmac_f32_e32 v160, v120, v163
	ds_load_2addr_b64 v[117:120], v2 offset0:37 offset1:38
	s_waitcnt lgkmcnt(1)
	v_fmac_f32_e32 v160, v121, v164
	v_fmac_f32_e32 v160, v122, v165
	s_delay_alu instid0(VALU_DEP_1) | instskip(SKIP_1) | instid1(VALU_DEP_1)
	v_fmac_f32_e32 v160, v123, v166
	s_waitcnt vmcnt(9)
	v_fmac_f32_e32 v160, v124, v167
	ds_load_2addr_b64 v[121:124], v2 offset0:39 offset1:40
	s_waitcnt lgkmcnt(1)
	v_fmac_f32_e32 v160, v125, v117
	s_delay_alu instid0(VALU_DEP_1) | instskip(NEXT) | instid1(VALU_DEP_1)
	v_fmac_f32_e32 v160, v126, v118
	v_fmac_f32_e32 v160, v127, v119
	s_waitcnt vmcnt(8)
	s_delay_alu instid0(VALU_DEP_1) | instskip(SKIP_3) | instid1(VALU_DEP_1)
	v_fmac_f32_e32 v160, v128, v120
	ds_load_2addr_b64 v[117:120], v2 offset0:41 offset1:42
	s_waitcnt lgkmcnt(1)
	v_fmac_f32_e32 v160, v129, v121
	v_fmac_f32_e32 v160, v130, v122
	s_delay_alu instid0(VALU_DEP_1) | instskip(SKIP_1) | instid1(VALU_DEP_1)
	v_fmac_f32_e32 v160, v131, v123
	s_waitcnt vmcnt(7)
	v_fmac_f32_e32 v160, v132, v124
	ds_load_2addr_b64 v[121:124], v2 offset0:43 offset1:44
	s_waitcnt lgkmcnt(1)
	v_fmac_f32_e32 v160, v133, v117
	;; [unrolled: 17-line block ×4, first 2 shown]
	s_delay_alu instid0(VALU_DEP_1) | instskip(NEXT) | instid1(VALU_DEP_1)
	v_fmac_f32_e32 v160, v150, v118
	v_fmac_f32_e32 v160, v151, v119
	s_waitcnt vmcnt(2)
	s_delay_alu instid0(VALU_DEP_1) | instskip(SKIP_4) | instid1(VALU_DEP_1)
	v_fmac_f32_e32 v160, v152, v120
	ds_load_2addr_b64 v[117:120], v2 offset0:53 offset1:54
	ds_load_b64 v[2:3], v2 offset:440
	s_waitcnt lgkmcnt(2)
	v_fmac_f32_e32 v160, v153, v121
	v_fmac_f32_e32 v160, v154, v122
	s_delay_alu instid0(VALU_DEP_1) | instskip(SKIP_1) | instid1(VALU_DEP_1)
	v_fmac_f32_e32 v160, v155, v123
	s_waitcnt vmcnt(1)
	v_fmac_f32_e32 v160, v156, v124
	s_waitcnt lgkmcnt(1)
	s_delay_alu instid0(VALU_DEP_1) | instskip(NEXT) | instid1(VALU_DEP_1)
	v_fmac_f32_e32 v160, v157, v117
	v_fmac_f32_e32 v160, v158, v118
	s_delay_alu instid0(VALU_DEP_1) | instskip(SKIP_1) | instid1(VALU_DEP_1)
	v_fmac_f32_e32 v160, v159, v119
	s_waitcnt vmcnt(0)
	v_fmac_f32_e32 v160, v168, v120
	s_waitcnt lgkmcnt(0)
	s_delay_alu instid0(VALU_DEP_1) | instskip(NEXT) | instid1(VALU_DEP_1)
	v_fmac_f32_e32 v160, v169, v2
	v_fmac_f32_e32 v160, v170, v3
	s_delay_alu instid0(VALU_DEP_1)
	v_sub_f32_e32 v2, v116, v160
	scratch_store_b32 off, v2, off offset:36
	v_cmpx_lt_u32_e32 8, v0
	s_cbranch_execz .LBB119_327
; %bb.326:
	scratch_load_b32 v2, off, off offset:32
	v_mov_b32_e32 v3, 0
	scratch_store_b32 off, v3, off offset:32
	s_waitcnt vmcnt(0)
	ds_store_b32 v1, v2
.LBB119_327:
	s_or_b32 exec_lo, exec_lo, s0
	s_waitcnt lgkmcnt(0)
	s_waitcnt_vscnt null, 0x0
	s_barrier
	buffer_gl0_inv
	s_clause 0xb
	scratch_load_b128 v[116:119], off, off offset:32
	scratch_load_b128 v[120:123], off, off offset:48
	;; [unrolled: 1-line block ×12, first 2 shown]
	v_mov_b32_e32 v2, 0
	ds_load_2addr_b32 v[164:165], v2 offset0:65 offset1:66
	ds_load_2addr_b32 v[166:167], v2 offset0:67 offset1:68
	;; [unrolled: 1-line block ×4, first 2 shown]
	s_mov_b32 s0, exec_lo
	s_waitcnt vmcnt(11) lgkmcnt(3)
	v_fma_f32 v3, v117, v164, 0
	s_delay_alu instid0(VALU_DEP_1) | instskip(SKIP_4) | instid1(VALU_DEP_1)
	v_fmac_f32_e32 v3, v118, v165
	ds_load_2addr_b32 v[117:118], v2 offset0:73 offset1:74
	s_waitcnt lgkmcnt(3)
	v_fmac_f32_e32 v3, v119, v166
	s_waitcnt vmcnt(10)
	v_fmac_f32_e32 v3, v120, v167
	ds_load_2addr_b32 v[119:120], v2 offset0:75 offset1:76
	s_waitcnt lgkmcnt(3)
	v_fmac_f32_e32 v3, v121, v168
	s_delay_alu instid0(VALU_DEP_1) | instskip(SKIP_1) | instid1(VALU_DEP_1)
	v_fmac_f32_e32 v3, v122, v169
	s_waitcnt lgkmcnt(2)
	v_fmac_f32_e32 v3, v123, v170
	s_waitcnt vmcnt(9)
	s_delay_alu instid0(VALU_DEP_1) | instskip(SKIP_4) | instid1(VALU_DEP_1)
	v_fmac_f32_e32 v3, v124, v171
	ds_load_2addr_b32 v[121:122], v2 offset0:77 offset1:78
	ds_load_2addr_b32 v[123:124], v2 offset0:79 offset1:80
	s_waitcnt lgkmcnt(3)
	v_fmac_f32_e32 v3, v125, v117
	v_fmac_f32_e32 v3, v126, v118
	ds_load_2addr_b32 v[117:118], v2 offset0:81 offset1:82
	s_waitcnt lgkmcnt(3)
	v_fmac_f32_e32 v3, v127, v119
	s_waitcnt vmcnt(8)
	s_delay_alu instid0(VALU_DEP_1) | instskip(SKIP_3) | instid1(VALU_DEP_1)
	v_fmac_f32_e32 v3, v128, v120
	ds_load_2addr_b32 v[119:120], v2 offset0:83 offset1:84
	s_waitcnt lgkmcnt(3)
	v_fmac_f32_e32 v3, v129, v121
	v_fmac_f32_e32 v3, v130, v122
	s_waitcnt lgkmcnt(2)
	s_delay_alu instid0(VALU_DEP_1) | instskip(SKIP_1) | instid1(VALU_DEP_1)
	v_fmac_f32_e32 v3, v131, v123
	s_waitcnt vmcnt(7)
	v_fmac_f32_e32 v3, v132, v124
	ds_load_2addr_b32 v[121:122], v2 offset0:85 offset1:86
	ds_load_2addr_b32 v[123:124], v2 offset0:87 offset1:88
	s_waitcnt lgkmcnt(3)
	v_fmac_f32_e32 v3, v133, v117
	s_delay_alu instid0(VALU_DEP_1) | instskip(SKIP_4) | instid1(VALU_DEP_1)
	v_fmac_f32_e32 v3, v134, v118
	ds_load_2addr_b32 v[117:118], v2 offset0:89 offset1:90
	s_waitcnt lgkmcnt(3)
	v_fmac_f32_e32 v3, v135, v119
	s_waitcnt vmcnt(6)
	v_fmac_f32_e32 v3, v136, v120
	ds_load_2addr_b32 v[119:120], v2 offset0:91 offset1:92
	s_waitcnt lgkmcnt(3)
	v_fmac_f32_e32 v3, v137, v121
	s_delay_alu instid0(VALU_DEP_1) | instskip(SKIP_1) | instid1(VALU_DEP_1)
	v_fmac_f32_e32 v3, v138, v122
	s_waitcnt lgkmcnt(2)
	v_fmac_f32_e32 v3, v139, v123
	s_waitcnt vmcnt(5)
	s_delay_alu instid0(VALU_DEP_1) | instskip(SKIP_4) | instid1(VALU_DEP_1)
	v_fmac_f32_e32 v3, v140, v124
	ds_load_2addr_b32 v[121:122], v2 offset0:93 offset1:94
	ds_load_2addr_b32 v[123:124], v2 offset0:95 offset1:96
	s_waitcnt lgkmcnt(3)
	v_fmac_f32_e32 v3, v141, v117
	v_fmac_f32_e32 v3, v142, v118
	ds_load_2addr_b32 v[117:118], v2 offset0:97 offset1:98
	s_waitcnt lgkmcnt(3)
	v_fmac_f32_e32 v3, v143, v119
	s_waitcnt vmcnt(4)
	s_delay_alu instid0(VALU_DEP_1) | instskip(SKIP_3) | instid1(VALU_DEP_1)
	v_fmac_f32_e32 v3, v144, v120
	ds_load_2addr_b32 v[119:120], v2 offset0:99 offset1:100
	s_waitcnt lgkmcnt(3)
	v_fmac_f32_e32 v3, v145, v121
	v_fmac_f32_e32 v3, v146, v122
	s_waitcnt lgkmcnt(2)
	s_delay_alu instid0(VALU_DEP_1) | instskip(SKIP_1) | instid1(VALU_DEP_1)
	v_fmac_f32_e32 v3, v147, v123
	s_waitcnt vmcnt(3)
	v_fmac_f32_e32 v3, v148, v124
	ds_load_2addr_b32 v[121:122], v2 offset0:101 offset1:102
	ds_load_2addr_b32 v[123:124], v2 offset0:103 offset1:104
	s_waitcnt lgkmcnt(3)
	v_fmac_f32_e32 v3, v149, v117
	s_delay_alu instid0(VALU_DEP_1) | instskip(SKIP_4) | instid1(VALU_DEP_1)
	v_fmac_f32_e32 v3, v150, v118
	ds_load_2addr_b32 v[117:118], v2 offset0:105 offset1:106
	s_waitcnt lgkmcnt(3)
	v_fmac_f32_e32 v3, v151, v119
	s_waitcnt vmcnt(2)
	v_fmac_f32_e32 v3, v152, v120
	ds_load_2addr_b32 v[119:120], v2 offset0:107 offset1:108
	s_waitcnt lgkmcnt(3)
	v_fmac_f32_e32 v3, v153, v121
	s_delay_alu instid0(VALU_DEP_1) | instskip(SKIP_1) | instid1(VALU_DEP_1)
	v_fmac_f32_e32 v3, v154, v122
	s_waitcnt lgkmcnt(2)
	v_fmac_f32_e32 v3, v155, v123
	ds_load_2addr_b32 v[121:122], v2 offset0:109 offset1:110
	ds_load_b32 v123, v2 offset:444
	s_waitcnt vmcnt(1)
	v_fmac_f32_e32 v3, v156, v124
	s_waitcnt lgkmcnt(3)
	s_delay_alu instid0(VALU_DEP_1) | instskip(NEXT) | instid1(VALU_DEP_1)
	v_fmac_f32_e32 v3, v157, v117
	v_fmac_f32_e32 v3, v158, v118
	s_waitcnt lgkmcnt(2)
	s_delay_alu instid0(VALU_DEP_1) | instskip(SKIP_1) | instid1(VALU_DEP_1)
	v_fmac_f32_e32 v3, v159, v119
	s_waitcnt vmcnt(0)
	v_fmac_f32_e32 v3, v160, v120
	s_waitcnt lgkmcnt(1)
	s_delay_alu instid0(VALU_DEP_1) | instskip(NEXT) | instid1(VALU_DEP_1)
	v_fmac_f32_e32 v3, v161, v121
	v_fmac_f32_e32 v3, v162, v122
	s_waitcnt lgkmcnt(0)
	s_delay_alu instid0(VALU_DEP_1) | instskip(NEXT) | instid1(VALU_DEP_1)
	v_fmac_f32_e32 v3, v163, v123
	v_sub_f32_e32 v3, v116, v3
	scratch_store_b32 off, v3, off offset:32
	v_cmpx_lt_u32_e32 7, v0
	s_cbranch_execz .LBB119_329
; %bb.328:
	scratch_load_b32 v3, off, off offset:28
	scratch_store_b32 off, v2, off offset:28
	s_waitcnt vmcnt(0)
	ds_store_b32 v1, v3
.LBB119_329:
	s_or_b32 exec_lo, exec_lo, s0
	s_waitcnt lgkmcnt(0)
	s_waitcnt_vscnt null, 0x0
	s_barrier
	buffer_gl0_inv
	s_clause 0xc
	scratch_load_b128 v[116:119], off, off offset:28
	scratch_load_b128 v[120:123], off, off offset:44
	;; [unrolled: 1-line block ×12, first 2 shown]
	scratch_load_b32 v3, off, off offset:220
	ds_load_b128 v[164:167], v2 offset:256
	ds_load_b128 v[168:171], v2 offset:272
	s_mov_b32 s0, exec_lo
	s_waitcnt vmcnt(12) lgkmcnt(1)
	v_fma_f32 v164, v117, v164, 0
	s_delay_alu instid0(VALU_DEP_1) | instskip(NEXT) | instid1(VALU_DEP_1)
	v_fmac_f32_e32 v164, v118, v165
	v_fmac_f32_e32 v164, v119, v166
	s_waitcnt vmcnt(11)
	s_delay_alu instid0(VALU_DEP_1) | instskip(SKIP_3) | instid1(VALU_DEP_1)
	v_fmac_f32_e32 v164, v120, v167
	ds_load_b128 v[117:120], v2 offset:288
	s_waitcnt lgkmcnt(1)
	v_fmac_f32_e32 v164, v121, v168
	v_fmac_f32_e32 v164, v122, v169
	s_delay_alu instid0(VALU_DEP_1) | instskip(SKIP_1) | instid1(VALU_DEP_1)
	v_fmac_f32_e32 v164, v123, v170
	s_waitcnt vmcnt(10)
	v_fmac_f32_e32 v164, v124, v171
	ds_load_b128 v[121:124], v2 offset:304
	s_waitcnt lgkmcnt(1)
	v_fmac_f32_e32 v164, v125, v117
	s_delay_alu instid0(VALU_DEP_1) | instskip(NEXT) | instid1(VALU_DEP_1)
	v_fmac_f32_e32 v164, v126, v118
	v_fmac_f32_e32 v164, v127, v119
	s_waitcnt vmcnt(9)
	s_delay_alu instid0(VALU_DEP_1) | instskip(SKIP_3) | instid1(VALU_DEP_1)
	v_fmac_f32_e32 v164, v128, v120
	ds_load_b128 v[117:120], v2 offset:320
	s_waitcnt lgkmcnt(1)
	v_fmac_f32_e32 v164, v129, v121
	v_fmac_f32_e32 v164, v130, v122
	s_delay_alu instid0(VALU_DEP_1) | instskip(SKIP_1) | instid1(VALU_DEP_1)
	v_fmac_f32_e32 v164, v131, v123
	s_waitcnt vmcnt(8)
	v_fmac_f32_e32 v164, v132, v124
	ds_load_b128 v[121:124], v2 offset:336
	s_waitcnt lgkmcnt(1)
	v_fmac_f32_e32 v164, v133, v117
	s_delay_alu instid0(VALU_DEP_1) | instskip(NEXT) | instid1(VALU_DEP_1)
	v_fmac_f32_e32 v164, v134, v118
	v_fmac_f32_e32 v164, v135, v119
	s_waitcnt vmcnt(7)
	s_delay_alu instid0(VALU_DEP_1) | instskip(SKIP_3) | instid1(VALU_DEP_1)
	v_fmac_f32_e32 v164, v136, v120
	ds_load_b128 v[117:120], v2 offset:352
	s_waitcnt lgkmcnt(1)
	v_fmac_f32_e32 v164, v137, v121
	v_fmac_f32_e32 v164, v138, v122
	s_delay_alu instid0(VALU_DEP_1) | instskip(SKIP_1) | instid1(VALU_DEP_1)
	v_fmac_f32_e32 v164, v139, v123
	s_waitcnt vmcnt(6)
	v_fmac_f32_e32 v164, v140, v124
	ds_load_b128 v[121:124], v2 offset:368
	s_waitcnt lgkmcnt(1)
	v_fmac_f32_e32 v164, v141, v117
	s_delay_alu instid0(VALU_DEP_1) | instskip(NEXT) | instid1(VALU_DEP_1)
	v_fmac_f32_e32 v164, v142, v118
	v_fmac_f32_e32 v164, v143, v119
	s_waitcnt vmcnt(5)
	s_delay_alu instid0(VALU_DEP_1) | instskip(SKIP_3) | instid1(VALU_DEP_1)
	v_fmac_f32_e32 v164, v144, v120
	ds_load_b128 v[117:120], v2 offset:384
	s_waitcnt lgkmcnt(1)
	v_fmac_f32_e32 v164, v145, v121
	v_fmac_f32_e32 v164, v146, v122
	s_delay_alu instid0(VALU_DEP_1) | instskip(SKIP_1) | instid1(VALU_DEP_1)
	v_fmac_f32_e32 v164, v147, v123
	s_waitcnt vmcnt(4)
	v_fmac_f32_e32 v164, v148, v124
	ds_load_b128 v[121:124], v2 offset:400
	s_waitcnt lgkmcnt(1)
	v_fmac_f32_e32 v164, v149, v117
	s_delay_alu instid0(VALU_DEP_1) | instskip(NEXT) | instid1(VALU_DEP_1)
	v_fmac_f32_e32 v164, v150, v118
	v_fmac_f32_e32 v164, v151, v119
	s_waitcnt vmcnt(3)
	s_delay_alu instid0(VALU_DEP_1) | instskip(SKIP_3) | instid1(VALU_DEP_1)
	v_fmac_f32_e32 v164, v152, v120
	ds_load_b128 v[117:120], v2 offset:416
	s_waitcnt lgkmcnt(1)
	v_fmac_f32_e32 v164, v153, v121
	v_fmac_f32_e32 v164, v154, v122
	s_delay_alu instid0(VALU_DEP_1) | instskip(SKIP_1) | instid1(VALU_DEP_1)
	v_fmac_f32_e32 v164, v155, v123
	s_waitcnt vmcnt(2)
	v_fmac_f32_e32 v164, v156, v124
	ds_load_b128 v[121:124], v2 offset:432
	s_waitcnt lgkmcnt(1)
	v_fmac_f32_e32 v164, v157, v117
	s_delay_alu instid0(VALU_DEP_1) | instskip(NEXT) | instid1(VALU_DEP_1)
	v_fmac_f32_e32 v164, v158, v118
	v_fmac_f32_e32 v164, v159, v119
	s_waitcnt vmcnt(1)
	s_delay_alu instid0(VALU_DEP_1) | instskip(SKIP_1) | instid1(VALU_DEP_1)
	v_fmac_f32_e32 v164, v160, v120
	s_waitcnt lgkmcnt(0)
	v_fmac_f32_e32 v164, v161, v121
	s_delay_alu instid0(VALU_DEP_1) | instskip(NEXT) | instid1(VALU_DEP_1)
	v_fmac_f32_e32 v164, v162, v122
	v_fmac_f32_e32 v164, v163, v123
	s_waitcnt vmcnt(0)
	s_delay_alu instid0(VALU_DEP_1) | instskip(NEXT) | instid1(VALU_DEP_1)
	v_fmac_f32_e32 v164, v3, v124
	v_sub_f32_e32 v2, v116, v164
	scratch_store_b32 off, v2, off offset:28
	v_cmpx_lt_u32_e32 6, v0
	s_cbranch_execz .LBB119_331
; %bb.330:
	scratch_load_b32 v2, off, off offset:24
	v_mov_b32_e32 v3, 0
	scratch_store_b32 off, v3, off offset:24
	s_waitcnt vmcnt(0)
	ds_store_b32 v1, v2
.LBB119_331:
	s_or_b32 exec_lo, exec_lo, s0
	s_waitcnt lgkmcnt(0)
	s_waitcnt_vscnt null, 0x0
	s_barrier
	buffer_gl0_inv
	s_clause 0xc
	scratch_load_b128 v[116:119], off, off offset:24
	scratch_load_b128 v[120:123], off, off offset:40
	;; [unrolled: 1-line block ×12, first 2 shown]
	scratch_load_b64 v[164:165], off, off offset:216
	v_mov_b32_e32 v2, 0
	ds_load_2addr_b32 v[166:167], v2 offset0:63 offset1:64
	ds_load_2addr_b32 v[168:169], v2 offset0:65 offset1:66
	;; [unrolled: 1-line block ×4, first 2 shown]
	s_mov_b32 s0, exec_lo
	s_waitcnt vmcnt(12) lgkmcnt(3)
	v_fma_f32 v3, v117, v166, 0
	s_delay_alu instid0(VALU_DEP_1) | instskip(SKIP_4) | instid1(VALU_DEP_1)
	v_fmac_f32_e32 v3, v118, v167
	ds_load_2addr_b32 v[117:118], v2 offset0:71 offset1:72
	s_waitcnt lgkmcnt(3)
	v_fmac_f32_e32 v3, v119, v168
	s_waitcnt vmcnt(11)
	v_fmac_f32_e32 v3, v120, v169
	ds_load_2addr_b32 v[119:120], v2 offset0:73 offset1:74
	s_waitcnt lgkmcnt(3)
	v_fmac_f32_e32 v3, v121, v170
	s_delay_alu instid0(VALU_DEP_1) | instskip(SKIP_1) | instid1(VALU_DEP_1)
	v_fmac_f32_e32 v3, v122, v171
	s_waitcnt lgkmcnt(2)
	v_fmac_f32_e32 v3, v123, v172
	s_waitcnt vmcnt(10)
	s_delay_alu instid0(VALU_DEP_1) | instskip(SKIP_4) | instid1(VALU_DEP_1)
	v_fmac_f32_e32 v3, v124, v173
	ds_load_2addr_b32 v[121:122], v2 offset0:75 offset1:76
	ds_load_2addr_b32 v[123:124], v2 offset0:77 offset1:78
	s_waitcnt lgkmcnt(3)
	v_fmac_f32_e32 v3, v125, v117
	v_fmac_f32_e32 v3, v126, v118
	ds_load_2addr_b32 v[117:118], v2 offset0:79 offset1:80
	s_waitcnt lgkmcnt(3)
	v_fmac_f32_e32 v3, v127, v119
	s_waitcnt vmcnt(9)
	s_delay_alu instid0(VALU_DEP_1) | instskip(SKIP_3) | instid1(VALU_DEP_1)
	v_fmac_f32_e32 v3, v128, v120
	ds_load_2addr_b32 v[119:120], v2 offset0:81 offset1:82
	s_waitcnt lgkmcnt(3)
	v_fmac_f32_e32 v3, v129, v121
	v_fmac_f32_e32 v3, v130, v122
	s_waitcnt lgkmcnt(2)
	s_delay_alu instid0(VALU_DEP_1) | instskip(SKIP_1) | instid1(VALU_DEP_1)
	v_fmac_f32_e32 v3, v131, v123
	s_waitcnt vmcnt(8)
	v_fmac_f32_e32 v3, v132, v124
	ds_load_2addr_b32 v[121:122], v2 offset0:83 offset1:84
	ds_load_2addr_b32 v[123:124], v2 offset0:85 offset1:86
	s_waitcnt lgkmcnt(3)
	v_fmac_f32_e32 v3, v133, v117
	s_delay_alu instid0(VALU_DEP_1) | instskip(SKIP_4) | instid1(VALU_DEP_1)
	v_fmac_f32_e32 v3, v134, v118
	ds_load_2addr_b32 v[117:118], v2 offset0:87 offset1:88
	s_waitcnt lgkmcnt(3)
	v_fmac_f32_e32 v3, v135, v119
	s_waitcnt vmcnt(7)
	v_fmac_f32_e32 v3, v136, v120
	ds_load_2addr_b32 v[119:120], v2 offset0:89 offset1:90
	s_waitcnt lgkmcnt(3)
	v_fmac_f32_e32 v3, v137, v121
	s_delay_alu instid0(VALU_DEP_1) | instskip(SKIP_1) | instid1(VALU_DEP_1)
	v_fmac_f32_e32 v3, v138, v122
	s_waitcnt lgkmcnt(2)
	v_fmac_f32_e32 v3, v139, v123
	s_waitcnt vmcnt(6)
	s_delay_alu instid0(VALU_DEP_1) | instskip(SKIP_4) | instid1(VALU_DEP_1)
	v_fmac_f32_e32 v3, v140, v124
	ds_load_2addr_b32 v[121:122], v2 offset0:91 offset1:92
	ds_load_2addr_b32 v[123:124], v2 offset0:93 offset1:94
	s_waitcnt lgkmcnt(3)
	v_fmac_f32_e32 v3, v141, v117
	v_fmac_f32_e32 v3, v142, v118
	ds_load_2addr_b32 v[117:118], v2 offset0:95 offset1:96
	s_waitcnt lgkmcnt(3)
	v_fmac_f32_e32 v3, v143, v119
	s_waitcnt vmcnt(5)
	s_delay_alu instid0(VALU_DEP_1) | instskip(SKIP_3) | instid1(VALU_DEP_1)
	v_fmac_f32_e32 v3, v144, v120
	ds_load_2addr_b32 v[119:120], v2 offset0:97 offset1:98
	s_waitcnt lgkmcnt(3)
	v_fmac_f32_e32 v3, v145, v121
	v_fmac_f32_e32 v3, v146, v122
	s_waitcnt lgkmcnt(2)
	s_delay_alu instid0(VALU_DEP_1) | instskip(SKIP_1) | instid1(VALU_DEP_1)
	v_fmac_f32_e32 v3, v147, v123
	s_waitcnt vmcnt(4)
	v_fmac_f32_e32 v3, v148, v124
	ds_load_2addr_b32 v[121:122], v2 offset0:99 offset1:100
	ds_load_2addr_b32 v[123:124], v2 offset0:101 offset1:102
	s_waitcnt lgkmcnt(3)
	v_fmac_f32_e32 v3, v149, v117
	s_delay_alu instid0(VALU_DEP_1) | instskip(SKIP_4) | instid1(VALU_DEP_1)
	v_fmac_f32_e32 v3, v150, v118
	ds_load_2addr_b32 v[117:118], v2 offset0:103 offset1:104
	s_waitcnt lgkmcnt(3)
	v_fmac_f32_e32 v3, v151, v119
	s_waitcnt vmcnt(3)
	v_fmac_f32_e32 v3, v152, v120
	ds_load_2addr_b32 v[119:120], v2 offset0:105 offset1:106
	s_waitcnt lgkmcnt(3)
	v_fmac_f32_e32 v3, v153, v121
	s_delay_alu instid0(VALU_DEP_1) | instskip(SKIP_1) | instid1(VALU_DEP_1)
	v_fmac_f32_e32 v3, v154, v122
	s_waitcnt lgkmcnt(2)
	v_fmac_f32_e32 v3, v155, v123
	s_waitcnt vmcnt(2)
	s_delay_alu instid0(VALU_DEP_1)
	v_fmac_f32_e32 v3, v156, v124
	ds_load_2addr_b32 v[121:122], v2 offset0:107 offset1:108
	ds_load_2addr_b32 v[123:124], v2 offset0:109 offset1:110
	s_waitcnt lgkmcnt(3)
	v_fmac_f32_e32 v3, v157, v117
	ds_load_b32 v117, v2 offset:444
	v_fmac_f32_e32 v3, v158, v118
	s_waitcnt lgkmcnt(3)
	s_delay_alu instid0(VALU_DEP_1) | instskip(SKIP_1) | instid1(VALU_DEP_1)
	v_fmac_f32_e32 v3, v159, v119
	s_waitcnt vmcnt(1)
	v_fmac_f32_e32 v3, v160, v120
	s_waitcnt lgkmcnt(2)
	s_delay_alu instid0(VALU_DEP_1) | instskip(NEXT) | instid1(VALU_DEP_1)
	v_fmac_f32_e32 v3, v161, v121
	v_fmac_f32_e32 v3, v162, v122
	s_waitcnt lgkmcnt(1)
	s_delay_alu instid0(VALU_DEP_1) | instskip(SKIP_1) | instid1(VALU_DEP_1)
	v_fmac_f32_e32 v3, v163, v123
	s_waitcnt vmcnt(0)
	v_fmac_f32_e32 v3, v164, v124
	s_waitcnt lgkmcnt(0)
	s_delay_alu instid0(VALU_DEP_1) | instskip(NEXT) | instid1(VALU_DEP_1)
	v_fmac_f32_e32 v3, v165, v117
	v_sub_f32_e32 v3, v116, v3
	scratch_store_b32 off, v3, off offset:24
	v_cmpx_lt_u32_e32 5, v0
	s_cbranch_execz .LBB119_333
; %bb.332:
	scratch_load_b32 v3, off, off offset:20
	scratch_store_b32 off, v2, off offset:20
	s_waitcnt vmcnt(0)
	ds_store_b32 v1, v3
.LBB119_333:
	s_or_b32 exec_lo, exec_lo, s0
	s_waitcnt lgkmcnt(0)
	s_waitcnt_vscnt null, 0x0
	s_barrier
	buffer_gl0_inv
	s_clause 0xc
	scratch_load_b128 v[116:119], off, off offset:20
	scratch_load_b128 v[120:123], off, off offset:36
	scratch_load_b128 v[124:127], off, off offset:52
	scratch_load_b128 v[128:131], off, off offset:68
	scratch_load_b128 v[132:135], off, off offset:84
	scratch_load_b128 v[136:139], off, off offset:100
	scratch_load_b128 v[140:143], off, off offset:116
	scratch_load_b128 v[144:147], off, off offset:132
	scratch_load_b128 v[148:151], off, off offset:148
	scratch_load_b128 v[152:155], off, off offset:164
	scratch_load_b128 v[156:159], off, off offset:180
	scratch_load_b128 v[160:163], off, off offset:196
	scratch_load_b96 v[172:174], off, off offset:212
	ds_load_2addr_b64 v[164:167], v2 offset0:31 offset1:32
	ds_load_2addr_b64 v[168:171], v2 offset0:33 offset1:34
	s_mov_b32 s0, exec_lo
	s_waitcnt vmcnt(12) lgkmcnt(1)
	v_fma_f32 v164, v117, v164, 0
	s_delay_alu instid0(VALU_DEP_1) | instskip(NEXT) | instid1(VALU_DEP_1)
	v_fmac_f32_e32 v164, v118, v165
	v_fmac_f32_e32 v164, v119, v166
	s_waitcnt vmcnt(11)
	s_delay_alu instid0(VALU_DEP_1) | instskip(SKIP_3) | instid1(VALU_DEP_1)
	v_fmac_f32_e32 v164, v120, v167
	ds_load_2addr_b64 v[117:120], v2 offset0:35 offset1:36
	s_waitcnt lgkmcnt(1)
	v_fmac_f32_e32 v164, v121, v168
	v_fmac_f32_e32 v164, v122, v169
	s_delay_alu instid0(VALU_DEP_1) | instskip(SKIP_1) | instid1(VALU_DEP_1)
	v_fmac_f32_e32 v164, v123, v170
	s_waitcnt vmcnt(10)
	v_fmac_f32_e32 v164, v124, v171
	ds_load_2addr_b64 v[121:124], v2 offset0:37 offset1:38
	s_waitcnt lgkmcnt(1)
	v_fmac_f32_e32 v164, v125, v117
	s_delay_alu instid0(VALU_DEP_1) | instskip(NEXT) | instid1(VALU_DEP_1)
	v_fmac_f32_e32 v164, v126, v118
	v_fmac_f32_e32 v164, v127, v119
	s_waitcnt vmcnt(9)
	s_delay_alu instid0(VALU_DEP_1) | instskip(SKIP_3) | instid1(VALU_DEP_1)
	v_fmac_f32_e32 v164, v128, v120
	ds_load_2addr_b64 v[117:120], v2 offset0:39 offset1:40
	s_waitcnt lgkmcnt(1)
	v_fmac_f32_e32 v164, v129, v121
	v_fmac_f32_e32 v164, v130, v122
	s_delay_alu instid0(VALU_DEP_1) | instskip(SKIP_1) | instid1(VALU_DEP_1)
	v_fmac_f32_e32 v164, v131, v123
	s_waitcnt vmcnt(8)
	v_fmac_f32_e32 v164, v132, v124
	ds_load_2addr_b64 v[121:124], v2 offset0:41 offset1:42
	s_waitcnt lgkmcnt(1)
	v_fmac_f32_e32 v164, v133, v117
	;; [unrolled: 17-line block ×4, first 2 shown]
	s_delay_alu instid0(VALU_DEP_1) | instskip(NEXT) | instid1(VALU_DEP_1)
	v_fmac_f32_e32 v164, v150, v118
	v_fmac_f32_e32 v164, v151, v119
	s_waitcnt vmcnt(3)
	s_delay_alu instid0(VALU_DEP_1) | instskip(SKIP_3) | instid1(VALU_DEP_1)
	v_fmac_f32_e32 v164, v152, v120
	ds_load_2addr_b64 v[117:120], v2 offset0:51 offset1:52
	s_waitcnt lgkmcnt(1)
	v_fmac_f32_e32 v164, v153, v121
	v_fmac_f32_e32 v164, v154, v122
	s_delay_alu instid0(VALU_DEP_1) | instskip(SKIP_1) | instid1(VALU_DEP_1)
	v_fmac_f32_e32 v164, v155, v123
	s_waitcnt vmcnt(2)
	v_fmac_f32_e32 v164, v156, v124
	ds_load_2addr_b64 v[121:124], v2 offset0:53 offset1:54
	ds_load_b64 v[2:3], v2 offset:440
	s_waitcnt lgkmcnt(2)
	v_fmac_f32_e32 v164, v157, v117
	s_delay_alu instid0(VALU_DEP_1) | instskip(NEXT) | instid1(VALU_DEP_1)
	v_fmac_f32_e32 v164, v158, v118
	v_fmac_f32_e32 v164, v159, v119
	s_waitcnt vmcnt(1)
	s_delay_alu instid0(VALU_DEP_1) | instskip(SKIP_1) | instid1(VALU_DEP_1)
	v_fmac_f32_e32 v164, v160, v120
	s_waitcnt lgkmcnt(1)
	v_fmac_f32_e32 v164, v161, v121
	s_delay_alu instid0(VALU_DEP_1) | instskip(NEXT) | instid1(VALU_DEP_1)
	v_fmac_f32_e32 v164, v162, v122
	v_fmac_f32_e32 v164, v163, v123
	s_waitcnt vmcnt(0)
	s_delay_alu instid0(VALU_DEP_1) | instskip(SKIP_1) | instid1(VALU_DEP_1)
	v_fmac_f32_e32 v164, v172, v124
	s_waitcnt lgkmcnt(0)
	v_fmac_f32_e32 v164, v173, v2
	s_delay_alu instid0(VALU_DEP_1) | instskip(NEXT) | instid1(VALU_DEP_1)
	v_fmac_f32_e32 v164, v174, v3
	v_sub_f32_e32 v2, v116, v164
	scratch_store_b32 off, v2, off offset:20
	v_cmpx_lt_u32_e32 4, v0
	s_cbranch_execz .LBB119_335
; %bb.334:
	scratch_load_b32 v2, off, off offset:16
	v_mov_b32_e32 v3, 0
	scratch_store_b32 off, v3, off offset:16
	s_waitcnt vmcnt(0)
	ds_store_b32 v1, v2
.LBB119_335:
	s_or_b32 exec_lo, exec_lo, s0
	s_waitcnt lgkmcnt(0)
	s_waitcnt_vscnt null, 0x0
	s_barrier
	buffer_gl0_inv
	s_clause 0xc
	scratch_load_b128 v[116:119], off, off offset:16
	scratch_load_b128 v[120:123], off, off offset:32
	;; [unrolled: 1-line block ×13, first 2 shown]
	v_mov_b32_e32 v2, 0
	ds_load_2addr_b32 v[168:169], v2 offset0:61 offset1:62
	ds_load_2addr_b32 v[170:171], v2 offset0:63 offset1:64
	;; [unrolled: 1-line block ×4, first 2 shown]
	s_mov_b32 s0, exec_lo
	s_waitcnt vmcnt(12) lgkmcnt(3)
	v_fma_f32 v3, v117, v168, 0
	s_delay_alu instid0(VALU_DEP_1) | instskip(SKIP_4) | instid1(VALU_DEP_1)
	v_fmac_f32_e32 v3, v118, v169
	ds_load_2addr_b32 v[117:118], v2 offset0:69 offset1:70
	s_waitcnt lgkmcnt(3)
	v_fmac_f32_e32 v3, v119, v170
	s_waitcnt vmcnt(11)
	v_fmac_f32_e32 v3, v120, v171
	ds_load_2addr_b32 v[119:120], v2 offset0:71 offset1:72
	s_waitcnt lgkmcnt(3)
	v_fmac_f32_e32 v3, v121, v172
	s_delay_alu instid0(VALU_DEP_1) | instskip(SKIP_1) | instid1(VALU_DEP_1)
	v_fmac_f32_e32 v3, v122, v173
	s_waitcnt lgkmcnt(2)
	v_fmac_f32_e32 v3, v123, v174
	s_waitcnt vmcnt(10)
	s_delay_alu instid0(VALU_DEP_1) | instskip(SKIP_4) | instid1(VALU_DEP_1)
	v_fmac_f32_e32 v3, v124, v175
	ds_load_2addr_b32 v[121:122], v2 offset0:73 offset1:74
	ds_load_2addr_b32 v[123:124], v2 offset0:75 offset1:76
	s_waitcnt lgkmcnt(3)
	v_fmac_f32_e32 v3, v125, v117
	v_fmac_f32_e32 v3, v126, v118
	ds_load_2addr_b32 v[117:118], v2 offset0:77 offset1:78
	s_waitcnt lgkmcnt(3)
	v_fmac_f32_e32 v3, v127, v119
	s_waitcnt vmcnt(9)
	s_delay_alu instid0(VALU_DEP_1) | instskip(SKIP_3) | instid1(VALU_DEP_1)
	v_fmac_f32_e32 v3, v128, v120
	ds_load_2addr_b32 v[119:120], v2 offset0:79 offset1:80
	s_waitcnt lgkmcnt(3)
	v_fmac_f32_e32 v3, v129, v121
	v_fmac_f32_e32 v3, v130, v122
	s_waitcnt lgkmcnt(2)
	s_delay_alu instid0(VALU_DEP_1) | instskip(SKIP_1) | instid1(VALU_DEP_1)
	v_fmac_f32_e32 v3, v131, v123
	s_waitcnt vmcnt(8)
	v_fmac_f32_e32 v3, v132, v124
	ds_load_2addr_b32 v[121:122], v2 offset0:81 offset1:82
	ds_load_2addr_b32 v[123:124], v2 offset0:83 offset1:84
	s_waitcnt lgkmcnt(3)
	v_fmac_f32_e32 v3, v133, v117
	s_delay_alu instid0(VALU_DEP_1) | instskip(SKIP_4) | instid1(VALU_DEP_1)
	v_fmac_f32_e32 v3, v134, v118
	ds_load_2addr_b32 v[117:118], v2 offset0:85 offset1:86
	s_waitcnt lgkmcnt(3)
	v_fmac_f32_e32 v3, v135, v119
	s_waitcnt vmcnt(7)
	v_fmac_f32_e32 v3, v136, v120
	ds_load_2addr_b32 v[119:120], v2 offset0:87 offset1:88
	s_waitcnt lgkmcnt(3)
	v_fmac_f32_e32 v3, v137, v121
	s_delay_alu instid0(VALU_DEP_1) | instskip(SKIP_1) | instid1(VALU_DEP_1)
	v_fmac_f32_e32 v3, v138, v122
	s_waitcnt lgkmcnt(2)
	v_fmac_f32_e32 v3, v139, v123
	s_waitcnt vmcnt(6)
	s_delay_alu instid0(VALU_DEP_1) | instskip(SKIP_4) | instid1(VALU_DEP_1)
	v_fmac_f32_e32 v3, v140, v124
	ds_load_2addr_b32 v[121:122], v2 offset0:89 offset1:90
	ds_load_2addr_b32 v[123:124], v2 offset0:91 offset1:92
	s_waitcnt lgkmcnt(3)
	v_fmac_f32_e32 v3, v141, v117
	v_fmac_f32_e32 v3, v142, v118
	ds_load_2addr_b32 v[117:118], v2 offset0:93 offset1:94
	s_waitcnt lgkmcnt(3)
	v_fmac_f32_e32 v3, v143, v119
	s_waitcnt vmcnt(5)
	s_delay_alu instid0(VALU_DEP_1) | instskip(SKIP_3) | instid1(VALU_DEP_1)
	v_fmac_f32_e32 v3, v144, v120
	ds_load_2addr_b32 v[119:120], v2 offset0:95 offset1:96
	s_waitcnt lgkmcnt(3)
	v_fmac_f32_e32 v3, v145, v121
	v_fmac_f32_e32 v3, v146, v122
	s_waitcnt lgkmcnt(2)
	s_delay_alu instid0(VALU_DEP_1) | instskip(SKIP_1) | instid1(VALU_DEP_1)
	v_fmac_f32_e32 v3, v147, v123
	s_waitcnt vmcnt(4)
	v_fmac_f32_e32 v3, v148, v124
	ds_load_2addr_b32 v[121:122], v2 offset0:97 offset1:98
	ds_load_2addr_b32 v[123:124], v2 offset0:99 offset1:100
	s_waitcnt lgkmcnt(3)
	v_fmac_f32_e32 v3, v149, v117
	s_delay_alu instid0(VALU_DEP_1) | instskip(SKIP_4) | instid1(VALU_DEP_1)
	v_fmac_f32_e32 v3, v150, v118
	ds_load_2addr_b32 v[117:118], v2 offset0:101 offset1:102
	s_waitcnt lgkmcnt(3)
	v_fmac_f32_e32 v3, v151, v119
	s_waitcnt vmcnt(3)
	v_fmac_f32_e32 v3, v152, v120
	ds_load_2addr_b32 v[119:120], v2 offset0:103 offset1:104
	s_waitcnt lgkmcnt(3)
	v_fmac_f32_e32 v3, v153, v121
	s_delay_alu instid0(VALU_DEP_1) | instskip(SKIP_1) | instid1(VALU_DEP_1)
	v_fmac_f32_e32 v3, v154, v122
	s_waitcnt lgkmcnt(2)
	v_fmac_f32_e32 v3, v155, v123
	s_waitcnt vmcnt(2)
	s_delay_alu instid0(VALU_DEP_1) | instskip(SKIP_4) | instid1(VALU_DEP_1)
	v_fmac_f32_e32 v3, v156, v124
	ds_load_2addr_b32 v[121:122], v2 offset0:105 offset1:106
	ds_load_2addr_b32 v[123:124], v2 offset0:107 offset1:108
	s_waitcnt lgkmcnt(3)
	v_fmac_f32_e32 v3, v157, v117
	v_fmac_f32_e32 v3, v158, v118
	ds_load_2addr_b32 v[117:118], v2 offset0:109 offset1:110
	s_waitcnt lgkmcnt(3)
	v_fmac_f32_e32 v3, v159, v119
	ds_load_b32 v119, v2 offset:444
	s_waitcnt vmcnt(1)
	v_fmac_f32_e32 v3, v160, v120
	s_waitcnt lgkmcnt(3)
	s_delay_alu instid0(VALU_DEP_1) | instskip(NEXT) | instid1(VALU_DEP_1)
	v_fmac_f32_e32 v3, v161, v121
	v_fmac_f32_e32 v3, v162, v122
	s_waitcnt lgkmcnt(2)
	s_delay_alu instid0(VALU_DEP_1) | instskip(SKIP_1) | instid1(VALU_DEP_1)
	v_fmac_f32_e32 v3, v163, v123
	s_waitcnt vmcnt(0)
	v_fmac_f32_e32 v3, v164, v124
	s_waitcnt lgkmcnt(1)
	s_delay_alu instid0(VALU_DEP_1) | instskip(NEXT) | instid1(VALU_DEP_1)
	v_fmac_f32_e32 v3, v165, v117
	v_fmac_f32_e32 v3, v166, v118
	s_waitcnt lgkmcnt(0)
	s_delay_alu instid0(VALU_DEP_1) | instskip(NEXT) | instid1(VALU_DEP_1)
	v_fmac_f32_e32 v3, v167, v119
	v_sub_f32_e32 v3, v116, v3
	scratch_store_b32 off, v3, off offset:16
	v_cmpx_lt_u32_e32 3, v0
	s_cbranch_execz .LBB119_337
; %bb.336:
	scratch_load_b32 v3, off, off offset:12
	scratch_store_b32 off, v2, off offset:12
	s_waitcnt vmcnt(0)
	ds_store_b32 v1, v3
.LBB119_337:
	s_or_b32 exec_lo, exec_lo, s0
	s_waitcnt lgkmcnt(0)
	s_waitcnt_vscnt null, 0x0
	s_barrier
	buffer_gl0_inv
	s_clause 0xd
	scratch_load_b128 v[116:119], off, off offset:12
	scratch_load_b128 v[120:123], off, off offset:28
	;; [unrolled: 1-line block ×13, first 2 shown]
	scratch_load_b32 v3, off, off offset:220
	ds_load_b128 v[168:171], v2 offset:240
	ds_load_b128 v[172:175], v2 offset:256
	s_mov_b32 s0, exec_lo
	s_waitcnt vmcnt(13) lgkmcnt(1)
	v_fma_f32 v168, v117, v168, 0
	s_delay_alu instid0(VALU_DEP_1) | instskip(NEXT) | instid1(VALU_DEP_1)
	v_fmac_f32_e32 v168, v118, v169
	v_fmac_f32_e32 v168, v119, v170
	s_waitcnt vmcnt(12)
	s_delay_alu instid0(VALU_DEP_1) | instskip(SKIP_3) | instid1(VALU_DEP_1)
	v_fmac_f32_e32 v168, v120, v171
	ds_load_b128 v[117:120], v2 offset:272
	s_waitcnt lgkmcnt(1)
	v_fmac_f32_e32 v168, v121, v172
	v_fmac_f32_e32 v168, v122, v173
	s_delay_alu instid0(VALU_DEP_1) | instskip(SKIP_1) | instid1(VALU_DEP_1)
	v_fmac_f32_e32 v168, v123, v174
	s_waitcnt vmcnt(11)
	v_fmac_f32_e32 v168, v124, v175
	ds_load_b128 v[121:124], v2 offset:288
	s_waitcnt lgkmcnt(1)
	v_fmac_f32_e32 v168, v125, v117
	s_delay_alu instid0(VALU_DEP_1) | instskip(NEXT) | instid1(VALU_DEP_1)
	v_fmac_f32_e32 v168, v126, v118
	v_fmac_f32_e32 v168, v127, v119
	s_waitcnt vmcnt(10)
	s_delay_alu instid0(VALU_DEP_1) | instskip(SKIP_3) | instid1(VALU_DEP_1)
	v_fmac_f32_e32 v168, v128, v120
	ds_load_b128 v[117:120], v2 offset:304
	s_waitcnt lgkmcnt(1)
	v_fmac_f32_e32 v168, v129, v121
	v_fmac_f32_e32 v168, v130, v122
	s_delay_alu instid0(VALU_DEP_1) | instskip(SKIP_1) | instid1(VALU_DEP_1)
	v_fmac_f32_e32 v168, v131, v123
	s_waitcnt vmcnt(9)
	v_fmac_f32_e32 v168, v132, v124
	ds_load_b128 v[121:124], v2 offset:320
	s_waitcnt lgkmcnt(1)
	v_fmac_f32_e32 v168, v133, v117
	;; [unrolled: 17-line block ×5, first 2 shown]
	s_delay_alu instid0(VALU_DEP_1) | instskip(NEXT) | instid1(VALU_DEP_1)
	v_fmac_f32_e32 v168, v158, v118
	v_fmac_f32_e32 v168, v159, v119
	s_waitcnt vmcnt(2)
	s_delay_alu instid0(VALU_DEP_1) | instskip(SKIP_3) | instid1(VALU_DEP_1)
	v_fmac_f32_e32 v168, v160, v120
	ds_load_b128 v[117:120], v2 offset:432
	s_waitcnt lgkmcnt(1)
	v_fmac_f32_e32 v168, v161, v121
	v_fmac_f32_e32 v168, v162, v122
	s_delay_alu instid0(VALU_DEP_1) | instskip(SKIP_1) | instid1(VALU_DEP_1)
	v_fmac_f32_e32 v168, v163, v123
	s_waitcnt vmcnt(1)
	v_fmac_f32_e32 v168, v164, v124
	s_waitcnt lgkmcnt(0)
	s_delay_alu instid0(VALU_DEP_1) | instskip(NEXT) | instid1(VALU_DEP_1)
	v_fmac_f32_e32 v168, v165, v117
	v_fmac_f32_e32 v168, v166, v118
	s_delay_alu instid0(VALU_DEP_1) | instskip(SKIP_1) | instid1(VALU_DEP_1)
	v_fmac_f32_e32 v168, v167, v119
	s_waitcnt vmcnt(0)
	v_fmac_f32_e32 v168, v3, v120
	s_delay_alu instid0(VALU_DEP_1)
	v_sub_f32_e32 v2, v116, v168
	scratch_store_b32 off, v2, off offset:12
	v_cmpx_lt_u32_e32 2, v0
	s_cbranch_execz .LBB119_339
; %bb.338:
	scratch_load_b32 v2, off, off offset:8
	v_mov_b32_e32 v3, 0
	scratch_store_b32 off, v3, off offset:8
	s_waitcnt vmcnt(0)
	ds_store_b32 v1, v2
.LBB119_339:
	s_or_b32 exec_lo, exec_lo, s0
	s_waitcnt lgkmcnt(0)
	s_waitcnt_vscnt null, 0x0
	s_barrier
	buffer_gl0_inv
	s_clause 0xd
	scratch_load_b128 v[116:119], off, off offset:8
	scratch_load_b128 v[120:123], off, off offset:24
	;; [unrolled: 1-line block ×13, first 2 shown]
	scratch_load_b64 v[168:169], off, off offset:216
	v_mov_b32_e32 v2, 0
	ds_load_2addr_b32 v[170:171], v2 offset0:59 offset1:60
	ds_load_2addr_b32 v[172:173], v2 offset0:61 offset1:62
	;; [unrolled: 1-line block ×4, first 2 shown]
	s_mov_b32 s0, exec_lo
	s_waitcnt vmcnt(13) lgkmcnt(3)
	v_fma_f32 v3, v117, v170, 0
	s_delay_alu instid0(VALU_DEP_1) | instskip(SKIP_4) | instid1(VALU_DEP_1)
	v_fmac_f32_e32 v3, v118, v171
	ds_load_2addr_b32 v[117:118], v2 offset0:67 offset1:68
	s_waitcnt lgkmcnt(3)
	v_fmac_f32_e32 v3, v119, v172
	s_waitcnt vmcnt(12)
	v_fmac_f32_e32 v3, v120, v173
	ds_load_2addr_b32 v[119:120], v2 offset0:69 offset1:70
	s_waitcnt lgkmcnt(3)
	v_fmac_f32_e32 v3, v121, v174
	s_delay_alu instid0(VALU_DEP_1) | instskip(SKIP_1) | instid1(VALU_DEP_1)
	v_fmac_f32_e32 v3, v122, v175
	s_waitcnt lgkmcnt(2)
	v_fmac_f32_e32 v3, v123, v176
	s_waitcnt vmcnt(11)
	s_delay_alu instid0(VALU_DEP_1) | instskip(SKIP_4) | instid1(VALU_DEP_1)
	v_fmac_f32_e32 v3, v124, v177
	ds_load_2addr_b32 v[121:122], v2 offset0:71 offset1:72
	ds_load_2addr_b32 v[123:124], v2 offset0:73 offset1:74
	s_waitcnt lgkmcnt(3)
	v_fmac_f32_e32 v3, v125, v117
	v_fmac_f32_e32 v3, v126, v118
	ds_load_2addr_b32 v[117:118], v2 offset0:75 offset1:76
	s_waitcnt lgkmcnt(3)
	v_fmac_f32_e32 v3, v127, v119
	s_waitcnt vmcnt(10)
	s_delay_alu instid0(VALU_DEP_1) | instskip(SKIP_3) | instid1(VALU_DEP_1)
	v_fmac_f32_e32 v3, v128, v120
	ds_load_2addr_b32 v[119:120], v2 offset0:77 offset1:78
	s_waitcnt lgkmcnt(3)
	v_fmac_f32_e32 v3, v129, v121
	v_fmac_f32_e32 v3, v130, v122
	s_waitcnt lgkmcnt(2)
	s_delay_alu instid0(VALU_DEP_1) | instskip(SKIP_1) | instid1(VALU_DEP_1)
	v_fmac_f32_e32 v3, v131, v123
	s_waitcnt vmcnt(9)
	v_fmac_f32_e32 v3, v132, v124
	ds_load_2addr_b32 v[121:122], v2 offset0:79 offset1:80
	ds_load_2addr_b32 v[123:124], v2 offset0:81 offset1:82
	s_waitcnt lgkmcnt(3)
	v_fmac_f32_e32 v3, v133, v117
	s_delay_alu instid0(VALU_DEP_1) | instskip(SKIP_4) | instid1(VALU_DEP_1)
	v_fmac_f32_e32 v3, v134, v118
	ds_load_2addr_b32 v[117:118], v2 offset0:83 offset1:84
	s_waitcnt lgkmcnt(3)
	v_fmac_f32_e32 v3, v135, v119
	s_waitcnt vmcnt(8)
	v_fmac_f32_e32 v3, v136, v120
	ds_load_2addr_b32 v[119:120], v2 offset0:85 offset1:86
	s_waitcnt lgkmcnt(3)
	v_fmac_f32_e32 v3, v137, v121
	s_delay_alu instid0(VALU_DEP_1) | instskip(SKIP_1) | instid1(VALU_DEP_1)
	v_fmac_f32_e32 v3, v138, v122
	s_waitcnt lgkmcnt(2)
	v_fmac_f32_e32 v3, v139, v123
	s_waitcnt vmcnt(7)
	s_delay_alu instid0(VALU_DEP_1) | instskip(SKIP_4) | instid1(VALU_DEP_1)
	v_fmac_f32_e32 v3, v140, v124
	ds_load_2addr_b32 v[121:122], v2 offset0:87 offset1:88
	ds_load_2addr_b32 v[123:124], v2 offset0:89 offset1:90
	s_waitcnt lgkmcnt(3)
	v_fmac_f32_e32 v3, v141, v117
	v_fmac_f32_e32 v3, v142, v118
	ds_load_2addr_b32 v[117:118], v2 offset0:91 offset1:92
	s_waitcnt lgkmcnt(3)
	v_fmac_f32_e32 v3, v143, v119
	s_waitcnt vmcnt(6)
	s_delay_alu instid0(VALU_DEP_1) | instskip(SKIP_3) | instid1(VALU_DEP_1)
	v_fmac_f32_e32 v3, v144, v120
	ds_load_2addr_b32 v[119:120], v2 offset0:93 offset1:94
	s_waitcnt lgkmcnt(3)
	v_fmac_f32_e32 v3, v145, v121
	v_fmac_f32_e32 v3, v146, v122
	s_waitcnt lgkmcnt(2)
	s_delay_alu instid0(VALU_DEP_1) | instskip(SKIP_1) | instid1(VALU_DEP_1)
	v_fmac_f32_e32 v3, v147, v123
	s_waitcnt vmcnt(5)
	v_fmac_f32_e32 v3, v148, v124
	ds_load_2addr_b32 v[121:122], v2 offset0:95 offset1:96
	ds_load_2addr_b32 v[123:124], v2 offset0:97 offset1:98
	s_waitcnt lgkmcnt(3)
	v_fmac_f32_e32 v3, v149, v117
	s_delay_alu instid0(VALU_DEP_1) | instskip(SKIP_4) | instid1(VALU_DEP_1)
	v_fmac_f32_e32 v3, v150, v118
	ds_load_2addr_b32 v[117:118], v2 offset0:99 offset1:100
	s_waitcnt lgkmcnt(3)
	v_fmac_f32_e32 v3, v151, v119
	s_waitcnt vmcnt(4)
	v_fmac_f32_e32 v3, v152, v120
	ds_load_2addr_b32 v[119:120], v2 offset0:101 offset1:102
	s_waitcnt lgkmcnt(3)
	v_fmac_f32_e32 v3, v153, v121
	s_delay_alu instid0(VALU_DEP_1) | instskip(SKIP_1) | instid1(VALU_DEP_1)
	v_fmac_f32_e32 v3, v154, v122
	s_waitcnt lgkmcnt(2)
	v_fmac_f32_e32 v3, v155, v123
	s_waitcnt vmcnt(3)
	s_delay_alu instid0(VALU_DEP_1) | instskip(SKIP_4) | instid1(VALU_DEP_1)
	v_fmac_f32_e32 v3, v156, v124
	ds_load_2addr_b32 v[121:122], v2 offset0:103 offset1:104
	ds_load_2addr_b32 v[123:124], v2 offset0:105 offset1:106
	s_waitcnt lgkmcnt(3)
	v_fmac_f32_e32 v3, v157, v117
	v_fmac_f32_e32 v3, v158, v118
	ds_load_2addr_b32 v[117:118], v2 offset0:107 offset1:108
	s_waitcnt lgkmcnt(3)
	v_fmac_f32_e32 v3, v159, v119
	s_waitcnt vmcnt(2)
	s_delay_alu instid0(VALU_DEP_1)
	v_fmac_f32_e32 v3, v160, v120
	ds_load_2addr_b32 v[119:120], v2 offset0:109 offset1:110
	s_waitcnt lgkmcnt(3)
	v_fmac_f32_e32 v3, v161, v121
	ds_load_b32 v121, v2 offset:444
	v_fmac_f32_e32 v3, v162, v122
	s_waitcnt lgkmcnt(3)
	s_delay_alu instid0(VALU_DEP_1) | instskip(SKIP_1) | instid1(VALU_DEP_1)
	v_fmac_f32_e32 v3, v163, v123
	s_waitcnt vmcnt(1)
	v_fmac_f32_e32 v3, v164, v124
	s_waitcnt lgkmcnt(2)
	s_delay_alu instid0(VALU_DEP_1) | instskip(NEXT) | instid1(VALU_DEP_1)
	v_fmac_f32_e32 v3, v165, v117
	v_fmac_f32_e32 v3, v166, v118
	s_waitcnt lgkmcnt(1)
	s_delay_alu instid0(VALU_DEP_1) | instskip(SKIP_1) | instid1(VALU_DEP_1)
	v_fmac_f32_e32 v3, v167, v119
	s_waitcnt vmcnt(0)
	v_fmac_f32_e32 v3, v168, v120
	s_waitcnt lgkmcnt(0)
	s_delay_alu instid0(VALU_DEP_1) | instskip(NEXT) | instid1(VALU_DEP_1)
	v_fmac_f32_e32 v3, v169, v121
	v_sub_f32_e32 v3, v116, v3
	scratch_store_b32 off, v3, off offset:8
	v_cmpx_lt_u32_e32 1, v0
	s_cbranch_execz .LBB119_341
; %bb.340:
	scratch_load_b32 v3, off, off offset:4
	scratch_store_b32 off, v2, off offset:4
	s_waitcnt vmcnt(0)
	ds_store_b32 v1, v3
.LBB119_341:
	s_or_b32 exec_lo, exec_lo, s0
	s_waitcnt lgkmcnt(0)
	s_waitcnt_vscnt null, 0x0
	s_barrier
	buffer_gl0_inv
	s_clause 0xd
	scratch_load_b128 v[116:119], off, off offset:4
	scratch_load_b128 v[120:123], off, off offset:20
	scratch_load_b128 v[124:127], off, off offset:36
	scratch_load_b128 v[128:131], off, off offset:52
	scratch_load_b128 v[132:135], off, off offset:68
	scratch_load_b128 v[136:139], off, off offset:84
	scratch_load_b128 v[140:143], off, off offset:100
	scratch_load_b128 v[144:147], off, off offset:116
	scratch_load_b128 v[148:151], off, off offset:132
	scratch_load_b128 v[152:155], off, off offset:148
	scratch_load_b128 v[156:159], off, off offset:164
	scratch_load_b128 v[160:163], off, off offset:180
	scratch_load_b128 v[164:167], off, off offset:196
	scratch_load_b96 v[176:178], off, off offset:212
	ds_load_2addr_b64 v[168:171], v2 offset0:29 offset1:30
	ds_load_2addr_b64 v[172:175], v2 offset0:31 offset1:32
	s_mov_b32 s0, exec_lo
	s_waitcnt vmcnt(13) lgkmcnt(1)
	v_fma_f32 v168, v117, v168, 0
	s_delay_alu instid0(VALU_DEP_1) | instskip(NEXT) | instid1(VALU_DEP_1)
	v_fmac_f32_e32 v168, v118, v169
	v_fmac_f32_e32 v168, v119, v170
	s_waitcnt vmcnt(12)
	s_delay_alu instid0(VALU_DEP_1) | instskip(SKIP_3) | instid1(VALU_DEP_1)
	v_fmac_f32_e32 v168, v120, v171
	ds_load_2addr_b64 v[117:120], v2 offset0:33 offset1:34
	s_waitcnt lgkmcnt(1)
	v_fmac_f32_e32 v168, v121, v172
	v_fmac_f32_e32 v168, v122, v173
	s_delay_alu instid0(VALU_DEP_1) | instskip(SKIP_1) | instid1(VALU_DEP_1)
	v_fmac_f32_e32 v168, v123, v174
	s_waitcnt vmcnt(11)
	v_fmac_f32_e32 v168, v124, v175
	ds_load_2addr_b64 v[121:124], v2 offset0:35 offset1:36
	s_waitcnt lgkmcnt(1)
	v_fmac_f32_e32 v168, v125, v117
	s_delay_alu instid0(VALU_DEP_1) | instskip(NEXT) | instid1(VALU_DEP_1)
	v_fmac_f32_e32 v168, v126, v118
	v_fmac_f32_e32 v168, v127, v119
	s_waitcnt vmcnt(10)
	s_delay_alu instid0(VALU_DEP_1) | instskip(SKIP_3) | instid1(VALU_DEP_1)
	v_fmac_f32_e32 v168, v128, v120
	ds_load_2addr_b64 v[117:120], v2 offset0:37 offset1:38
	s_waitcnt lgkmcnt(1)
	v_fmac_f32_e32 v168, v129, v121
	v_fmac_f32_e32 v168, v130, v122
	s_delay_alu instid0(VALU_DEP_1) | instskip(SKIP_1) | instid1(VALU_DEP_1)
	v_fmac_f32_e32 v168, v131, v123
	s_waitcnt vmcnt(9)
	v_fmac_f32_e32 v168, v132, v124
	ds_load_2addr_b64 v[121:124], v2 offset0:39 offset1:40
	s_waitcnt lgkmcnt(1)
	v_fmac_f32_e32 v168, v133, v117
	;; [unrolled: 17-line block ×5, first 2 shown]
	s_delay_alu instid0(VALU_DEP_1) | instskip(NEXT) | instid1(VALU_DEP_1)
	v_fmac_f32_e32 v168, v158, v118
	v_fmac_f32_e32 v168, v159, v119
	s_waitcnt vmcnt(2)
	s_delay_alu instid0(VALU_DEP_1) | instskip(SKIP_4) | instid1(VALU_DEP_1)
	v_fmac_f32_e32 v168, v160, v120
	ds_load_2addr_b64 v[117:120], v2 offset0:53 offset1:54
	ds_load_b64 v[2:3], v2 offset:440
	s_waitcnt lgkmcnt(2)
	v_fmac_f32_e32 v168, v161, v121
	v_fmac_f32_e32 v168, v162, v122
	s_delay_alu instid0(VALU_DEP_1) | instskip(SKIP_1) | instid1(VALU_DEP_1)
	v_fmac_f32_e32 v168, v163, v123
	s_waitcnt vmcnt(1)
	v_fmac_f32_e32 v168, v164, v124
	s_waitcnt lgkmcnt(1)
	s_delay_alu instid0(VALU_DEP_1) | instskip(NEXT) | instid1(VALU_DEP_1)
	v_fmac_f32_e32 v168, v165, v117
	v_fmac_f32_e32 v168, v166, v118
	s_delay_alu instid0(VALU_DEP_1) | instskip(SKIP_1) | instid1(VALU_DEP_1)
	v_fmac_f32_e32 v168, v167, v119
	s_waitcnt vmcnt(0)
	v_fmac_f32_e32 v168, v176, v120
	s_waitcnt lgkmcnt(0)
	s_delay_alu instid0(VALU_DEP_1) | instskip(NEXT) | instid1(VALU_DEP_1)
	v_fmac_f32_e32 v168, v177, v2
	v_fmac_f32_e32 v168, v178, v3
	s_delay_alu instid0(VALU_DEP_1)
	v_sub_f32_e32 v2, v116, v168
	scratch_store_b32 off, v2, off offset:4
	v_cmpx_ne_u32_e32 0, v0
	s_cbranch_execz .LBB119_343
; %bb.342:
	scratch_load_b32 v0, off, off
	v_mov_b32_e32 v2, 0
	scratch_store_b32 off, v2, off
	s_waitcnt vmcnt(0)
	ds_store_b32 v1, v0
.LBB119_343:
	s_or_b32 exec_lo, exec_lo, s0
	s_waitcnt lgkmcnt(0)
	s_waitcnt_vscnt null, 0x0
	s_barrier
	buffer_gl0_inv
	s_clause 0xd
	scratch_load_b128 v[116:119], off, off
	scratch_load_b128 v[120:123], off, off offset:16
	scratch_load_b128 v[124:127], off, off offset:32
	;; [unrolled: 1-line block ×13, first 2 shown]
	v_mov_b32_e32 v176, 0
	ds_load_2addr_b32 v[168:169], v176 offset0:57 offset1:58
	ds_load_2addr_b32 v[170:171], v176 offset0:59 offset1:60
	;; [unrolled: 1-line block ×4, first 2 shown]
	s_and_b32 vcc_lo, exec_lo, s12
	s_waitcnt vmcnt(13) lgkmcnt(3)
	v_fma_f32 v168, v117, v168, 0
	s_delay_alu instid0(VALU_DEP_1) | instskip(SKIP_4) | instid1(VALU_DEP_1)
	v_fmac_f32_e32 v168, v118, v169
	ds_load_2addr_b32 v[117:118], v176 offset0:65 offset1:66
	s_waitcnt lgkmcnt(3)
	v_fmac_f32_e32 v168, v119, v170
	s_waitcnt vmcnt(12)
	v_fmac_f32_e32 v168, v120, v171
	ds_load_2addr_b32 v[119:120], v176 offset0:67 offset1:68
	s_waitcnt lgkmcnt(3)
	v_fmac_f32_e32 v168, v121, v172
	s_delay_alu instid0(VALU_DEP_1) | instskip(SKIP_1) | instid1(VALU_DEP_1)
	v_fmac_f32_e32 v168, v122, v173
	s_waitcnt lgkmcnt(2)
	v_fmac_f32_e32 v168, v123, v174
	s_waitcnt vmcnt(11)
	s_delay_alu instid0(VALU_DEP_1) | instskip(SKIP_4) | instid1(VALU_DEP_1)
	v_fmac_f32_e32 v168, v124, v175
	ds_load_2addr_b32 v[121:122], v176 offset0:69 offset1:70
	ds_load_2addr_b32 v[123:124], v176 offset0:71 offset1:72
	s_waitcnt lgkmcnt(3)
	v_fmac_f32_e32 v168, v125, v117
	v_fmac_f32_e32 v168, v126, v118
	ds_load_2addr_b32 v[117:118], v176 offset0:73 offset1:74
	s_waitcnt lgkmcnt(3)
	v_fmac_f32_e32 v168, v127, v119
	s_waitcnt vmcnt(10)
	s_delay_alu instid0(VALU_DEP_1) | instskip(SKIP_3) | instid1(VALU_DEP_1)
	v_fmac_f32_e32 v168, v128, v120
	ds_load_2addr_b32 v[119:120], v176 offset0:75 offset1:76
	s_waitcnt lgkmcnt(3)
	v_fmac_f32_e32 v168, v129, v121
	v_fmac_f32_e32 v168, v130, v122
	s_waitcnt lgkmcnt(2)
	s_delay_alu instid0(VALU_DEP_1) | instskip(SKIP_1) | instid1(VALU_DEP_1)
	v_fmac_f32_e32 v168, v131, v123
	s_waitcnt vmcnt(9)
	v_fmac_f32_e32 v168, v132, v124
	ds_load_2addr_b32 v[121:122], v176 offset0:77 offset1:78
	ds_load_2addr_b32 v[123:124], v176 offset0:79 offset1:80
	s_waitcnt lgkmcnt(3)
	v_fmac_f32_e32 v168, v133, v117
	s_delay_alu instid0(VALU_DEP_1) | instskip(SKIP_4) | instid1(VALU_DEP_1)
	v_fmac_f32_e32 v168, v134, v118
	ds_load_2addr_b32 v[117:118], v176 offset0:81 offset1:82
	s_waitcnt lgkmcnt(3)
	v_fmac_f32_e32 v168, v135, v119
	s_waitcnt vmcnt(8)
	v_fmac_f32_e32 v168, v136, v120
	ds_load_2addr_b32 v[119:120], v176 offset0:83 offset1:84
	s_waitcnt lgkmcnt(3)
	v_fmac_f32_e32 v168, v137, v121
	s_delay_alu instid0(VALU_DEP_1) | instskip(SKIP_1) | instid1(VALU_DEP_1)
	v_fmac_f32_e32 v168, v138, v122
	s_waitcnt lgkmcnt(2)
	v_fmac_f32_e32 v168, v139, v123
	s_waitcnt vmcnt(7)
	s_delay_alu instid0(VALU_DEP_1) | instskip(SKIP_4) | instid1(VALU_DEP_1)
	v_fmac_f32_e32 v168, v140, v124
	ds_load_2addr_b32 v[121:122], v176 offset0:85 offset1:86
	ds_load_2addr_b32 v[123:124], v176 offset0:87 offset1:88
	s_waitcnt lgkmcnt(3)
	v_fmac_f32_e32 v168, v141, v117
	v_fmac_f32_e32 v168, v142, v118
	ds_load_2addr_b32 v[117:118], v176 offset0:89 offset1:90
	s_waitcnt lgkmcnt(3)
	v_fmac_f32_e32 v168, v143, v119
	s_waitcnt vmcnt(6)
	s_delay_alu instid0(VALU_DEP_1) | instskip(SKIP_3) | instid1(VALU_DEP_1)
	v_fmac_f32_e32 v168, v144, v120
	ds_load_2addr_b32 v[119:120], v176 offset0:91 offset1:92
	s_waitcnt lgkmcnt(3)
	v_fmac_f32_e32 v168, v145, v121
	v_fmac_f32_e32 v168, v146, v122
	s_waitcnt lgkmcnt(2)
	s_delay_alu instid0(VALU_DEP_1) | instskip(SKIP_1) | instid1(VALU_DEP_1)
	v_fmac_f32_e32 v168, v147, v123
	s_waitcnt vmcnt(5)
	v_fmac_f32_e32 v168, v148, v124
	ds_load_2addr_b32 v[121:122], v176 offset0:93 offset1:94
	ds_load_2addr_b32 v[123:124], v176 offset0:95 offset1:96
	s_waitcnt lgkmcnt(3)
	v_fmac_f32_e32 v168, v149, v117
	s_delay_alu instid0(VALU_DEP_1) | instskip(SKIP_4) | instid1(VALU_DEP_1)
	v_fmac_f32_e32 v168, v150, v118
	ds_load_2addr_b32 v[117:118], v176 offset0:97 offset1:98
	s_waitcnt lgkmcnt(3)
	v_fmac_f32_e32 v168, v151, v119
	s_waitcnt vmcnt(4)
	v_fmac_f32_e32 v168, v152, v120
	ds_load_2addr_b32 v[119:120], v176 offset0:99 offset1:100
	s_waitcnt lgkmcnt(3)
	v_fmac_f32_e32 v168, v153, v121
	s_delay_alu instid0(VALU_DEP_1) | instskip(SKIP_1) | instid1(VALU_DEP_1)
	v_fmac_f32_e32 v168, v154, v122
	s_waitcnt lgkmcnt(2)
	v_fmac_f32_e32 v168, v155, v123
	s_waitcnt vmcnt(3)
	s_delay_alu instid0(VALU_DEP_1) | instskip(SKIP_4) | instid1(VALU_DEP_1)
	v_fmac_f32_e32 v168, v156, v124
	ds_load_2addr_b32 v[121:122], v176 offset0:101 offset1:102
	ds_load_2addr_b32 v[123:124], v176 offset0:103 offset1:104
	s_waitcnt lgkmcnt(3)
	v_fmac_f32_e32 v168, v157, v117
	v_fmac_f32_e32 v168, v158, v118
	ds_load_2addr_b32 v[117:118], v176 offset0:105 offset1:106
	s_waitcnt lgkmcnt(3)
	v_fmac_f32_e32 v168, v159, v119
	s_waitcnt vmcnt(2)
	s_delay_alu instid0(VALU_DEP_1) | instskip(SKIP_3) | instid1(VALU_DEP_1)
	v_fmac_f32_e32 v168, v160, v120
	ds_load_2addr_b32 v[119:120], v176 offset0:107 offset1:108
	s_waitcnt lgkmcnt(3)
	v_fmac_f32_e32 v168, v161, v121
	v_fmac_f32_e32 v168, v162, v122
	s_waitcnt lgkmcnt(2)
	s_delay_alu instid0(VALU_DEP_1)
	v_fmac_f32_e32 v168, v163, v123
	ds_load_2addr_b32 v[121:122], v176 offset0:109 offset1:110
	ds_load_b32 v123, v176 offset:444
	s_waitcnt vmcnt(1)
	v_fmac_f32_e32 v168, v164, v124
	s_waitcnt lgkmcnt(3)
	s_delay_alu instid0(VALU_DEP_1) | instskip(NEXT) | instid1(VALU_DEP_1)
	v_fmac_f32_e32 v168, v165, v117
	v_fmac_f32_e32 v168, v166, v118
	s_waitcnt lgkmcnt(2)
	s_delay_alu instid0(VALU_DEP_1) | instskip(SKIP_1) | instid1(VALU_DEP_1)
	v_fmac_f32_e32 v168, v167, v119
	s_waitcnt vmcnt(0)
	v_fmac_f32_e32 v168, v0, v120
	s_waitcnt lgkmcnt(1)
	s_delay_alu instid0(VALU_DEP_1) | instskip(NEXT) | instid1(VALU_DEP_1)
	v_fmac_f32_e32 v168, v1, v121
	v_fmac_f32_e32 v168, v2, v122
	s_waitcnt lgkmcnt(0)
	s_delay_alu instid0(VALU_DEP_1) | instskip(NEXT) | instid1(VALU_DEP_1)
	v_fmac_f32_e32 v168, v3, v123
	v_sub_f32_e32 v0, v116, v168
	scratch_store_b32 off, v0, off
	s_cbranch_vccz .LBB119_455
; %bb.344:
	v_dual_mov_b32 v0, s2 :: v_dual_mov_b32 v1, s3
	s_mov_b32 s0, exec_lo
	flat_load_b32 v0, v[0:1] offset:216
	s_waitcnt vmcnt(0) lgkmcnt(0)
	v_cmpx_ne_u32_e32 55, v0
	s_cbranch_execz .LBB119_346
; %bb.345:
	v_lshl_add_u32 v0, v0, 2, 0
	scratch_load_b32 v1, v0, off offset:-4
	s_waitcnt vmcnt(0)
	scratch_store_b32 off, v1, off offset:216
	scratch_store_b32 v0, v2, off offset:-4
.LBB119_346:
	s_or_b32 exec_lo, exec_lo, s0
	v_dual_mov_b32 v0, s2 :: v_dual_mov_b32 v1, s3
	s_mov_b32 s0, exec_lo
	flat_load_b32 v0, v[0:1] offset:212
	s_waitcnt vmcnt(0) lgkmcnt(0)
	v_cmpx_ne_u32_e32 54, v0
	s_cbranch_execz .LBB119_348
; %bb.347:
	v_lshl_add_u32 v0, v0, 2, 0
	scratch_load_b32 v1, v0, off offset:-4
	scratch_load_b32 v2, off, off offset:212
	s_waitcnt vmcnt(1)
	scratch_store_b32 off, v1, off offset:212
	s_waitcnt vmcnt(0)
	scratch_store_b32 v0, v2, off offset:-4
.LBB119_348:
	s_or_b32 exec_lo, exec_lo, s0
	v_dual_mov_b32 v0, s2 :: v_dual_mov_b32 v1, s3
	s_mov_b32 s0, exec_lo
	flat_load_b32 v0, v[0:1] offset:208
	s_waitcnt vmcnt(0) lgkmcnt(0)
	v_cmpx_ne_u32_e32 53, v0
	s_cbranch_execz .LBB119_350
; %bb.349:
	v_lshl_add_u32 v0, v0, 2, 0
	scratch_load_b32 v1, v0, off offset:-4
	scratch_load_b32 v2, off, off offset:208
	s_waitcnt vmcnt(1)
	scratch_store_b32 off, v1, off offset:208
	s_waitcnt vmcnt(0)
	scratch_store_b32 v0, v2, off offset:-4
.LBB119_350:
	;; [unrolled: 16-line block ×53, first 2 shown]
	s_or_b32 exec_lo, exec_lo, s0
	v_dual_mov_b32 v0, s2 :: v_dual_mov_b32 v1, s3
	s_mov_b32 s0, exec_lo
	flat_load_b32 v1, v[0:1]
	scratch_load_b32 v0, off, off
	s_waitcnt vmcnt(1) lgkmcnt(0)
	v_cmpx_ne_u32_e32 1, v1
	s_cbranch_execz .LBB119_454
; %bb.453:
	v_lshl_add_u32 v1, v1, 2, 0
	scratch_load_b32 v2, v1, off offset:-4
	s_waitcnt vmcnt(0)
	scratch_store_b32 off, v2, off
	scratch_store_b32 v1, v0, off offset:-4
	scratch_load_b32 v0, off, off
.LBB119_454:
	s_or_b32 exec_lo, exec_lo, s0
.LBB119_455:
	s_clause 0xd
	scratch_load_b128 v[116:119], off, off offset:4
	scratch_load_b128 v[120:123], off, off offset:20
	;; [unrolled: 1-line block ×13, first 2 shown]
	scratch_load_b96 v[1:3], off, off offset:212
	s_waitcnt vmcnt(14)
	global_store_b32 v[4:5], v0, off
	s_waitcnt vmcnt(13)
	s_clause 0x3
	global_store_b32 v[6:7], v116, off
	global_store_b32 v[8:9], v117, off
	global_store_b32 v[10:11], v118, off
	global_store_b32 v[12:13], v119, off
	s_waitcnt vmcnt(12)
	s_clause 0x3
	global_store_b32 v[14:15], v120, off
	global_store_b32 v[16:17], v121, off
	global_store_b32 v[18:19], v122, off
	;; [unrolled: 6-line block ×14, first 2 shown]
	s_endpgm
	.section	.rodata,"a",@progbits
	.p2align	6, 0x0
	.amdhsa_kernel _ZN9rocsolver6v33100L18getri_kernel_smallILi56EfPKPfEEvT1_iilPiilS6_bb
		.amdhsa_group_segment_fixed_size 452
		.amdhsa_private_segment_fixed_size 240
		.amdhsa_kernarg_size 60
		.amdhsa_user_sgpr_count 15
		.amdhsa_user_sgpr_dispatch_ptr 0
		.amdhsa_user_sgpr_queue_ptr 0
		.amdhsa_user_sgpr_kernarg_segment_ptr 1
		.amdhsa_user_sgpr_dispatch_id 0
		.amdhsa_user_sgpr_private_segment_size 0
		.amdhsa_wavefront_size32 1
		.amdhsa_uses_dynamic_stack 0
		.amdhsa_enable_private_segment 1
		.amdhsa_system_sgpr_workgroup_id_x 1
		.amdhsa_system_sgpr_workgroup_id_y 0
		.amdhsa_system_sgpr_workgroup_id_z 0
		.amdhsa_system_sgpr_workgroup_info 0
		.amdhsa_system_vgpr_workitem_id 0
		.amdhsa_next_free_vgpr 179
		.amdhsa_next_free_sgpr 17
		.amdhsa_reserve_vcc 1
		.amdhsa_float_round_mode_32 0
		.amdhsa_float_round_mode_16_64 0
		.amdhsa_float_denorm_mode_32 3
		.amdhsa_float_denorm_mode_16_64 3
		.amdhsa_dx10_clamp 1
		.amdhsa_ieee_mode 1
		.amdhsa_fp16_overflow 0
		.amdhsa_workgroup_processor_mode 1
		.amdhsa_memory_ordered 1
		.amdhsa_forward_progress 0
		.amdhsa_shared_vgpr_count 0
		.amdhsa_exception_fp_ieee_invalid_op 0
		.amdhsa_exception_fp_denorm_src 0
		.amdhsa_exception_fp_ieee_div_zero 0
		.amdhsa_exception_fp_ieee_overflow 0
		.amdhsa_exception_fp_ieee_underflow 0
		.amdhsa_exception_fp_ieee_inexact 0
		.amdhsa_exception_int_div_zero 0
	.end_amdhsa_kernel
	.section	.text._ZN9rocsolver6v33100L18getri_kernel_smallILi56EfPKPfEEvT1_iilPiilS6_bb,"axG",@progbits,_ZN9rocsolver6v33100L18getri_kernel_smallILi56EfPKPfEEvT1_iilPiilS6_bb,comdat
.Lfunc_end119:
	.size	_ZN9rocsolver6v33100L18getri_kernel_smallILi56EfPKPfEEvT1_iilPiilS6_bb, .Lfunc_end119-_ZN9rocsolver6v33100L18getri_kernel_smallILi56EfPKPfEEvT1_iilPiilS6_bb
                                        ; -- End function
	.section	.AMDGPU.csdata,"",@progbits
; Kernel info:
; codeLenInByte = 43572
; NumSgprs: 19
; NumVgprs: 179
; ScratchSize: 240
; MemoryBound: 0
; FloatMode: 240
; IeeeMode: 1
; LDSByteSize: 452 bytes/workgroup (compile time only)
; SGPRBlocks: 2
; VGPRBlocks: 22
; NumSGPRsForWavesPerEU: 19
; NumVGPRsForWavesPerEU: 179
; Occupancy: 8
; WaveLimiterHint : 1
; COMPUTE_PGM_RSRC2:SCRATCH_EN: 1
; COMPUTE_PGM_RSRC2:USER_SGPR: 15
; COMPUTE_PGM_RSRC2:TRAP_HANDLER: 0
; COMPUTE_PGM_RSRC2:TGID_X_EN: 1
; COMPUTE_PGM_RSRC2:TGID_Y_EN: 0
; COMPUTE_PGM_RSRC2:TGID_Z_EN: 0
; COMPUTE_PGM_RSRC2:TIDIG_COMP_CNT: 0
	.section	.text._ZN9rocsolver6v33100L18getri_kernel_smallILi57EfPKPfEEvT1_iilPiilS6_bb,"axG",@progbits,_ZN9rocsolver6v33100L18getri_kernel_smallILi57EfPKPfEEvT1_iilPiilS6_bb,comdat
	.globl	_ZN9rocsolver6v33100L18getri_kernel_smallILi57EfPKPfEEvT1_iilPiilS6_bb ; -- Begin function _ZN9rocsolver6v33100L18getri_kernel_smallILi57EfPKPfEEvT1_iilPiilS6_bb
	.p2align	8
	.type	_ZN9rocsolver6v33100L18getri_kernel_smallILi57EfPKPfEEvT1_iilPiilS6_bb,@function
_ZN9rocsolver6v33100L18getri_kernel_smallILi57EfPKPfEEvT1_iilPiilS6_bb: ; @_ZN9rocsolver6v33100L18getri_kernel_smallILi57EfPKPfEEvT1_iilPiilS6_bb
; %bb.0:
	s_mov_b32 s2, exec_lo
	v_cmpx_gt_u32_e32 57, v0
	s_cbranch_execz .LBB120_236
; %bb.1:
	s_clause 0x1
	s_load_b32 s13, s[0:1], 0x38
	s_load_b64 s[2:3], s[0:1], 0x0
	s_mov_b32 s8, s15
	s_load_b128 s[4:7], s[0:1], 0x28
	s_waitcnt lgkmcnt(0)
	s_bitcmp1_b32 s13, 8
	s_cselect_b32 s12, -1, 0
	s_ashr_i32 s9, s15, 31
	s_delay_alu instid0(SALU_CYCLE_1) | instskip(NEXT) | instid1(SALU_CYCLE_1)
	s_lshl_b64 s[10:11], s[8:9], 3
	s_add_u32 s2, s2, s10
	s_addc_u32 s3, s3, s11
	s_load_b64 s[10:11], s[2:3], 0x0
	s_bfe_u32 s2, s13, 0x10008
	s_delay_alu instid0(SALU_CYCLE_1)
	s_cmp_eq_u32 s2, 0
                                        ; implicit-def: $sgpr2_sgpr3
	s_cbranch_scc1 .LBB120_3
; %bb.2:
	s_clause 0x1
	s_load_b32 s2, s[0:1], 0x20
	s_load_b64 s[14:15], s[0:1], 0x18
	s_mul_i32 s3, s8, s5
	s_mul_hi_u32 s5, s8, s4
	s_mul_i32 s16, s9, s4
	s_add_i32 s3, s5, s3
	s_mul_i32 s4, s8, s4
	s_add_i32 s5, s3, s16
	s_delay_alu instid0(SALU_CYCLE_1)
	s_lshl_b64 s[4:5], s[4:5], 2
	s_waitcnt lgkmcnt(0)
	s_ashr_i32 s3, s2, 31
	s_add_u32 s4, s14, s4
	s_addc_u32 s5, s15, s5
	s_lshl_b64 s[2:3], s[2:3], 2
	s_delay_alu instid0(SALU_CYCLE_1)
	s_add_u32 s2, s4, s2
	s_addc_u32 s3, s5, s3
.LBB120_3:
	s_load_b64 s[0:1], s[0:1], 0x8
	v_lshlrev_b32_e32 v135, 2, v0
	s_waitcnt lgkmcnt(0)
	v_add3_u32 v2, s1, s1, v0
	s_ashr_i32 s5, s0, 31
	s_mov_b32 s4, s0
	s_mov_b32 s14, s1
	s_lshl_b64 s[4:5], s[4:5], 2
	v_add_nc_u32_e32 v4, s1, v2
	v_ashrrev_i32_e32 v3, 31, v2
	s_add_u32 s4, s10, s4
	s_addc_u32 s5, s11, s5
	v_add_co_u32 v21, s0, s4, v135
	v_add_nc_u32_e32 v6, s1, v4
	s_ashr_i32 s15, s1, 31
	v_add_co_ci_u32_e64 v22, null, s5, 0, s0
	v_lshlrev_b64 v[2:3], 2, v[2:3]
	v_ashrrev_i32_e32 v5, 31, v4
	s_lshl_b64 s[10:11], s[14:15], 2
	v_ashrrev_i32_e32 v7, 31, v6
	v_add_co_u32 v23, vcc_lo, v21, s10
	v_add_nc_u32_e32 v8, s1, v6
	v_add_co_ci_u32_e32 v24, vcc_lo, s11, v22, vcc_lo
	v_lshlrev_b64 v[4:5], 2, v[4:5]
	v_add_co_u32 v25, vcc_lo, s4, v2
	v_add_co_ci_u32_e32 v26, vcc_lo, s5, v3, vcc_lo
	v_lshlrev_b64 v[2:3], 2, v[6:7]
	v_ashrrev_i32_e32 v9, 31, v8
	v_add_nc_u32_e32 v6, s1, v8
	v_add_co_u32 v27, vcc_lo, s4, v4
	v_add_co_ci_u32_e32 v28, vcc_lo, s5, v5, vcc_lo
	s_delay_alu instid0(VALU_DEP_4) | instskip(NEXT) | instid1(VALU_DEP_4)
	v_lshlrev_b64 v[4:5], 2, v[8:9]
	v_ashrrev_i32_e32 v7, 31, v6
	v_add_nc_u32_e32 v8, s1, v6
	v_add_co_u32 v29, vcc_lo, s4, v2
	v_add_co_ci_u32_e32 v30, vcc_lo, s5, v3, vcc_lo
	s_delay_alu instid0(VALU_DEP_4) | instskip(NEXT) | instid1(VALU_DEP_4)
	;; [unrolled: 6-line block ×3, first 2 shown]
	v_lshlrev_b64 v[4:5], 2, v[8:9]
	v_add_nc_u32_e32 v8, s1, v6
	v_add_co_u32 v33, vcc_lo, s4, v2
	v_ashrrev_i32_e32 v7, 31, v6
	v_add_co_ci_u32_e32 v34, vcc_lo, s5, v3, vcc_lo
	s_delay_alu instid0(VALU_DEP_4) | instskip(SKIP_1) | instid1(VALU_DEP_4)
	v_add_nc_u32_e32 v2, s1, v8
	v_ashrrev_i32_e32 v9, 31, v8
	v_lshlrev_b64 v[6:7], 2, v[6:7]
	v_add_co_u32 v35, vcc_lo, s4, v4
	s_delay_alu instid0(VALU_DEP_4) | instskip(SKIP_3) | instid1(VALU_DEP_4)
	v_add_nc_u32_e32 v10, s1, v2
	v_ashrrev_i32_e32 v3, 31, v2
	v_lshlrev_b64 v[12:13], 2, v[8:9]
	v_add_co_ci_u32_e32 v36, vcc_lo, s5, v5, vcc_lo
	v_add_nc_u32_e32 v16, s1, v10
	v_add_co_u32 v37, vcc_lo, s4, v6
	v_lshlrev_b64 v[14:15], 2, v[2:3]
	v_ashrrev_i32_e32 v11, 31, v10
	v_add_co_ci_u32_e32 v38, vcc_lo, s5, v7, vcc_lo
	v_add_co_u32 v39, vcc_lo, s4, v12
	v_ashrrev_i32_e32 v17, 31, v16
	v_add_nc_u32_e32 v12, s1, v16
	v_add_co_ci_u32_e32 v40, vcc_lo, s5, v13, vcc_lo
	v_lshlrev_b64 v[10:11], 2, v[10:11]
	v_add_co_u32 v41, vcc_lo, s4, v14
	v_add_co_ci_u32_e32 v42, vcc_lo, s5, v15, vcc_lo
	v_lshlrev_b64 v[14:15], 2, v[16:17]
	v_ashrrev_i32_e32 v13, 31, v12
	v_add_nc_u32_e32 v16, s1, v12
	v_add_co_u32 v43, vcc_lo, s4, v10
	v_add_co_ci_u32_e32 v44, vcc_lo, s5, v11, vcc_lo
	s_delay_alu instid0(VALU_DEP_4) | instskip(NEXT) | instid1(VALU_DEP_4)
	v_lshlrev_b64 v[10:11], 2, v[12:13]
	v_ashrrev_i32_e32 v17, 31, v16
	v_add_nc_u32_e32 v12, s1, v16
	v_add_co_u32 v45, vcc_lo, s4, v14
	v_add_co_ci_u32_e32 v46, vcc_lo, s5, v15, vcc_lo
	s_delay_alu instid0(VALU_DEP_4) | instskip(NEXT) | instid1(VALU_DEP_4)
	v_lshlrev_b64 v[14:15], 2, v[16:17]
	v_ashrrev_i32_e32 v13, 31, v12
	v_add_nc_u32_e32 v16, s1, v12
	v_add_co_u32 v47, vcc_lo, s4, v10
	v_add_co_ci_u32_e32 v48, vcc_lo, s5, v11, vcc_lo
	s_delay_alu instid0(VALU_DEP_4) | instskip(NEXT) | instid1(VALU_DEP_4)
	v_lshlrev_b64 v[10:11], 2, v[12:13]
	v_ashrrev_i32_e32 v17, 31, v16
	v_add_nc_u32_e32 v12, s1, v16
	v_add_co_u32 v49, vcc_lo, s4, v14
	v_add_co_ci_u32_e32 v50, vcc_lo, s5, v15, vcc_lo
	s_delay_alu instid0(VALU_DEP_4) | instskip(NEXT) | instid1(VALU_DEP_4)
	v_lshlrev_b64 v[14:15], 2, v[16:17]
	v_add_nc_u32_e32 v16, s1, v12
	v_ashrrev_i32_e32 v13, 31, v12
	v_add_co_u32 v51, vcc_lo, s4, v10
	v_add_co_ci_u32_e32 v52, vcc_lo, s5, v11, vcc_lo
	s_delay_alu instid0(VALU_DEP_4) | instskip(NEXT) | instid1(VALU_DEP_4)
	v_add_nc_u32_e32 v57, s1, v16
	v_lshlrev_b64 v[18:19], 2, v[12:13]
	v_ashrrev_i32_e32 v17, 31, v16
	v_add_co_u32 v53, vcc_lo, s4, v14
	s_delay_alu instid0(VALU_DEP_4) | instskip(SKIP_3) | instid1(VALU_DEP_4)
	v_add_nc_u32_e32 v61, s1, v57
	v_ashrrev_i32_e32 v58, 31, v57
	v_add_co_ci_u32_e32 v54, vcc_lo, s5, v15, vcc_lo
	v_lshlrev_b64 v[59:60], 2, v[16:17]
	v_add_nc_u32_e32 v63, s1, v61
	v_add_co_u32 v55, vcc_lo, s4, v18
	v_add_co_ci_u32_e32 v56, vcc_lo, s5, v19, vcc_lo
	s_delay_alu instid0(VALU_DEP_3) | instskip(SKIP_3) | instid1(VALU_DEP_4)
	v_add_nc_u32_e32 v65, s1, v63
	v_lshlrev_b64 v[18:19], 2, v[57:58]
	v_ashrrev_i32_e32 v62, 31, v61
	v_add_co_u32 v57, vcc_lo, s4, v59
	v_add_nc_u32_e32 v67, s1, v65
	v_ashrrev_i32_e32 v64, 31, v63
	v_add_co_ci_u32_e32 v58, vcc_lo, s5, v60, vcc_lo
	v_lshlrev_b64 v[61:62], 2, v[61:62]
	s_delay_alu instid0(VALU_DEP_4) | instskip(SKIP_2) | instid1(VALU_DEP_3)
	v_add_nc_u32_e32 v69, s1, v67
	v_add_co_u32 v59, vcc_lo, s4, v18
	v_add_co_ci_u32_e32 v60, vcc_lo, s5, v19, vcc_lo
	v_add_nc_u32_e32 v71, s1, v69
	v_lshlrev_b64 v[18:19], 2, v[63:64]
	v_ashrrev_i32_e32 v66, 31, v65
	v_add_co_u32 v61, vcc_lo, s4, v61
	s_delay_alu instid0(VALU_DEP_4) | instskip(SKIP_3) | instid1(VALU_DEP_4)
	v_add_nc_u32_e32 v73, s1, v71
	v_ashrrev_i32_e32 v68, 31, v67
	v_add_co_ci_u32_e32 v62, vcc_lo, s5, v62, vcc_lo
	v_lshlrev_b64 v[65:66], 2, v[65:66]
	v_add_nc_u32_e32 v75, s1, v73
	v_add_co_u32 v63, vcc_lo, s4, v18
	v_add_co_ci_u32_e32 v64, vcc_lo, s5, v19, vcc_lo
	s_delay_alu instid0(VALU_DEP_3) | instskip(SKIP_3) | instid1(VALU_DEP_4)
	v_add_nc_u32_e32 v77, s1, v75
	v_lshlrev_b64 v[18:19], 2, v[67:68]
	v_ashrrev_i32_e32 v70, 31, v69
	v_add_co_u32 v65, vcc_lo, s4, v65
	v_add_nc_u32_e32 v79, s1, v77
	v_ashrrev_i32_e32 v72, 31, v71
	v_add_co_ci_u32_e32 v66, vcc_lo, s5, v66, vcc_lo
	v_lshlrev_b64 v[69:70], 2, v[69:70]
	s_delay_alu instid0(VALU_DEP_4) | instskip(SKIP_2) | instid1(VALU_DEP_3)
	v_add_nc_u32_e32 v81, s1, v79
	v_add_co_u32 v67, vcc_lo, s4, v18
	v_add_co_ci_u32_e32 v68, vcc_lo, s5, v19, vcc_lo
	v_add_nc_u32_e32 v83, s1, v81
	v_lshlrev_b64 v[18:19], 2, v[71:72]
	v_ashrrev_i32_e32 v74, 31, v73
	v_add_co_u32 v69, vcc_lo, s4, v69
	s_delay_alu instid0(VALU_DEP_4)
	v_add_nc_u32_e32 v85, s1, v83
	v_ashrrev_i32_e32 v76, 31, v75
	v_add_co_ci_u32_e32 v70, vcc_lo, s5, v70, vcc_lo
	v_lshlrev_b64 v[73:74], 2, v[73:74]
	v_add_co_u32 v71, vcc_lo, s4, v18
	v_add_nc_u32_e32 v87, s1, v85
	v_add_co_ci_u32_e32 v72, vcc_lo, s5, v19, vcc_lo
	v_lshlrev_b64 v[18:19], 2, v[75:76]
	v_ashrrev_i32_e32 v78, 31, v77
	v_add_co_u32 v73, vcc_lo, s4, v73
	v_ashrrev_i32_e32 v80, 31, v79
	v_add_nc_u32_e32 v89, s1, v87
	v_add_co_ci_u32_e32 v74, vcc_lo, s5, v74, vcc_lo
	v_lshlrev_b64 v[77:78], 2, v[77:78]
	v_add_co_u32 v75, vcc_lo, s4, v18
	v_add_co_ci_u32_e32 v76, vcc_lo, s5, v19, vcc_lo
	v_lshlrev_b64 v[18:19], 2, v[79:80]
	v_ashrrev_i32_e32 v82, 31, v81
	v_add_nc_u32_e32 v91, s1, v89
	v_add_co_u32 v77, vcc_lo, s4, v77
	v_ashrrev_i32_e32 v84, 31, v83
	v_add_co_ci_u32_e32 v78, vcc_lo, s5, v78, vcc_lo
	v_lshlrev_b64 v[81:82], 2, v[81:82]
	v_add_nc_u32_e32 v93, s1, v91
	v_add_co_u32 v79, vcc_lo, s4, v18
	v_ashrrev_i32_e32 v86, 31, v85
	v_add_co_ci_u32_e32 v80, vcc_lo, s5, v19, vcc_lo
	v_lshlrev_b64 v[18:19], 2, v[83:84]
	v_ashrrev_i32_e32 v88, 31, v87
	v_add_nc_u32_e32 v95, s1, v93
	v_add_co_u32 v81, vcc_lo, s4, v81
	v_lshlrev_b64 v[85:86], 2, v[85:86]
	v_ashrrev_i32_e32 v90, 31, v89
	v_add_co_ci_u32_e32 v82, vcc_lo, s5, v82, vcc_lo
	v_add_co_u32 v83, vcc_lo, s4, v18
	v_lshlrev_b64 v[87:88], 2, v[87:88]
	v_ashrrev_i32_e32 v92, 31, v91
	v_add_nc_u32_e32 v97, s1, v95
	v_add_co_ci_u32_e32 v84, vcc_lo, s5, v19, vcc_lo
	v_add_co_u32 v85, vcc_lo, s4, v85
	v_lshlrev_b64 v[89:90], 2, v[89:90]
	v_ashrrev_i32_e32 v94, 31, v93
	v_add_co_ci_u32_e32 v86, vcc_lo, s5, v86, vcc_lo
	v_add_co_u32 v87, vcc_lo, s4, v87
	v_lshlrev_b64 v[91:92], 2, v[91:92]
	v_add_nc_u32_e32 v99, s1, v97
	v_ashrrev_i32_e32 v96, 31, v95
	v_add_co_ci_u32_e32 v88, vcc_lo, s5, v88, vcc_lo
	v_add_co_u32 v89, vcc_lo, s4, v89
	v_lshlrev_b64 v[93:94], 2, v[93:94]
	v_ashrrev_i32_e32 v98, 31, v97
	v_add_co_ci_u32_e32 v90, vcc_lo, s5, v90, vcc_lo
	v_add_nc_u32_e32 v101, s1, v99
	v_add_co_u32 v91, vcc_lo, s4, v91
	v_lshlrev_b64 v[95:96], 2, v[95:96]
	v_ashrrev_i32_e32 v100, 31, v99
	v_add_co_ci_u32_e32 v92, vcc_lo, s5, v92, vcc_lo
	v_add_co_u32 v93, vcc_lo, s4, v93
	v_lshlrev_b64 v[97:98], 2, v[97:98]
	v_ashrrev_i32_e32 v102, 31, v101
	v_add_co_ci_u32_e32 v94, vcc_lo, s5, v94, vcc_lo
	v_add_co_u32 v95, vcc_lo, s4, v95
	v_lshlrev_b64 v[99:100], 2, v[99:100]
	v_add_nc_u32_e32 v104, s1, v101
	v_add_co_ci_u32_e32 v96, vcc_lo, s5, v96, vcc_lo
	v_add_co_u32 v97, vcc_lo, s4, v97
	v_lshlrev_b64 v[102:103], 2, v[101:102]
	v_add_co_ci_u32_e32 v98, vcc_lo, s5, v98, vcc_lo
	v_add_co_u32 v99, vcc_lo, s4, v99
	v_ashrrev_i32_e32 v105, 31, v104
	v_add_nc_u32_e32 v106, s1, v104
	v_add_co_ci_u32_e32 v100, vcc_lo, s5, v100, vcc_lo
	v_add_co_u32 v101, vcc_lo, s4, v102
	v_add_co_ci_u32_e32 v102, vcc_lo, s5, v103, vcc_lo
	v_lshlrev_b64 v[103:104], 2, v[104:105]
	v_add_nc_u32_e32 v105, s1, v106
	v_ashrrev_i32_e32 v107, 31, v106
	s_clause 0x10
	global_load_b32 v1, v135, s[4:5]
	global_load_b32 v2, v[23:24], off
	global_load_b32 v3, v[25:26], off
	;; [unrolled: 1-line block ×16, first 2 shown]
	v_add_nc_u32_e32 v109, s1, v105
	v_lshlrev_b64 v[107:108], 2, v[106:107]
	v_ashrrev_i32_e32 v106, 31, v105
	v_add_co_u32 v103, vcc_lo, s4, v103
	s_delay_alu instid0(VALU_DEP_4) | instskip(SKIP_1) | instid1(VALU_DEP_4)
	v_add_nc_u32_e32 v113, s1, v109
	v_add_co_ci_u32_e32 v104, vcc_lo, s5, v104, vcc_lo
	v_lshlrev_b64 v[111:112], 2, v[105:106]
	v_add_co_u32 v105, vcc_lo, s4, v107
	s_delay_alu instid0(VALU_DEP_4)
	v_ashrrev_i32_e32 v114, 31, v113
	v_add_nc_u32_e32 v115, s1, v113
	v_add_co_ci_u32_e32 v106, vcc_lo, s5, v108, vcc_lo
	v_ashrrev_i32_e32 v110, 31, v109
	v_add_co_u32 v107, vcc_lo, s4, v111
	v_add_co_ci_u32_e32 v108, vcc_lo, s5, v112, vcc_lo
	v_lshlrev_b64 v[111:112], 2, v[113:114]
	v_add_nc_u32_e32 v113, s1, v115
	v_lshlrev_b64 v[109:110], 2, v[109:110]
	v_ashrrev_i32_e32 v116, 31, v115
	s_clause 0xf
	global_load_b32 v18, v[55:56], off
	global_load_b32 v19, v[57:58], off
	;; [unrolled: 1-line block ×16, first 2 shown]
	v_add_nc_u32_e32 v117, s1, v113
	v_ashrrev_i32_e32 v114, 31, v113
	v_add_co_u32 v109, vcc_lo, s4, v109
	v_lshlrev_b64 v[115:116], 2, v[115:116]
	s_delay_alu instid0(VALU_DEP_4)
	v_ashrrev_i32_e32 v118, 31, v117
	v_add_co_ci_u32_e32 v110, vcc_lo, s5, v110, vcc_lo
	v_add_co_u32 v111, vcc_lo, s4, v111
	v_lshlrev_b64 v[119:120], 2, v[113:114]
	v_add_nc_u32_e32 v123, s1, v117
	v_add_co_ci_u32_e32 v112, vcc_lo, s5, v112, vcc_lo
	v_add_co_u32 v113, vcc_lo, s4, v115
	v_lshlrev_b64 v[121:122], 2, v[117:118]
	v_add_co_ci_u32_e32 v114, vcc_lo, s5, v116, vcc_lo
	v_add_co_u32 v115, vcc_lo, s4, v119
	v_ashrrev_i32_e32 v124, 31, v123
	v_add_nc_u32_e32 v119, s1, v123
	v_add_co_ci_u32_e32 v116, vcc_lo, s5, v120, vcc_lo
	v_add_co_u32 v117, vcc_lo, s4, v121
	v_add_co_ci_u32_e32 v118, vcc_lo, s5, v122, vcc_lo
	v_lshlrev_b64 v[121:122], 2, v[123:124]
	v_add_nc_u32_e32 v123, s1, v119
	v_ashrrev_i32_e32 v120, 31, v119
	s_clause 0xf
	global_load_b32 v149, v[87:88], off
	global_load_b32 v150, v[89:90], off
	global_load_b32 v151, v[91:92], off
	global_load_b32 v152, v[93:94], off
	global_load_b32 v153, v[95:96], off
	global_load_b32 v154, v[97:98], off
	global_load_b32 v155, v[99:100], off
	global_load_b32 v156, v[101:102], off
	global_load_b32 v157, v[103:104], off
	global_load_b32 v158, v[105:106], off
	global_load_b32 v159, v[107:108], off
	global_load_b32 v160, v[109:110], off
	global_load_b32 v161, v[111:112], off
	global_load_b32 v162, v[113:114], off
	global_load_b32 v163, v[115:116], off
	global_load_b32 v164, v[117:118], off
	s_bitcmp0_b32 s13, 0
	v_add_nc_u32_e32 v127, s1, v123
	v_lshlrev_b64 v[125:126], 2, v[119:120]
	v_add_co_u32 v119, vcc_lo, s4, v121
	v_add_co_ci_u32_e32 v120, vcc_lo, s5, v122, vcc_lo
	s_delay_alu instid0(VALU_DEP_4)
	v_ashrrev_i32_e32 v128, 31, v127
	v_add_nc_u32_e32 v129, s1, v127
	v_ashrrev_i32_e32 v124, 31, v123
	v_add_co_u32 v121, vcc_lo, s4, v125
	v_add_co_ci_u32_e32 v122, vcc_lo, s5, v126, vcc_lo
	v_lshlrev_b64 v[125:126], 2, v[127:128]
	v_add_nc_u32_e32 v127, s1, v129
	v_lshlrev_b64 v[123:124], 2, v[123:124]
	v_ashrrev_i32_e32 v130, 31, v129
	s_delay_alu instid0(VALU_DEP_3) | instskip(SKIP_1) | instid1(VALU_DEP_4)
	v_add_nc_u32_e32 v131, s1, v127
	v_ashrrev_i32_e32 v128, 31, v127
	v_add_co_u32 v123, vcc_lo, s4, v123
	s_delay_alu instid0(VALU_DEP_4) | instskip(NEXT) | instid1(VALU_DEP_4)
	v_lshlrev_b64 v[129:130], 2, v[129:130]
	v_add_nc_u32_e32 v165, s1, v131
	v_add_co_ci_u32_e32 v124, vcc_lo, s5, v124, vcc_lo
	v_add_co_u32 v125, vcc_lo, s4, v125
	v_lshlrev_b64 v[133:134], 2, v[127:128]
	v_ashrrev_i32_e32 v132, 31, v131
	v_add_co_ci_u32_e32 v126, vcc_lo, s5, v126, vcc_lo
	v_add_co_u32 v127, vcc_lo, s4, v129
	v_ashrrev_i32_e32 v166, 31, v165
	v_add_co_ci_u32_e32 v128, vcc_lo, s5, v130, vcc_lo
	v_lshlrev_b64 v[131:132], 2, v[131:132]
	v_add_co_u32 v129, vcc_lo, s4, v133
	v_add_co_ci_u32_e32 v130, vcc_lo, s5, v134, vcc_lo
	v_lshlrev_b64 v[133:134], 2, v[165:166]
	s_delay_alu instid0(VALU_DEP_4) | instskip(SKIP_2) | instid1(VALU_DEP_3)
	v_add_co_u32 v131, vcc_lo, s4, v131
	v_add_co_ci_u32_e32 v132, vcc_lo, s5, v132, vcc_lo
	s_mov_b32 s1, -1
	v_add_co_u32 v133, vcc_lo, s4, v133
	s_delay_alu instid0(VALU_DEP_4)
	v_add_co_ci_u32_e32 v134, vcc_lo, s5, v134, vcc_lo
	s_clause 0x7
	global_load_b32 v165, v[119:120], off
	global_load_b32 v166, v[121:122], off
	;; [unrolled: 1-line block ×8, first 2 shown]
	s_waitcnt vmcnt(53)
	scratch_store_b128 off, v[1:4], off
	s_waitcnt vmcnt(49)
	scratch_store_b128 off, v[5:8], off offset:16
	s_waitcnt vmcnt(45)
	scratch_store_b128 off, v[9:12], off offset:32
	;; [unrolled: 2-line block ×13, first 2 shown]
	s_waitcnt vmcnt(0)
	scratch_store_b32 off, v172, off offset:224
	s_cbranch_scc1 .LBB120_234
; %bb.4:
	v_cmp_eq_u32_e64 s0, 0, v0
	s_delay_alu instid0(VALU_DEP_1)
	s_and_saveexec_b32 s1, s0
	s_cbranch_execz .LBB120_6
; %bb.5:
	v_mov_b32_e32 v1, 0
	ds_store_b32 v1, v1 offset:228
.LBB120_6:
	s_or_b32 exec_lo, exec_lo, s1
	s_waitcnt lgkmcnt(0)
	s_waitcnt_vscnt null, 0x0
	s_barrier
	buffer_gl0_inv
	scratch_load_b32 v1, v135, off
	s_mov_b32 s4, exec_lo
	s_waitcnt vmcnt(0)
	v_cmpx_eq_f32_e32 0, v1
	s_cbranch_execz .LBB120_10
; %bb.7:
	v_mov_b32_e32 v1, 0
	s_mov_b32 s5, 0
	ds_load_b32 v2, v1 offset:228
	s_waitcnt lgkmcnt(0)
	v_readfirstlane_b32 s1, v2
	v_add_nc_u32_e32 v2, 1, v0
	s_delay_alu instid0(VALU_DEP_2) | instskip(NEXT) | instid1(VALU_DEP_1)
	s_cmp_eq_u32 s1, 0
	v_cmp_gt_i32_e32 vcc_lo, s1, v2
	s_cselect_b32 s10, -1, 0
	s_delay_alu instid0(SALU_CYCLE_1) | instskip(NEXT) | instid1(SALU_CYCLE_1)
	s_or_b32 s10, s10, vcc_lo
	s_and_b32 exec_lo, exec_lo, s10
	s_cbranch_execz .LBB120_10
; %bb.8:
	v_mov_b32_e32 v3, s1
.LBB120_9:                              ; =>This Inner Loop Header: Depth=1
	ds_cmpstore_rtn_b32 v3, v1, v2, v3 offset:228
	s_waitcnt lgkmcnt(0)
	v_cmp_ne_u32_e32 vcc_lo, 0, v3
	v_cmp_le_i32_e64 s1, v3, v2
	s_delay_alu instid0(VALU_DEP_1) | instskip(NEXT) | instid1(SALU_CYCLE_1)
	s_and_b32 s1, vcc_lo, s1
	s_and_b32 s1, exec_lo, s1
	s_delay_alu instid0(SALU_CYCLE_1) | instskip(NEXT) | instid1(SALU_CYCLE_1)
	s_or_b32 s5, s1, s5
	s_and_not1_b32 exec_lo, exec_lo, s5
	s_cbranch_execnz .LBB120_9
.LBB120_10:
	s_or_b32 exec_lo, exec_lo, s4
	v_mov_b32_e32 v1, 0
	s_barrier
	buffer_gl0_inv
	ds_load_b32 v2, v1 offset:228
	s_and_saveexec_b32 s1, s0
	s_cbranch_execz .LBB120_12
; %bb.11:
	s_lshl_b64 s[4:5], s[8:9], 2
	s_delay_alu instid0(SALU_CYCLE_1)
	s_add_u32 s4, s6, s4
	s_addc_u32 s5, s7, s5
	s_waitcnt lgkmcnt(0)
	global_store_b32 v1, v2, s[4:5]
.LBB120_12:
	s_or_b32 exec_lo, exec_lo, s1
	s_waitcnt lgkmcnt(0)
	v_cmp_ne_u32_e32 vcc_lo, 0, v2
	s_mov_b32 s1, 0
	s_cbranch_vccnz .LBB120_234
; %bb.13:
	v_add_nc_u32_e32 v1, 0, v135
	scratch_load_b32 v2, v1, off
	s_waitcnt vmcnt(0)
	v_div_scale_f32 v3, null, v2, v2, 1.0
	v_div_scale_f32 v6, vcc_lo, 1.0, v2, 1.0
	s_delay_alu instid0(VALU_DEP_2) | instskip(SKIP_2) | instid1(VALU_DEP_1)
	v_rcp_f32_e32 v4, v3
	s_waitcnt_depctr 0xfff
	v_fma_f32 v5, -v3, v4, 1.0
	v_fmac_f32_e32 v4, v5, v4
	s_delay_alu instid0(VALU_DEP_1) | instskip(NEXT) | instid1(VALU_DEP_1)
	v_mul_f32_e32 v5, v6, v4
	v_fma_f32 v7, -v3, v5, v6
	s_delay_alu instid0(VALU_DEP_1) | instskip(NEXT) | instid1(VALU_DEP_1)
	v_fmac_f32_e32 v5, v7, v4
	v_fma_f32 v3, -v3, v5, v6
	s_delay_alu instid0(VALU_DEP_1) | instskip(NEXT) | instid1(VALU_DEP_1)
	v_div_fmas_f32 v3, v3, v4, v5
	v_div_fixup_f32 v2, v3, v2, 1.0
	scratch_store_b32 v1, v2, off
	scratch_load_b32 v3, off, off offset:4
	v_xor_b32_e32 v4, 0x80000000, v2
	v_add_nc_u32_e32 v2, 0xf0, v135
	s_waitcnt vmcnt(0)
	ds_store_2addr_b32 v135, v4, v3 offset1:60
	s_waitcnt lgkmcnt(0)
	s_waitcnt_vscnt null, 0x0
	s_barrier
	buffer_gl0_inv
	s_and_saveexec_b32 s1, s0
	s_cbranch_execz .LBB120_15
; %bb.14:
	scratch_load_b32 v3, v1, off
	ds_load_b32 v4, v2
	v_mov_b32_e32 v5, 0
	ds_load_b32 v5, v5 offset:4
	s_waitcnt vmcnt(0) lgkmcnt(1)
	v_fma_f32 v3, v3, v4, 0
	s_waitcnt lgkmcnt(0)
	s_delay_alu instid0(VALU_DEP_1)
	v_mul_f32_e32 v3, v3, v5
	scratch_store_b32 off, v3, off offset:4
.LBB120_15:
	s_or_b32 exec_lo, exec_lo, s1
	s_waitcnt_vscnt null, 0x0
	s_barrier
	buffer_gl0_inv
	scratch_load_b32 v3, off, off offset:8
	s_mov_b32 s1, exec_lo
	s_waitcnt vmcnt(0)
	ds_store_b32 v2, v3
	s_waitcnt lgkmcnt(0)
	s_barrier
	buffer_gl0_inv
	v_cmpx_gt_u32_e32 2, v0
	s_cbranch_execz .LBB120_17
; %bb.16:
	scratch_load_b32 v5, v1, off
	scratch_load_b32 v6, off, off offset:4
	ds_load_b32 v7, v2
	v_mov_b32_e32 v3, 0
	ds_load_2addr_b32 v[3:4], v3 offset0:2 offset1:61
	s_waitcnt vmcnt(1) lgkmcnt(1)
	v_fma_f32 v5, v5, v7, 0
	s_waitcnt vmcnt(0) lgkmcnt(0)
	s_delay_alu instid0(VALU_DEP_1) | instskip(NEXT) | instid1(VALU_DEP_1)
	v_fma_f32 v4, v6, v4, v5
	v_cndmask_b32_e64 v4, v5, v4, s0
	s_delay_alu instid0(VALU_DEP_1)
	v_mul_f32_e32 v3, v4, v3
	scratch_store_b32 off, v3, off offset:8
.LBB120_17:
	s_or_b32 exec_lo, exec_lo, s1
	s_waitcnt_vscnt null, 0x0
	s_barrier
	buffer_gl0_inv
	scratch_load_b32 v4, off, off offset:12
	v_add_nc_u32_e32 v3, -1, v0
	s_mov_b32 s0, exec_lo
	s_waitcnt vmcnt(0)
	ds_store_b32 v2, v4
	s_waitcnt lgkmcnt(0)
	s_barrier
	buffer_gl0_inv
	v_cmpx_gt_u32_e32 3, v0
	s_cbranch_execz .LBB120_21
; %bb.18:
	v_dual_mov_b32 v4, 0 :: v_dual_add_nc_u32 v5, -1, v0
	v_add_nc_u32_e32 v6, 0xf0, v135
	v_add_nc_u32_e32 v7, 0, v135
	s_mov_b32 s1, 0
.LBB120_19:                             ; =>This Inner Loop Header: Depth=1
	scratch_load_b32 v8, v7, off
	ds_load_b32 v9, v6
	v_add_nc_u32_e32 v5, 1, v5
	v_add_nc_u32_e32 v6, 4, v6
	v_add_nc_u32_e32 v7, 4, v7
	s_delay_alu instid0(VALU_DEP_3)
	v_cmp_lt_u32_e32 vcc_lo, 1, v5
	s_or_b32 s1, vcc_lo, s1
	s_waitcnt vmcnt(0) lgkmcnt(0)
	v_fmac_f32_e32 v4, v8, v9
	s_and_not1_b32 exec_lo, exec_lo, s1
	s_cbranch_execnz .LBB120_19
; %bb.20:
	s_or_b32 exec_lo, exec_lo, s1
	v_mov_b32_e32 v5, 0
	ds_load_b32 v5, v5 offset:12
	s_waitcnt lgkmcnt(0)
	v_mul_f32_e32 v4, v4, v5
	scratch_store_b32 off, v4, off offset:12
.LBB120_21:
	s_or_b32 exec_lo, exec_lo, s0
	s_waitcnt_vscnt null, 0x0
	s_barrier
	buffer_gl0_inv
	scratch_load_b32 v4, off, off offset:16
	s_mov_b32 s0, exec_lo
	s_waitcnt vmcnt(0)
	ds_store_b32 v2, v4
	s_waitcnt lgkmcnt(0)
	s_barrier
	buffer_gl0_inv
	v_cmpx_gt_u32_e32 4, v0
	s_cbranch_execz .LBB120_25
; %bb.22:
	v_dual_mov_b32 v4, 0 :: v_dual_add_nc_u32 v5, -1, v0
	v_add_nc_u32_e32 v6, 0xf0, v135
	v_add_nc_u32_e32 v7, 0, v135
	s_mov_b32 s1, 0
.LBB120_23:                             ; =>This Inner Loop Header: Depth=1
	scratch_load_b32 v8, v7, off
	ds_load_b32 v9, v6
	v_add_nc_u32_e32 v5, 1, v5
	v_add_nc_u32_e32 v6, 4, v6
	v_add_nc_u32_e32 v7, 4, v7
	s_delay_alu instid0(VALU_DEP_3)
	v_cmp_lt_u32_e32 vcc_lo, 2, v5
	s_or_b32 s1, vcc_lo, s1
	s_waitcnt vmcnt(0) lgkmcnt(0)
	v_fmac_f32_e32 v4, v8, v9
	s_and_not1_b32 exec_lo, exec_lo, s1
	s_cbranch_execnz .LBB120_23
; %bb.24:
	s_or_b32 exec_lo, exec_lo, s1
	v_mov_b32_e32 v5, 0
	ds_load_b32 v5, v5 offset:16
	s_waitcnt lgkmcnt(0)
	v_mul_f32_e32 v4, v4, v5
	scratch_store_b32 off, v4, off offset:16
.LBB120_25:
	s_or_b32 exec_lo, exec_lo, s0
	s_waitcnt_vscnt null, 0x0
	s_barrier
	buffer_gl0_inv
	scratch_load_b32 v4, off, off offset:20
	;; [unrolled: 39-line block ×21, first 2 shown]
	s_mov_b32 s0, exec_lo
	s_waitcnt vmcnt(0)
	ds_store_b32 v2, v4
	s_waitcnt lgkmcnt(0)
	s_barrier
	buffer_gl0_inv
	v_cmpx_gt_u32_e32 24, v0
	s_cbranch_execz .LBB120_105
; %bb.102:
	v_dual_mov_b32 v4, 0 :: v_dual_add_nc_u32 v5, -1, v0
	v_add_nc_u32_e32 v6, 0xf0, v135
	v_add_nc_u32_e32 v7, 0, v135
	s_mov_b32 s1, 0
.LBB120_103:                            ; =>This Inner Loop Header: Depth=1
	scratch_load_b32 v8, v7, off
	ds_load_b32 v9, v6
	v_add_nc_u32_e32 v5, 1, v5
	v_add_nc_u32_e32 v6, 4, v6
	v_add_nc_u32_e32 v7, 4, v7
	s_delay_alu instid0(VALU_DEP_3)
	v_cmp_lt_u32_e32 vcc_lo, 22, v5
	s_or_b32 s1, vcc_lo, s1
	s_waitcnt vmcnt(0) lgkmcnt(0)
	v_fmac_f32_e32 v4, v8, v9
	s_and_not1_b32 exec_lo, exec_lo, s1
	s_cbranch_execnz .LBB120_103
; %bb.104:
	s_or_b32 exec_lo, exec_lo, s1
	v_mov_b32_e32 v5, 0
	ds_load_b32 v5, v5 offset:96
	s_waitcnt lgkmcnt(0)
	v_mul_f32_e32 v4, v4, v5
	scratch_store_b32 off, v4, off offset:96
.LBB120_105:
	s_or_b32 exec_lo, exec_lo, s0
	s_waitcnt_vscnt null, 0x0
	s_barrier
	buffer_gl0_inv
	scratch_load_b32 v4, off, off offset:100
	s_mov_b32 s0, exec_lo
	s_waitcnt vmcnt(0)
	ds_store_b32 v2, v4
	s_waitcnt lgkmcnt(0)
	s_barrier
	buffer_gl0_inv
	v_cmpx_gt_u32_e32 25, v0
	s_cbranch_execz .LBB120_109
; %bb.106:
	v_dual_mov_b32 v4, 0 :: v_dual_add_nc_u32 v5, -1, v0
	v_add_nc_u32_e32 v6, 0xf0, v135
	v_add_nc_u32_e32 v7, 0, v135
	s_mov_b32 s1, 0
.LBB120_107:                            ; =>This Inner Loop Header: Depth=1
	scratch_load_b32 v8, v7, off
	ds_load_b32 v9, v6
	v_add_nc_u32_e32 v5, 1, v5
	v_add_nc_u32_e32 v6, 4, v6
	v_add_nc_u32_e32 v7, 4, v7
	s_delay_alu instid0(VALU_DEP_3)
	v_cmp_lt_u32_e32 vcc_lo, 23, v5
	s_or_b32 s1, vcc_lo, s1
	s_waitcnt vmcnt(0) lgkmcnt(0)
	v_fmac_f32_e32 v4, v8, v9
	s_and_not1_b32 exec_lo, exec_lo, s1
	s_cbranch_execnz .LBB120_107
; %bb.108:
	s_or_b32 exec_lo, exec_lo, s1
	v_mov_b32_e32 v5, 0
	ds_load_b32 v5, v5 offset:100
	s_waitcnt lgkmcnt(0)
	v_mul_f32_e32 v4, v4, v5
	scratch_store_b32 off, v4, off offset:100
.LBB120_109:
	s_or_b32 exec_lo, exec_lo, s0
	s_waitcnt_vscnt null, 0x0
	s_barrier
	buffer_gl0_inv
	scratch_load_b32 v4, off, off offset:104
	;; [unrolled: 39-line block ×32, first 2 shown]
	s_mov_b32 s0, exec_lo
	s_waitcnt vmcnt(0)
	ds_store_b32 v2, v4
	s_waitcnt lgkmcnt(0)
	s_barrier
	buffer_gl0_inv
	v_cmpx_ne_u32_e32 56, v0
	s_cbranch_execz .LBB120_233
; %bb.230:
	v_mov_b32_e32 v4, 0
	s_mov_b32 s1, 0
.LBB120_231:                            ; =>This Inner Loop Header: Depth=1
	scratch_load_b32 v5, v1, off
	ds_load_b32 v6, v2
	v_add_nc_u32_e32 v3, 1, v3
	v_add_nc_u32_e32 v2, 4, v2
	s_waitcnt vmcnt(0) lgkmcnt(0)
	v_dual_fmac_f32 v4, v5, v6 :: v_dual_add_nc_u32 v1, 4, v1
	s_delay_alu instid0(VALU_DEP_3) | instskip(SKIP_1) | instid1(SALU_CYCLE_1)
	v_cmp_lt_u32_e32 vcc_lo, 54, v3
	s_or_b32 s1, vcc_lo, s1
	s_and_not1_b32 exec_lo, exec_lo, s1
	s_cbranch_execnz .LBB120_231
; %bb.232:
	s_or_b32 exec_lo, exec_lo, s1
	v_mov_b32_e32 v1, 0
	ds_load_b32 v1, v1 offset:224
	s_waitcnt lgkmcnt(0)
	v_mul_f32_e32 v1, v4, v1
	scratch_store_b32 off, v1, off offset:224
.LBB120_233:
	s_or_b32 exec_lo, exec_lo, s0
	s_mov_b32 s1, -1
	s_waitcnt_vscnt null, 0x0
	s_barrier
	buffer_gl0_inv
.LBB120_234:
	s_and_b32 vcc_lo, exec_lo, s1
	s_cbranch_vccz .LBB120_236
; %bb.235:
	s_lshl_b64 s[0:1], s[8:9], 2
	v_mov_b32_e32 v1, 0
	s_add_u32 s0, s6, s0
	s_addc_u32 s1, s7, s1
	global_load_b32 v1, v1, s[0:1]
	s_waitcnt vmcnt(0)
	v_cmp_ne_u32_e32 vcc_lo, 0, v1
	s_cbranch_vccz .LBB120_237
.LBB120_236:
	s_endpgm
.LBB120_237:
	v_lshl_add_u32 v1, v0, 2, 0xf0
	s_mov_b32 s0, exec_lo
	v_cmpx_eq_u32_e32 56, v0
	s_cbranch_execz .LBB120_239
; %bb.238:
	scratch_load_b32 v2, off, off offset:220
	v_mov_b32_e32 v3, 0
	scratch_store_b32 off, v3, off offset:220
	s_waitcnt vmcnt(0)
	ds_store_b32 v1, v2
.LBB120_239:
	s_or_b32 exec_lo, exec_lo, s0
	s_waitcnt lgkmcnt(0)
	s_waitcnt_vscnt null, 0x0
	s_barrier
	buffer_gl0_inv
	scratch_load_b64 v[3:4], off, off offset:220
	v_mov_b32_e32 v2, 0
	s_mov_b32 s0, exec_lo
	ds_load_b32 v5, v2 offset:464
	s_waitcnt vmcnt(0) lgkmcnt(0)
	v_fma_f32 v4, v4, v5, 0
	s_delay_alu instid0(VALU_DEP_1)
	v_sub_f32_e32 v3, v3, v4
	scratch_store_b32 off, v3, off offset:220
	v_cmpx_lt_u32_e32 54, v0
	s_cbranch_execz .LBB120_241
; %bb.240:
	scratch_load_b32 v3, off, off offset:216
	scratch_store_b32 off, v2, off offset:216
	s_waitcnt vmcnt(0)
	ds_store_b32 v1, v3
.LBB120_241:
	s_or_b32 exec_lo, exec_lo, s0
	s_waitcnt lgkmcnt(0)
	s_waitcnt_vscnt null, 0x0
	s_barrier
	buffer_gl0_inv
	scratch_load_b96 v[3:5], off, off offset:216
	ds_load_2addr_b32 v[6:7], v2 offset0:115 offset1:116
	s_mov_b32 s0, exec_lo
	s_waitcnt vmcnt(0) lgkmcnt(0)
	v_fma_f32 v2, v4, v6, 0
	s_delay_alu instid0(VALU_DEP_1) | instskip(NEXT) | instid1(VALU_DEP_1)
	v_fmac_f32_e32 v2, v5, v7
	v_sub_f32_e32 v2, v3, v2
	scratch_store_b32 off, v2, off offset:216
	v_cmpx_lt_u32_e32 53, v0
	s_cbranch_execz .LBB120_243
; %bb.242:
	scratch_load_b32 v2, off, off offset:212
	v_mov_b32_e32 v3, 0
	scratch_store_b32 off, v3, off offset:212
	s_waitcnt vmcnt(0)
	ds_store_b32 v1, v2
.LBB120_243:
	s_or_b32 exec_lo, exec_lo, s0
	s_waitcnt lgkmcnt(0)
	s_waitcnt_vscnt null, 0x0
	s_barrier
	buffer_gl0_inv
	scratch_load_b128 v[3:6], off, off offset:212
	v_mov_b32_e32 v2, 0
	ds_load_b64 v[7:8], v2 offset:456
	ds_load_b32 v9, v2 offset:464
	s_mov_b32 s0, exec_lo
	s_waitcnt vmcnt(0) lgkmcnt(1)
	v_fma_f32 v4, v4, v7, 0
	s_delay_alu instid0(VALU_DEP_1) | instskip(SKIP_1) | instid1(VALU_DEP_1)
	v_fmac_f32_e32 v4, v5, v8
	s_waitcnt lgkmcnt(0)
	v_fmac_f32_e32 v4, v6, v9
	s_delay_alu instid0(VALU_DEP_1)
	v_sub_f32_e32 v3, v3, v4
	scratch_store_b32 off, v3, off offset:212
	v_cmpx_lt_u32_e32 52, v0
	s_cbranch_execz .LBB120_245
; %bb.244:
	scratch_load_b32 v3, off, off offset:208
	scratch_store_b32 off, v2, off offset:208
	s_waitcnt vmcnt(0)
	ds_store_b32 v1, v3
.LBB120_245:
	s_or_b32 exec_lo, exec_lo, s0
	s_waitcnt lgkmcnt(0)
	s_waitcnt_vscnt null, 0x0
	s_barrier
	buffer_gl0_inv
	s_clause 0x1
	scratch_load_b128 v[3:6], off, off offset:208
	scratch_load_b32 v11, off, off offset:224
	ds_load_2addr_b32 v[7:8], v2 offset0:113 offset1:114
	ds_load_2addr_b32 v[9:10], v2 offset0:115 offset1:116
	s_mov_b32 s0, exec_lo
	s_waitcnt vmcnt(1) lgkmcnt(1)
	v_fma_f32 v2, v4, v7, 0
	s_delay_alu instid0(VALU_DEP_1) | instskip(SKIP_1) | instid1(VALU_DEP_1)
	v_fmac_f32_e32 v2, v5, v8
	s_waitcnt lgkmcnt(0)
	v_fmac_f32_e32 v2, v6, v9
	s_waitcnt vmcnt(0)
	s_delay_alu instid0(VALU_DEP_1) | instskip(NEXT) | instid1(VALU_DEP_1)
	v_fmac_f32_e32 v2, v11, v10
	v_sub_f32_e32 v2, v3, v2
	scratch_store_b32 off, v2, off offset:208
	v_cmpx_lt_u32_e32 51, v0
	s_cbranch_execz .LBB120_247
; %bb.246:
	scratch_load_b32 v2, off, off offset:204
	v_mov_b32_e32 v3, 0
	scratch_store_b32 off, v3, off offset:204
	s_waitcnt vmcnt(0)
	ds_store_b32 v1, v2
.LBB120_247:
	s_or_b32 exec_lo, exec_lo, s0
	s_waitcnt lgkmcnt(0)
	s_waitcnt_vscnt null, 0x0
	s_barrier
	buffer_gl0_inv
	s_clause 0x1
	scratch_load_b128 v[3:6], off, off offset:204
	scratch_load_b64 v[11:12], off, off offset:220
	v_mov_b32_e32 v2, 0
	ds_load_b128 v[7:10], v2 offset:448
	ds_load_b32 v13, v2 offset:464
	s_mov_b32 s0, exec_lo
	s_waitcnt vmcnt(1) lgkmcnt(1)
	v_fma_f32 v4, v4, v7, 0
	s_delay_alu instid0(VALU_DEP_1) | instskip(NEXT) | instid1(VALU_DEP_1)
	v_fmac_f32_e32 v4, v5, v8
	v_fmac_f32_e32 v4, v6, v9
	s_waitcnt vmcnt(0)
	s_delay_alu instid0(VALU_DEP_1) | instskip(SKIP_1) | instid1(VALU_DEP_1)
	v_fmac_f32_e32 v4, v11, v10
	s_waitcnt lgkmcnt(0)
	v_fmac_f32_e32 v4, v12, v13
	s_delay_alu instid0(VALU_DEP_1)
	v_sub_f32_e32 v3, v3, v4
	scratch_store_b32 off, v3, off offset:204
	v_cmpx_lt_u32_e32 50, v0
	s_cbranch_execz .LBB120_249
; %bb.248:
	scratch_load_b32 v3, off, off offset:200
	scratch_store_b32 off, v2, off offset:200
	s_waitcnt vmcnt(0)
	ds_store_b32 v1, v3
.LBB120_249:
	s_or_b32 exec_lo, exec_lo, s0
	s_waitcnt lgkmcnt(0)
	s_waitcnt_vscnt null, 0x0
	s_barrier
	buffer_gl0_inv
	s_clause 0x1
	scratch_load_b128 v[3:6], off, off offset:200
	scratch_load_b96 v[7:9], off, off offset:216
	ds_load_2addr_b32 v[10:11], v2 offset0:111 offset1:112
	ds_load_2addr_b32 v[12:13], v2 offset0:113 offset1:114
	;; [unrolled: 1-line block ×3, first 2 shown]
	s_mov_b32 s0, exec_lo
	s_waitcnt vmcnt(1) lgkmcnt(2)
	v_fma_f32 v2, v4, v10, 0
	s_delay_alu instid0(VALU_DEP_1) | instskip(SKIP_1) | instid1(VALU_DEP_1)
	v_fmac_f32_e32 v2, v5, v11
	s_waitcnt lgkmcnt(1)
	v_fmac_f32_e32 v2, v6, v12
	s_waitcnt vmcnt(0)
	s_delay_alu instid0(VALU_DEP_1) | instskip(SKIP_1) | instid1(VALU_DEP_1)
	v_fmac_f32_e32 v2, v7, v13
	s_waitcnt lgkmcnt(0)
	v_fmac_f32_e32 v2, v8, v14
	s_delay_alu instid0(VALU_DEP_1) | instskip(NEXT) | instid1(VALU_DEP_1)
	v_fmac_f32_e32 v2, v9, v15
	v_sub_f32_e32 v2, v3, v2
	scratch_store_b32 off, v2, off offset:200
	v_cmpx_lt_u32_e32 49, v0
	s_cbranch_execz .LBB120_251
; %bb.250:
	scratch_load_b32 v2, off, off offset:196
	v_mov_b32_e32 v3, 0
	scratch_store_b32 off, v3, off offset:196
	s_waitcnt vmcnt(0)
	ds_store_b32 v1, v2
.LBB120_251:
	s_or_b32 exec_lo, exec_lo, s0
	s_waitcnt lgkmcnt(0)
	s_waitcnt_vscnt null, 0x0
	s_barrier
	buffer_gl0_inv
	s_clause 0x1
	scratch_load_b128 v[3:6], off, off offset:196
	scratch_load_b128 v[7:10], off, off offset:212
	v_mov_b32_e32 v2, 0
	ds_load_2addr_b64 v[11:14], v2 offset0:55 offset1:56
	ds_load_b64 v[15:16], v2 offset:456
	s_mov_b32 s0, exec_lo
	s_waitcnt vmcnt(1) lgkmcnt(1)
	v_fma_f32 v4, v4, v11, 0
	s_delay_alu instid0(VALU_DEP_1) | instskip(SKIP_3) | instid1(VALU_DEP_1)
	v_fmac_f32_e32 v4, v5, v12
	ds_load_b32 v5, v2 offset:464
	v_fmac_f32_e32 v4, v6, v13
	s_waitcnt vmcnt(0)
	v_fmac_f32_e32 v4, v7, v14
	s_waitcnt lgkmcnt(1)
	s_delay_alu instid0(VALU_DEP_1) | instskip(NEXT) | instid1(VALU_DEP_1)
	v_fmac_f32_e32 v4, v8, v15
	v_fmac_f32_e32 v4, v9, v16
	s_waitcnt lgkmcnt(0)
	s_delay_alu instid0(VALU_DEP_1) | instskip(NEXT) | instid1(VALU_DEP_1)
	v_fmac_f32_e32 v4, v10, v5
	v_sub_f32_e32 v3, v3, v4
	scratch_store_b32 off, v3, off offset:196
	v_cmpx_lt_u32_e32 48, v0
	s_cbranch_execz .LBB120_253
; %bb.252:
	scratch_load_b32 v3, off, off offset:192
	scratch_store_b32 off, v2, off offset:192
	s_waitcnt vmcnt(0)
	ds_store_b32 v1, v3
.LBB120_253:
	s_or_b32 exec_lo, exec_lo, s0
	s_waitcnt lgkmcnt(0)
	s_waitcnt_vscnt null, 0x0
	s_barrier
	buffer_gl0_inv
	s_clause 0x2
	scratch_load_b128 v[3:6], off, off offset:192
	scratch_load_b128 v[7:10], off, off offset:208
	scratch_load_b32 v19, off, off offset:224
	ds_load_2addr_b32 v[11:12], v2 offset0:109 offset1:110
	ds_load_2addr_b32 v[13:14], v2 offset0:111 offset1:112
	;; [unrolled: 1-line block ×4, first 2 shown]
	s_mov_b32 s0, exec_lo
	s_waitcnt vmcnt(2) lgkmcnt(3)
	v_fma_f32 v2, v4, v11, 0
	s_delay_alu instid0(VALU_DEP_1) | instskip(SKIP_1) | instid1(VALU_DEP_1)
	v_fmac_f32_e32 v2, v5, v12
	s_waitcnt lgkmcnt(2)
	v_fmac_f32_e32 v2, v6, v13
	s_waitcnt vmcnt(1)
	s_delay_alu instid0(VALU_DEP_1) | instskip(SKIP_1) | instid1(VALU_DEP_1)
	v_fmac_f32_e32 v2, v7, v14
	s_waitcnt lgkmcnt(1)
	v_fmac_f32_e32 v2, v8, v15
	s_delay_alu instid0(VALU_DEP_1) | instskip(SKIP_1) | instid1(VALU_DEP_1)
	v_fmac_f32_e32 v2, v9, v16
	s_waitcnt lgkmcnt(0)
	v_fmac_f32_e32 v2, v10, v17
	s_waitcnt vmcnt(0)
	s_delay_alu instid0(VALU_DEP_1) | instskip(NEXT) | instid1(VALU_DEP_1)
	v_fmac_f32_e32 v2, v19, v18
	v_sub_f32_e32 v2, v3, v2
	scratch_store_b32 off, v2, off offset:192
	v_cmpx_lt_u32_e32 47, v0
	s_cbranch_execz .LBB120_255
; %bb.254:
	scratch_load_b32 v2, off, off offset:188
	v_mov_b32_e32 v3, 0
	scratch_store_b32 off, v3, off offset:188
	s_waitcnt vmcnt(0)
	ds_store_b32 v1, v2
.LBB120_255:
	s_or_b32 exec_lo, exec_lo, s0
	s_waitcnt lgkmcnt(0)
	s_waitcnt_vscnt null, 0x0
	s_barrier
	buffer_gl0_inv
	s_clause 0x2
	scratch_load_b128 v[3:6], off, off offset:188
	scratch_load_b128 v[7:10], off, off offset:204
	scratch_load_b64 v[19:20], off, off offset:220
	v_mov_b32_e32 v2, 0
	ds_load_b128 v[11:14], v2 offset:432
	ds_load_b128 v[15:18], v2 offset:448
	s_mov_b32 s0, exec_lo
	s_waitcnt vmcnt(2) lgkmcnt(1)
	v_fma_f32 v4, v4, v11, 0
	s_delay_alu instid0(VALU_DEP_1) | instskip(SKIP_3) | instid1(VALU_DEP_1)
	v_fmac_f32_e32 v4, v5, v12
	ds_load_b32 v5, v2 offset:464
	v_fmac_f32_e32 v4, v6, v13
	s_waitcnt vmcnt(1)
	v_fmac_f32_e32 v4, v7, v14
	s_waitcnt lgkmcnt(1)
	s_delay_alu instid0(VALU_DEP_1) | instskip(NEXT) | instid1(VALU_DEP_1)
	v_fmac_f32_e32 v4, v8, v15
	v_fmac_f32_e32 v4, v9, v16
	s_delay_alu instid0(VALU_DEP_1) | instskip(SKIP_1) | instid1(VALU_DEP_1)
	v_fmac_f32_e32 v4, v10, v17
	s_waitcnt vmcnt(0)
	v_fmac_f32_e32 v4, v19, v18
	s_waitcnt lgkmcnt(0)
	s_delay_alu instid0(VALU_DEP_1) | instskip(NEXT) | instid1(VALU_DEP_1)
	v_fmac_f32_e32 v4, v20, v5
	v_sub_f32_e32 v3, v3, v4
	scratch_store_b32 off, v3, off offset:188
	v_cmpx_lt_u32_e32 46, v0
	s_cbranch_execz .LBB120_257
; %bb.256:
	scratch_load_b32 v3, off, off offset:184
	scratch_store_b32 off, v2, off offset:184
	s_waitcnt vmcnt(0)
	ds_store_b32 v1, v3
.LBB120_257:
	s_or_b32 exec_lo, exec_lo, s0
	s_waitcnt lgkmcnt(0)
	s_waitcnt_vscnt null, 0x0
	s_barrier
	buffer_gl0_inv
	s_clause 0x2
	scratch_load_b128 v[3:6], off, off offset:184
	scratch_load_b128 v[7:10], off, off offset:200
	scratch_load_b96 v[11:13], off, off offset:216
	ds_load_2addr_b32 v[14:15], v2 offset0:107 offset1:108
	ds_load_2addr_b32 v[16:17], v2 offset0:109 offset1:110
	;; [unrolled: 1-line block ×4, first 2 shown]
	s_mov_b32 s0, exec_lo
	s_waitcnt vmcnt(2) lgkmcnt(3)
	v_fma_f32 v14, v4, v14, 0
	s_delay_alu instid0(VALU_DEP_1) | instskip(SKIP_4) | instid1(VALU_DEP_1)
	v_fmac_f32_e32 v14, v5, v15
	ds_load_2addr_b32 v[4:5], v2 offset0:115 offset1:116
	s_waitcnt lgkmcnt(3)
	v_fmac_f32_e32 v14, v6, v16
	s_waitcnt vmcnt(1)
	v_fmac_f32_e32 v14, v7, v17
	s_waitcnt lgkmcnt(2)
	s_delay_alu instid0(VALU_DEP_1) | instskip(NEXT) | instid1(VALU_DEP_1)
	v_fmac_f32_e32 v14, v8, v18
	v_fmac_f32_e32 v14, v9, v19
	s_waitcnt lgkmcnt(1)
	s_delay_alu instid0(VALU_DEP_1) | instskip(SKIP_1) | instid1(VALU_DEP_1)
	v_fmac_f32_e32 v14, v10, v135
	s_waitcnt vmcnt(0)
	v_fmac_f32_e32 v14, v11, v136
	s_waitcnt lgkmcnt(0)
	s_delay_alu instid0(VALU_DEP_1) | instskip(NEXT) | instid1(VALU_DEP_1)
	v_fmac_f32_e32 v14, v12, v4
	v_fmac_f32_e32 v14, v13, v5
	s_delay_alu instid0(VALU_DEP_1)
	v_sub_f32_e32 v2, v3, v14
	scratch_store_b32 off, v2, off offset:184
	v_cmpx_lt_u32_e32 45, v0
	s_cbranch_execz .LBB120_259
; %bb.258:
	scratch_load_b32 v2, off, off offset:180
	v_mov_b32_e32 v3, 0
	scratch_store_b32 off, v3, off offset:180
	s_waitcnt vmcnt(0)
	ds_store_b32 v1, v2
.LBB120_259:
	s_or_b32 exec_lo, exec_lo, s0
	s_waitcnt lgkmcnt(0)
	s_waitcnt_vscnt null, 0x0
	s_barrier
	buffer_gl0_inv
	s_clause 0x2
	scratch_load_b128 v[3:6], off, off offset:180
	scratch_load_b128 v[7:10], off, off offset:196
	;; [unrolled: 1-line block ×3, first 2 shown]
	v_mov_b32_e32 v2, 0
	ds_load_2addr_b64 v[15:18], v2 offset0:53 offset1:54
	ds_load_2addr_b64 v[135:138], v2 offset0:55 offset1:56
	s_mov_b32 s0, exec_lo
	s_waitcnt vmcnt(2) lgkmcnt(1)
	v_fma_f32 v15, v4, v15, 0
	s_delay_alu instid0(VALU_DEP_1)
	v_fmac_f32_e32 v15, v5, v16
	ds_load_b64 v[4:5], v2 offset:456
	v_fmac_f32_e32 v15, v6, v17
	ds_load_b32 v6, v2 offset:464
	s_waitcnt vmcnt(1)
	v_fmac_f32_e32 v15, v7, v18
	s_waitcnt lgkmcnt(2)
	s_delay_alu instid0(VALU_DEP_1) | instskip(NEXT) | instid1(VALU_DEP_1)
	v_fmac_f32_e32 v15, v8, v135
	v_fmac_f32_e32 v15, v9, v136
	s_delay_alu instid0(VALU_DEP_1) | instskip(SKIP_1) | instid1(VALU_DEP_1)
	v_fmac_f32_e32 v15, v10, v137
	s_waitcnt vmcnt(0)
	v_fmac_f32_e32 v15, v11, v138
	s_waitcnt lgkmcnt(1)
	s_delay_alu instid0(VALU_DEP_1) | instskip(NEXT) | instid1(VALU_DEP_1)
	v_fmac_f32_e32 v15, v12, v4
	v_fmac_f32_e32 v15, v13, v5
	s_waitcnt lgkmcnt(0)
	s_delay_alu instid0(VALU_DEP_1) | instskip(NEXT) | instid1(VALU_DEP_1)
	v_fmac_f32_e32 v15, v14, v6
	v_sub_f32_e32 v3, v3, v15
	scratch_store_b32 off, v3, off offset:180
	v_cmpx_lt_u32_e32 44, v0
	s_cbranch_execz .LBB120_261
; %bb.260:
	scratch_load_b32 v3, off, off offset:176
	scratch_store_b32 off, v2, off offset:176
	s_waitcnt vmcnt(0)
	ds_store_b32 v1, v3
.LBB120_261:
	s_or_b32 exec_lo, exec_lo, s0
	s_waitcnt lgkmcnt(0)
	s_waitcnt_vscnt null, 0x0
	s_barrier
	buffer_gl0_inv
	s_clause 0x3
	scratch_load_b128 v[3:6], off, off offset:176
	scratch_load_b128 v[7:10], off, off offset:192
	;; [unrolled: 1-line block ×3, first 2 shown]
	scratch_load_b32 v137, off, off offset:224
	ds_load_2addr_b32 v[15:16], v2 offset0:105 offset1:106
	ds_load_2addr_b32 v[17:18], v2 offset0:107 offset1:108
	;; [unrolled: 1-line block ×4, first 2 shown]
	s_mov_b32 s0, exec_lo
	s_waitcnt vmcnt(3) lgkmcnt(3)
	v_fma_f32 v15, v4, v15, 0
	s_delay_alu instid0(VALU_DEP_1) | instskip(SKIP_4) | instid1(VALU_DEP_1)
	v_fmac_f32_e32 v15, v5, v16
	ds_load_2addr_b32 v[4:5], v2 offset0:113 offset1:114
	s_waitcnt lgkmcnt(3)
	v_fmac_f32_e32 v15, v6, v17
	s_waitcnt vmcnt(2)
	v_fmac_f32_e32 v15, v7, v18
	ds_load_2addr_b32 v[6:7], v2 offset0:115 offset1:116
	s_waitcnt lgkmcnt(3)
	v_fmac_f32_e32 v15, v8, v19
	s_delay_alu instid0(VALU_DEP_1) | instskip(SKIP_1) | instid1(VALU_DEP_1)
	v_fmac_f32_e32 v15, v9, v20
	s_waitcnt lgkmcnt(2)
	v_fmac_f32_e32 v15, v10, v135
	s_waitcnt vmcnt(1)
	s_delay_alu instid0(VALU_DEP_1) | instskip(SKIP_1) | instid1(VALU_DEP_1)
	v_fmac_f32_e32 v15, v11, v136
	s_waitcnt lgkmcnt(1)
	v_fmac_f32_e32 v15, v12, v4
	s_delay_alu instid0(VALU_DEP_1) | instskip(SKIP_1) | instid1(VALU_DEP_1)
	v_fmac_f32_e32 v15, v13, v5
	s_waitcnt lgkmcnt(0)
	v_fmac_f32_e32 v15, v14, v6
	s_waitcnt vmcnt(0)
	s_delay_alu instid0(VALU_DEP_1) | instskip(NEXT) | instid1(VALU_DEP_1)
	v_fmac_f32_e32 v15, v137, v7
	v_sub_f32_e32 v2, v3, v15
	scratch_store_b32 off, v2, off offset:176
	v_cmpx_lt_u32_e32 43, v0
	s_cbranch_execz .LBB120_263
; %bb.262:
	scratch_load_b32 v2, off, off offset:172
	v_mov_b32_e32 v3, 0
	scratch_store_b32 off, v3, off offset:172
	s_waitcnt vmcnt(0)
	ds_store_b32 v1, v2
.LBB120_263:
	s_or_b32 exec_lo, exec_lo, s0
	s_waitcnt lgkmcnt(0)
	s_waitcnt_vscnt null, 0x0
	s_barrier
	buffer_gl0_inv
	s_clause 0x3
	scratch_load_b128 v[3:6], off, off offset:172
	scratch_load_b128 v[7:10], off, off offset:188
	;; [unrolled: 1-line block ×3, first 2 shown]
	scratch_load_b64 v[19:20], off, off offset:220
	v_mov_b32_e32 v2, 0
	ds_load_b128 v[15:18], v2 offset:416
	ds_load_b128 v[135:138], v2 offset:432
	s_mov_b32 s0, exec_lo
	s_waitcnt vmcnt(3) lgkmcnt(1)
	v_fma_f32 v15, v4, v15, 0
	s_delay_alu instid0(VALU_DEP_1) | instskip(NEXT) | instid1(VALU_DEP_1)
	v_fmac_f32_e32 v15, v5, v16
	v_fmac_f32_e32 v15, v6, v17
	s_waitcnt vmcnt(2)
	s_delay_alu instid0(VALU_DEP_1)
	v_fmac_f32_e32 v15, v7, v18
	ds_load_b128 v[4:7], v2 offset:448
	s_waitcnt lgkmcnt(1)
	v_fmac_f32_e32 v15, v8, v135
	ds_load_b32 v8, v2 offset:464
	v_fmac_f32_e32 v15, v9, v136
	s_delay_alu instid0(VALU_DEP_1) | instskip(SKIP_1) | instid1(VALU_DEP_1)
	v_fmac_f32_e32 v15, v10, v137
	s_waitcnt vmcnt(1)
	v_fmac_f32_e32 v15, v11, v138
	s_waitcnt lgkmcnt(1)
	s_delay_alu instid0(VALU_DEP_1) | instskip(NEXT) | instid1(VALU_DEP_1)
	v_fmac_f32_e32 v15, v12, v4
	v_fmac_f32_e32 v15, v13, v5
	s_delay_alu instid0(VALU_DEP_1) | instskip(SKIP_1) | instid1(VALU_DEP_1)
	v_fmac_f32_e32 v15, v14, v6
	s_waitcnt vmcnt(0)
	v_fmac_f32_e32 v15, v19, v7
	s_waitcnt lgkmcnt(0)
	s_delay_alu instid0(VALU_DEP_1) | instskip(NEXT) | instid1(VALU_DEP_1)
	v_fmac_f32_e32 v15, v20, v8
	v_sub_f32_e32 v3, v3, v15
	scratch_store_b32 off, v3, off offset:172
	v_cmpx_lt_u32_e32 42, v0
	s_cbranch_execz .LBB120_265
; %bb.264:
	scratch_load_b32 v3, off, off offset:168
	scratch_store_b32 off, v2, off offset:168
	s_waitcnt vmcnt(0)
	ds_store_b32 v1, v3
.LBB120_265:
	s_or_b32 exec_lo, exec_lo, s0
	s_waitcnt lgkmcnt(0)
	s_waitcnt_vscnt null, 0x0
	s_barrier
	buffer_gl0_inv
	s_clause 0x3
	scratch_load_b128 v[3:6], off, off offset:168
	scratch_load_b128 v[7:10], off, off offset:184
	;; [unrolled: 1-line block ×3, first 2 shown]
	scratch_load_b96 v[15:17], off, off offset:216
	ds_load_2addr_b32 v[18:19], v2 offset0:103 offset1:104
	ds_load_2addr_b32 v[135:136], v2 offset0:105 offset1:106
	;; [unrolled: 1-line block ×4, first 2 shown]
	s_mov_b32 s0, exec_lo
	s_waitcnt vmcnt(3) lgkmcnt(3)
	v_fma_f32 v18, v4, v18, 0
	s_delay_alu instid0(VALU_DEP_1) | instskip(SKIP_4) | instid1(VALU_DEP_1)
	v_fmac_f32_e32 v18, v5, v19
	ds_load_2addr_b32 v[4:5], v2 offset0:111 offset1:112
	s_waitcnt lgkmcnt(3)
	v_fmac_f32_e32 v18, v6, v135
	s_waitcnt vmcnt(2)
	v_fmac_f32_e32 v18, v7, v136
	ds_load_2addr_b32 v[6:7], v2 offset0:113 offset1:114
	s_waitcnt lgkmcnt(3)
	v_fmac_f32_e32 v18, v8, v137
	s_delay_alu instid0(VALU_DEP_1) | instskip(SKIP_4) | instid1(VALU_DEP_1)
	v_fmac_f32_e32 v18, v9, v138
	ds_load_2addr_b32 v[8:9], v2 offset0:115 offset1:116
	s_waitcnt lgkmcnt(3)
	v_fmac_f32_e32 v18, v10, v139
	s_waitcnt vmcnt(1)
	v_fmac_f32_e32 v18, v11, v140
	s_waitcnt lgkmcnt(2)
	s_delay_alu instid0(VALU_DEP_1) | instskip(NEXT) | instid1(VALU_DEP_1)
	v_fmac_f32_e32 v18, v12, v4
	v_fmac_f32_e32 v18, v13, v5
	s_waitcnt lgkmcnt(1)
	s_delay_alu instid0(VALU_DEP_1) | instskip(SKIP_1) | instid1(VALU_DEP_1)
	v_fmac_f32_e32 v18, v14, v6
	s_waitcnt vmcnt(0)
	v_fmac_f32_e32 v18, v15, v7
	s_waitcnt lgkmcnt(0)
	s_delay_alu instid0(VALU_DEP_1) | instskip(NEXT) | instid1(VALU_DEP_1)
	v_fmac_f32_e32 v18, v16, v8
	v_fmac_f32_e32 v18, v17, v9
	s_delay_alu instid0(VALU_DEP_1)
	v_sub_f32_e32 v2, v3, v18
	scratch_store_b32 off, v2, off offset:168
	v_cmpx_lt_u32_e32 41, v0
	s_cbranch_execz .LBB120_267
; %bb.266:
	scratch_load_b32 v2, off, off offset:164
	v_mov_b32_e32 v3, 0
	scratch_store_b32 off, v3, off offset:164
	s_waitcnt vmcnt(0)
	ds_store_b32 v1, v2
.LBB120_267:
	s_or_b32 exec_lo, exec_lo, s0
	s_waitcnt lgkmcnt(0)
	s_waitcnt_vscnt null, 0x0
	s_barrier
	buffer_gl0_inv
	s_clause 0x3
	scratch_load_b128 v[3:6], off, off offset:164
	scratch_load_b128 v[7:10], off, off offset:180
	;; [unrolled: 1-line block ×4, first 2 shown]
	v_mov_b32_e32 v2, 0
	ds_load_2addr_b64 v[135:138], v2 offset0:51 offset1:52
	ds_load_2addr_b64 v[139:142], v2 offset0:53 offset1:54
	s_mov_b32 s0, exec_lo
	s_waitcnt vmcnt(3) lgkmcnt(1)
	v_fma_f32 v19, v4, v135, 0
	s_delay_alu instid0(VALU_DEP_1) | instskip(NEXT) | instid1(VALU_DEP_1)
	v_fmac_f32_e32 v19, v5, v136
	v_fmac_f32_e32 v19, v6, v137
	s_waitcnt vmcnt(2)
	s_delay_alu instid0(VALU_DEP_1) | instskip(SKIP_3) | instid1(VALU_DEP_1)
	v_fmac_f32_e32 v19, v7, v138
	ds_load_2addr_b64 v[4:7], v2 offset0:55 offset1:56
	s_waitcnt lgkmcnt(1)
	v_fmac_f32_e32 v19, v8, v139
	v_fmac_f32_e32 v19, v9, v140
	ds_load_b64 v[8:9], v2 offset:456
	v_fmac_f32_e32 v19, v10, v141
	s_waitcnt vmcnt(1)
	s_delay_alu instid0(VALU_DEP_1) | instskip(SKIP_1) | instid1(VALU_DEP_1)
	v_fmac_f32_e32 v19, v11, v142
	s_waitcnt lgkmcnt(1)
	v_fmac_f32_e32 v19, v12, v4
	ds_load_b32 v4, v2 offset:464
	v_fmac_f32_e32 v19, v13, v5
	s_delay_alu instid0(VALU_DEP_1) | instskip(SKIP_1) | instid1(VALU_DEP_1)
	v_fmac_f32_e32 v19, v14, v6
	s_waitcnt vmcnt(0)
	v_fmac_f32_e32 v19, v15, v7
	s_waitcnt lgkmcnt(1)
	s_delay_alu instid0(VALU_DEP_1) | instskip(NEXT) | instid1(VALU_DEP_1)
	v_fmac_f32_e32 v19, v16, v8
	v_fmac_f32_e32 v19, v17, v9
	s_waitcnt lgkmcnt(0)
	s_delay_alu instid0(VALU_DEP_1) | instskip(NEXT) | instid1(VALU_DEP_1)
	v_fmac_f32_e32 v19, v18, v4
	v_sub_f32_e32 v3, v3, v19
	scratch_store_b32 off, v3, off offset:164
	v_cmpx_lt_u32_e32 40, v0
	s_cbranch_execz .LBB120_269
; %bb.268:
	scratch_load_b32 v3, off, off offset:160
	scratch_store_b32 off, v2, off offset:160
	s_waitcnt vmcnt(0)
	ds_store_b32 v1, v3
.LBB120_269:
	s_or_b32 exec_lo, exec_lo, s0
	s_waitcnt lgkmcnt(0)
	s_waitcnt_vscnt null, 0x0
	s_barrier
	buffer_gl0_inv
	s_clause 0x4
	scratch_load_b128 v[3:6], off, off offset:160
	scratch_load_b128 v[7:10], off, off offset:176
	;; [unrolled: 1-line block ×4, first 2 shown]
	scratch_load_b32 v141, off, off offset:224
	ds_load_2addr_b32 v[19:20], v2 offset0:101 offset1:102
	ds_load_2addr_b32 v[135:136], v2 offset0:103 offset1:104
	;; [unrolled: 1-line block ×4, first 2 shown]
	s_mov_b32 s0, exec_lo
	s_waitcnt vmcnt(4) lgkmcnt(3)
	v_fma_f32 v19, v4, v19, 0
	s_delay_alu instid0(VALU_DEP_1) | instskip(SKIP_4) | instid1(VALU_DEP_1)
	v_fmac_f32_e32 v19, v5, v20
	ds_load_2addr_b32 v[4:5], v2 offset0:109 offset1:110
	s_waitcnt lgkmcnt(3)
	v_fmac_f32_e32 v19, v6, v135
	s_waitcnt vmcnt(3)
	v_fmac_f32_e32 v19, v7, v136
	ds_load_2addr_b32 v[6:7], v2 offset0:111 offset1:112
	s_waitcnt lgkmcnt(3)
	v_fmac_f32_e32 v19, v8, v137
	s_delay_alu instid0(VALU_DEP_1) | instskip(SKIP_1) | instid1(VALU_DEP_1)
	v_fmac_f32_e32 v19, v9, v138
	s_waitcnt lgkmcnt(2)
	v_fmac_f32_e32 v19, v10, v139
	s_waitcnt vmcnt(2)
	s_delay_alu instid0(VALU_DEP_1) | instskip(SKIP_4) | instid1(VALU_DEP_1)
	v_fmac_f32_e32 v19, v11, v140
	ds_load_2addr_b32 v[8:9], v2 offset0:113 offset1:114
	ds_load_2addr_b32 v[10:11], v2 offset0:115 offset1:116
	s_waitcnt lgkmcnt(3)
	v_fmac_f32_e32 v19, v12, v4
	v_fmac_f32_e32 v19, v13, v5
	s_waitcnt lgkmcnt(2)
	s_delay_alu instid0(VALU_DEP_1) | instskip(SKIP_1) | instid1(VALU_DEP_1)
	v_fmac_f32_e32 v19, v14, v6
	s_waitcnt vmcnt(1)
	v_fmac_f32_e32 v19, v15, v7
	s_waitcnt lgkmcnt(1)
	s_delay_alu instid0(VALU_DEP_1) | instskip(NEXT) | instid1(VALU_DEP_1)
	v_fmac_f32_e32 v19, v16, v8
	v_fmac_f32_e32 v19, v17, v9
	s_waitcnt lgkmcnt(0)
	s_delay_alu instid0(VALU_DEP_1) | instskip(SKIP_1) | instid1(VALU_DEP_1)
	v_fmac_f32_e32 v19, v18, v10
	s_waitcnt vmcnt(0)
	v_fmac_f32_e32 v19, v141, v11
	s_delay_alu instid0(VALU_DEP_1)
	v_sub_f32_e32 v2, v3, v19
	scratch_store_b32 off, v2, off offset:160
	v_cmpx_lt_u32_e32 39, v0
	s_cbranch_execz .LBB120_271
; %bb.270:
	scratch_load_b32 v2, off, off offset:156
	v_mov_b32_e32 v3, 0
	scratch_store_b32 off, v3, off offset:156
	s_waitcnt vmcnt(0)
	ds_store_b32 v1, v2
.LBB120_271:
	s_or_b32 exec_lo, exec_lo, s0
	s_waitcnt lgkmcnt(0)
	s_waitcnt_vscnt null, 0x0
	s_barrier
	buffer_gl0_inv
	s_clause 0x4
	scratch_load_b128 v[3:6], off, off offset:156
	scratch_load_b128 v[7:10], off, off offset:172
	;; [unrolled: 1-line block ×4, first 2 shown]
	scratch_load_b64 v[19:20], off, off offset:220
	v_mov_b32_e32 v2, 0
	ds_load_b128 v[135:138], v2 offset:400
	ds_load_b128 v[139:142], v2 offset:416
	s_mov_b32 s0, exec_lo
	s_waitcnt vmcnt(4) lgkmcnt(1)
	v_fma_f32 v135, v4, v135, 0
	s_delay_alu instid0(VALU_DEP_1) | instskip(NEXT) | instid1(VALU_DEP_1)
	v_fmac_f32_e32 v135, v5, v136
	v_fmac_f32_e32 v135, v6, v137
	s_waitcnt vmcnt(3)
	s_delay_alu instid0(VALU_DEP_1) | instskip(SKIP_3) | instid1(VALU_DEP_1)
	v_fmac_f32_e32 v135, v7, v138
	ds_load_b128 v[4:7], v2 offset:432
	s_waitcnt lgkmcnt(1)
	v_fmac_f32_e32 v135, v8, v139
	v_fmac_f32_e32 v135, v9, v140
	s_delay_alu instid0(VALU_DEP_1) | instskip(SKIP_1) | instid1(VALU_DEP_1)
	v_fmac_f32_e32 v135, v10, v141
	s_waitcnt vmcnt(2)
	v_fmac_f32_e32 v135, v11, v142
	ds_load_b128 v[8:11], v2 offset:448
	s_waitcnt lgkmcnt(1)
	v_fmac_f32_e32 v135, v12, v4
	ds_load_b32 v4, v2 offset:464
	v_fmac_f32_e32 v135, v13, v5
	s_delay_alu instid0(VALU_DEP_1) | instskip(SKIP_1) | instid1(VALU_DEP_1)
	v_fmac_f32_e32 v135, v14, v6
	s_waitcnt vmcnt(1)
	v_fmac_f32_e32 v135, v15, v7
	s_waitcnt lgkmcnt(1)
	s_delay_alu instid0(VALU_DEP_1) | instskip(NEXT) | instid1(VALU_DEP_1)
	v_fmac_f32_e32 v135, v16, v8
	v_fmac_f32_e32 v135, v17, v9
	s_delay_alu instid0(VALU_DEP_1) | instskip(SKIP_1) | instid1(VALU_DEP_1)
	v_fmac_f32_e32 v135, v18, v10
	s_waitcnt vmcnt(0)
	v_fmac_f32_e32 v135, v19, v11
	s_waitcnt lgkmcnt(0)
	s_delay_alu instid0(VALU_DEP_1) | instskip(NEXT) | instid1(VALU_DEP_1)
	v_fmac_f32_e32 v135, v20, v4
	v_sub_f32_e32 v3, v3, v135
	scratch_store_b32 off, v3, off offset:156
	v_cmpx_lt_u32_e32 38, v0
	s_cbranch_execz .LBB120_273
; %bb.272:
	scratch_load_b32 v3, off, off offset:152
	scratch_store_b32 off, v2, off offset:152
	s_waitcnt vmcnt(0)
	ds_store_b32 v1, v3
.LBB120_273:
	s_or_b32 exec_lo, exec_lo, s0
	s_waitcnt lgkmcnt(0)
	s_waitcnt_vscnt null, 0x0
	s_barrier
	buffer_gl0_inv
	s_clause 0x4
	scratch_load_b128 v[3:6], off, off offset:152
	scratch_load_b128 v[7:10], off, off offset:168
	;; [unrolled: 1-line block ×4, first 2 shown]
	scratch_load_b96 v[135:137], off, off offset:216
	ds_load_2addr_b32 v[19:20], v2 offset0:99 offset1:100
	ds_load_2addr_b32 v[138:139], v2 offset0:101 offset1:102
	;; [unrolled: 1-line block ×4, first 2 shown]
	s_mov_b32 s0, exec_lo
	s_waitcnt vmcnt(4) lgkmcnt(3)
	v_fma_f32 v19, v4, v19, 0
	s_delay_alu instid0(VALU_DEP_1) | instskip(SKIP_4) | instid1(VALU_DEP_1)
	v_fmac_f32_e32 v19, v5, v20
	ds_load_2addr_b32 v[4:5], v2 offset0:107 offset1:108
	s_waitcnt lgkmcnt(3)
	v_fmac_f32_e32 v19, v6, v138
	s_waitcnt vmcnt(3)
	v_fmac_f32_e32 v19, v7, v139
	ds_load_2addr_b32 v[6:7], v2 offset0:109 offset1:110
	s_waitcnt lgkmcnt(3)
	v_fmac_f32_e32 v19, v8, v140
	s_delay_alu instid0(VALU_DEP_1) | instskip(SKIP_1) | instid1(VALU_DEP_1)
	v_fmac_f32_e32 v19, v9, v141
	s_waitcnt lgkmcnt(2)
	v_fmac_f32_e32 v19, v10, v142
	s_waitcnt vmcnt(2)
	s_delay_alu instid0(VALU_DEP_1) | instskip(SKIP_4) | instid1(VALU_DEP_1)
	v_fmac_f32_e32 v19, v11, v143
	ds_load_2addr_b32 v[8:9], v2 offset0:111 offset1:112
	ds_load_2addr_b32 v[10:11], v2 offset0:113 offset1:114
	s_waitcnt lgkmcnt(3)
	v_fmac_f32_e32 v19, v12, v4
	v_fmac_f32_e32 v19, v13, v5
	ds_load_2addr_b32 v[4:5], v2 offset0:115 offset1:116
	s_waitcnt lgkmcnt(3)
	v_fmac_f32_e32 v19, v14, v6
	s_waitcnt vmcnt(1)
	s_delay_alu instid0(VALU_DEP_1) | instskip(SKIP_1) | instid1(VALU_DEP_1)
	v_fmac_f32_e32 v19, v15, v7
	s_waitcnt lgkmcnt(2)
	v_fmac_f32_e32 v19, v16, v8
	s_delay_alu instid0(VALU_DEP_1) | instskip(SKIP_1) | instid1(VALU_DEP_1)
	v_fmac_f32_e32 v19, v17, v9
	s_waitcnt lgkmcnt(1)
	v_fmac_f32_e32 v19, v18, v10
	s_waitcnt vmcnt(0)
	s_delay_alu instid0(VALU_DEP_1) | instskip(SKIP_1) | instid1(VALU_DEP_1)
	v_fmac_f32_e32 v19, v135, v11
	s_waitcnt lgkmcnt(0)
	v_fmac_f32_e32 v19, v136, v4
	s_delay_alu instid0(VALU_DEP_1) | instskip(NEXT) | instid1(VALU_DEP_1)
	v_fmac_f32_e32 v19, v137, v5
	v_sub_f32_e32 v2, v3, v19
	scratch_store_b32 off, v2, off offset:152
	v_cmpx_lt_u32_e32 37, v0
	s_cbranch_execz .LBB120_275
; %bb.274:
	scratch_load_b32 v2, off, off offset:148
	v_mov_b32_e32 v3, 0
	scratch_store_b32 off, v3, off offset:148
	s_waitcnt vmcnt(0)
	ds_store_b32 v1, v2
.LBB120_275:
	s_or_b32 exec_lo, exec_lo, s0
	s_waitcnt lgkmcnt(0)
	s_waitcnt_vscnt null, 0x0
	s_barrier
	buffer_gl0_inv
	s_clause 0x4
	scratch_load_b128 v[3:6], off, off offset:148
	scratch_load_b128 v[7:10], off, off offset:164
	;; [unrolled: 1-line block ×5, first 2 shown]
	v_mov_b32_e32 v2, 0
	ds_load_2addr_b64 v[139:142], v2 offset0:49 offset1:50
	ds_load_2addr_b64 v[143:146], v2 offset0:51 offset1:52
	s_mov_b32 s0, exec_lo
	s_waitcnt vmcnt(4) lgkmcnt(1)
	v_fma_f32 v19, v4, v139, 0
	s_delay_alu instid0(VALU_DEP_1) | instskip(NEXT) | instid1(VALU_DEP_1)
	v_fmac_f32_e32 v19, v5, v140
	v_fmac_f32_e32 v19, v6, v141
	s_waitcnt vmcnt(3)
	s_delay_alu instid0(VALU_DEP_1) | instskip(SKIP_3) | instid1(VALU_DEP_1)
	v_fmac_f32_e32 v19, v7, v142
	ds_load_2addr_b64 v[4:7], v2 offset0:53 offset1:54
	s_waitcnt lgkmcnt(1)
	v_fmac_f32_e32 v19, v8, v143
	v_fmac_f32_e32 v19, v9, v144
	s_delay_alu instid0(VALU_DEP_1) | instskip(SKIP_1) | instid1(VALU_DEP_1)
	v_fmac_f32_e32 v19, v10, v145
	s_waitcnt vmcnt(2)
	v_fmac_f32_e32 v19, v11, v146
	ds_load_2addr_b64 v[8:11], v2 offset0:55 offset1:56
	s_waitcnt lgkmcnt(1)
	v_fmac_f32_e32 v19, v12, v4
	s_delay_alu instid0(VALU_DEP_1)
	v_fmac_f32_e32 v19, v13, v5
	ds_load_b64 v[4:5], v2 offset:456
	v_fmac_f32_e32 v19, v14, v6
	ds_load_b32 v6, v2 offset:464
	s_waitcnt vmcnt(1)
	v_fmac_f32_e32 v19, v15, v7
	s_waitcnt lgkmcnt(2)
	s_delay_alu instid0(VALU_DEP_1) | instskip(NEXT) | instid1(VALU_DEP_1)
	v_fmac_f32_e32 v19, v16, v8
	v_fmac_f32_e32 v19, v17, v9
	s_delay_alu instid0(VALU_DEP_1) | instskip(SKIP_1) | instid1(VALU_DEP_1)
	v_fmac_f32_e32 v19, v18, v10
	s_waitcnt vmcnt(0)
	v_fmac_f32_e32 v19, v135, v11
	s_waitcnt lgkmcnt(1)
	s_delay_alu instid0(VALU_DEP_1) | instskip(NEXT) | instid1(VALU_DEP_1)
	v_fmac_f32_e32 v19, v136, v4
	v_fmac_f32_e32 v19, v137, v5
	s_waitcnt lgkmcnt(0)
	s_delay_alu instid0(VALU_DEP_1) | instskip(NEXT) | instid1(VALU_DEP_1)
	v_fmac_f32_e32 v19, v138, v6
	v_sub_f32_e32 v3, v3, v19
	scratch_store_b32 off, v3, off offset:148
	v_cmpx_lt_u32_e32 36, v0
	s_cbranch_execz .LBB120_277
; %bb.276:
	scratch_load_b32 v3, off, off offset:144
	scratch_store_b32 off, v2, off offset:144
	s_waitcnt vmcnt(0)
	ds_store_b32 v1, v3
.LBB120_277:
	s_or_b32 exec_lo, exec_lo, s0
	s_waitcnt lgkmcnt(0)
	s_waitcnt_vscnt null, 0x0
	s_barrier
	buffer_gl0_inv
	s_clause 0x5
	scratch_load_b128 v[3:6], off, off offset:144
	scratch_load_b128 v[7:10], off, off offset:160
	;; [unrolled: 1-line block ×5, first 2 shown]
	scratch_load_b32 v145, off, off offset:224
	ds_load_2addr_b32 v[19:20], v2 offset0:97 offset1:98
	ds_load_2addr_b32 v[139:140], v2 offset0:99 offset1:100
	;; [unrolled: 1-line block ×4, first 2 shown]
	s_mov_b32 s0, exec_lo
	s_waitcnt vmcnt(5) lgkmcnt(3)
	v_fma_f32 v19, v4, v19, 0
	s_delay_alu instid0(VALU_DEP_1) | instskip(SKIP_4) | instid1(VALU_DEP_1)
	v_fmac_f32_e32 v19, v5, v20
	ds_load_2addr_b32 v[4:5], v2 offset0:105 offset1:106
	s_waitcnt lgkmcnt(3)
	v_fmac_f32_e32 v19, v6, v139
	s_waitcnt vmcnt(4)
	v_fmac_f32_e32 v19, v7, v140
	ds_load_2addr_b32 v[6:7], v2 offset0:107 offset1:108
	s_waitcnt lgkmcnt(3)
	v_fmac_f32_e32 v19, v8, v141
	s_delay_alu instid0(VALU_DEP_1) | instskip(SKIP_1) | instid1(VALU_DEP_1)
	v_fmac_f32_e32 v19, v9, v142
	s_waitcnt lgkmcnt(2)
	v_fmac_f32_e32 v19, v10, v143
	s_waitcnt vmcnt(3)
	s_delay_alu instid0(VALU_DEP_1) | instskip(SKIP_4) | instid1(VALU_DEP_1)
	v_fmac_f32_e32 v19, v11, v144
	ds_load_2addr_b32 v[8:9], v2 offset0:109 offset1:110
	ds_load_2addr_b32 v[10:11], v2 offset0:111 offset1:112
	s_waitcnt lgkmcnt(3)
	v_fmac_f32_e32 v19, v12, v4
	v_fmac_f32_e32 v19, v13, v5
	ds_load_2addr_b32 v[4:5], v2 offset0:113 offset1:114
	s_waitcnt lgkmcnt(3)
	v_fmac_f32_e32 v19, v14, v6
	s_waitcnt vmcnt(2)
	s_delay_alu instid0(VALU_DEP_1) | instskip(SKIP_3) | instid1(VALU_DEP_1)
	v_fmac_f32_e32 v19, v15, v7
	ds_load_2addr_b32 v[6:7], v2 offset0:115 offset1:116
	s_waitcnt lgkmcnt(3)
	v_fmac_f32_e32 v19, v16, v8
	v_fmac_f32_e32 v19, v17, v9
	s_waitcnt lgkmcnt(2)
	s_delay_alu instid0(VALU_DEP_1) | instskip(SKIP_1) | instid1(VALU_DEP_1)
	v_fmac_f32_e32 v19, v18, v10
	s_waitcnt vmcnt(1)
	v_fmac_f32_e32 v19, v135, v11
	s_waitcnt lgkmcnt(1)
	s_delay_alu instid0(VALU_DEP_1) | instskip(NEXT) | instid1(VALU_DEP_1)
	v_fmac_f32_e32 v19, v136, v4
	v_fmac_f32_e32 v19, v137, v5
	s_waitcnt lgkmcnt(0)
	s_delay_alu instid0(VALU_DEP_1) | instskip(SKIP_1) | instid1(VALU_DEP_1)
	v_fmac_f32_e32 v19, v138, v6
	s_waitcnt vmcnt(0)
	v_fmac_f32_e32 v19, v145, v7
	s_delay_alu instid0(VALU_DEP_1)
	v_sub_f32_e32 v2, v3, v19
	scratch_store_b32 off, v2, off offset:144
	v_cmpx_lt_u32_e32 35, v0
	s_cbranch_execz .LBB120_279
; %bb.278:
	scratch_load_b32 v2, off, off offset:140
	v_mov_b32_e32 v3, 0
	scratch_store_b32 off, v3, off offset:140
	s_waitcnt vmcnt(0)
	ds_store_b32 v1, v2
.LBB120_279:
	s_or_b32 exec_lo, exec_lo, s0
	s_waitcnt lgkmcnt(0)
	s_waitcnt_vscnt null, 0x0
	s_barrier
	buffer_gl0_inv
	s_clause 0x5
	scratch_load_b128 v[3:6], off, off offset:140
	scratch_load_b128 v[7:10], off, off offset:156
	;; [unrolled: 1-line block ×5, first 2 shown]
	scratch_load_b64 v[19:20], off, off offset:220
	v_mov_b32_e32 v2, 0
	ds_load_b128 v[139:142], v2 offset:384
	ds_load_b128 v[143:146], v2 offset:400
	s_mov_b32 s0, exec_lo
	s_waitcnt vmcnt(5) lgkmcnt(1)
	v_fma_f32 v139, v4, v139, 0
	s_delay_alu instid0(VALU_DEP_1) | instskip(NEXT) | instid1(VALU_DEP_1)
	v_fmac_f32_e32 v139, v5, v140
	v_fmac_f32_e32 v139, v6, v141
	s_waitcnt vmcnt(4)
	s_delay_alu instid0(VALU_DEP_1) | instskip(SKIP_3) | instid1(VALU_DEP_1)
	v_fmac_f32_e32 v139, v7, v142
	ds_load_b128 v[4:7], v2 offset:416
	s_waitcnt lgkmcnt(1)
	v_fmac_f32_e32 v139, v8, v143
	v_fmac_f32_e32 v139, v9, v144
	s_delay_alu instid0(VALU_DEP_1) | instskip(SKIP_1) | instid1(VALU_DEP_1)
	v_fmac_f32_e32 v139, v10, v145
	s_waitcnt vmcnt(3)
	v_fmac_f32_e32 v139, v11, v146
	ds_load_b128 v[8:11], v2 offset:432
	s_waitcnt lgkmcnt(1)
	v_fmac_f32_e32 v139, v12, v4
	s_delay_alu instid0(VALU_DEP_1) | instskip(NEXT) | instid1(VALU_DEP_1)
	v_fmac_f32_e32 v139, v13, v5
	v_fmac_f32_e32 v139, v14, v6
	s_waitcnt vmcnt(2)
	s_delay_alu instid0(VALU_DEP_1)
	v_fmac_f32_e32 v139, v15, v7
	ds_load_b128 v[4:7], v2 offset:448
	s_waitcnt lgkmcnt(1)
	v_fmac_f32_e32 v139, v16, v8
	ds_load_b32 v8, v2 offset:464
	v_fmac_f32_e32 v139, v17, v9
	s_delay_alu instid0(VALU_DEP_1) | instskip(SKIP_1) | instid1(VALU_DEP_1)
	v_fmac_f32_e32 v139, v18, v10
	s_waitcnt vmcnt(1)
	v_fmac_f32_e32 v139, v135, v11
	s_waitcnt lgkmcnt(1)
	s_delay_alu instid0(VALU_DEP_1) | instskip(NEXT) | instid1(VALU_DEP_1)
	v_fmac_f32_e32 v139, v136, v4
	v_fmac_f32_e32 v139, v137, v5
	s_delay_alu instid0(VALU_DEP_1) | instskip(SKIP_1) | instid1(VALU_DEP_1)
	v_fmac_f32_e32 v139, v138, v6
	s_waitcnt vmcnt(0)
	v_fmac_f32_e32 v139, v19, v7
	s_waitcnt lgkmcnt(0)
	s_delay_alu instid0(VALU_DEP_1) | instskip(NEXT) | instid1(VALU_DEP_1)
	v_fmac_f32_e32 v139, v20, v8
	v_sub_f32_e32 v3, v3, v139
	scratch_store_b32 off, v3, off offset:140
	v_cmpx_lt_u32_e32 34, v0
	s_cbranch_execz .LBB120_281
; %bb.280:
	scratch_load_b32 v3, off, off offset:136
	scratch_store_b32 off, v2, off offset:136
	s_waitcnt vmcnt(0)
	ds_store_b32 v1, v3
.LBB120_281:
	s_or_b32 exec_lo, exec_lo, s0
	s_waitcnt lgkmcnt(0)
	s_waitcnt_vscnt null, 0x0
	s_barrier
	buffer_gl0_inv
	s_clause 0x5
	scratch_load_b128 v[3:6], off, off offset:136
	scratch_load_b128 v[7:10], off, off offset:152
	;; [unrolled: 1-line block ×5, first 2 shown]
	scratch_load_b96 v[139:141], off, off offset:216
	ds_load_2addr_b32 v[19:20], v2 offset0:95 offset1:96
	ds_load_2addr_b32 v[142:143], v2 offset0:97 offset1:98
	;; [unrolled: 1-line block ×4, first 2 shown]
	s_mov_b32 s0, exec_lo
	s_waitcnt vmcnt(5) lgkmcnt(3)
	v_fma_f32 v19, v4, v19, 0
	s_delay_alu instid0(VALU_DEP_1) | instskip(SKIP_4) | instid1(VALU_DEP_1)
	v_fmac_f32_e32 v19, v5, v20
	ds_load_2addr_b32 v[4:5], v2 offset0:103 offset1:104
	s_waitcnt lgkmcnt(3)
	v_fmac_f32_e32 v19, v6, v142
	s_waitcnt vmcnt(4)
	v_fmac_f32_e32 v19, v7, v143
	ds_load_2addr_b32 v[6:7], v2 offset0:105 offset1:106
	s_waitcnt lgkmcnt(3)
	v_fmac_f32_e32 v19, v8, v144
	s_delay_alu instid0(VALU_DEP_1) | instskip(SKIP_1) | instid1(VALU_DEP_1)
	v_fmac_f32_e32 v19, v9, v145
	s_waitcnt lgkmcnt(2)
	v_fmac_f32_e32 v19, v10, v146
	s_waitcnt vmcnt(3)
	s_delay_alu instid0(VALU_DEP_1) | instskip(SKIP_4) | instid1(VALU_DEP_1)
	v_fmac_f32_e32 v19, v11, v147
	ds_load_2addr_b32 v[8:9], v2 offset0:107 offset1:108
	ds_load_2addr_b32 v[10:11], v2 offset0:109 offset1:110
	s_waitcnt lgkmcnt(3)
	v_fmac_f32_e32 v19, v12, v4
	v_fmac_f32_e32 v19, v13, v5
	ds_load_2addr_b32 v[4:5], v2 offset0:111 offset1:112
	s_waitcnt lgkmcnt(3)
	v_fmac_f32_e32 v19, v14, v6
	s_waitcnt vmcnt(2)
	s_delay_alu instid0(VALU_DEP_1) | instskip(SKIP_3) | instid1(VALU_DEP_1)
	v_fmac_f32_e32 v19, v15, v7
	ds_load_2addr_b32 v[6:7], v2 offset0:113 offset1:114
	s_waitcnt lgkmcnt(3)
	v_fmac_f32_e32 v19, v16, v8
	v_fmac_f32_e32 v19, v17, v9
	ds_load_2addr_b32 v[8:9], v2 offset0:115 offset1:116
	s_waitcnt lgkmcnt(3)
	v_fmac_f32_e32 v19, v18, v10
	s_waitcnt vmcnt(1)
	s_delay_alu instid0(VALU_DEP_1) | instskip(SKIP_1) | instid1(VALU_DEP_1)
	v_fmac_f32_e32 v19, v135, v11
	s_waitcnt lgkmcnt(2)
	v_fmac_f32_e32 v19, v136, v4
	s_delay_alu instid0(VALU_DEP_1) | instskip(SKIP_1) | instid1(VALU_DEP_1)
	v_fmac_f32_e32 v19, v137, v5
	s_waitcnt lgkmcnt(1)
	v_fmac_f32_e32 v19, v138, v6
	s_waitcnt vmcnt(0)
	s_delay_alu instid0(VALU_DEP_1) | instskip(SKIP_1) | instid1(VALU_DEP_1)
	v_fmac_f32_e32 v19, v139, v7
	s_waitcnt lgkmcnt(0)
	v_fmac_f32_e32 v19, v140, v8
	s_delay_alu instid0(VALU_DEP_1) | instskip(NEXT) | instid1(VALU_DEP_1)
	v_fmac_f32_e32 v19, v141, v9
	v_sub_f32_e32 v2, v3, v19
	scratch_store_b32 off, v2, off offset:136
	v_cmpx_lt_u32_e32 33, v0
	s_cbranch_execz .LBB120_283
; %bb.282:
	scratch_load_b32 v2, off, off offset:132
	v_mov_b32_e32 v3, 0
	scratch_store_b32 off, v3, off offset:132
	s_waitcnt vmcnt(0)
	ds_store_b32 v1, v2
.LBB120_283:
	s_or_b32 exec_lo, exec_lo, s0
	s_waitcnt lgkmcnt(0)
	s_waitcnt_vscnt null, 0x0
	s_barrier
	buffer_gl0_inv
	s_clause 0x5
	scratch_load_b128 v[3:6], off, off offset:132
	scratch_load_b128 v[7:10], off, off offset:148
	;; [unrolled: 1-line block ×6, first 2 shown]
	v_mov_b32_e32 v2, 0
	ds_load_2addr_b64 v[143:146], v2 offset0:47 offset1:48
	ds_load_2addr_b64 v[147:150], v2 offset0:49 offset1:50
	s_mov_b32 s0, exec_lo
	s_waitcnt vmcnt(5) lgkmcnt(1)
	v_fma_f32 v19, v4, v143, 0
	s_delay_alu instid0(VALU_DEP_1) | instskip(NEXT) | instid1(VALU_DEP_1)
	v_fmac_f32_e32 v19, v5, v144
	v_fmac_f32_e32 v19, v6, v145
	s_waitcnt vmcnt(4)
	s_delay_alu instid0(VALU_DEP_1) | instskip(SKIP_3) | instid1(VALU_DEP_1)
	v_fmac_f32_e32 v19, v7, v146
	ds_load_2addr_b64 v[4:7], v2 offset0:51 offset1:52
	s_waitcnt lgkmcnt(1)
	v_fmac_f32_e32 v19, v8, v147
	v_fmac_f32_e32 v19, v9, v148
	s_delay_alu instid0(VALU_DEP_1) | instskip(SKIP_1) | instid1(VALU_DEP_1)
	v_fmac_f32_e32 v19, v10, v149
	s_waitcnt vmcnt(3)
	v_fmac_f32_e32 v19, v11, v150
	ds_load_2addr_b64 v[8:11], v2 offset0:53 offset1:54
	s_waitcnt lgkmcnt(1)
	v_fmac_f32_e32 v19, v12, v4
	s_delay_alu instid0(VALU_DEP_1) | instskip(NEXT) | instid1(VALU_DEP_1)
	v_fmac_f32_e32 v19, v13, v5
	v_fmac_f32_e32 v19, v14, v6
	s_waitcnt vmcnt(2)
	s_delay_alu instid0(VALU_DEP_1) | instskip(SKIP_3) | instid1(VALU_DEP_1)
	v_fmac_f32_e32 v19, v15, v7
	ds_load_2addr_b64 v[4:7], v2 offset0:55 offset1:56
	s_waitcnt lgkmcnt(1)
	v_fmac_f32_e32 v19, v16, v8
	v_fmac_f32_e32 v19, v17, v9
	ds_load_b64 v[8:9], v2 offset:456
	v_fmac_f32_e32 v19, v18, v10
	s_waitcnt vmcnt(1)
	s_delay_alu instid0(VALU_DEP_1) | instskip(SKIP_1) | instid1(VALU_DEP_1)
	v_fmac_f32_e32 v19, v135, v11
	s_waitcnt lgkmcnt(1)
	v_fmac_f32_e32 v19, v136, v4
	ds_load_b32 v4, v2 offset:464
	v_fmac_f32_e32 v19, v137, v5
	s_delay_alu instid0(VALU_DEP_1) | instskip(SKIP_1) | instid1(VALU_DEP_1)
	v_fmac_f32_e32 v19, v138, v6
	s_waitcnt vmcnt(0)
	v_fmac_f32_e32 v19, v139, v7
	s_waitcnt lgkmcnt(1)
	s_delay_alu instid0(VALU_DEP_1) | instskip(NEXT) | instid1(VALU_DEP_1)
	v_fmac_f32_e32 v19, v140, v8
	v_fmac_f32_e32 v19, v141, v9
	s_waitcnt lgkmcnt(0)
	s_delay_alu instid0(VALU_DEP_1) | instskip(NEXT) | instid1(VALU_DEP_1)
	v_fmac_f32_e32 v19, v142, v4
	v_sub_f32_e32 v3, v3, v19
	scratch_store_b32 off, v3, off offset:132
	v_cmpx_lt_u32_e32 32, v0
	s_cbranch_execz .LBB120_285
; %bb.284:
	scratch_load_b32 v3, off, off offset:128
	scratch_store_b32 off, v2, off offset:128
	s_waitcnt vmcnt(0)
	ds_store_b32 v1, v3
.LBB120_285:
	s_or_b32 exec_lo, exec_lo, s0
	s_waitcnt lgkmcnt(0)
	s_waitcnt_vscnt null, 0x0
	s_barrier
	buffer_gl0_inv
	s_clause 0x6
	scratch_load_b128 v[3:6], off, off offset:128
	scratch_load_b128 v[7:10], off, off offset:144
	;; [unrolled: 1-line block ×6, first 2 shown]
	scratch_load_b32 v149, off, off offset:224
	ds_load_2addr_b32 v[19:20], v2 offset0:93 offset1:94
	ds_load_2addr_b32 v[143:144], v2 offset0:95 offset1:96
	;; [unrolled: 1-line block ×4, first 2 shown]
	s_mov_b32 s0, exec_lo
	s_waitcnt vmcnt(6) lgkmcnt(3)
	v_fma_f32 v19, v4, v19, 0
	s_delay_alu instid0(VALU_DEP_1) | instskip(SKIP_4) | instid1(VALU_DEP_1)
	v_fmac_f32_e32 v19, v5, v20
	ds_load_2addr_b32 v[4:5], v2 offset0:101 offset1:102
	s_waitcnt lgkmcnt(3)
	v_fmac_f32_e32 v19, v6, v143
	s_waitcnt vmcnt(5)
	v_fmac_f32_e32 v19, v7, v144
	ds_load_2addr_b32 v[6:7], v2 offset0:103 offset1:104
	s_waitcnt lgkmcnt(3)
	v_fmac_f32_e32 v19, v8, v145
	s_delay_alu instid0(VALU_DEP_1) | instskip(SKIP_1) | instid1(VALU_DEP_1)
	v_fmac_f32_e32 v19, v9, v146
	s_waitcnt lgkmcnt(2)
	v_fmac_f32_e32 v19, v10, v147
	s_waitcnt vmcnt(4)
	s_delay_alu instid0(VALU_DEP_1) | instskip(SKIP_4) | instid1(VALU_DEP_1)
	v_fmac_f32_e32 v19, v11, v148
	ds_load_2addr_b32 v[8:9], v2 offset0:105 offset1:106
	ds_load_2addr_b32 v[10:11], v2 offset0:107 offset1:108
	s_waitcnt lgkmcnt(3)
	v_fmac_f32_e32 v19, v12, v4
	v_fmac_f32_e32 v19, v13, v5
	ds_load_2addr_b32 v[4:5], v2 offset0:109 offset1:110
	s_waitcnt lgkmcnt(3)
	v_fmac_f32_e32 v19, v14, v6
	s_waitcnt vmcnt(3)
	s_delay_alu instid0(VALU_DEP_1) | instskip(SKIP_3) | instid1(VALU_DEP_1)
	v_fmac_f32_e32 v19, v15, v7
	ds_load_2addr_b32 v[6:7], v2 offset0:111 offset1:112
	s_waitcnt lgkmcnt(3)
	v_fmac_f32_e32 v19, v16, v8
	v_fmac_f32_e32 v19, v17, v9
	s_waitcnt lgkmcnt(2)
	s_delay_alu instid0(VALU_DEP_1) | instskip(SKIP_1) | instid1(VALU_DEP_1)
	v_fmac_f32_e32 v19, v18, v10
	s_waitcnt vmcnt(2)
	v_fmac_f32_e32 v19, v135, v11
	ds_load_2addr_b32 v[8:9], v2 offset0:113 offset1:114
	ds_load_2addr_b32 v[10:11], v2 offset0:115 offset1:116
	s_waitcnt lgkmcnt(3)
	v_fmac_f32_e32 v19, v136, v4
	s_delay_alu instid0(VALU_DEP_1) | instskip(SKIP_1) | instid1(VALU_DEP_1)
	v_fmac_f32_e32 v19, v137, v5
	s_waitcnt lgkmcnt(2)
	v_fmac_f32_e32 v19, v138, v6
	s_waitcnt vmcnt(1)
	s_delay_alu instid0(VALU_DEP_1) | instskip(SKIP_1) | instid1(VALU_DEP_1)
	v_fmac_f32_e32 v19, v139, v7
	s_waitcnt lgkmcnt(1)
	v_fmac_f32_e32 v19, v140, v8
	s_delay_alu instid0(VALU_DEP_1) | instskip(SKIP_1) | instid1(VALU_DEP_1)
	v_fmac_f32_e32 v19, v141, v9
	s_waitcnt lgkmcnt(0)
	v_fmac_f32_e32 v19, v142, v10
	s_waitcnt vmcnt(0)
	s_delay_alu instid0(VALU_DEP_1) | instskip(NEXT) | instid1(VALU_DEP_1)
	v_fmac_f32_e32 v19, v149, v11
	v_sub_f32_e32 v2, v3, v19
	scratch_store_b32 off, v2, off offset:128
	v_cmpx_lt_u32_e32 31, v0
	s_cbranch_execz .LBB120_287
; %bb.286:
	scratch_load_b32 v2, off, off offset:124
	v_mov_b32_e32 v3, 0
	scratch_store_b32 off, v3, off offset:124
	s_waitcnt vmcnt(0)
	ds_store_b32 v1, v2
.LBB120_287:
	s_or_b32 exec_lo, exec_lo, s0
	s_waitcnt lgkmcnt(0)
	s_waitcnt_vscnt null, 0x0
	s_barrier
	buffer_gl0_inv
	s_clause 0x6
	scratch_load_b128 v[3:6], off, off offset:124
	scratch_load_b128 v[7:10], off, off offset:140
	;; [unrolled: 1-line block ×6, first 2 shown]
	scratch_load_b64 v[19:20], off, off offset:220
	v_mov_b32_e32 v2, 0
	ds_load_b128 v[143:146], v2 offset:368
	ds_load_b128 v[147:150], v2 offset:384
	s_mov_b32 s0, exec_lo
	s_waitcnt vmcnt(6) lgkmcnt(1)
	v_fma_f32 v143, v4, v143, 0
	s_delay_alu instid0(VALU_DEP_1) | instskip(NEXT) | instid1(VALU_DEP_1)
	v_fmac_f32_e32 v143, v5, v144
	v_fmac_f32_e32 v143, v6, v145
	s_waitcnt vmcnt(5)
	s_delay_alu instid0(VALU_DEP_1) | instskip(SKIP_3) | instid1(VALU_DEP_1)
	v_fmac_f32_e32 v143, v7, v146
	ds_load_b128 v[4:7], v2 offset:400
	s_waitcnt lgkmcnt(1)
	v_fmac_f32_e32 v143, v8, v147
	v_fmac_f32_e32 v143, v9, v148
	s_delay_alu instid0(VALU_DEP_1) | instskip(SKIP_1) | instid1(VALU_DEP_1)
	v_fmac_f32_e32 v143, v10, v149
	s_waitcnt vmcnt(4)
	v_fmac_f32_e32 v143, v11, v150
	ds_load_b128 v[8:11], v2 offset:416
	s_waitcnt lgkmcnt(1)
	v_fmac_f32_e32 v143, v12, v4
	s_delay_alu instid0(VALU_DEP_1) | instskip(NEXT) | instid1(VALU_DEP_1)
	v_fmac_f32_e32 v143, v13, v5
	v_fmac_f32_e32 v143, v14, v6
	s_waitcnt vmcnt(3)
	s_delay_alu instid0(VALU_DEP_1) | instskip(SKIP_3) | instid1(VALU_DEP_1)
	v_fmac_f32_e32 v143, v15, v7
	ds_load_b128 v[4:7], v2 offset:432
	s_waitcnt lgkmcnt(1)
	v_fmac_f32_e32 v143, v16, v8
	v_fmac_f32_e32 v143, v17, v9
	s_delay_alu instid0(VALU_DEP_1) | instskip(SKIP_1) | instid1(VALU_DEP_1)
	v_fmac_f32_e32 v143, v18, v10
	s_waitcnt vmcnt(2)
	v_fmac_f32_e32 v143, v135, v11
	ds_load_b128 v[8:11], v2 offset:448
	s_waitcnt lgkmcnt(1)
	v_fmac_f32_e32 v143, v136, v4
	ds_load_b32 v4, v2 offset:464
	v_fmac_f32_e32 v143, v137, v5
	s_delay_alu instid0(VALU_DEP_1) | instskip(SKIP_1) | instid1(VALU_DEP_1)
	v_fmac_f32_e32 v143, v138, v6
	s_waitcnt vmcnt(1)
	v_fmac_f32_e32 v143, v139, v7
	s_waitcnt lgkmcnt(1)
	s_delay_alu instid0(VALU_DEP_1) | instskip(NEXT) | instid1(VALU_DEP_1)
	v_fmac_f32_e32 v143, v140, v8
	v_fmac_f32_e32 v143, v141, v9
	s_delay_alu instid0(VALU_DEP_1) | instskip(SKIP_1) | instid1(VALU_DEP_1)
	v_fmac_f32_e32 v143, v142, v10
	s_waitcnt vmcnt(0)
	v_fmac_f32_e32 v143, v19, v11
	s_waitcnt lgkmcnt(0)
	s_delay_alu instid0(VALU_DEP_1) | instskip(NEXT) | instid1(VALU_DEP_1)
	v_fmac_f32_e32 v143, v20, v4
	v_sub_f32_e32 v3, v3, v143
	scratch_store_b32 off, v3, off offset:124
	v_cmpx_lt_u32_e32 30, v0
	s_cbranch_execz .LBB120_289
; %bb.288:
	scratch_load_b32 v3, off, off offset:120
	scratch_store_b32 off, v2, off offset:120
	s_waitcnt vmcnt(0)
	ds_store_b32 v1, v3
.LBB120_289:
	s_or_b32 exec_lo, exec_lo, s0
	s_waitcnt lgkmcnt(0)
	s_waitcnt_vscnt null, 0x0
	s_barrier
	buffer_gl0_inv
	s_clause 0x6
	scratch_load_b128 v[3:6], off, off offset:120
	scratch_load_b128 v[7:10], off, off offset:136
	;; [unrolled: 1-line block ×6, first 2 shown]
	scratch_load_b96 v[143:145], off, off offset:216
	ds_load_2addr_b32 v[19:20], v2 offset0:91 offset1:92
	ds_load_2addr_b32 v[146:147], v2 offset0:93 offset1:94
	;; [unrolled: 1-line block ×4, first 2 shown]
	s_mov_b32 s0, exec_lo
	s_waitcnt vmcnt(6) lgkmcnt(3)
	v_fma_f32 v19, v4, v19, 0
	s_delay_alu instid0(VALU_DEP_1) | instskip(SKIP_4) | instid1(VALU_DEP_1)
	v_fmac_f32_e32 v19, v5, v20
	ds_load_2addr_b32 v[4:5], v2 offset0:99 offset1:100
	s_waitcnt lgkmcnt(3)
	v_fmac_f32_e32 v19, v6, v146
	s_waitcnt vmcnt(5)
	v_fmac_f32_e32 v19, v7, v147
	ds_load_2addr_b32 v[6:7], v2 offset0:101 offset1:102
	s_waitcnt lgkmcnt(3)
	v_fmac_f32_e32 v19, v8, v148
	s_delay_alu instid0(VALU_DEP_1) | instskip(SKIP_1) | instid1(VALU_DEP_1)
	v_fmac_f32_e32 v19, v9, v149
	s_waitcnt lgkmcnt(2)
	v_fmac_f32_e32 v19, v10, v150
	s_waitcnt vmcnt(4)
	s_delay_alu instid0(VALU_DEP_1) | instskip(SKIP_4) | instid1(VALU_DEP_1)
	v_fmac_f32_e32 v19, v11, v151
	ds_load_2addr_b32 v[8:9], v2 offset0:103 offset1:104
	ds_load_2addr_b32 v[10:11], v2 offset0:105 offset1:106
	s_waitcnt lgkmcnt(3)
	v_fmac_f32_e32 v19, v12, v4
	v_fmac_f32_e32 v19, v13, v5
	ds_load_2addr_b32 v[4:5], v2 offset0:107 offset1:108
	s_waitcnt lgkmcnt(3)
	v_fmac_f32_e32 v19, v14, v6
	s_waitcnt vmcnt(3)
	s_delay_alu instid0(VALU_DEP_1) | instskip(SKIP_3) | instid1(VALU_DEP_1)
	v_fmac_f32_e32 v19, v15, v7
	ds_load_2addr_b32 v[6:7], v2 offset0:109 offset1:110
	s_waitcnt lgkmcnt(3)
	v_fmac_f32_e32 v19, v16, v8
	v_fmac_f32_e32 v19, v17, v9
	s_waitcnt lgkmcnt(2)
	s_delay_alu instid0(VALU_DEP_1) | instskip(SKIP_1) | instid1(VALU_DEP_1)
	v_fmac_f32_e32 v19, v18, v10
	s_waitcnt vmcnt(2)
	v_fmac_f32_e32 v19, v135, v11
	ds_load_2addr_b32 v[8:9], v2 offset0:111 offset1:112
	ds_load_2addr_b32 v[10:11], v2 offset0:113 offset1:114
	s_waitcnt lgkmcnt(3)
	v_fmac_f32_e32 v19, v136, v4
	s_delay_alu instid0(VALU_DEP_1) | instskip(SKIP_4) | instid1(VALU_DEP_1)
	v_fmac_f32_e32 v19, v137, v5
	ds_load_2addr_b32 v[4:5], v2 offset0:115 offset1:116
	s_waitcnt lgkmcnt(3)
	v_fmac_f32_e32 v19, v138, v6
	s_waitcnt vmcnt(1)
	v_fmac_f32_e32 v19, v139, v7
	s_waitcnt lgkmcnt(2)
	s_delay_alu instid0(VALU_DEP_1) | instskip(NEXT) | instid1(VALU_DEP_1)
	v_fmac_f32_e32 v19, v140, v8
	v_fmac_f32_e32 v19, v141, v9
	s_waitcnt lgkmcnt(1)
	s_delay_alu instid0(VALU_DEP_1) | instskip(SKIP_1) | instid1(VALU_DEP_1)
	v_fmac_f32_e32 v19, v142, v10
	s_waitcnt vmcnt(0)
	v_fmac_f32_e32 v19, v143, v11
	s_waitcnt lgkmcnt(0)
	s_delay_alu instid0(VALU_DEP_1) | instskip(NEXT) | instid1(VALU_DEP_1)
	v_fmac_f32_e32 v19, v144, v4
	v_fmac_f32_e32 v19, v145, v5
	s_delay_alu instid0(VALU_DEP_1)
	v_sub_f32_e32 v2, v3, v19
	scratch_store_b32 off, v2, off offset:120
	v_cmpx_lt_u32_e32 29, v0
	s_cbranch_execz .LBB120_291
; %bb.290:
	scratch_load_b32 v2, off, off offset:116
	v_mov_b32_e32 v3, 0
	scratch_store_b32 off, v3, off offset:116
	s_waitcnt vmcnt(0)
	ds_store_b32 v1, v2
.LBB120_291:
	s_or_b32 exec_lo, exec_lo, s0
	s_waitcnt lgkmcnt(0)
	s_waitcnt_vscnt null, 0x0
	s_barrier
	buffer_gl0_inv
	s_clause 0x6
	scratch_load_b128 v[3:6], off, off offset:116
	scratch_load_b128 v[7:10], off, off offset:132
	;; [unrolled: 1-line block ×7, first 2 shown]
	v_mov_b32_e32 v2, 0
	ds_load_2addr_b64 v[147:150], v2 offset0:45 offset1:46
	ds_load_2addr_b64 v[151:154], v2 offset0:47 offset1:48
	s_mov_b32 s0, exec_lo
	s_waitcnt vmcnt(6) lgkmcnt(1)
	v_fma_f32 v19, v4, v147, 0
	s_delay_alu instid0(VALU_DEP_1) | instskip(NEXT) | instid1(VALU_DEP_1)
	v_fmac_f32_e32 v19, v5, v148
	v_fmac_f32_e32 v19, v6, v149
	s_waitcnt vmcnt(5)
	s_delay_alu instid0(VALU_DEP_1) | instskip(SKIP_3) | instid1(VALU_DEP_1)
	v_fmac_f32_e32 v19, v7, v150
	ds_load_2addr_b64 v[4:7], v2 offset0:49 offset1:50
	s_waitcnt lgkmcnt(1)
	v_fmac_f32_e32 v19, v8, v151
	v_fmac_f32_e32 v19, v9, v152
	s_delay_alu instid0(VALU_DEP_1) | instskip(SKIP_1) | instid1(VALU_DEP_1)
	v_fmac_f32_e32 v19, v10, v153
	s_waitcnt vmcnt(4)
	v_fmac_f32_e32 v19, v11, v154
	ds_load_2addr_b64 v[8:11], v2 offset0:51 offset1:52
	s_waitcnt lgkmcnt(1)
	v_fmac_f32_e32 v19, v12, v4
	s_delay_alu instid0(VALU_DEP_1) | instskip(NEXT) | instid1(VALU_DEP_1)
	v_fmac_f32_e32 v19, v13, v5
	v_fmac_f32_e32 v19, v14, v6
	s_waitcnt vmcnt(3)
	s_delay_alu instid0(VALU_DEP_1) | instskip(SKIP_3) | instid1(VALU_DEP_1)
	v_fmac_f32_e32 v19, v15, v7
	ds_load_2addr_b64 v[4:7], v2 offset0:53 offset1:54
	s_waitcnt lgkmcnt(1)
	v_fmac_f32_e32 v19, v16, v8
	v_fmac_f32_e32 v19, v17, v9
	s_delay_alu instid0(VALU_DEP_1) | instskip(SKIP_1) | instid1(VALU_DEP_1)
	v_fmac_f32_e32 v19, v18, v10
	s_waitcnt vmcnt(2)
	v_fmac_f32_e32 v19, v135, v11
	ds_load_2addr_b64 v[8:11], v2 offset0:55 offset1:56
	s_waitcnt lgkmcnt(1)
	v_fmac_f32_e32 v19, v136, v4
	s_delay_alu instid0(VALU_DEP_1)
	v_fmac_f32_e32 v19, v137, v5
	ds_load_b64 v[4:5], v2 offset:456
	v_fmac_f32_e32 v19, v138, v6
	ds_load_b32 v6, v2 offset:464
	s_waitcnt vmcnt(1)
	v_fmac_f32_e32 v19, v139, v7
	s_waitcnt lgkmcnt(2)
	s_delay_alu instid0(VALU_DEP_1) | instskip(NEXT) | instid1(VALU_DEP_1)
	v_fmac_f32_e32 v19, v140, v8
	v_fmac_f32_e32 v19, v141, v9
	s_delay_alu instid0(VALU_DEP_1) | instskip(SKIP_1) | instid1(VALU_DEP_1)
	v_fmac_f32_e32 v19, v142, v10
	s_waitcnt vmcnt(0)
	v_fmac_f32_e32 v19, v143, v11
	s_waitcnt lgkmcnt(1)
	s_delay_alu instid0(VALU_DEP_1) | instskip(NEXT) | instid1(VALU_DEP_1)
	v_fmac_f32_e32 v19, v144, v4
	v_fmac_f32_e32 v19, v145, v5
	s_waitcnt lgkmcnt(0)
	s_delay_alu instid0(VALU_DEP_1) | instskip(NEXT) | instid1(VALU_DEP_1)
	v_fmac_f32_e32 v19, v146, v6
	v_sub_f32_e32 v3, v3, v19
	scratch_store_b32 off, v3, off offset:116
	v_cmpx_lt_u32_e32 28, v0
	s_cbranch_execz .LBB120_293
; %bb.292:
	scratch_load_b32 v3, off, off offset:112
	scratch_store_b32 off, v2, off offset:112
	s_waitcnt vmcnt(0)
	ds_store_b32 v1, v3
.LBB120_293:
	s_or_b32 exec_lo, exec_lo, s0
	s_waitcnt lgkmcnt(0)
	s_waitcnt_vscnt null, 0x0
	s_barrier
	buffer_gl0_inv
	s_clause 0x7
	scratch_load_b128 v[3:6], off, off offset:112
	scratch_load_b128 v[7:10], off, off offset:128
	;; [unrolled: 1-line block ×7, first 2 shown]
	scratch_load_b32 v153, off, off offset:224
	ds_load_2addr_b32 v[19:20], v2 offset0:89 offset1:90
	ds_load_2addr_b32 v[147:148], v2 offset0:91 offset1:92
	;; [unrolled: 1-line block ×4, first 2 shown]
	s_mov_b32 s0, exec_lo
	s_waitcnt vmcnt(7) lgkmcnt(3)
	v_fma_f32 v19, v4, v19, 0
	s_delay_alu instid0(VALU_DEP_1) | instskip(SKIP_4) | instid1(VALU_DEP_1)
	v_fmac_f32_e32 v19, v5, v20
	ds_load_2addr_b32 v[4:5], v2 offset0:97 offset1:98
	s_waitcnt lgkmcnt(3)
	v_fmac_f32_e32 v19, v6, v147
	s_waitcnt vmcnt(6)
	v_fmac_f32_e32 v19, v7, v148
	ds_load_2addr_b32 v[6:7], v2 offset0:99 offset1:100
	s_waitcnt lgkmcnt(3)
	v_fmac_f32_e32 v19, v8, v149
	s_delay_alu instid0(VALU_DEP_1) | instskip(SKIP_1) | instid1(VALU_DEP_1)
	v_fmac_f32_e32 v19, v9, v150
	s_waitcnt lgkmcnt(2)
	v_fmac_f32_e32 v19, v10, v151
	s_waitcnt vmcnt(5)
	s_delay_alu instid0(VALU_DEP_1) | instskip(SKIP_4) | instid1(VALU_DEP_1)
	v_fmac_f32_e32 v19, v11, v152
	ds_load_2addr_b32 v[8:9], v2 offset0:101 offset1:102
	ds_load_2addr_b32 v[10:11], v2 offset0:103 offset1:104
	s_waitcnt lgkmcnt(3)
	v_fmac_f32_e32 v19, v12, v4
	v_fmac_f32_e32 v19, v13, v5
	ds_load_2addr_b32 v[4:5], v2 offset0:105 offset1:106
	s_waitcnt lgkmcnt(3)
	v_fmac_f32_e32 v19, v14, v6
	s_waitcnt vmcnt(4)
	s_delay_alu instid0(VALU_DEP_1) | instskip(SKIP_3) | instid1(VALU_DEP_1)
	v_fmac_f32_e32 v19, v15, v7
	ds_load_2addr_b32 v[6:7], v2 offset0:107 offset1:108
	s_waitcnt lgkmcnt(3)
	v_fmac_f32_e32 v19, v16, v8
	v_fmac_f32_e32 v19, v17, v9
	s_waitcnt lgkmcnt(2)
	s_delay_alu instid0(VALU_DEP_1) | instskip(SKIP_1) | instid1(VALU_DEP_1)
	v_fmac_f32_e32 v19, v18, v10
	s_waitcnt vmcnt(3)
	v_fmac_f32_e32 v19, v135, v11
	ds_load_2addr_b32 v[8:9], v2 offset0:109 offset1:110
	ds_load_2addr_b32 v[10:11], v2 offset0:111 offset1:112
	s_waitcnt lgkmcnt(3)
	v_fmac_f32_e32 v19, v136, v4
	s_delay_alu instid0(VALU_DEP_1) | instskip(SKIP_4) | instid1(VALU_DEP_1)
	v_fmac_f32_e32 v19, v137, v5
	ds_load_2addr_b32 v[4:5], v2 offset0:113 offset1:114
	s_waitcnt lgkmcnt(3)
	v_fmac_f32_e32 v19, v138, v6
	s_waitcnt vmcnt(2)
	v_fmac_f32_e32 v19, v139, v7
	ds_load_2addr_b32 v[6:7], v2 offset0:115 offset1:116
	s_waitcnt lgkmcnt(3)
	v_fmac_f32_e32 v19, v140, v8
	s_delay_alu instid0(VALU_DEP_1) | instskip(SKIP_1) | instid1(VALU_DEP_1)
	v_fmac_f32_e32 v19, v141, v9
	s_waitcnt lgkmcnt(2)
	v_fmac_f32_e32 v19, v142, v10
	s_waitcnt vmcnt(1)
	s_delay_alu instid0(VALU_DEP_1) | instskip(SKIP_1) | instid1(VALU_DEP_1)
	v_fmac_f32_e32 v19, v143, v11
	s_waitcnt lgkmcnt(1)
	v_fmac_f32_e32 v19, v144, v4
	s_delay_alu instid0(VALU_DEP_1) | instskip(SKIP_1) | instid1(VALU_DEP_1)
	v_fmac_f32_e32 v19, v145, v5
	s_waitcnt lgkmcnt(0)
	v_fmac_f32_e32 v19, v146, v6
	s_waitcnt vmcnt(0)
	s_delay_alu instid0(VALU_DEP_1) | instskip(NEXT) | instid1(VALU_DEP_1)
	v_fmac_f32_e32 v19, v153, v7
	v_sub_f32_e32 v2, v3, v19
	scratch_store_b32 off, v2, off offset:112
	v_cmpx_lt_u32_e32 27, v0
	s_cbranch_execz .LBB120_295
; %bb.294:
	scratch_load_b32 v2, off, off offset:108
	v_mov_b32_e32 v3, 0
	scratch_store_b32 off, v3, off offset:108
	s_waitcnt vmcnt(0)
	ds_store_b32 v1, v2
.LBB120_295:
	s_or_b32 exec_lo, exec_lo, s0
	s_waitcnt lgkmcnt(0)
	s_waitcnt_vscnt null, 0x0
	s_barrier
	buffer_gl0_inv
	s_clause 0x7
	scratch_load_b128 v[3:6], off, off offset:108
	scratch_load_b128 v[7:10], off, off offset:124
	;; [unrolled: 1-line block ×7, first 2 shown]
	scratch_load_b64 v[19:20], off, off offset:220
	v_mov_b32_e32 v2, 0
	ds_load_b128 v[147:150], v2 offset:352
	ds_load_b128 v[151:154], v2 offset:368
	s_mov_b32 s0, exec_lo
	s_waitcnt vmcnt(7) lgkmcnt(1)
	v_fma_f32 v147, v4, v147, 0
	s_delay_alu instid0(VALU_DEP_1) | instskip(NEXT) | instid1(VALU_DEP_1)
	v_fmac_f32_e32 v147, v5, v148
	v_fmac_f32_e32 v147, v6, v149
	s_waitcnt vmcnt(6)
	s_delay_alu instid0(VALU_DEP_1) | instskip(SKIP_3) | instid1(VALU_DEP_1)
	v_fmac_f32_e32 v147, v7, v150
	ds_load_b128 v[4:7], v2 offset:384
	s_waitcnt lgkmcnt(1)
	v_fmac_f32_e32 v147, v8, v151
	v_fmac_f32_e32 v147, v9, v152
	s_delay_alu instid0(VALU_DEP_1) | instskip(SKIP_1) | instid1(VALU_DEP_1)
	v_fmac_f32_e32 v147, v10, v153
	s_waitcnt vmcnt(5)
	v_fmac_f32_e32 v147, v11, v154
	ds_load_b128 v[8:11], v2 offset:400
	s_waitcnt lgkmcnt(1)
	v_fmac_f32_e32 v147, v12, v4
	s_delay_alu instid0(VALU_DEP_1) | instskip(NEXT) | instid1(VALU_DEP_1)
	v_fmac_f32_e32 v147, v13, v5
	v_fmac_f32_e32 v147, v14, v6
	s_waitcnt vmcnt(4)
	s_delay_alu instid0(VALU_DEP_1) | instskip(SKIP_3) | instid1(VALU_DEP_1)
	v_fmac_f32_e32 v147, v15, v7
	ds_load_b128 v[4:7], v2 offset:416
	s_waitcnt lgkmcnt(1)
	v_fmac_f32_e32 v147, v16, v8
	v_fmac_f32_e32 v147, v17, v9
	s_delay_alu instid0(VALU_DEP_1) | instskip(SKIP_1) | instid1(VALU_DEP_1)
	v_fmac_f32_e32 v147, v18, v10
	s_waitcnt vmcnt(3)
	v_fmac_f32_e32 v147, v135, v11
	ds_load_b128 v[8:11], v2 offset:432
	s_waitcnt lgkmcnt(1)
	v_fmac_f32_e32 v147, v136, v4
	s_delay_alu instid0(VALU_DEP_1) | instskip(NEXT) | instid1(VALU_DEP_1)
	v_fmac_f32_e32 v147, v137, v5
	v_fmac_f32_e32 v147, v138, v6
	s_waitcnt vmcnt(2)
	s_delay_alu instid0(VALU_DEP_1)
	v_fmac_f32_e32 v147, v139, v7
	ds_load_b128 v[4:7], v2 offset:448
	s_waitcnt lgkmcnt(1)
	v_fmac_f32_e32 v147, v140, v8
	ds_load_b32 v8, v2 offset:464
	v_fmac_f32_e32 v147, v141, v9
	s_delay_alu instid0(VALU_DEP_1) | instskip(SKIP_1) | instid1(VALU_DEP_1)
	v_fmac_f32_e32 v147, v142, v10
	s_waitcnt vmcnt(1)
	v_fmac_f32_e32 v147, v143, v11
	s_waitcnt lgkmcnt(1)
	s_delay_alu instid0(VALU_DEP_1) | instskip(NEXT) | instid1(VALU_DEP_1)
	v_fmac_f32_e32 v147, v144, v4
	v_fmac_f32_e32 v147, v145, v5
	s_delay_alu instid0(VALU_DEP_1) | instskip(SKIP_1) | instid1(VALU_DEP_1)
	v_fmac_f32_e32 v147, v146, v6
	s_waitcnt vmcnt(0)
	v_fmac_f32_e32 v147, v19, v7
	s_waitcnt lgkmcnt(0)
	s_delay_alu instid0(VALU_DEP_1) | instskip(NEXT) | instid1(VALU_DEP_1)
	v_fmac_f32_e32 v147, v20, v8
	v_sub_f32_e32 v3, v3, v147
	scratch_store_b32 off, v3, off offset:108
	v_cmpx_lt_u32_e32 26, v0
	s_cbranch_execz .LBB120_297
; %bb.296:
	scratch_load_b32 v3, off, off offset:104
	scratch_store_b32 off, v2, off offset:104
	s_waitcnt vmcnt(0)
	ds_store_b32 v1, v3
.LBB120_297:
	s_or_b32 exec_lo, exec_lo, s0
	s_waitcnt lgkmcnt(0)
	s_waitcnt_vscnt null, 0x0
	s_barrier
	buffer_gl0_inv
	s_clause 0x7
	scratch_load_b128 v[3:6], off, off offset:104
	scratch_load_b128 v[7:10], off, off offset:120
	;; [unrolled: 1-line block ×7, first 2 shown]
	scratch_load_b96 v[147:149], off, off offset:216
	ds_load_2addr_b32 v[19:20], v2 offset0:87 offset1:88
	ds_load_2addr_b32 v[150:151], v2 offset0:89 offset1:90
	;; [unrolled: 1-line block ×4, first 2 shown]
	s_mov_b32 s0, exec_lo
	s_waitcnt vmcnt(7) lgkmcnt(3)
	v_fma_f32 v19, v4, v19, 0
	s_delay_alu instid0(VALU_DEP_1) | instskip(SKIP_4) | instid1(VALU_DEP_1)
	v_fmac_f32_e32 v19, v5, v20
	ds_load_2addr_b32 v[4:5], v2 offset0:95 offset1:96
	s_waitcnt lgkmcnt(3)
	v_fmac_f32_e32 v19, v6, v150
	s_waitcnt vmcnt(6)
	v_fmac_f32_e32 v19, v7, v151
	ds_load_2addr_b32 v[6:7], v2 offset0:97 offset1:98
	s_waitcnt lgkmcnt(3)
	v_fmac_f32_e32 v19, v8, v152
	s_delay_alu instid0(VALU_DEP_1) | instskip(SKIP_1) | instid1(VALU_DEP_1)
	v_fmac_f32_e32 v19, v9, v153
	s_waitcnt lgkmcnt(2)
	v_fmac_f32_e32 v19, v10, v154
	s_waitcnt vmcnt(5)
	s_delay_alu instid0(VALU_DEP_1) | instskip(SKIP_4) | instid1(VALU_DEP_1)
	v_fmac_f32_e32 v19, v11, v155
	ds_load_2addr_b32 v[8:9], v2 offset0:99 offset1:100
	ds_load_2addr_b32 v[10:11], v2 offset0:101 offset1:102
	s_waitcnt lgkmcnt(3)
	v_fmac_f32_e32 v19, v12, v4
	v_fmac_f32_e32 v19, v13, v5
	ds_load_2addr_b32 v[4:5], v2 offset0:103 offset1:104
	s_waitcnt lgkmcnt(3)
	v_fmac_f32_e32 v19, v14, v6
	s_waitcnt vmcnt(4)
	s_delay_alu instid0(VALU_DEP_1) | instskip(SKIP_3) | instid1(VALU_DEP_1)
	v_fmac_f32_e32 v19, v15, v7
	ds_load_2addr_b32 v[6:7], v2 offset0:105 offset1:106
	s_waitcnt lgkmcnt(3)
	v_fmac_f32_e32 v19, v16, v8
	v_fmac_f32_e32 v19, v17, v9
	s_waitcnt lgkmcnt(2)
	s_delay_alu instid0(VALU_DEP_1) | instskip(SKIP_1) | instid1(VALU_DEP_1)
	v_fmac_f32_e32 v19, v18, v10
	s_waitcnt vmcnt(3)
	v_fmac_f32_e32 v19, v135, v11
	ds_load_2addr_b32 v[8:9], v2 offset0:107 offset1:108
	ds_load_2addr_b32 v[10:11], v2 offset0:109 offset1:110
	s_waitcnt lgkmcnt(3)
	v_fmac_f32_e32 v19, v136, v4
	s_delay_alu instid0(VALU_DEP_1) | instskip(SKIP_4) | instid1(VALU_DEP_1)
	v_fmac_f32_e32 v19, v137, v5
	ds_load_2addr_b32 v[4:5], v2 offset0:111 offset1:112
	s_waitcnt lgkmcnt(3)
	v_fmac_f32_e32 v19, v138, v6
	s_waitcnt vmcnt(2)
	v_fmac_f32_e32 v19, v139, v7
	ds_load_2addr_b32 v[6:7], v2 offset0:113 offset1:114
	s_waitcnt lgkmcnt(3)
	v_fmac_f32_e32 v19, v140, v8
	s_delay_alu instid0(VALU_DEP_1) | instskip(SKIP_4) | instid1(VALU_DEP_1)
	v_fmac_f32_e32 v19, v141, v9
	ds_load_2addr_b32 v[8:9], v2 offset0:115 offset1:116
	s_waitcnt lgkmcnt(3)
	v_fmac_f32_e32 v19, v142, v10
	s_waitcnt vmcnt(1)
	v_fmac_f32_e32 v19, v143, v11
	s_waitcnt lgkmcnt(2)
	s_delay_alu instid0(VALU_DEP_1) | instskip(NEXT) | instid1(VALU_DEP_1)
	v_fmac_f32_e32 v19, v144, v4
	v_fmac_f32_e32 v19, v145, v5
	s_waitcnt lgkmcnt(1)
	s_delay_alu instid0(VALU_DEP_1) | instskip(SKIP_1) | instid1(VALU_DEP_1)
	v_fmac_f32_e32 v19, v146, v6
	s_waitcnt vmcnt(0)
	v_fmac_f32_e32 v19, v147, v7
	s_waitcnt lgkmcnt(0)
	s_delay_alu instid0(VALU_DEP_1) | instskip(NEXT) | instid1(VALU_DEP_1)
	v_fmac_f32_e32 v19, v148, v8
	v_fmac_f32_e32 v19, v149, v9
	s_delay_alu instid0(VALU_DEP_1)
	v_sub_f32_e32 v2, v3, v19
	scratch_store_b32 off, v2, off offset:104
	v_cmpx_lt_u32_e32 25, v0
	s_cbranch_execz .LBB120_299
; %bb.298:
	scratch_load_b32 v2, off, off offset:100
	v_mov_b32_e32 v3, 0
	scratch_store_b32 off, v3, off offset:100
	s_waitcnt vmcnt(0)
	ds_store_b32 v1, v2
.LBB120_299:
	s_or_b32 exec_lo, exec_lo, s0
	s_waitcnt lgkmcnt(0)
	s_waitcnt_vscnt null, 0x0
	s_barrier
	buffer_gl0_inv
	s_clause 0x7
	scratch_load_b128 v[3:6], off, off offset:100
	scratch_load_b128 v[7:10], off, off offset:116
	;; [unrolled: 1-line block ×8, first 2 shown]
	v_mov_b32_e32 v2, 0
	ds_load_2addr_b64 v[151:154], v2 offset0:43 offset1:44
	ds_load_2addr_b64 v[155:158], v2 offset0:45 offset1:46
	s_mov_b32 s0, exec_lo
	s_waitcnt vmcnt(7) lgkmcnt(1)
	v_fma_f32 v19, v4, v151, 0
	s_delay_alu instid0(VALU_DEP_1) | instskip(NEXT) | instid1(VALU_DEP_1)
	v_fmac_f32_e32 v19, v5, v152
	v_fmac_f32_e32 v19, v6, v153
	s_waitcnt vmcnt(6)
	s_delay_alu instid0(VALU_DEP_1) | instskip(SKIP_3) | instid1(VALU_DEP_1)
	v_fmac_f32_e32 v19, v7, v154
	ds_load_2addr_b64 v[4:7], v2 offset0:47 offset1:48
	s_waitcnt lgkmcnt(1)
	v_fmac_f32_e32 v19, v8, v155
	v_fmac_f32_e32 v19, v9, v156
	s_delay_alu instid0(VALU_DEP_1) | instskip(SKIP_1) | instid1(VALU_DEP_1)
	v_fmac_f32_e32 v19, v10, v157
	s_waitcnt vmcnt(5)
	v_fmac_f32_e32 v19, v11, v158
	ds_load_2addr_b64 v[8:11], v2 offset0:49 offset1:50
	s_waitcnt lgkmcnt(1)
	v_fmac_f32_e32 v19, v12, v4
	s_delay_alu instid0(VALU_DEP_1) | instskip(NEXT) | instid1(VALU_DEP_1)
	v_fmac_f32_e32 v19, v13, v5
	v_fmac_f32_e32 v19, v14, v6
	s_waitcnt vmcnt(4)
	s_delay_alu instid0(VALU_DEP_1) | instskip(SKIP_3) | instid1(VALU_DEP_1)
	v_fmac_f32_e32 v19, v15, v7
	ds_load_2addr_b64 v[4:7], v2 offset0:51 offset1:52
	s_waitcnt lgkmcnt(1)
	v_fmac_f32_e32 v19, v16, v8
	v_fmac_f32_e32 v19, v17, v9
	s_delay_alu instid0(VALU_DEP_1) | instskip(SKIP_1) | instid1(VALU_DEP_1)
	v_fmac_f32_e32 v19, v18, v10
	s_waitcnt vmcnt(3)
	v_fmac_f32_e32 v19, v135, v11
	ds_load_2addr_b64 v[8:11], v2 offset0:53 offset1:54
	s_waitcnt lgkmcnt(1)
	v_fmac_f32_e32 v19, v136, v4
	s_delay_alu instid0(VALU_DEP_1) | instskip(NEXT) | instid1(VALU_DEP_1)
	v_fmac_f32_e32 v19, v137, v5
	v_fmac_f32_e32 v19, v138, v6
	s_waitcnt vmcnt(2)
	s_delay_alu instid0(VALU_DEP_1) | instskip(SKIP_3) | instid1(VALU_DEP_1)
	v_fmac_f32_e32 v19, v139, v7
	ds_load_2addr_b64 v[4:7], v2 offset0:55 offset1:56
	s_waitcnt lgkmcnt(1)
	v_fmac_f32_e32 v19, v140, v8
	v_fmac_f32_e32 v19, v141, v9
	ds_load_b64 v[8:9], v2 offset:456
	v_fmac_f32_e32 v19, v142, v10
	s_waitcnt vmcnt(1)
	s_delay_alu instid0(VALU_DEP_1) | instskip(SKIP_1) | instid1(VALU_DEP_1)
	v_fmac_f32_e32 v19, v143, v11
	s_waitcnt lgkmcnt(1)
	v_fmac_f32_e32 v19, v144, v4
	ds_load_b32 v4, v2 offset:464
	v_fmac_f32_e32 v19, v145, v5
	s_delay_alu instid0(VALU_DEP_1) | instskip(SKIP_1) | instid1(VALU_DEP_1)
	v_fmac_f32_e32 v19, v146, v6
	s_waitcnt vmcnt(0)
	v_fmac_f32_e32 v19, v147, v7
	s_waitcnt lgkmcnt(1)
	s_delay_alu instid0(VALU_DEP_1) | instskip(NEXT) | instid1(VALU_DEP_1)
	v_fmac_f32_e32 v19, v148, v8
	v_fmac_f32_e32 v19, v149, v9
	s_waitcnt lgkmcnt(0)
	s_delay_alu instid0(VALU_DEP_1) | instskip(NEXT) | instid1(VALU_DEP_1)
	v_fmac_f32_e32 v19, v150, v4
	v_sub_f32_e32 v3, v3, v19
	scratch_store_b32 off, v3, off offset:100
	v_cmpx_lt_u32_e32 24, v0
	s_cbranch_execz .LBB120_301
; %bb.300:
	scratch_load_b32 v3, off, off offset:96
	scratch_store_b32 off, v2, off offset:96
	s_waitcnt vmcnt(0)
	ds_store_b32 v1, v3
.LBB120_301:
	s_or_b32 exec_lo, exec_lo, s0
	s_waitcnt lgkmcnt(0)
	s_waitcnt_vscnt null, 0x0
	s_barrier
	buffer_gl0_inv
	s_clause 0x8
	scratch_load_b128 v[3:6], off, off offset:96
	scratch_load_b128 v[7:10], off, off offset:112
	;; [unrolled: 1-line block ×8, first 2 shown]
	scratch_load_b32 v157, off, off offset:224
	ds_load_2addr_b32 v[19:20], v2 offset0:85 offset1:86
	ds_load_2addr_b32 v[151:152], v2 offset0:87 offset1:88
	;; [unrolled: 1-line block ×4, first 2 shown]
	s_mov_b32 s0, exec_lo
	s_waitcnt vmcnt(8) lgkmcnt(3)
	v_fma_f32 v19, v4, v19, 0
	s_delay_alu instid0(VALU_DEP_1) | instskip(SKIP_4) | instid1(VALU_DEP_1)
	v_fmac_f32_e32 v19, v5, v20
	ds_load_2addr_b32 v[4:5], v2 offset0:93 offset1:94
	s_waitcnt lgkmcnt(3)
	v_fmac_f32_e32 v19, v6, v151
	s_waitcnt vmcnt(7)
	v_fmac_f32_e32 v19, v7, v152
	ds_load_2addr_b32 v[6:7], v2 offset0:95 offset1:96
	s_waitcnt lgkmcnt(3)
	v_fmac_f32_e32 v19, v8, v153
	s_delay_alu instid0(VALU_DEP_1) | instskip(SKIP_1) | instid1(VALU_DEP_1)
	v_fmac_f32_e32 v19, v9, v154
	s_waitcnt lgkmcnt(2)
	v_fmac_f32_e32 v19, v10, v155
	s_waitcnt vmcnt(6)
	s_delay_alu instid0(VALU_DEP_1) | instskip(SKIP_4) | instid1(VALU_DEP_1)
	v_fmac_f32_e32 v19, v11, v156
	ds_load_2addr_b32 v[8:9], v2 offset0:97 offset1:98
	ds_load_2addr_b32 v[10:11], v2 offset0:99 offset1:100
	s_waitcnt lgkmcnt(3)
	v_fmac_f32_e32 v19, v12, v4
	v_fmac_f32_e32 v19, v13, v5
	ds_load_2addr_b32 v[4:5], v2 offset0:101 offset1:102
	s_waitcnt lgkmcnt(3)
	v_fmac_f32_e32 v19, v14, v6
	s_waitcnt vmcnt(5)
	s_delay_alu instid0(VALU_DEP_1) | instskip(SKIP_3) | instid1(VALU_DEP_1)
	v_fmac_f32_e32 v19, v15, v7
	ds_load_2addr_b32 v[6:7], v2 offset0:103 offset1:104
	s_waitcnt lgkmcnt(3)
	v_fmac_f32_e32 v19, v16, v8
	v_fmac_f32_e32 v19, v17, v9
	s_waitcnt lgkmcnt(2)
	s_delay_alu instid0(VALU_DEP_1) | instskip(SKIP_1) | instid1(VALU_DEP_1)
	v_fmac_f32_e32 v19, v18, v10
	s_waitcnt vmcnt(4)
	v_fmac_f32_e32 v19, v135, v11
	ds_load_2addr_b32 v[8:9], v2 offset0:105 offset1:106
	ds_load_2addr_b32 v[10:11], v2 offset0:107 offset1:108
	s_waitcnt lgkmcnt(3)
	v_fmac_f32_e32 v19, v136, v4
	s_delay_alu instid0(VALU_DEP_1) | instskip(SKIP_4) | instid1(VALU_DEP_1)
	v_fmac_f32_e32 v19, v137, v5
	ds_load_2addr_b32 v[4:5], v2 offset0:109 offset1:110
	s_waitcnt lgkmcnt(3)
	v_fmac_f32_e32 v19, v138, v6
	s_waitcnt vmcnt(3)
	v_fmac_f32_e32 v19, v139, v7
	ds_load_2addr_b32 v[6:7], v2 offset0:111 offset1:112
	s_waitcnt lgkmcnt(3)
	v_fmac_f32_e32 v19, v140, v8
	s_delay_alu instid0(VALU_DEP_1) | instskip(SKIP_1) | instid1(VALU_DEP_1)
	v_fmac_f32_e32 v19, v141, v9
	s_waitcnt lgkmcnt(2)
	v_fmac_f32_e32 v19, v142, v10
	s_waitcnt vmcnt(2)
	s_delay_alu instid0(VALU_DEP_1) | instskip(SKIP_4) | instid1(VALU_DEP_1)
	v_fmac_f32_e32 v19, v143, v11
	ds_load_2addr_b32 v[8:9], v2 offset0:113 offset1:114
	ds_load_2addr_b32 v[10:11], v2 offset0:115 offset1:116
	s_waitcnt lgkmcnt(3)
	v_fmac_f32_e32 v19, v144, v4
	v_fmac_f32_e32 v19, v145, v5
	s_waitcnt lgkmcnt(2)
	s_delay_alu instid0(VALU_DEP_1) | instskip(SKIP_1) | instid1(VALU_DEP_1)
	v_fmac_f32_e32 v19, v146, v6
	s_waitcnt vmcnt(1)
	v_fmac_f32_e32 v19, v147, v7
	s_waitcnt lgkmcnt(1)
	s_delay_alu instid0(VALU_DEP_1) | instskip(NEXT) | instid1(VALU_DEP_1)
	v_fmac_f32_e32 v19, v148, v8
	v_fmac_f32_e32 v19, v149, v9
	s_waitcnt lgkmcnt(0)
	s_delay_alu instid0(VALU_DEP_1) | instskip(SKIP_1) | instid1(VALU_DEP_1)
	v_fmac_f32_e32 v19, v150, v10
	s_waitcnt vmcnt(0)
	v_fmac_f32_e32 v19, v157, v11
	s_delay_alu instid0(VALU_DEP_1)
	v_sub_f32_e32 v2, v3, v19
	scratch_store_b32 off, v2, off offset:96
	v_cmpx_lt_u32_e32 23, v0
	s_cbranch_execz .LBB120_303
; %bb.302:
	scratch_load_b32 v2, off, off offset:92
	v_mov_b32_e32 v3, 0
	scratch_store_b32 off, v3, off offset:92
	s_waitcnt vmcnt(0)
	ds_store_b32 v1, v2
.LBB120_303:
	s_or_b32 exec_lo, exec_lo, s0
	s_waitcnt lgkmcnt(0)
	s_waitcnt_vscnt null, 0x0
	s_barrier
	buffer_gl0_inv
	s_clause 0x8
	scratch_load_b128 v[3:6], off, off offset:92
	scratch_load_b128 v[7:10], off, off offset:108
	;; [unrolled: 1-line block ×8, first 2 shown]
	scratch_load_b64 v[19:20], off, off offset:220
	v_mov_b32_e32 v2, 0
	ds_load_b128 v[151:154], v2 offset:336
	ds_load_b128 v[155:158], v2 offset:352
	s_mov_b32 s0, exec_lo
	s_waitcnt vmcnt(8) lgkmcnt(1)
	v_fma_f32 v151, v4, v151, 0
	s_delay_alu instid0(VALU_DEP_1) | instskip(NEXT) | instid1(VALU_DEP_1)
	v_fmac_f32_e32 v151, v5, v152
	v_fmac_f32_e32 v151, v6, v153
	s_waitcnt vmcnt(7)
	s_delay_alu instid0(VALU_DEP_1) | instskip(SKIP_3) | instid1(VALU_DEP_1)
	v_fmac_f32_e32 v151, v7, v154
	ds_load_b128 v[4:7], v2 offset:368
	s_waitcnt lgkmcnt(1)
	v_fmac_f32_e32 v151, v8, v155
	v_fmac_f32_e32 v151, v9, v156
	s_delay_alu instid0(VALU_DEP_1) | instskip(SKIP_1) | instid1(VALU_DEP_1)
	v_fmac_f32_e32 v151, v10, v157
	s_waitcnt vmcnt(6)
	v_fmac_f32_e32 v151, v11, v158
	ds_load_b128 v[8:11], v2 offset:384
	s_waitcnt lgkmcnt(1)
	v_fmac_f32_e32 v151, v12, v4
	s_delay_alu instid0(VALU_DEP_1) | instskip(NEXT) | instid1(VALU_DEP_1)
	v_fmac_f32_e32 v151, v13, v5
	v_fmac_f32_e32 v151, v14, v6
	s_waitcnt vmcnt(5)
	s_delay_alu instid0(VALU_DEP_1) | instskip(SKIP_3) | instid1(VALU_DEP_1)
	v_fmac_f32_e32 v151, v15, v7
	ds_load_b128 v[4:7], v2 offset:400
	s_waitcnt lgkmcnt(1)
	v_fmac_f32_e32 v151, v16, v8
	v_fmac_f32_e32 v151, v17, v9
	s_delay_alu instid0(VALU_DEP_1) | instskip(SKIP_1) | instid1(VALU_DEP_1)
	v_fmac_f32_e32 v151, v18, v10
	s_waitcnt vmcnt(4)
	v_fmac_f32_e32 v151, v135, v11
	ds_load_b128 v[8:11], v2 offset:416
	s_waitcnt lgkmcnt(1)
	v_fmac_f32_e32 v151, v136, v4
	;; [unrolled: 17-line block ×3, first 2 shown]
	ds_load_b32 v4, v2 offset:464
	v_fmac_f32_e32 v151, v145, v5
	s_delay_alu instid0(VALU_DEP_1) | instskip(SKIP_1) | instid1(VALU_DEP_1)
	v_fmac_f32_e32 v151, v146, v6
	s_waitcnt vmcnt(1)
	v_fmac_f32_e32 v151, v147, v7
	s_waitcnt lgkmcnt(1)
	s_delay_alu instid0(VALU_DEP_1) | instskip(NEXT) | instid1(VALU_DEP_1)
	v_fmac_f32_e32 v151, v148, v8
	v_fmac_f32_e32 v151, v149, v9
	s_delay_alu instid0(VALU_DEP_1) | instskip(SKIP_1) | instid1(VALU_DEP_1)
	v_fmac_f32_e32 v151, v150, v10
	s_waitcnt vmcnt(0)
	v_fmac_f32_e32 v151, v19, v11
	s_waitcnt lgkmcnt(0)
	s_delay_alu instid0(VALU_DEP_1) | instskip(NEXT) | instid1(VALU_DEP_1)
	v_fmac_f32_e32 v151, v20, v4
	v_sub_f32_e32 v3, v3, v151
	scratch_store_b32 off, v3, off offset:92
	v_cmpx_lt_u32_e32 22, v0
	s_cbranch_execz .LBB120_305
; %bb.304:
	scratch_load_b32 v3, off, off offset:88
	scratch_store_b32 off, v2, off offset:88
	s_waitcnt vmcnt(0)
	ds_store_b32 v1, v3
.LBB120_305:
	s_or_b32 exec_lo, exec_lo, s0
	s_waitcnt lgkmcnt(0)
	s_waitcnt_vscnt null, 0x0
	s_barrier
	buffer_gl0_inv
	s_clause 0x8
	scratch_load_b128 v[3:6], off, off offset:88
	scratch_load_b128 v[7:10], off, off offset:104
	;; [unrolled: 1-line block ×8, first 2 shown]
	scratch_load_b96 v[151:153], off, off offset:216
	ds_load_2addr_b32 v[19:20], v2 offset0:83 offset1:84
	ds_load_2addr_b32 v[154:155], v2 offset0:85 offset1:86
	;; [unrolled: 1-line block ×4, first 2 shown]
	s_mov_b32 s0, exec_lo
	s_waitcnt vmcnt(8) lgkmcnt(3)
	v_fma_f32 v19, v4, v19, 0
	s_delay_alu instid0(VALU_DEP_1) | instskip(SKIP_4) | instid1(VALU_DEP_1)
	v_fmac_f32_e32 v19, v5, v20
	ds_load_2addr_b32 v[4:5], v2 offset0:91 offset1:92
	s_waitcnt lgkmcnt(3)
	v_fmac_f32_e32 v19, v6, v154
	s_waitcnt vmcnt(7)
	v_fmac_f32_e32 v19, v7, v155
	ds_load_2addr_b32 v[6:7], v2 offset0:93 offset1:94
	s_waitcnt lgkmcnt(3)
	v_fmac_f32_e32 v19, v8, v156
	s_delay_alu instid0(VALU_DEP_1) | instskip(SKIP_1) | instid1(VALU_DEP_1)
	v_fmac_f32_e32 v19, v9, v157
	s_waitcnt lgkmcnt(2)
	v_fmac_f32_e32 v19, v10, v158
	s_waitcnt vmcnt(6)
	s_delay_alu instid0(VALU_DEP_1) | instskip(SKIP_4) | instid1(VALU_DEP_1)
	v_fmac_f32_e32 v19, v11, v159
	ds_load_2addr_b32 v[8:9], v2 offset0:95 offset1:96
	ds_load_2addr_b32 v[10:11], v2 offset0:97 offset1:98
	s_waitcnt lgkmcnt(3)
	v_fmac_f32_e32 v19, v12, v4
	v_fmac_f32_e32 v19, v13, v5
	ds_load_2addr_b32 v[4:5], v2 offset0:99 offset1:100
	s_waitcnt lgkmcnt(3)
	v_fmac_f32_e32 v19, v14, v6
	s_waitcnt vmcnt(5)
	s_delay_alu instid0(VALU_DEP_1) | instskip(SKIP_3) | instid1(VALU_DEP_1)
	v_fmac_f32_e32 v19, v15, v7
	ds_load_2addr_b32 v[6:7], v2 offset0:101 offset1:102
	s_waitcnt lgkmcnt(3)
	v_fmac_f32_e32 v19, v16, v8
	v_fmac_f32_e32 v19, v17, v9
	s_waitcnt lgkmcnt(2)
	s_delay_alu instid0(VALU_DEP_1) | instskip(SKIP_1) | instid1(VALU_DEP_1)
	v_fmac_f32_e32 v19, v18, v10
	s_waitcnt vmcnt(4)
	v_fmac_f32_e32 v19, v135, v11
	ds_load_2addr_b32 v[8:9], v2 offset0:103 offset1:104
	ds_load_2addr_b32 v[10:11], v2 offset0:105 offset1:106
	s_waitcnt lgkmcnt(3)
	v_fmac_f32_e32 v19, v136, v4
	s_delay_alu instid0(VALU_DEP_1) | instskip(SKIP_4) | instid1(VALU_DEP_1)
	v_fmac_f32_e32 v19, v137, v5
	ds_load_2addr_b32 v[4:5], v2 offset0:107 offset1:108
	s_waitcnt lgkmcnt(3)
	v_fmac_f32_e32 v19, v138, v6
	s_waitcnt vmcnt(3)
	v_fmac_f32_e32 v19, v139, v7
	ds_load_2addr_b32 v[6:7], v2 offset0:109 offset1:110
	s_waitcnt lgkmcnt(3)
	v_fmac_f32_e32 v19, v140, v8
	s_delay_alu instid0(VALU_DEP_1) | instskip(SKIP_1) | instid1(VALU_DEP_1)
	v_fmac_f32_e32 v19, v141, v9
	s_waitcnt lgkmcnt(2)
	v_fmac_f32_e32 v19, v142, v10
	s_waitcnt vmcnt(2)
	s_delay_alu instid0(VALU_DEP_1) | instskip(SKIP_4) | instid1(VALU_DEP_1)
	v_fmac_f32_e32 v19, v143, v11
	ds_load_2addr_b32 v[8:9], v2 offset0:111 offset1:112
	ds_load_2addr_b32 v[10:11], v2 offset0:113 offset1:114
	s_waitcnt lgkmcnt(3)
	v_fmac_f32_e32 v19, v144, v4
	v_fmac_f32_e32 v19, v145, v5
	ds_load_2addr_b32 v[4:5], v2 offset0:115 offset1:116
	s_waitcnt lgkmcnt(3)
	v_fmac_f32_e32 v19, v146, v6
	s_waitcnt vmcnt(1)
	s_delay_alu instid0(VALU_DEP_1) | instskip(SKIP_1) | instid1(VALU_DEP_1)
	v_fmac_f32_e32 v19, v147, v7
	s_waitcnt lgkmcnt(2)
	v_fmac_f32_e32 v19, v148, v8
	s_delay_alu instid0(VALU_DEP_1) | instskip(SKIP_1) | instid1(VALU_DEP_1)
	v_fmac_f32_e32 v19, v149, v9
	s_waitcnt lgkmcnt(1)
	v_fmac_f32_e32 v19, v150, v10
	s_waitcnt vmcnt(0)
	s_delay_alu instid0(VALU_DEP_1) | instskip(SKIP_1) | instid1(VALU_DEP_1)
	v_fmac_f32_e32 v19, v151, v11
	s_waitcnt lgkmcnt(0)
	v_fmac_f32_e32 v19, v152, v4
	s_delay_alu instid0(VALU_DEP_1) | instskip(NEXT) | instid1(VALU_DEP_1)
	v_fmac_f32_e32 v19, v153, v5
	v_sub_f32_e32 v2, v3, v19
	scratch_store_b32 off, v2, off offset:88
	v_cmpx_lt_u32_e32 21, v0
	s_cbranch_execz .LBB120_307
; %bb.306:
	scratch_load_b32 v2, off, off offset:84
	v_mov_b32_e32 v3, 0
	scratch_store_b32 off, v3, off offset:84
	s_waitcnt vmcnt(0)
	ds_store_b32 v1, v2
.LBB120_307:
	s_or_b32 exec_lo, exec_lo, s0
	s_waitcnt lgkmcnt(0)
	s_waitcnt_vscnt null, 0x0
	s_barrier
	buffer_gl0_inv
	s_clause 0x8
	scratch_load_b128 v[3:6], off, off offset:84
	scratch_load_b128 v[7:10], off, off offset:100
	;; [unrolled: 1-line block ×9, first 2 shown]
	v_mov_b32_e32 v2, 0
	ds_load_2addr_b64 v[155:158], v2 offset0:41 offset1:42
	ds_load_2addr_b64 v[159:162], v2 offset0:43 offset1:44
	s_mov_b32 s0, exec_lo
	s_waitcnt vmcnt(8) lgkmcnt(1)
	v_fma_f32 v19, v4, v155, 0
	s_delay_alu instid0(VALU_DEP_1) | instskip(NEXT) | instid1(VALU_DEP_1)
	v_fmac_f32_e32 v19, v5, v156
	v_fmac_f32_e32 v19, v6, v157
	s_waitcnt vmcnt(7)
	s_delay_alu instid0(VALU_DEP_1) | instskip(SKIP_3) | instid1(VALU_DEP_1)
	v_fmac_f32_e32 v19, v7, v158
	ds_load_2addr_b64 v[4:7], v2 offset0:45 offset1:46
	s_waitcnt lgkmcnt(1)
	v_fmac_f32_e32 v19, v8, v159
	v_fmac_f32_e32 v19, v9, v160
	s_delay_alu instid0(VALU_DEP_1) | instskip(SKIP_1) | instid1(VALU_DEP_1)
	v_fmac_f32_e32 v19, v10, v161
	s_waitcnt vmcnt(6)
	v_fmac_f32_e32 v19, v11, v162
	ds_load_2addr_b64 v[8:11], v2 offset0:47 offset1:48
	s_waitcnt lgkmcnt(1)
	v_fmac_f32_e32 v19, v12, v4
	s_delay_alu instid0(VALU_DEP_1) | instskip(NEXT) | instid1(VALU_DEP_1)
	v_fmac_f32_e32 v19, v13, v5
	v_fmac_f32_e32 v19, v14, v6
	s_waitcnt vmcnt(5)
	s_delay_alu instid0(VALU_DEP_1) | instskip(SKIP_3) | instid1(VALU_DEP_1)
	v_fmac_f32_e32 v19, v15, v7
	ds_load_2addr_b64 v[4:7], v2 offset0:49 offset1:50
	s_waitcnt lgkmcnt(1)
	v_fmac_f32_e32 v19, v16, v8
	v_fmac_f32_e32 v19, v17, v9
	s_delay_alu instid0(VALU_DEP_1) | instskip(SKIP_1) | instid1(VALU_DEP_1)
	v_fmac_f32_e32 v19, v18, v10
	s_waitcnt vmcnt(4)
	v_fmac_f32_e32 v19, v135, v11
	ds_load_2addr_b64 v[8:11], v2 offset0:51 offset1:52
	s_waitcnt lgkmcnt(1)
	v_fmac_f32_e32 v19, v136, v4
	s_delay_alu instid0(VALU_DEP_1) | instskip(NEXT) | instid1(VALU_DEP_1)
	v_fmac_f32_e32 v19, v137, v5
	v_fmac_f32_e32 v19, v138, v6
	s_waitcnt vmcnt(3)
	s_delay_alu instid0(VALU_DEP_1) | instskip(SKIP_3) | instid1(VALU_DEP_1)
	v_fmac_f32_e32 v19, v139, v7
	ds_load_2addr_b64 v[4:7], v2 offset0:53 offset1:54
	s_waitcnt lgkmcnt(1)
	v_fmac_f32_e32 v19, v140, v8
	v_fmac_f32_e32 v19, v141, v9
	s_delay_alu instid0(VALU_DEP_1) | instskip(SKIP_1) | instid1(VALU_DEP_1)
	v_fmac_f32_e32 v19, v142, v10
	s_waitcnt vmcnt(2)
	v_fmac_f32_e32 v19, v143, v11
	ds_load_2addr_b64 v[8:11], v2 offset0:55 offset1:56
	s_waitcnt lgkmcnt(1)
	v_fmac_f32_e32 v19, v144, v4
	s_delay_alu instid0(VALU_DEP_1)
	v_fmac_f32_e32 v19, v145, v5
	ds_load_b64 v[4:5], v2 offset:456
	v_fmac_f32_e32 v19, v146, v6
	ds_load_b32 v6, v2 offset:464
	s_waitcnt vmcnt(1)
	v_fmac_f32_e32 v19, v147, v7
	s_waitcnt lgkmcnt(2)
	s_delay_alu instid0(VALU_DEP_1) | instskip(NEXT) | instid1(VALU_DEP_1)
	v_fmac_f32_e32 v19, v148, v8
	v_fmac_f32_e32 v19, v149, v9
	s_delay_alu instid0(VALU_DEP_1) | instskip(SKIP_1) | instid1(VALU_DEP_1)
	v_fmac_f32_e32 v19, v150, v10
	s_waitcnt vmcnt(0)
	v_fmac_f32_e32 v19, v151, v11
	s_waitcnt lgkmcnt(1)
	s_delay_alu instid0(VALU_DEP_1) | instskip(NEXT) | instid1(VALU_DEP_1)
	v_fmac_f32_e32 v19, v152, v4
	v_fmac_f32_e32 v19, v153, v5
	s_waitcnt lgkmcnt(0)
	s_delay_alu instid0(VALU_DEP_1) | instskip(NEXT) | instid1(VALU_DEP_1)
	v_fmac_f32_e32 v19, v154, v6
	v_sub_f32_e32 v3, v3, v19
	scratch_store_b32 off, v3, off offset:84
	v_cmpx_lt_u32_e32 20, v0
	s_cbranch_execz .LBB120_309
; %bb.308:
	scratch_load_b32 v3, off, off offset:80
	scratch_store_b32 off, v2, off offset:80
	s_waitcnt vmcnt(0)
	ds_store_b32 v1, v3
.LBB120_309:
	s_or_b32 exec_lo, exec_lo, s0
	s_waitcnt lgkmcnt(0)
	s_waitcnt_vscnt null, 0x0
	s_barrier
	buffer_gl0_inv
	s_clause 0x9
	scratch_load_b128 v[3:6], off, off offset:80
	scratch_load_b128 v[7:10], off, off offset:96
	;; [unrolled: 1-line block ×9, first 2 shown]
	scratch_load_b32 v161, off, off offset:224
	ds_load_2addr_b32 v[19:20], v2 offset0:81 offset1:82
	ds_load_2addr_b32 v[155:156], v2 offset0:83 offset1:84
	;; [unrolled: 1-line block ×4, first 2 shown]
	s_mov_b32 s0, exec_lo
	s_waitcnt vmcnt(9) lgkmcnt(3)
	v_fma_f32 v19, v4, v19, 0
	s_delay_alu instid0(VALU_DEP_1) | instskip(SKIP_4) | instid1(VALU_DEP_1)
	v_fmac_f32_e32 v19, v5, v20
	ds_load_2addr_b32 v[4:5], v2 offset0:89 offset1:90
	s_waitcnt lgkmcnt(3)
	v_fmac_f32_e32 v19, v6, v155
	s_waitcnt vmcnt(8)
	v_fmac_f32_e32 v19, v7, v156
	ds_load_2addr_b32 v[6:7], v2 offset0:91 offset1:92
	s_waitcnt lgkmcnt(3)
	v_fmac_f32_e32 v19, v8, v157
	s_delay_alu instid0(VALU_DEP_1) | instskip(SKIP_1) | instid1(VALU_DEP_1)
	v_fmac_f32_e32 v19, v9, v158
	s_waitcnt lgkmcnt(2)
	v_fmac_f32_e32 v19, v10, v159
	s_waitcnt vmcnt(7)
	s_delay_alu instid0(VALU_DEP_1) | instskip(SKIP_4) | instid1(VALU_DEP_1)
	v_fmac_f32_e32 v19, v11, v160
	ds_load_2addr_b32 v[8:9], v2 offset0:93 offset1:94
	ds_load_2addr_b32 v[10:11], v2 offset0:95 offset1:96
	s_waitcnt lgkmcnt(3)
	v_fmac_f32_e32 v19, v12, v4
	v_fmac_f32_e32 v19, v13, v5
	ds_load_2addr_b32 v[4:5], v2 offset0:97 offset1:98
	s_waitcnt lgkmcnt(3)
	v_fmac_f32_e32 v19, v14, v6
	s_waitcnt vmcnt(6)
	s_delay_alu instid0(VALU_DEP_1) | instskip(SKIP_3) | instid1(VALU_DEP_1)
	v_fmac_f32_e32 v19, v15, v7
	ds_load_2addr_b32 v[6:7], v2 offset0:99 offset1:100
	s_waitcnt lgkmcnt(3)
	v_fmac_f32_e32 v19, v16, v8
	v_fmac_f32_e32 v19, v17, v9
	s_waitcnt lgkmcnt(2)
	s_delay_alu instid0(VALU_DEP_1) | instskip(SKIP_1) | instid1(VALU_DEP_1)
	v_fmac_f32_e32 v19, v18, v10
	s_waitcnt vmcnt(5)
	v_fmac_f32_e32 v19, v135, v11
	ds_load_2addr_b32 v[8:9], v2 offset0:101 offset1:102
	ds_load_2addr_b32 v[10:11], v2 offset0:103 offset1:104
	s_waitcnt lgkmcnt(3)
	v_fmac_f32_e32 v19, v136, v4
	s_delay_alu instid0(VALU_DEP_1) | instskip(SKIP_4) | instid1(VALU_DEP_1)
	v_fmac_f32_e32 v19, v137, v5
	ds_load_2addr_b32 v[4:5], v2 offset0:105 offset1:106
	s_waitcnt lgkmcnt(3)
	v_fmac_f32_e32 v19, v138, v6
	s_waitcnt vmcnt(4)
	v_fmac_f32_e32 v19, v139, v7
	ds_load_2addr_b32 v[6:7], v2 offset0:107 offset1:108
	s_waitcnt lgkmcnt(3)
	v_fmac_f32_e32 v19, v140, v8
	s_delay_alu instid0(VALU_DEP_1) | instskip(SKIP_1) | instid1(VALU_DEP_1)
	v_fmac_f32_e32 v19, v141, v9
	s_waitcnt lgkmcnt(2)
	v_fmac_f32_e32 v19, v142, v10
	s_waitcnt vmcnt(3)
	s_delay_alu instid0(VALU_DEP_1) | instskip(SKIP_4) | instid1(VALU_DEP_1)
	v_fmac_f32_e32 v19, v143, v11
	ds_load_2addr_b32 v[8:9], v2 offset0:109 offset1:110
	ds_load_2addr_b32 v[10:11], v2 offset0:111 offset1:112
	s_waitcnt lgkmcnt(3)
	v_fmac_f32_e32 v19, v144, v4
	v_fmac_f32_e32 v19, v145, v5
	ds_load_2addr_b32 v[4:5], v2 offset0:113 offset1:114
	s_waitcnt lgkmcnt(3)
	v_fmac_f32_e32 v19, v146, v6
	s_waitcnt vmcnt(2)
	s_delay_alu instid0(VALU_DEP_1) | instskip(SKIP_3) | instid1(VALU_DEP_1)
	v_fmac_f32_e32 v19, v147, v7
	ds_load_2addr_b32 v[6:7], v2 offset0:115 offset1:116
	s_waitcnt lgkmcnt(3)
	v_fmac_f32_e32 v19, v148, v8
	v_fmac_f32_e32 v19, v149, v9
	s_waitcnt lgkmcnt(2)
	s_delay_alu instid0(VALU_DEP_1) | instskip(SKIP_1) | instid1(VALU_DEP_1)
	v_fmac_f32_e32 v19, v150, v10
	s_waitcnt vmcnt(1)
	v_fmac_f32_e32 v19, v151, v11
	s_waitcnt lgkmcnt(1)
	s_delay_alu instid0(VALU_DEP_1) | instskip(NEXT) | instid1(VALU_DEP_1)
	v_fmac_f32_e32 v19, v152, v4
	v_fmac_f32_e32 v19, v153, v5
	s_waitcnt lgkmcnt(0)
	s_delay_alu instid0(VALU_DEP_1) | instskip(SKIP_1) | instid1(VALU_DEP_1)
	v_fmac_f32_e32 v19, v154, v6
	s_waitcnt vmcnt(0)
	v_fmac_f32_e32 v19, v161, v7
	s_delay_alu instid0(VALU_DEP_1)
	v_sub_f32_e32 v2, v3, v19
	scratch_store_b32 off, v2, off offset:80
	v_cmpx_lt_u32_e32 19, v0
	s_cbranch_execz .LBB120_311
; %bb.310:
	scratch_load_b32 v2, off, off offset:76
	v_mov_b32_e32 v3, 0
	scratch_store_b32 off, v3, off offset:76
	s_waitcnt vmcnt(0)
	ds_store_b32 v1, v2
.LBB120_311:
	s_or_b32 exec_lo, exec_lo, s0
	s_waitcnt lgkmcnt(0)
	s_waitcnt_vscnt null, 0x0
	s_barrier
	buffer_gl0_inv
	s_clause 0x9
	scratch_load_b128 v[3:6], off, off offset:76
	scratch_load_b128 v[7:10], off, off offset:92
	;; [unrolled: 1-line block ×9, first 2 shown]
	scratch_load_b64 v[19:20], off, off offset:220
	v_mov_b32_e32 v2, 0
	ds_load_b128 v[155:158], v2 offset:320
	ds_load_b128 v[159:162], v2 offset:336
	s_mov_b32 s0, exec_lo
	s_waitcnt vmcnt(9) lgkmcnt(1)
	v_fma_f32 v155, v4, v155, 0
	s_delay_alu instid0(VALU_DEP_1) | instskip(NEXT) | instid1(VALU_DEP_1)
	v_fmac_f32_e32 v155, v5, v156
	v_fmac_f32_e32 v155, v6, v157
	s_waitcnt vmcnt(8)
	s_delay_alu instid0(VALU_DEP_1) | instskip(SKIP_3) | instid1(VALU_DEP_1)
	v_fmac_f32_e32 v155, v7, v158
	ds_load_b128 v[4:7], v2 offset:352
	s_waitcnt lgkmcnt(1)
	v_fmac_f32_e32 v155, v8, v159
	v_fmac_f32_e32 v155, v9, v160
	s_delay_alu instid0(VALU_DEP_1) | instskip(SKIP_1) | instid1(VALU_DEP_1)
	v_fmac_f32_e32 v155, v10, v161
	s_waitcnt vmcnt(7)
	v_fmac_f32_e32 v155, v11, v162
	ds_load_b128 v[8:11], v2 offset:368
	s_waitcnt lgkmcnt(1)
	v_fmac_f32_e32 v155, v12, v4
	s_delay_alu instid0(VALU_DEP_1) | instskip(NEXT) | instid1(VALU_DEP_1)
	v_fmac_f32_e32 v155, v13, v5
	v_fmac_f32_e32 v155, v14, v6
	s_waitcnt vmcnt(6)
	s_delay_alu instid0(VALU_DEP_1) | instskip(SKIP_3) | instid1(VALU_DEP_1)
	v_fmac_f32_e32 v155, v15, v7
	ds_load_b128 v[4:7], v2 offset:384
	s_waitcnt lgkmcnt(1)
	v_fmac_f32_e32 v155, v16, v8
	v_fmac_f32_e32 v155, v17, v9
	s_delay_alu instid0(VALU_DEP_1) | instskip(SKIP_1) | instid1(VALU_DEP_1)
	v_fmac_f32_e32 v155, v18, v10
	s_waitcnt vmcnt(5)
	v_fmac_f32_e32 v155, v135, v11
	ds_load_b128 v[8:11], v2 offset:400
	s_waitcnt lgkmcnt(1)
	v_fmac_f32_e32 v155, v136, v4
	;; [unrolled: 17-line block ×3, first 2 shown]
	s_delay_alu instid0(VALU_DEP_1) | instskip(NEXT) | instid1(VALU_DEP_1)
	v_fmac_f32_e32 v155, v145, v5
	v_fmac_f32_e32 v155, v146, v6
	s_waitcnt vmcnt(2)
	s_delay_alu instid0(VALU_DEP_1)
	v_fmac_f32_e32 v155, v147, v7
	ds_load_b128 v[4:7], v2 offset:448
	s_waitcnt lgkmcnt(1)
	v_fmac_f32_e32 v155, v148, v8
	ds_load_b32 v8, v2 offset:464
	v_fmac_f32_e32 v155, v149, v9
	s_delay_alu instid0(VALU_DEP_1) | instskip(SKIP_1) | instid1(VALU_DEP_1)
	v_fmac_f32_e32 v155, v150, v10
	s_waitcnt vmcnt(1)
	v_fmac_f32_e32 v155, v151, v11
	s_waitcnt lgkmcnt(1)
	s_delay_alu instid0(VALU_DEP_1) | instskip(NEXT) | instid1(VALU_DEP_1)
	v_fmac_f32_e32 v155, v152, v4
	v_fmac_f32_e32 v155, v153, v5
	s_delay_alu instid0(VALU_DEP_1) | instskip(SKIP_1) | instid1(VALU_DEP_1)
	v_fmac_f32_e32 v155, v154, v6
	s_waitcnt vmcnt(0)
	v_fmac_f32_e32 v155, v19, v7
	s_waitcnt lgkmcnt(0)
	s_delay_alu instid0(VALU_DEP_1) | instskip(NEXT) | instid1(VALU_DEP_1)
	v_fmac_f32_e32 v155, v20, v8
	v_sub_f32_e32 v3, v3, v155
	scratch_store_b32 off, v3, off offset:76
	v_cmpx_lt_u32_e32 18, v0
	s_cbranch_execz .LBB120_313
; %bb.312:
	scratch_load_b32 v3, off, off offset:72
	scratch_store_b32 off, v2, off offset:72
	s_waitcnt vmcnt(0)
	ds_store_b32 v1, v3
.LBB120_313:
	s_or_b32 exec_lo, exec_lo, s0
	s_waitcnt lgkmcnt(0)
	s_waitcnt_vscnt null, 0x0
	s_barrier
	buffer_gl0_inv
	s_clause 0x9
	scratch_load_b128 v[3:6], off, off offset:72
	scratch_load_b128 v[7:10], off, off offset:88
	;; [unrolled: 1-line block ×9, first 2 shown]
	scratch_load_b96 v[155:157], off, off offset:216
	ds_load_2addr_b32 v[19:20], v2 offset0:79 offset1:80
	ds_load_2addr_b32 v[158:159], v2 offset0:81 offset1:82
	;; [unrolled: 1-line block ×4, first 2 shown]
	s_mov_b32 s0, exec_lo
	s_waitcnt vmcnt(9) lgkmcnt(3)
	v_fma_f32 v19, v4, v19, 0
	s_delay_alu instid0(VALU_DEP_1) | instskip(SKIP_4) | instid1(VALU_DEP_1)
	v_fmac_f32_e32 v19, v5, v20
	ds_load_2addr_b32 v[4:5], v2 offset0:87 offset1:88
	s_waitcnt lgkmcnt(3)
	v_fmac_f32_e32 v19, v6, v158
	s_waitcnt vmcnt(8)
	v_fmac_f32_e32 v19, v7, v159
	ds_load_2addr_b32 v[6:7], v2 offset0:89 offset1:90
	s_waitcnt lgkmcnt(3)
	v_fmac_f32_e32 v19, v8, v160
	s_delay_alu instid0(VALU_DEP_1) | instskip(SKIP_1) | instid1(VALU_DEP_1)
	v_fmac_f32_e32 v19, v9, v161
	s_waitcnt lgkmcnt(2)
	v_fmac_f32_e32 v19, v10, v162
	s_waitcnt vmcnt(7)
	s_delay_alu instid0(VALU_DEP_1) | instskip(SKIP_4) | instid1(VALU_DEP_1)
	v_fmac_f32_e32 v19, v11, v163
	ds_load_2addr_b32 v[8:9], v2 offset0:91 offset1:92
	ds_load_2addr_b32 v[10:11], v2 offset0:93 offset1:94
	s_waitcnt lgkmcnt(3)
	v_fmac_f32_e32 v19, v12, v4
	v_fmac_f32_e32 v19, v13, v5
	ds_load_2addr_b32 v[4:5], v2 offset0:95 offset1:96
	s_waitcnt lgkmcnt(3)
	v_fmac_f32_e32 v19, v14, v6
	s_waitcnt vmcnt(6)
	s_delay_alu instid0(VALU_DEP_1) | instskip(SKIP_3) | instid1(VALU_DEP_1)
	v_fmac_f32_e32 v19, v15, v7
	ds_load_2addr_b32 v[6:7], v2 offset0:97 offset1:98
	s_waitcnt lgkmcnt(3)
	v_fmac_f32_e32 v19, v16, v8
	v_fmac_f32_e32 v19, v17, v9
	s_waitcnt lgkmcnt(2)
	s_delay_alu instid0(VALU_DEP_1) | instskip(SKIP_1) | instid1(VALU_DEP_1)
	v_fmac_f32_e32 v19, v18, v10
	s_waitcnt vmcnt(5)
	v_fmac_f32_e32 v19, v135, v11
	ds_load_2addr_b32 v[8:9], v2 offset0:99 offset1:100
	ds_load_2addr_b32 v[10:11], v2 offset0:101 offset1:102
	s_waitcnt lgkmcnt(3)
	v_fmac_f32_e32 v19, v136, v4
	s_delay_alu instid0(VALU_DEP_1) | instskip(SKIP_4) | instid1(VALU_DEP_1)
	v_fmac_f32_e32 v19, v137, v5
	ds_load_2addr_b32 v[4:5], v2 offset0:103 offset1:104
	s_waitcnt lgkmcnt(3)
	v_fmac_f32_e32 v19, v138, v6
	s_waitcnt vmcnt(4)
	v_fmac_f32_e32 v19, v139, v7
	ds_load_2addr_b32 v[6:7], v2 offset0:105 offset1:106
	s_waitcnt lgkmcnt(3)
	v_fmac_f32_e32 v19, v140, v8
	s_delay_alu instid0(VALU_DEP_1) | instskip(SKIP_1) | instid1(VALU_DEP_1)
	v_fmac_f32_e32 v19, v141, v9
	s_waitcnt lgkmcnt(2)
	v_fmac_f32_e32 v19, v142, v10
	s_waitcnt vmcnt(3)
	s_delay_alu instid0(VALU_DEP_1) | instskip(SKIP_4) | instid1(VALU_DEP_1)
	v_fmac_f32_e32 v19, v143, v11
	ds_load_2addr_b32 v[8:9], v2 offset0:107 offset1:108
	ds_load_2addr_b32 v[10:11], v2 offset0:109 offset1:110
	s_waitcnt lgkmcnt(3)
	v_fmac_f32_e32 v19, v144, v4
	v_fmac_f32_e32 v19, v145, v5
	ds_load_2addr_b32 v[4:5], v2 offset0:111 offset1:112
	s_waitcnt lgkmcnt(3)
	v_fmac_f32_e32 v19, v146, v6
	s_waitcnt vmcnt(2)
	s_delay_alu instid0(VALU_DEP_1) | instskip(SKIP_3) | instid1(VALU_DEP_1)
	v_fmac_f32_e32 v19, v147, v7
	ds_load_2addr_b32 v[6:7], v2 offset0:113 offset1:114
	s_waitcnt lgkmcnt(3)
	v_fmac_f32_e32 v19, v148, v8
	v_fmac_f32_e32 v19, v149, v9
	ds_load_2addr_b32 v[8:9], v2 offset0:115 offset1:116
	s_waitcnt lgkmcnt(3)
	v_fmac_f32_e32 v19, v150, v10
	s_waitcnt vmcnt(1)
	s_delay_alu instid0(VALU_DEP_1) | instskip(SKIP_1) | instid1(VALU_DEP_1)
	v_fmac_f32_e32 v19, v151, v11
	s_waitcnt lgkmcnt(2)
	v_fmac_f32_e32 v19, v152, v4
	s_delay_alu instid0(VALU_DEP_1) | instskip(SKIP_1) | instid1(VALU_DEP_1)
	v_fmac_f32_e32 v19, v153, v5
	s_waitcnt lgkmcnt(1)
	v_fmac_f32_e32 v19, v154, v6
	s_waitcnt vmcnt(0)
	s_delay_alu instid0(VALU_DEP_1) | instskip(SKIP_1) | instid1(VALU_DEP_1)
	v_fmac_f32_e32 v19, v155, v7
	s_waitcnt lgkmcnt(0)
	v_fmac_f32_e32 v19, v156, v8
	s_delay_alu instid0(VALU_DEP_1) | instskip(NEXT) | instid1(VALU_DEP_1)
	v_fmac_f32_e32 v19, v157, v9
	v_sub_f32_e32 v2, v3, v19
	scratch_store_b32 off, v2, off offset:72
	v_cmpx_lt_u32_e32 17, v0
	s_cbranch_execz .LBB120_315
; %bb.314:
	scratch_load_b32 v2, off, off offset:68
	v_mov_b32_e32 v3, 0
	scratch_store_b32 off, v3, off offset:68
	s_waitcnt vmcnt(0)
	ds_store_b32 v1, v2
.LBB120_315:
	s_or_b32 exec_lo, exec_lo, s0
	s_waitcnt lgkmcnt(0)
	s_waitcnt_vscnt null, 0x0
	s_barrier
	buffer_gl0_inv
	s_clause 0x9
	scratch_load_b128 v[3:6], off, off offset:68
	scratch_load_b128 v[7:10], off, off offset:84
	scratch_load_b128 v[11:14], off, off offset:100
	scratch_load_b128 v[15:18], off, off offset:116
	scratch_load_b128 v[135:138], off, off offset:132
	scratch_load_b128 v[139:142], off, off offset:148
	scratch_load_b128 v[143:146], off, off offset:164
	scratch_load_b128 v[147:150], off, off offset:180
	scratch_load_b128 v[151:154], off, off offset:196
	scratch_load_b128 v[155:158], off, off offset:212
	v_mov_b32_e32 v2, 0
	ds_load_2addr_b64 v[159:162], v2 offset0:39 offset1:40
	ds_load_2addr_b64 v[163:166], v2 offset0:41 offset1:42
	s_mov_b32 s0, exec_lo
	s_waitcnt vmcnt(9) lgkmcnt(1)
	v_fma_f32 v19, v4, v159, 0
	s_delay_alu instid0(VALU_DEP_1) | instskip(NEXT) | instid1(VALU_DEP_1)
	v_fmac_f32_e32 v19, v5, v160
	v_fmac_f32_e32 v19, v6, v161
	s_waitcnt vmcnt(8)
	s_delay_alu instid0(VALU_DEP_1) | instskip(SKIP_3) | instid1(VALU_DEP_1)
	v_fmac_f32_e32 v19, v7, v162
	ds_load_2addr_b64 v[4:7], v2 offset0:43 offset1:44
	s_waitcnt lgkmcnt(1)
	v_fmac_f32_e32 v19, v8, v163
	v_fmac_f32_e32 v19, v9, v164
	s_delay_alu instid0(VALU_DEP_1) | instskip(SKIP_1) | instid1(VALU_DEP_1)
	v_fmac_f32_e32 v19, v10, v165
	s_waitcnt vmcnt(7)
	v_fmac_f32_e32 v19, v11, v166
	ds_load_2addr_b64 v[8:11], v2 offset0:45 offset1:46
	s_waitcnt lgkmcnt(1)
	v_fmac_f32_e32 v19, v12, v4
	s_delay_alu instid0(VALU_DEP_1) | instskip(NEXT) | instid1(VALU_DEP_1)
	v_fmac_f32_e32 v19, v13, v5
	v_fmac_f32_e32 v19, v14, v6
	s_waitcnt vmcnt(6)
	s_delay_alu instid0(VALU_DEP_1) | instskip(SKIP_3) | instid1(VALU_DEP_1)
	v_fmac_f32_e32 v19, v15, v7
	ds_load_2addr_b64 v[4:7], v2 offset0:47 offset1:48
	s_waitcnt lgkmcnt(1)
	v_fmac_f32_e32 v19, v16, v8
	v_fmac_f32_e32 v19, v17, v9
	s_delay_alu instid0(VALU_DEP_1) | instskip(SKIP_1) | instid1(VALU_DEP_1)
	v_fmac_f32_e32 v19, v18, v10
	s_waitcnt vmcnt(5)
	v_fmac_f32_e32 v19, v135, v11
	ds_load_2addr_b64 v[8:11], v2 offset0:49 offset1:50
	s_waitcnt lgkmcnt(1)
	v_fmac_f32_e32 v19, v136, v4
	;; [unrolled: 17-line block ×3, first 2 shown]
	s_delay_alu instid0(VALU_DEP_1) | instskip(NEXT) | instid1(VALU_DEP_1)
	v_fmac_f32_e32 v19, v145, v5
	v_fmac_f32_e32 v19, v146, v6
	s_waitcnt vmcnt(2)
	s_delay_alu instid0(VALU_DEP_1) | instskip(SKIP_3) | instid1(VALU_DEP_1)
	v_fmac_f32_e32 v19, v147, v7
	ds_load_2addr_b64 v[4:7], v2 offset0:55 offset1:56
	s_waitcnt lgkmcnt(1)
	v_fmac_f32_e32 v19, v148, v8
	v_fmac_f32_e32 v19, v149, v9
	ds_load_b64 v[8:9], v2 offset:456
	v_fmac_f32_e32 v19, v150, v10
	s_waitcnt vmcnt(1)
	s_delay_alu instid0(VALU_DEP_1) | instskip(SKIP_1) | instid1(VALU_DEP_1)
	v_fmac_f32_e32 v19, v151, v11
	s_waitcnt lgkmcnt(1)
	v_fmac_f32_e32 v19, v152, v4
	ds_load_b32 v4, v2 offset:464
	v_fmac_f32_e32 v19, v153, v5
	s_delay_alu instid0(VALU_DEP_1) | instskip(SKIP_1) | instid1(VALU_DEP_1)
	v_fmac_f32_e32 v19, v154, v6
	s_waitcnt vmcnt(0)
	v_fmac_f32_e32 v19, v155, v7
	s_waitcnt lgkmcnt(1)
	s_delay_alu instid0(VALU_DEP_1) | instskip(NEXT) | instid1(VALU_DEP_1)
	v_fmac_f32_e32 v19, v156, v8
	v_fmac_f32_e32 v19, v157, v9
	s_waitcnt lgkmcnt(0)
	s_delay_alu instid0(VALU_DEP_1) | instskip(NEXT) | instid1(VALU_DEP_1)
	v_fmac_f32_e32 v19, v158, v4
	v_sub_f32_e32 v3, v3, v19
	scratch_store_b32 off, v3, off offset:68
	v_cmpx_lt_u32_e32 16, v0
	s_cbranch_execz .LBB120_317
; %bb.316:
	scratch_load_b32 v3, off, off offset:64
	scratch_store_b32 off, v2, off offset:64
	s_waitcnt vmcnt(0)
	ds_store_b32 v1, v3
.LBB120_317:
	s_or_b32 exec_lo, exec_lo, s0
	s_waitcnt lgkmcnt(0)
	s_waitcnt_vscnt null, 0x0
	s_barrier
	buffer_gl0_inv
	s_clause 0xa
	scratch_load_b128 v[3:6], off, off offset:64
	scratch_load_b128 v[7:10], off, off offset:80
	;; [unrolled: 1-line block ×10, first 2 shown]
	scratch_load_b32 v165, off, off offset:224
	ds_load_2addr_b32 v[19:20], v2 offset0:77 offset1:78
	ds_load_2addr_b32 v[159:160], v2 offset0:79 offset1:80
	ds_load_2addr_b32 v[161:162], v2 offset0:81 offset1:82
	ds_load_2addr_b32 v[163:164], v2 offset0:83 offset1:84
	s_mov_b32 s0, exec_lo
	s_waitcnt vmcnt(10) lgkmcnt(3)
	v_fma_f32 v19, v4, v19, 0
	s_delay_alu instid0(VALU_DEP_1) | instskip(SKIP_4) | instid1(VALU_DEP_1)
	v_fmac_f32_e32 v19, v5, v20
	ds_load_2addr_b32 v[4:5], v2 offset0:85 offset1:86
	s_waitcnt lgkmcnt(3)
	v_fmac_f32_e32 v19, v6, v159
	s_waitcnt vmcnt(9)
	v_fmac_f32_e32 v19, v7, v160
	ds_load_2addr_b32 v[6:7], v2 offset0:87 offset1:88
	s_waitcnt lgkmcnt(3)
	v_fmac_f32_e32 v19, v8, v161
	s_delay_alu instid0(VALU_DEP_1) | instskip(SKIP_1) | instid1(VALU_DEP_1)
	v_fmac_f32_e32 v19, v9, v162
	s_waitcnt lgkmcnt(2)
	v_fmac_f32_e32 v19, v10, v163
	s_waitcnt vmcnt(8)
	s_delay_alu instid0(VALU_DEP_1) | instskip(SKIP_4) | instid1(VALU_DEP_1)
	v_fmac_f32_e32 v19, v11, v164
	ds_load_2addr_b32 v[8:9], v2 offset0:89 offset1:90
	ds_load_2addr_b32 v[10:11], v2 offset0:91 offset1:92
	s_waitcnt lgkmcnt(3)
	v_fmac_f32_e32 v19, v12, v4
	v_fmac_f32_e32 v19, v13, v5
	ds_load_2addr_b32 v[4:5], v2 offset0:93 offset1:94
	s_waitcnt lgkmcnt(3)
	v_fmac_f32_e32 v19, v14, v6
	s_waitcnt vmcnt(7)
	s_delay_alu instid0(VALU_DEP_1) | instskip(SKIP_3) | instid1(VALU_DEP_1)
	v_fmac_f32_e32 v19, v15, v7
	ds_load_2addr_b32 v[6:7], v2 offset0:95 offset1:96
	s_waitcnt lgkmcnt(3)
	v_fmac_f32_e32 v19, v16, v8
	v_fmac_f32_e32 v19, v17, v9
	s_waitcnt lgkmcnt(2)
	s_delay_alu instid0(VALU_DEP_1) | instskip(SKIP_1) | instid1(VALU_DEP_1)
	v_fmac_f32_e32 v19, v18, v10
	s_waitcnt vmcnt(6)
	v_fmac_f32_e32 v19, v135, v11
	ds_load_2addr_b32 v[8:9], v2 offset0:97 offset1:98
	ds_load_2addr_b32 v[10:11], v2 offset0:99 offset1:100
	s_waitcnt lgkmcnt(3)
	v_fmac_f32_e32 v19, v136, v4
	s_delay_alu instid0(VALU_DEP_1) | instskip(SKIP_4) | instid1(VALU_DEP_1)
	v_fmac_f32_e32 v19, v137, v5
	ds_load_2addr_b32 v[4:5], v2 offset0:101 offset1:102
	s_waitcnt lgkmcnt(3)
	v_fmac_f32_e32 v19, v138, v6
	s_waitcnt vmcnt(5)
	v_fmac_f32_e32 v19, v139, v7
	ds_load_2addr_b32 v[6:7], v2 offset0:103 offset1:104
	s_waitcnt lgkmcnt(3)
	v_fmac_f32_e32 v19, v140, v8
	s_delay_alu instid0(VALU_DEP_1) | instskip(SKIP_1) | instid1(VALU_DEP_1)
	v_fmac_f32_e32 v19, v141, v9
	s_waitcnt lgkmcnt(2)
	v_fmac_f32_e32 v19, v142, v10
	s_waitcnt vmcnt(4)
	s_delay_alu instid0(VALU_DEP_1) | instskip(SKIP_4) | instid1(VALU_DEP_1)
	v_fmac_f32_e32 v19, v143, v11
	ds_load_2addr_b32 v[8:9], v2 offset0:105 offset1:106
	ds_load_2addr_b32 v[10:11], v2 offset0:107 offset1:108
	s_waitcnt lgkmcnt(3)
	v_fmac_f32_e32 v19, v144, v4
	v_fmac_f32_e32 v19, v145, v5
	ds_load_2addr_b32 v[4:5], v2 offset0:109 offset1:110
	s_waitcnt lgkmcnt(3)
	v_fmac_f32_e32 v19, v146, v6
	s_waitcnt vmcnt(3)
	s_delay_alu instid0(VALU_DEP_1) | instskip(SKIP_3) | instid1(VALU_DEP_1)
	v_fmac_f32_e32 v19, v147, v7
	ds_load_2addr_b32 v[6:7], v2 offset0:111 offset1:112
	s_waitcnt lgkmcnt(3)
	v_fmac_f32_e32 v19, v148, v8
	v_fmac_f32_e32 v19, v149, v9
	s_waitcnt lgkmcnt(2)
	s_delay_alu instid0(VALU_DEP_1) | instskip(SKIP_1) | instid1(VALU_DEP_1)
	v_fmac_f32_e32 v19, v150, v10
	s_waitcnt vmcnt(2)
	v_fmac_f32_e32 v19, v151, v11
	ds_load_2addr_b32 v[8:9], v2 offset0:113 offset1:114
	ds_load_2addr_b32 v[10:11], v2 offset0:115 offset1:116
	s_waitcnt lgkmcnt(3)
	v_fmac_f32_e32 v19, v152, v4
	s_delay_alu instid0(VALU_DEP_1) | instskip(SKIP_1) | instid1(VALU_DEP_1)
	v_fmac_f32_e32 v19, v153, v5
	s_waitcnt lgkmcnt(2)
	v_fmac_f32_e32 v19, v154, v6
	s_waitcnt vmcnt(1)
	s_delay_alu instid0(VALU_DEP_1) | instskip(SKIP_1) | instid1(VALU_DEP_1)
	v_fmac_f32_e32 v19, v155, v7
	s_waitcnt lgkmcnt(1)
	v_fmac_f32_e32 v19, v156, v8
	s_delay_alu instid0(VALU_DEP_1) | instskip(SKIP_1) | instid1(VALU_DEP_1)
	v_fmac_f32_e32 v19, v157, v9
	s_waitcnt lgkmcnt(0)
	v_fmac_f32_e32 v19, v158, v10
	s_waitcnt vmcnt(0)
	s_delay_alu instid0(VALU_DEP_1) | instskip(NEXT) | instid1(VALU_DEP_1)
	v_fmac_f32_e32 v19, v165, v11
	v_sub_f32_e32 v2, v3, v19
	scratch_store_b32 off, v2, off offset:64
	v_cmpx_lt_u32_e32 15, v0
	s_cbranch_execz .LBB120_319
; %bb.318:
	scratch_load_b32 v2, off, off offset:60
	v_mov_b32_e32 v3, 0
	scratch_store_b32 off, v3, off offset:60
	s_waitcnt vmcnt(0)
	ds_store_b32 v1, v2
.LBB120_319:
	s_or_b32 exec_lo, exec_lo, s0
	s_waitcnt lgkmcnt(0)
	s_waitcnt_vscnt null, 0x0
	s_barrier
	buffer_gl0_inv
	s_clause 0xa
	scratch_load_b128 v[3:6], off, off offset:60
	scratch_load_b128 v[7:10], off, off offset:76
	;; [unrolled: 1-line block ×10, first 2 shown]
	scratch_load_b64 v[19:20], off, off offset:220
	v_mov_b32_e32 v2, 0
	ds_load_b128 v[159:162], v2 offset:304
	ds_load_b128 v[163:166], v2 offset:320
	s_mov_b32 s0, exec_lo
	s_waitcnt vmcnt(10) lgkmcnt(1)
	v_fma_f32 v159, v4, v159, 0
	s_delay_alu instid0(VALU_DEP_1) | instskip(NEXT) | instid1(VALU_DEP_1)
	v_fmac_f32_e32 v159, v5, v160
	v_fmac_f32_e32 v159, v6, v161
	s_waitcnt vmcnt(9)
	s_delay_alu instid0(VALU_DEP_1) | instskip(SKIP_3) | instid1(VALU_DEP_1)
	v_fmac_f32_e32 v159, v7, v162
	ds_load_b128 v[4:7], v2 offset:336
	s_waitcnt lgkmcnt(1)
	v_fmac_f32_e32 v159, v8, v163
	v_fmac_f32_e32 v159, v9, v164
	s_delay_alu instid0(VALU_DEP_1) | instskip(SKIP_1) | instid1(VALU_DEP_1)
	v_fmac_f32_e32 v159, v10, v165
	s_waitcnt vmcnt(8)
	v_fmac_f32_e32 v159, v11, v166
	ds_load_b128 v[8:11], v2 offset:352
	s_waitcnt lgkmcnt(1)
	v_fmac_f32_e32 v159, v12, v4
	s_delay_alu instid0(VALU_DEP_1) | instskip(NEXT) | instid1(VALU_DEP_1)
	v_fmac_f32_e32 v159, v13, v5
	v_fmac_f32_e32 v159, v14, v6
	s_waitcnt vmcnt(7)
	s_delay_alu instid0(VALU_DEP_1) | instskip(SKIP_3) | instid1(VALU_DEP_1)
	v_fmac_f32_e32 v159, v15, v7
	ds_load_b128 v[4:7], v2 offset:368
	s_waitcnt lgkmcnt(1)
	v_fmac_f32_e32 v159, v16, v8
	v_fmac_f32_e32 v159, v17, v9
	s_delay_alu instid0(VALU_DEP_1) | instskip(SKIP_1) | instid1(VALU_DEP_1)
	v_fmac_f32_e32 v159, v18, v10
	s_waitcnt vmcnt(6)
	v_fmac_f32_e32 v159, v135, v11
	ds_load_b128 v[8:11], v2 offset:384
	s_waitcnt lgkmcnt(1)
	v_fmac_f32_e32 v159, v136, v4
	;; [unrolled: 17-line block ×4, first 2 shown]
	ds_load_b32 v4, v2 offset:464
	v_fmac_f32_e32 v159, v153, v5
	s_delay_alu instid0(VALU_DEP_1) | instskip(SKIP_1) | instid1(VALU_DEP_1)
	v_fmac_f32_e32 v159, v154, v6
	s_waitcnt vmcnt(1)
	v_fmac_f32_e32 v159, v155, v7
	s_waitcnt lgkmcnt(1)
	s_delay_alu instid0(VALU_DEP_1) | instskip(NEXT) | instid1(VALU_DEP_1)
	v_fmac_f32_e32 v159, v156, v8
	v_fmac_f32_e32 v159, v157, v9
	s_delay_alu instid0(VALU_DEP_1) | instskip(SKIP_1) | instid1(VALU_DEP_1)
	v_fmac_f32_e32 v159, v158, v10
	s_waitcnt vmcnt(0)
	v_fmac_f32_e32 v159, v19, v11
	s_waitcnt lgkmcnt(0)
	s_delay_alu instid0(VALU_DEP_1) | instskip(NEXT) | instid1(VALU_DEP_1)
	v_fmac_f32_e32 v159, v20, v4
	v_sub_f32_e32 v3, v3, v159
	scratch_store_b32 off, v3, off offset:60
	v_cmpx_lt_u32_e32 14, v0
	s_cbranch_execz .LBB120_321
; %bb.320:
	scratch_load_b32 v3, off, off offset:56
	scratch_store_b32 off, v2, off offset:56
	s_waitcnt vmcnt(0)
	ds_store_b32 v1, v3
.LBB120_321:
	s_or_b32 exec_lo, exec_lo, s0
	s_waitcnt lgkmcnt(0)
	s_waitcnt_vscnt null, 0x0
	s_barrier
	buffer_gl0_inv
	s_clause 0xa
	scratch_load_b128 v[3:6], off, off offset:56
	scratch_load_b128 v[7:10], off, off offset:72
	;; [unrolled: 1-line block ×10, first 2 shown]
	scratch_load_b96 v[159:161], off, off offset:216
	ds_load_2addr_b32 v[19:20], v2 offset0:75 offset1:76
	ds_load_2addr_b32 v[162:163], v2 offset0:77 offset1:78
	;; [unrolled: 1-line block ×3, first 2 shown]
	s_mov_b32 s0, exec_lo
	s_waitcnt vmcnt(10) lgkmcnt(2)
	v_fma_f32 v19, v4, v19, 0
	s_delay_alu instid0(VALU_DEP_1) | instskip(SKIP_4) | instid1(VALU_DEP_1)
	v_fmac_f32_e32 v19, v5, v20
	ds_load_2addr_b32 v[4:5], v2 offset0:81 offset1:82
	s_waitcnt lgkmcnt(2)
	v_fmac_f32_e32 v19, v6, v162
	s_waitcnt vmcnt(9)
	v_fmac_f32_e32 v19, v7, v163
	ds_load_2addr_b32 v[6:7], v2 offset0:83 offset1:84
	s_waitcnt lgkmcnt(2)
	v_fmac_f32_e32 v19, v8, v164
	s_delay_alu instid0(VALU_DEP_1) | instskip(SKIP_4) | instid1(VALU_DEP_1)
	v_fmac_f32_e32 v19, v9, v165
	ds_load_2addr_b32 v[8:9], v2 offset0:85 offset1:86
	s_waitcnt lgkmcnt(2)
	v_fmac_f32_e32 v19, v10, v4
	s_waitcnt vmcnt(8)
	v_fmac_f32_e32 v19, v11, v5
	ds_load_2addr_b32 v[4:5], v2 offset0:87 offset1:88
	s_waitcnt lgkmcnt(2)
	v_fmac_f32_e32 v19, v12, v6
	;; [unrolled: 10-line block ×9, first 2 shown]
	s_delay_alu instid0(VALU_DEP_1) | instskip(SKIP_1) | instid1(VALU_DEP_1)
	v_fmac_f32_e32 v19, v157, v5
	s_waitcnt lgkmcnt(1)
	v_fmac_f32_e32 v19, v158, v6
	s_waitcnt vmcnt(0)
	s_delay_alu instid0(VALU_DEP_1) | instskip(SKIP_1) | instid1(VALU_DEP_1)
	v_fmac_f32_e32 v19, v159, v7
	s_waitcnt lgkmcnt(0)
	v_fmac_f32_e32 v19, v160, v8
	s_delay_alu instid0(VALU_DEP_1) | instskip(NEXT) | instid1(VALU_DEP_1)
	v_fmac_f32_e32 v19, v161, v9
	v_sub_f32_e32 v2, v3, v19
	scratch_store_b32 off, v2, off offset:56
	v_cmpx_lt_u32_e32 13, v0
	s_cbranch_execz .LBB120_323
; %bb.322:
	scratch_load_b32 v2, off, off offset:52
	v_mov_b32_e32 v3, 0
	scratch_store_b32 off, v3, off offset:52
	s_waitcnt vmcnt(0)
	ds_store_b32 v1, v2
.LBB120_323:
	s_or_b32 exec_lo, exec_lo, s0
	s_waitcnt lgkmcnt(0)
	s_waitcnt_vscnt null, 0x0
	s_barrier
	buffer_gl0_inv
	s_clause 0xa
	scratch_load_b128 v[3:6], off, off offset:52
	scratch_load_b128 v[7:10], off, off offset:68
	;; [unrolled: 1-line block ×11, first 2 shown]
	v_mov_b32_e32 v2, 0
	ds_load_2addr_b64 v[163:166], v2 offset0:37 offset1:38
	ds_load_2addr_b64 v[167:170], v2 offset0:39 offset1:40
	s_mov_b32 s0, exec_lo
	s_waitcnt vmcnt(10) lgkmcnt(1)
	v_fma_f32 v19, v4, v163, 0
	s_delay_alu instid0(VALU_DEP_1) | instskip(NEXT) | instid1(VALU_DEP_1)
	v_fmac_f32_e32 v19, v5, v164
	v_fmac_f32_e32 v19, v6, v165
	s_waitcnt vmcnt(9)
	s_delay_alu instid0(VALU_DEP_1) | instskip(SKIP_3) | instid1(VALU_DEP_1)
	v_fmac_f32_e32 v19, v7, v166
	ds_load_2addr_b64 v[4:7], v2 offset0:41 offset1:42
	s_waitcnt lgkmcnt(1)
	v_fmac_f32_e32 v19, v8, v167
	v_fmac_f32_e32 v19, v9, v168
	s_delay_alu instid0(VALU_DEP_1) | instskip(SKIP_1) | instid1(VALU_DEP_1)
	v_fmac_f32_e32 v19, v10, v169
	s_waitcnt vmcnt(8)
	v_fmac_f32_e32 v19, v11, v170
	ds_load_2addr_b64 v[8:11], v2 offset0:43 offset1:44
	s_waitcnt lgkmcnt(1)
	v_fmac_f32_e32 v19, v12, v4
	s_delay_alu instid0(VALU_DEP_1) | instskip(NEXT) | instid1(VALU_DEP_1)
	v_fmac_f32_e32 v19, v13, v5
	v_fmac_f32_e32 v19, v14, v6
	s_waitcnt vmcnt(7)
	s_delay_alu instid0(VALU_DEP_1) | instskip(SKIP_3) | instid1(VALU_DEP_1)
	v_fmac_f32_e32 v19, v15, v7
	ds_load_2addr_b64 v[4:7], v2 offset0:45 offset1:46
	s_waitcnt lgkmcnt(1)
	v_fmac_f32_e32 v19, v16, v8
	v_fmac_f32_e32 v19, v17, v9
	s_delay_alu instid0(VALU_DEP_1) | instskip(SKIP_1) | instid1(VALU_DEP_1)
	v_fmac_f32_e32 v19, v18, v10
	s_waitcnt vmcnt(6)
	v_fmac_f32_e32 v19, v135, v11
	ds_load_2addr_b64 v[8:11], v2 offset0:47 offset1:48
	s_waitcnt lgkmcnt(1)
	v_fmac_f32_e32 v19, v136, v4
	;; [unrolled: 17-line block ×4, first 2 shown]
	s_delay_alu instid0(VALU_DEP_1)
	v_fmac_f32_e32 v19, v153, v5
	ds_load_b64 v[4:5], v2 offset:456
	v_fmac_f32_e32 v19, v154, v6
	ds_load_b32 v6, v2 offset:464
	s_waitcnt vmcnt(1)
	v_fmac_f32_e32 v19, v155, v7
	s_waitcnt lgkmcnt(2)
	s_delay_alu instid0(VALU_DEP_1) | instskip(NEXT) | instid1(VALU_DEP_1)
	v_fmac_f32_e32 v19, v156, v8
	v_fmac_f32_e32 v19, v157, v9
	s_delay_alu instid0(VALU_DEP_1) | instskip(SKIP_1) | instid1(VALU_DEP_1)
	v_fmac_f32_e32 v19, v158, v10
	s_waitcnt vmcnt(0)
	v_fmac_f32_e32 v19, v159, v11
	s_waitcnt lgkmcnt(1)
	s_delay_alu instid0(VALU_DEP_1) | instskip(NEXT) | instid1(VALU_DEP_1)
	v_fmac_f32_e32 v19, v160, v4
	v_fmac_f32_e32 v19, v161, v5
	s_waitcnt lgkmcnt(0)
	s_delay_alu instid0(VALU_DEP_1) | instskip(NEXT) | instid1(VALU_DEP_1)
	v_fmac_f32_e32 v19, v162, v6
	v_sub_f32_e32 v3, v3, v19
	scratch_store_b32 off, v3, off offset:52
	v_cmpx_lt_u32_e32 12, v0
	s_cbranch_execz .LBB120_325
; %bb.324:
	scratch_load_b32 v3, off, off offset:48
	scratch_store_b32 off, v2, off offset:48
	s_waitcnt vmcnt(0)
	ds_store_b32 v1, v3
.LBB120_325:
	s_or_b32 exec_lo, exec_lo, s0
	s_waitcnt lgkmcnt(0)
	s_waitcnt_vscnt null, 0x0
	s_barrier
	buffer_gl0_inv
	s_clause 0xb
	scratch_load_b128 v[3:6], off, off offset:48
	scratch_load_b128 v[7:10], off, off offset:64
	;; [unrolled: 1-line block ×11, first 2 shown]
	scratch_load_b32 v169, off, off offset:224
	ds_load_2addr_b32 v[19:20], v2 offset0:73 offset1:74
	ds_load_2addr_b32 v[163:164], v2 offset0:75 offset1:76
	;; [unrolled: 1-line block ×4, first 2 shown]
	s_mov_b32 s0, exec_lo
	s_waitcnt vmcnt(11) lgkmcnt(3)
	v_fma_f32 v19, v4, v19, 0
	s_delay_alu instid0(VALU_DEP_1) | instskip(SKIP_4) | instid1(VALU_DEP_1)
	v_fmac_f32_e32 v19, v5, v20
	ds_load_2addr_b32 v[4:5], v2 offset0:81 offset1:82
	s_waitcnt lgkmcnt(3)
	v_fmac_f32_e32 v19, v6, v163
	s_waitcnt vmcnt(10)
	v_fmac_f32_e32 v19, v7, v164
	ds_load_2addr_b32 v[6:7], v2 offset0:83 offset1:84
	s_waitcnt lgkmcnt(3)
	v_fmac_f32_e32 v19, v8, v165
	s_delay_alu instid0(VALU_DEP_1) | instskip(SKIP_1) | instid1(VALU_DEP_1)
	v_fmac_f32_e32 v19, v9, v166
	s_waitcnt lgkmcnt(2)
	v_fmac_f32_e32 v19, v10, v167
	s_waitcnt vmcnt(9)
	s_delay_alu instid0(VALU_DEP_1) | instskip(SKIP_4) | instid1(VALU_DEP_1)
	v_fmac_f32_e32 v19, v11, v168
	ds_load_2addr_b32 v[8:9], v2 offset0:85 offset1:86
	ds_load_2addr_b32 v[10:11], v2 offset0:87 offset1:88
	s_waitcnt lgkmcnt(3)
	v_fmac_f32_e32 v19, v12, v4
	v_fmac_f32_e32 v19, v13, v5
	ds_load_2addr_b32 v[4:5], v2 offset0:89 offset1:90
	s_waitcnt lgkmcnt(3)
	v_fmac_f32_e32 v19, v14, v6
	s_waitcnt vmcnt(8)
	s_delay_alu instid0(VALU_DEP_1) | instskip(SKIP_3) | instid1(VALU_DEP_1)
	v_fmac_f32_e32 v19, v15, v7
	ds_load_2addr_b32 v[6:7], v2 offset0:91 offset1:92
	s_waitcnt lgkmcnt(3)
	v_fmac_f32_e32 v19, v16, v8
	v_fmac_f32_e32 v19, v17, v9
	s_waitcnt lgkmcnt(2)
	s_delay_alu instid0(VALU_DEP_1) | instskip(SKIP_1) | instid1(VALU_DEP_1)
	v_fmac_f32_e32 v19, v18, v10
	s_waitcnt vmcnt(7)
	v_fmac_f32_e32 v19, v135, v11
	ds_load_2addr_b32 v[8:9], v2 offset0:93 offset1:94
	ds_load_2addr_b32 v[10:11], v2 offset0:95 offset1:96
	s_waitcnt lgkmcnt(3)
	v_fmac_f32_e32 v19, v136, v4
	s_delay_alu instid0(VALU_DEP_1) | instskip(SKIP_4) | instid1(VALU_DEP_1)
	v_fmac_f32_e32 v19, v137, v5
	ds_load_2addr_b32 v[4:5], v2 offset0:97 offset1:98
	s_waitcnt lgkmcnt(3)
	v_fmac_f32_e32 v19, v138, v6
	s_waitcnt vmcnt(6)
	v_fmac_f32_e32 v19, v139, v7
	ds_load_2addr_b32 v[6:7], v2 offset0:99 offset1:100
	s_waitcnt lgkmcnt(3)
	v_fmac_f32_e32 v19, v140, v8
	s_delay_alu instid0(VALU_DEP_1) | instskip(SKIP_1) | instid1(VALU_DEP_1)
	v_fmac_f32_e32 v19, v141, v9
	s_waitcnt lgkmcnt(2)
	v_fmac_f32_e32 v19, v142, v10
	s_waitcnt vmcnt(5)
	s_delay_alu instid0(VALU_DEP_1) | instskip(SKIP_4) | instid1(VALU_DEP_1)
	v_fmac_f32_e32 v19, v143, v11
	ds_load_2addr_b32 v[8:9], v2 offset0:101 offset1:102
	ds_load_2addr_b32 v[10:11], v2 offset0:103 offset1:104
	s_waitcnt lgkmcnt(3)
	v_fmac_f32_e32 v19, v144, v4
	v_fmac_f32_e32 v19, v145, v5
	ds_load_2addr_b32 v[4:5], v2 offset0:105 offset1:106
	s_waitcnt lgkmcnt(3)
	v_fmac_f32_e32 v19, v146, v6
	s_waitcnt vmcnt(4)
	s_delay_alu instid0(VALU_DEP_1) | instskip(SKIP_3) | instid1(VALU_DEP_1)
	v_fmac_f32_e32 v19, v147, v7
	ds_load_2addr_b32 v[6:7], v2 offset0:107 offset1:108
	s_waitcnt lgkmcnt(3)
	v_fmac_f32_e32 v19, v148, v8
	v_fmac_f32_e32 v19, v149, v9
	s_waitcnt lgkmcnt(2)
	s_delay_alu instid0(VALU_DEP_1) | instskip(SKIP_1) | instid1(VALU_DEP_1)
	v_fmac_f32_e32 v19, v150, v10
	s_waitcnt vmcnt(3)
	v_fmac_f32_e32 v19, v151, v11
	ds_load_2addr_b32 v[8:9], v2 offset0:109 offset1:110
	ds_load_2addr_b32 v[10:11], v2 offset0:111 offset1:112
	s_waitcnt lgkmcnt(3)
	v_fmac_f32_e32 v19, v152, v4
	s_delay_alu instid0(VALU_DEP_1) | instskip(SKIP_4) | instid1(VALU_DEP_1)
	v_fmac_f32_e32 v19, v153, v5
	ds_load_2addr_b32 v[4:5], v2 offset0:113 offset1:114
	s_waitcnt lgkmcnt(3)
	v_fmac_f32_e32 v19, v154, v6
	s_waitcnt vmcnt(2)
	v_fmac_f32_e32 v19, v155, v7
	ds_load_2addr_b32 v[6:7], v2 offset0:115 offset1:116
	s_waitcnt lgkmcnt(3)
	v_fmac_f32_e32 v19, v156, v8
	s_delay_alu instid0(VALU_DEP_1) | instskip(SKIP_1) | instid1(VALU_DEP_1)
	v_fmac_f32_e32 v19, v157, v9
	s_waitcnt lgkmcnt(2)
	v_fmac_f32_e32 v19, v158, v10
	s_waitcnt vmcnt(1)
	s_delay_alu instid0(VALU_DEP_1) | instskip(SKIP_1) | instid1(VALU_DEP_1)
	v_fmac_f32_e32 v19, v159, v11
	s_waitcnt lgkmcnt(1)
	v_fmac_f32_e32 v19, v160, v4
	s_delay_alu instid0(VALU_DEP_1) | instskip(SKIP_1) | instid1(VALU_DEP_1)
	v_fmac_f32_e32 v19, v161, v5
	s_waitcnt lgkmcnt(0)
	v_fmac_f32_e32 v19, v162, v6
	s_waitcnt vmcnt(0)
	s_delay_alu instid0(VALU_DEP_1) | instskip(NEXT) | instid1(VALU_DEP_1)
	v_fmac_f32_e32 v19, v169, v7
	v_sub_f32_e32 v2, v3, v19
	scratch_store_b32 off, v2, off offset:48
	v_cmpx_lt_u32_e32 11, v0
	s_cbranch_execz .LBB120_327
; %bb.326:
	scratch_load_b32 v2, off, off offset:44
	v_mov_b32_e32 v3, 0
	scratch_store_b32 off, v3, off offset:44
	s_waitcnt vmcnt(0)
	ds_store_b32 v1, v2
.LBB120_327:
	s_or_b32 exec_lo, exec_lo, s0
	s_waitcnt lgkmcnt(0)
	s_waitcnt_vscnt null, 0x0
	s_barrier
	buffer_gl0_inv
	s_clause 0xb
	scratch_load_b128 v[3:6], off, off offset:44
	scratch_load_b128 v[7:10], off, off offset:60
	;; [unrolled: 1-line block ×11, first 2 shown]
	scratch_load_b64 v[19:20], off, off offset:220
	v_mov_b32_e32 v2, 0
	ds_load_b128 v[163:166], v2 offset:288
	ds_load_b128 v[167:170], v2 offset:304
	s_mov_b32 s0, exec_lo
	s_waitcnt vmcnt(11) lgkmcnt(1)
	v_fma_f32 v163, v4, v163, 0
	s_delay_alu instid0(VALU_DEP_1) | instskip(NEXT) | instid1(VALU_DEP_1)
	v_fmac_f32_e32 v163, v5, v164
	v_fmac_f32_e32 v163, v6, v165
	s_waitcnt vmcnt(10)
	s_delay_alu instid0(VALU_DEP_1) | instskip(SKIP_3) | instid1(VALU_DEP_1)
	v_fmac_f32_e32 v163, v7, v166
	ds_load_b128 v[4:7], v2 offset:320
	s_waitcnt lgkmcnt(1)
	v_fmac_f32_e32 v163, v8, v167
	v_fmac_f32_e32 v163, v9, v168
	s_delay_alu instid0(VALU_DEP_1) | instskip(SKIP_1) | instid1(VALU_DEP_1)
	v_fmac_f32_e32 v163, v10, v169
	s_waitcnt vmcnt(9)
	v_fmac_f32_e32 v163, v11, v170
	ds_load_b128 v[8:11], v2 offset:336
	s_waitcnt lgkmcnt(1)
	v_fmac_f32_e32 v163, v12, v4
	s_delay_alu instid0(VALU_DEP_1) | instskip(NEXT) | instid1(VALU_DEP_1)
	v_fmac_f32_e32 v163, v13, v5
	v_fmac_f32_e32 v163, v14, v6
	s_waitcnt vmcnt(8)
	s_delay_alu instid0(VALU_DEP_1) | instskip(SKIP_3) | instid1(VALU_DEP_1)
	v_fmac_f32_e32 v163, v15, v7
	ds_load_b128 v[4:7], v2 offset:352
	s_waitcnt lgkmcnt(1)
	v_fmac_f32_e32 v163, v16, v8
	v_fmac_f32_e32 v163, v17, v9
	s_delay_alu instid0(VALU_DEP_1) | instskip(SKIP_1) | instid1(VALU_DEP_1)
	v_fmac_f32_e32 v163, v18, v10
	s_waitcnt vmcnt(7)
	v_fmac_f32_e32 v163, v135, v11
	ds_load_b128 v[8:11], v2 offset:368
	s_waitcnt lgkmcnt(1)
	v_fmac_f32_e32 v163, v136, v4
	;; [unrolled: 17-line block ×4, first 2 shown]
	s_delay_alu instid0(VALU_DEP_1) | instskip(NEXT) | instid1(VALU_DEP_1)
	v_fmac_f32_e32 v163, v153, v5
	v_fmac_f32_e32 v163, v154, v6
	s_waitcnt vmcnt(2)
	s_delay_alu instid0(VALU_DEP_1)
	v_fmac_f32_e32 v163, v155, v7
	ds_load_b128 v[4:7], v2 offset:448
	s_waitcnt lgkmcnt(1)
	v_fmac_f32_e32 v163, v156, v8
	ds_load_b32 v8, v2 offset:464
	v_fmac_f32_e32 v163, v157, v9
	s_delay_alu instid0(VALU_DEP_1) | instskip(SKIP_1) | instid1(VALU_DEP_1)
	v_fmac_f32_e32 v163, v158, v10
	s_waitcnt vmcnt(1)
	v_fmac_f32_e32 v163, v159, v11
	s_waitcnt lgkmcnt(1)
	s_delay_alu instid0(VALU_DEP_1) | instskip(NEXT) | instid1(VALU_DEP_1)
	v_fmac_f32_e32 v163, v160, v4
	v_fmac_f32_e32 v163, v161, v5
	s_delay_alu instid0(VALU_DEP_1) | instskip(SKIP_1) | instid1(VALU_DEP_1)
	v_fmac_f32_e32 v163, v162, v6
	s_waitcnt vmcnt(0)
	v_fmac_f32_e32 v163, v19, v7
	s_waitcnt lgkmcnt(0)
	s_delay_alu instid0(VALU_DEP_1) | instskip(NEXT) | instid1(VALU_DEP_1)
	v_fmac_f32_e32 v163, v20, v8
	v_sub_f32_e32 v3, v3, v163
	scratch_store_b32 off, v3, off offset:44
	v_cmpx_lt_u32_e32 10, v0
	s_cbranch_execz .LBB120_329
; %bb.328:
	scratch_load_b32 v3, off, off offset:40
	scratch_store_b32 off, v2, off offset:40
	s_waitcnt vmcnt(0)
	ds_store_b32 v1, v3
.LBB120_329:
	s_or_b32 exec_lo, exec_lo, s0
	s_waitcnt lgkmcnt(0)
	s_waitcnt_vscnt null, 0x0
	s_barrier
	buffer_gl0_inv
	s_clause 0xb
	scratch_load_b128 v[3:6], off, off offset:40
	scratch_load_b128 v[7:10], off, off offset:56
	;; [unrolled: 1-line block ×11, first 2 shown]
	scratch_load_b96 v[163:165], off, off offset:216
	ds_load_2addr_b32 v[19:20], v2 offset0:71 offset1:72
	ds_load_2addr_b32 v[166:167], v2 offset0:73 offset1:74
	;; [unrolled: 1-line block ×4, first 2 shown]
	s_mov_b32 s0, exec_lo
	s_waitcnt vmcnt(11) lgkmcnt(3)
	v_fma_f32 v19, v4, v19, 0
	s_delay_alu instid0(VALU_DEP_1) | instskip(SKIP_4) | instid1(VALU_DEP_1)
	v_fmac_f32_e32 v19, v5, v20
	ds_load_2addr_b32 v[4:5], v2 offset0:79 offset1:80
	s_waitcnt lgkmcnt(3)
	v_fmac_f32_e32 v19, v6, v166
	s_waitcnt vmcnt(10)
	v_fmac_f32_e32 v19, v7, v167
	ds_load_2addr_b32 v[6:7], v2 offset0:81 offset1:82
	s_waitcnt lgkmcnt(3)
	v_fmac_f32_e32 v19, v8, v168
	s_delay_alu instid0(VALU_DEP_1) | instskip(SKIP_1) | instid1(VALU_DEP_1)
	v_fmac_f32_e32 v19, v9, v169
	s_waitcnt lgkmcnt(2)
	v_fmac_f32_e32 v19, v10, v170
	s_waitcnt vmcnt(9)
	s_delay_alu instid0(VALU_DEP_1) | instskip(SKIP_4) | instid1(VALU_DEP_1)
	v_fmac_f32_e32 v19, v11, v171
	ds_load_2addr_b32 v[8:9], v2 offset0:83 offset1:84
	ds_load_2addr_b32 v[10:11], v2 offset0:85 offset1:86
	s_waitcnt lgkmcnt(3)
	v_fmac_f32_e32 v19, v12, v4
	v_fmac_f32_e32 v19, v13, v5
	ds_load_2addr_b32 v[4:5], v2 offset0:87 offset1:88
	s_waitcnt lgkmcnt(3)
	v_fmac_f32_e32 v19, v14, v6
	s_waitcnt vmcnt(8)
	s_delay_alu instid0(VALU_DEP_1) | instskip(SKIP_3) | instid1(VALU_DEP_1)
	v_fmac_f32_e32 v19, v15, v7
	ds_load_2addr_b32 v[6:7], v2 offset0:89 offset1:90
	s_waitcnt lgkmcnt(3)
	v_fmac_f32_e32 v19, v16, v8
	v_fmac_f32_e32 v19, v17, v9
	s_waitcnt lgkmcnt(2)
	s_delay_alu instid0(VALU_DEP_1) | instskip(SKIP_1) | instid1(VALU_DEP_1)
	v_fmac_f32_e32 v19, v18, v10
	s_waitcnt vmcnt(7)
	v_fmac_f32_e32 v19, v135, v11
	ds_load_2addr_b32 v[8:9], v2 offset0:91 offset1:92
	ds_load_2addr_b32 v[10:11], v2 offset0:93 offset1:94
	s_waitcnt lgkmcnt(3)
	v_fmac_f32_e32 v19, v136, v4
	s_delay_alu instid0(VALU_DEP_1) | instskip(SKIP_4) | instid1(VALU_DEP_1)
	v_fmac_f32_e32 v19, v137, v5
	ds_load_2addr_b32 v[4:5], v2 offset0:95 offset1:96
	s_waitcnt lgkmcnt(3)
	v_fmac_f32_e32 v19, v138, v6
	s_waitcnt vmcnt(6)
	v_fmac_f32_e32 v19, v139, v7
	ds_load_2addr_b32 v[6:7], v2 offset0:97 offset1:98
	s_waitcnt lgkmcnt(3)
	v_fmac_f32_e32 v19, v140, v8
	s_delay_alu instid0(VALU_DEP_1) | instskip(SKIP_1) | instid1(VALU_DEP_1)
	v_fmac_f32_e32 v19, v141, v9
	s_waitcnt lgkmcnt(2)
	v_fmac_f32_e32 v19, v142, v10
	s_waitcnt vmcnt(5)
	s_delay_alu instid0(VALU_DEP_1) | instskip(SKIP_4) | instid1(VALU_DEP_1)
	v_fmac_f32_e32 v19, v143, v11
	ds_load_2addr_b32 v[8:9], v2 offset0:99 offset1:100
	ds_load_2addr_b32 v[10:11], v2 offset0:101 offset1:102
	s_waitcnt lgkmcnt(3)
	v_fmac_f32_e32 v19, v144, v4
	v_fmac_f32_e32 v19, v145, v5
	ds_load_2addr_b32 v[4:5], v2 offset0:103 offset1:104
	s_waitcnt lgkmcnt(3)
	v_fmac_f32_e32 v19, v146, v6
	s_waitcnt vmcnt(4)
	s_delay_alu instid0(VALU_DEP_1) | instskip(SKIP_3) | instid1(VALU_DEP_1)
	v_fmac_f32_e32 v19, v147, v7
	ds_load_2addr_b32 v[6:7], v2 offset0:105 offset1:106
	s_waitcnt lgkmcnt(3)
	v_fmac_f32_e32 v19, v148, v8
	v_fmac_f32_e32 v19, v149, v9
	s_waitcnt lgkmcnt(2)
	s_delay_alu instid0(VALU_DEP_1) | instskip(SKIP_1) | instid1(VALU_DEP_1)
	v_fmac_f32_e32 v19, v150, v10
	s_waitcnt vmcnt(3)
	v_fmac_f32_e32 v19, v151, v11
	ds_load_2addr_b32 v[8:9], v2 offset0:107 offset1:108
	ds_load_2addr_b32 v[10:11], v2 offset0:109 offset1:110
	s_waitcnt lgkmcnt(3)
	v_fmac_f32_e32 v19, v152, v4
	s_delay_alu instid0(VALU_DEP_1) | instskip(SKIP_4) | instid1(VALU_DEP_1)
	v_fmac_f32_e32 v19, v153, v5
	ds_load_2addr_b32 v[4:5], v2 offset0:111 offset1:112
	s_waitcnt lgkmcnt(3)
	v_fmac_f32_e32 v19, v154, v6
	s_waitcnt vmcnt(2)
	v_fmac_f32_e32 v19, v155, v7
	ds_load_2addr_b32 v[6:7], v2 offset0:113 offset1:114
	s_waitcnt lgkmcnt(3)
	v_fmac_f32_e32 v19, v156, v8
	s_delay_alu instid0(VALU_DEP_1) | instskip(SKIP_4) | instid1(VALU_DEP_1)
	v_fmac_f32_e32 v19, v157, v9
	ds_load_2addr_b32 v[8:9], v2 offset0:115 offset1:116
	s_waitcnt lgkmcnt(3)
	v_fmac_f32_e32 v19, v158, v10
	s_waitcnt vmcnt(1)
	v_fmac_f32_e32 v19, v159, v11
	s_waitcnt lgkmcnt(2)
	s_delay_alu instid0(VALU_DEP_1) | instskip(NEXT) | instid1(VALU_DEP_1)
	v_fmac_f32_e32 v19, v160, v4
	v_fmac_f32_e32 v19, v161, v5
	s_waitcnt lgkmcnt(1)
	s_delay_alu instid0(VALU_DEP_1) | instskip(SKIP_1) | instid1(VALU_DEP_1)
	v_fmac_f32_e32 v19, v162, v6
	s_waitcnt vmcnt(0)
	v_fmac_f32_e32 v19, v163, v7
	s_waitcnt lgkmcnt(0)
	s_delay_alu instid0(VALU_DEP_1) | instskip(NEXT) | instid1(VALU_DEP_1)
	v_fmac_f32_e32 v19, v164, v8
	v_fmac_f32_e32 v19, v165, v9
	s_delay_alu instid0(VALU_DEP_1)
	v_sub_f32_e32 v2, v3, v19
	scratch_store_b32 off, v2, off offset:40
	v_cmpx_lt_u32_e32 9, v0
	s_cbranch_execz .LBB120_331
; %bb.330:
	scratch_load_b32 v2, off, off offset:36
	v_mov_b32_e32 v3, 0
	scratch_store_b32 off, v3, off offset:36
	s_waitcnt vmcnt(0)
	ds_store_b32 v1, v2
.LBB120_331:
	s_or_b32 exec_lo, exec_lo, s0
	s_waitcnt lgkmcnt(0)
	s_waitcnt_vscnt null, 0x0
	s_barrier
	buffer_gl0_inv
	s_clause 0xb
	scratch_load_b128 v[3:6], off, off offset:36
	scratch_load_b128 v[7:10], off, off offset:52
	;; [unrolled: 1-line block ×12, first 2 shown]
	v_mov_b32_e32 v2, 0
	ds_load_2addr_b64 v[167:170], v2 offset0:35 offset1:36
	ds_load_2addr_b64 v[171:174], v2 offset0:37 offset1:38
	s_mov_b32 s0, exec_lo
	s_waitcnt vmcnt(11) lgkmcnt(1)
	v_fma_f32 v19, v4, v167, 0
	s_delay_alu instid0(VALU_DEP_1) | instskip(NEXT) | instid1(VALU_DEP_1)
	v_fmac_f32_e32 v19, v5, v168
	v_fmac_f32_e32 v19, v6, v169
	s_waitcnt vmcnt(10)
	s_delay_alu instid0(VALU_DEP_1) | instskip(SKIP_3) | instid1(VALU_DEP_1)
	v_fmac_f32_e32 v19, v7, v170
	ds_load_2addr_b64 v[4:7], v2 offset0:39 offset1:40
	s_waitcnt lgkmcnt(1)
	v_fmac_f32_e32 v19, v8, v171
	v_fmac_f32_e32 v19, v9, v172
	s_delay_alu instid0(VALU_DEP_1) | instskip(SKIP_1) | instid1(VALU_DEP_1)
	v_fmac_f32_e32 v19, v10, v173
	s_waitcnt vmcnt(9)
	v_fmac_f32_e32 v19, v11, v174
	ds_load_2addr_b64 v[8:11], v2 offset0:41 offset1:42
	s_waitcnt lgkmcnt(1)
	v_fmac_f32_e32 v19, v12, v4
	s_delay_alu instid0(VALU_DEP_1) | instskip(NEXT) | instid1(VALU_DEP_1)
	v_fmac_f32_e32 v19, v13, v5
	v_fmac_f32_e32 v19, v14, v6
	s_waitcnt vmcnt(8)
	s_delay_alu instid0(VALU_DEP_1) | instskip(SKIP_3) | instid1(VALU_DEP_1)
	v_fmac_f32_e32 v19, v15, v7
	ds_load_2addr_b64 v[4:7], v2 offset0:43 offset1:44
	s_waitcnt lgkmcnt(1)
	v_fmac_f32_e32 v19, v16, v8
	v_fmac_f32_e32 v19, v17, v9
	s_delay_alu instid0(VALU_DEP_1) | instskip(SKIP_1) | instid1(VALU_DEP_1)
	v_fmac_f32_e32 v19, v18, v10
	s_waitcnt vmcnt(7)
	v_fmac_f32_e32 v19, v135, v11
	ds_load_2addr_b64 v[8:11], v2 offset0:45 offset1:46
	s_waitcnt lgkmcnt(1)
	v_fmac_f32_e32 v19, v136, v4
	;; [unrolled: 17-line block ×4, first 2 shown]
	s_delay_alu instid0(VALU_DEP_1) | instskip(NEXT) | instid1(VALU_DEP_1)
	v_fmac_f32_e32 v19, v153, v5
	v_fmac_f32_e32 v19, v154, v6
	s_waitcnt vmcnt(2)
	s_delay_alu instid0(VALU_DEP_1) | instskip(SKIP_3) | instid1(VALU_DEP_1)
	v_fmac_f32_e32 v19, v155, v7
	ds_load_2addr_b64 v[4:7], v2 offset0:55 offset1:56
	s_waitcnt lgkmcnt(1)
	v_fmac_f32_e32 v19, v156, v8
	v_fmac_f32_e32 v19, v157, v9
	ds_load_b64 v[8:9], v2 offset:456
	v_fmac_f32_e32 v19, v158, v10
	s_waitcnt vmcnt(1)
	s_delay_alu instid0(VALU_DEP_1) | instskip(SKIP_1) | instid1(VALU_DEP_1)
	v_fmac_f32_e32 v19, v159, v11
	s_waitcnt lgkmcnt(1)
	v_fmac_f32_e32 v19, v160, v4
	ds_load_b32 v4, v2 offset:464
	v_fmac_f32_e32 v19, v161, v5
	s_delay_alu instid0(VALU_DEP_1) | instskip(SKIP_1) | instid1(VALU_DEP_1)
	v_fmac_f32_e32 v19, v162, v6
	s_waitcnt vmcnt(0)
	v_fmac_f32_e32 v19, v163, v7
	s_waitcnt lgkmcnt(1)
	s_delay_alu instid0(VALU_DEP_1) | instskip(NEXT) | instid1(VALU_DEP_1)
	v_fmac_f32_e32 v19, v164, v8
	v_fmac_f32_e32 v19, v165, v9
	s_waitcnt lgkmcnt(0)
	s_delay_alu instid0(VALU_DEP_1) | instskip(NEXT) | instid1(VALU_DEP_1)
	v_fmac_f32_e32 v19, v166, v4
	v_sub_f32_e32 v3, v3, v19
	scratch_store_b32 off, v3, off offset:36
	v_cmpx_lt_u32_e32 8, v0
	s_cbranch_execz .LBB120_333
; %bb.332:
	scratch_load_b32 v3, off, off offset:32
	scratch_store_b32 off, v2, off offset:32
	s_waitcnt vmcnt(0)
	ds_store_b32 v1, v3
.LBB120_333:
	s_or_b32 exec_lo, exec_lo, s0
	s_waitcnt lgkmcnt(0)
	s_waitcnt_vscnt null, 0x0
	s_barrier
	buffer_gl0_inv
	s_clause 0xc
	scratch_load_b128 v[3:6], off, off offset:32
	scratch_load_b128 v[7:10], off, off offset:48
	scratch_load_b128 v[11:14], off, off offset:64
	scratch_load_b128 v[15:18], off, off offset:80
	scratch_load_b128 v[135:138], off, off offset:96
	scratch_load_b128 v[139:142], off, off offset:112
	scratch_load_b128 v[143:146], off, off offset:128
	scratch_load_b128 v[147:150], off, off offset:144
	scratch_load_b128 v[151:154], off, off offset:160
	scratch_load_b128 v[155:158], off, off offset:176
	scratch_load_b128 v[159:162], off, off offset:192
	scratch_load_b128 v[163:166], off, off offset:208
	scratch_load_b32 v173, off, off offset:224
	ds_load_2addr_b32 v[19:20], v2 offset0:69 offset1:70
	ds_load_2addr_b32 v[167:168], v2 offset0:71 offset1:72
	;; [unrolled: 1-line block ×4, first 2 shown]
	s_mov_b32 s0, exec_lo
	s_waitcnt vmcnt(12) lgkmcnt(3)
	v_fma_f32 v19, v4, v19, 0
	s_delay_alu instid0(VALU_DEP_1) | instskip(SKIP_4) | instid1(VALU_DEP_1)
	v_fmac_f32_e32 v19, v5, v20
	ds_load_2addr_b32 v[4:5], v2 offset0:77 offset1:78
	s_waitcnt lgkmcnt(3)
	v_fmac_f32_e32 v19, v6, v167
	s_waitcnt vmcnt(11)
	v_fmac_f32_e32 v19, v7, v168
	ds_load_2addr_b32 v[6:7], v2 offset0:79 offset1:80
	s_waitcnt lgkmcnt(3)
	v_fmac_f32_e32 v19, v8, v169
	s_delay_alu instid0(VALU_DEP_1) | instskip(SKIP_1) | instid1(VALU_DEP_1)
	v_fmac_f32_e32 v19, v9, v170
	s_waitcnt lgkmcnt(2)
	v_fmac_f32_e32 v19, v10, v171
	s_waitcnt vmcnt(10)
	s_delay_alu instid0(VALU_DEP_1) | instskip(SKIP_4) | instid1(VALU_DEP_1)
	v_fmac_f32_e32 v19, v11, v172
	ds_load_2addr_b32 v[8:9], v2 offset0:81 offset1:82
	ds_load_2addr_b32 v[10:11], v2 offset0:83 offset1:84
	s_waitcnt lgkmcnt(3)
	v_fmac_f32_e32 v19, v12, v4
	v_fmac_f32_e32 v19, v13, v5
	ds_load_2addr_b32 v[4:5], v2 offset0:85 offset1:86
	s_waitcnt lgkmcnt(3)
	v_fmac_f32_e32 v19, v14, v6
	s_waitcnt vmcnt(9)
	s_delay_alu instid0(VALU_DEP_1) | instskip(SKIP_3) | instid1(VALU_DEP_1)
	v_fmac_f32_e32 v19, v15, v7
	ds_load_2addr_b32 v[6:7], v2 offset0:87 offset1:88
	s_waitcnt lgkmcnt(3)
	v_fmac_f32_e32 v19, v16, v8
	v_fmac_f32_e32 v19, v17, v9
	s_waitcnt lgkmcnt(2)
	s_delay_alu instid0(VALU_DEP_1) | instskip(SKIP_1) | instid1(VALU_DEP_1)
	v_fmac_f32_e32 v19, v18, v10
	s_waitcnt vmcnt(8)
	v_fmac_f32_e32 v19, v135, v11
	ds_load_2addr_b32 v[8:9], v2 offset0:89 offset1:90
	ds_load_2addr_b32 v[10:11], v2 offset0:91 offset1:92
	s_waitcnt lgkmcnt(3)
	v_fmac_f32_e32 v19, v136, v4
	s_delay_alu instid0(VALU_DEP_1) | instskip(SKIP_4) | instid1(VALU_DEP_1)
	v_fmac_f32_e32 v19, v137, v5
	ds_load_2addr_b32 v[4:5], v2 offset0:93 offset1:94
	s_waitcnt lgkmcnt(3)
	v_fmac_f32_e32 v19, v138, v6
	s_waitcnt vmcnt(7)
	v_fmac_f32_e32 v19, v139, v7
	ds_load_2addr_b32 v[6:7], v2 offset0:95 offset1:96
	s_waitcnt lgkmcnt(3)
	v_fmac_f32_e32 v19, v140, v8
	s_delay_alu instid0(VALU_DEP_1) | instskip(SKIP_1) | instid1(VALU_DEP_1)
	v_fmac_f32_e32 v19, v141, v9
	s_waitcnt lgkmcnt(2)
	v_fmac_f32_e32 v19, v142, v10
	s_waitcnt vmcnt(6)
	s_delay_alu instid0(VALU_DEP_1) | instskip(SKIP_4) | instid1(VALU_DEP_1)
	v_fmac_f32_e32 v19, v143, v11
	ds_load_2addr_b32 v[8:9], v2 offset0:97 offset1:98
	ds_load_2addr_b32 v[10:11], v2 offset0:99 offset1:100
	s_waitcnt lgkmcnt(3)
	v_fmac_f32_e32 v19, v144, v4
	v_fmac_f32_e32 v19, v145, v5
	ds_load_2addr_b32 v[4:5], v2 offset0:101 offset1:102
	s_waitcnt lgkmcnt(3)
	v_fmac_f32_e32 v19, v146, v6
	s_waitcnt vmcnt(5)
	s_delay_alu instid0(VALU_DEP_1) | instskip(SKIP_3) | instid1(VALU_DEP_1)
	v_fmac_f32_e32 v19, v147, v7
	ds_load_2addr_b32 v[6:7], v2 offset0:103 offset1:104
	s_waitcnt lgkmcnt(3)
	v_fmac_f32_e32 v19, v148, v8
	v_fmac_f32_e32 v19, v149, v9
	s_waitcnt lgkmcnt(2)
	s_delay_alu instid0(VALU_DEP_1) | instskip(SKIP_1) | instid1(VALU_DEP_1)
	v_fmac_f32_e32 v19, v150, v10
	s_waitcnt vmcnt(4)
	v_fmac_f32_e32 v19, v151, v11
	ds_load_2addr_b32 v[8:9], v2 offset0:105 offset1:106
	ds_load_2addr_b32 v[10:11], v2 offset0:107 offset1:108
	s_waitcnt lgkmcnt(3)
	v_fmac_f32_e32 v19, v152, v4
	s_delay_alu instid0(VALU_DEP_1) | instskip(SKIP_4) | instid1(VALU_DEP_1)
	v_fmac_f32_e32 v19, v153, v5
	ds_load_2addr_b32 v[4:5], v2 offset0:109 offset1:110
	s_waitcnt lgkmcnt(3)
	v_fmac_f32_e32 v19, v154, v6
	s_waitcnt vmcnt(3)
	v_fmac_f32_e32 v19, v155, v7
	ds_load_2addr_b32 v[6:7], v2 offset0:111 offset1:112
	s_waitcnt lgkmcnt(3)
	v_fmac_f32_e32 v19, v156, v8
	s_delay_alu instid0(VALU_DEP_1) | instskip(SKIP_1) | instid1(VALU_DEP_1)
	v_fmac_f32_e32 v19, v157, v9
	s_waitcnt lgkmcnt(2)
	v_fmac_f32_e32 v19, v158, v10
	s_waitcnt vmcnt(2)
	s_delay_alu instid0(VALU_DEP_1) | instskip(SKIP_4) | instid1(VALU_DEP_1)
	v_fmac_f32_e32 v19, v159, v11
	ds_load_2addr_b32 v[8:9], v2 offset0:113 offset1:114
	ds_load_2addr_b32 v[10:11], v2 offset0:115 offset1:116
	s_waitcnt lgkmcnt(3)
	v_fmac_f32_e32 v19, v160, v4
	v_fmac_f32_e32 v19, v161, v5
	s_waitcnt lgkmcnt(2)
	s_delay_alu instid0(VALU_DEP_1) | instskip(SKIP_1) | instid1(VALU_DEP_1)
	v_fmac_f32_e32 v19, v162, v6
	s_waitcnt vmcnt(1)
	v_fmac_f32_e32 v19, v163, v7
	s_waitcnt lgkmcnt(1)
	s_delay_alu instid0(VALU_DEP_1) | instskip(NEXT) | instid1(VALU_DEP_1)
	v_fmac_f32_e32 v19, v164, v8
	v_fmac_f32_e32 v19, v165, v9
	s_waitcnt lgkmcnt(0)
	s_delay_alu instid0(VALU_DEP_1) | instskip(SKIP_1) | instid1(VALU_DEP_1)
	v_fmac_f32_e32 v19, v166, v10
	s_waitcnt vmcnt(0)
	v_fmac_f32_e32 v19, v173, v11
	s_delay_alu instid0(VALU_DEP_1)
	v_sub_f32_e32 v2, v3, v19
	scratch_store_b32 off, v2, off offset:32
	v_cmpx_lt_u32_e32 7, v0
	s_cbranch_execz .LBB120_335
; %bb.334:
	scratch_load_b32 v2, off, off offset:28
	v_mov_b32_e32 v3, 0
	scratch_store_b32 off, v3, off offset:28
	s_waitcnt vmcnt(0)
	ds_store_b32 v1, v2
.LBB120_335:
	s_or_b32 exec_lo, exec_lo, s0
	s_waitcnt lgkmcnt(0)
	s_waitcnt_vscnt null, 0x0
	s_barrier
	buffer_gl0_inv
	s_clause 0xc
	scratch_load_b128 v[3:6], off, off offset:28
	scratch_load_b128 v[7:10], off, off offset:44
	;; [unrolled: 1-line block ×12, first 2 shown]
	scratch_load_b64 v[19:20], off, off offset:220
	v_mov_b32_e32 v2, 0
	ds_load_b128 v[167:170], v2 offset:272
	ds_load_b128 v[171:174], v2 offset:288
	s_mov_b32 s0, exec_lo
	s_waitcnt vmcnt(12) lgkmcnt(1)
	v_fma_f32 v167, v4, v167, 0
	s_delay_alu instid0(VALU_DEP_1) | instskip(NEXT) | instid1(VALU_DEP_1)
	v_fmac_f32_e32 v167, v5, v168
	v_fmac_f32_e32 v167, v6, v169
	s_waitcnt vmcnt(11)
	s_delay_alu instid0(VALU_DEP_1) | instskip(SKIP_3) | instid1(VALU_DEP_1)
	v_fmac_f32_e32 v167, v7, v170
	ds_load_b128 v[4:7], v2 offset:304
	s_waitcnt lgkmcnt(1)
	v_fmac_f32_e32 v167, v8, v171
	v_fmac_f32_e32 v167, v9, v172
	s_delay_alu instid0(VALU_DEP_1) | instskip(SKIP_1) | instid1(VALU_DEP_1)
	v_fmac_f32_e32 v167, v10, v173
	s_waitcnt vmcnt(10)
	v_fmac_f32_e32 v167, v11, v174
	ds_load_b128 v[8:11], v2 offset:320
	s_waitcnt lgkmcnt(1)
	v_fmac_f32_e32 v167, v12, v4
	s_delay_alu instid0(VALU_DEP_1) | instskip(NEXT) | instid1(VALU_DEP_1)
	v_fmac_f32_e32 v167, v13, v5
	v_fmac_f32_e32 v167, v14, v6
	s_waitcnt vmcnt(9)
	s_delay_alu instid0(VALU_DEP_1) | instskip(SKIP_3) | instid1(VALU_DEP_1)
	v_fmac_f32_e32 v167, v15, v7
	ds_load_b128 v[4:7], v2 offset:336
	s_waitcnt lgkmcnt(1)
	v_fmac_f32_e32 v167, v16, v8
	v_fmac_f32_e32 v167, v17, v9
	s_delay_alu instid0(VALU_DEP_1) | instskip(SKIP_1) | instid1(VALU_DEP_1)
	v_fmac_f32_e32 v167, v18, v10
	s_waitcnt vmcnt(8)
	v_fmac_f32_e32 v167, v135, v11
	ds_load_b128 v[8:11], v2 offset:352
	s_waitcnt lgkmcnt(1)
	v_fmac_f32_e32 v167, v136, v4
	s_delay_alu instid0(VALU_DEP_1) | instskip(NEXT) | instid1(VALU_DEP_1)
	v_fmac_f32_e32 v167, v137, v5
	v_fmac_f32_e32 v167, v138, v6
	s_waitcnt vmcnt(7)
	s_delay_alu instid0(VALU_DEP_1) | instskip(SKIP_3) | instid1(VALU_DEP_1)
	v_fmac_f32_e32 v167, v139, v7
	ds_load_b128 v[4:7], v2 offset:368
	s_waitcnt lgkmcnt(1)
	v_fmac_f32_e32 v167, v140, v8
	v_fmac_f32_e32 v167, v141, v9
	s_delay_alu instid0(VALU_DEP_1) | instskip(SKIP_1) | instid1(VALU_DEP_1)
	v_fmac_f32_e32 v167, v142, v10
	s_waitcnt vmcnt(6)
	v_fmac_f32_e32 v167, v143, v11
	ds_load_b128 v[8:11], v2 offset:384
	s_waitcnt lgkmcnt(1)
	v_fmac_f32_e32 v167, v144, v4
	s_delay_alu instid0(VALU_DEP_1) | instskip(NEXT) | instid1(VALU_DEP_1)
	v_fmac_f32_e32 v167, v145, v5
	v_fmac_f32_e32 v167, v146, v6
	s_waitcnt vmcnt(5)
	s_delay_alu instid0(VALU_DEP_1) | instskip(SKIP_3) | instid1(VALU_DEP_1)
	v_fmac_f32_e32 v167, v147, v7
	ds_load_b128 v[4:7], v2 offset:400
	s_waitcnt lgkmcnt(1)
	v_fmac_f32_e32 v167, v148, v8
	v_fmac_f32_e32 v167, v149, v9
	s_delay_alu instid0(VALU_DEP_1) | instskip(SKIP_1) | instid1(VALU_DEP_1)
	v_fmac_f32_e32 v167, v150, v10
	s_waitcnt vmcnt(4)
	v_fmac_f32_e32 v167, v151, v11
	ds_load_b128 v[8:11], v2 offset:416
	s_waitcnt lgkmcnt(1)
	v_fmac_f32_e32 v167, v152, v4
	s_delay_alu instid0(VALU_DEP_1) | instskip(NEXT) | instid1(VALU_DEP_1)
	v_fmac_f32_e32 v167, v153, v5
	v_fmac_f32_e32 v167, v154, v6
	s_waitcnt vmcnt(3)
	s_delay_alu instid0(VALU_DEP_1) | instskip(SKIP_3) | instid1(VALU_DEP_1)
	v_fmac_f32_e32 v167, v155, v7
	ds_load_b128 v[4:7], v2 offset:432
	s_waitcnt lgkmcnt(1)
	v_fmac_f32_e32 v167, v156, v8
	v_fmac_f32_e32 v167, v157, v9
	s_delay_alu instid0(VALU_DEP_1) | instskip(SKIP_1) | instid1(VALU_DEP_1)
	v_fmac_f32_e32 v167, v158, v10
	s_waitcnt vmcnt(2)
	v_fmac_f32_e32 v167, v159, v11
	ds_load_b128 v[8:11], v2 offset:448
	s_waitcnt lgkmcnt(1)
	v_fmac_f32_e32 v167, v160, v4
	ds_load_b32 v4, v2 offset:464
	v_fmac_f32_e32 v167, v161, v5
	s_delay_alu instid0(VALU_DEP_1) | instskip(SKIP_1) | instid1(VALU_DEP_1)
	v_fmac_f32_e32 v167, v162, v6
	s_waitcnt vmcnt(1)
	v_fmac_f32_e32 v167, v163, v7
	s_waitcnt lgkmcnt(1)
	s_delay_alu instid0(VALU_DEP_1) | instskip(NEXT) | instid1(VALU_DEP_1)
	v_fmac_f32_e32 v167, v164, v8
	v_fmac_f32_e32 v167, v165, v9
	s_delay_alu instid0(VALU_DEP_1) | instskip(SKIP_1) | instid1(VALU_DEP_1)
	v_fmac_f32_e32 v167, v166, v10
	s_waitcnt vmcnt(0)
	v_fmac_f32_e32 v167, v19, v11
	s_waitcnt lgkmcnt(0)
	s_delay_alu instid0(VALU_DEP_1) | instskip(NEXT) | instid1(VALU_DEP_1)
	v_fmac_f32_e32 v167, v20, v4
	v_sub_f32_e32 v3, v3, v167
	scratch_store_b32 off, v3, off offset:28
	v_cmpx_lt_u32_e32 6, v0
	s_cbranch_execz .LBB120_337
; %bb.336:
	scratch_load_b32 v3, off, off offset:24
	scratch_store_b32 off, v2, off offset:24
	s_waitcnt vmcnt(0)
	ds_store_b32 v1, v3
.LBB120_337:
	s_or_b32 exec_lo, exec_lo, s0
	s_waitcnt lgkmcnt(0)
	s_waitcnt_vscnt null, 0x0
	s_barrier
	buffer_gl0_inv
	s_clause 0xc
	scratch_load_b128 v[3:6], off, off offset:24
	scratch_load_b128 v[7:10], off, off offset:40
	;; [unrolled: 1-line block ×12, first 2 shown]
	scratch_load_b96 v[167:169], off, off offset:216
	ds_load_2addr_b32 v[19:20], v2 offset0:67 offset1:68
	ds_load_2addr_b32 v[170:171], v2 offset0:69 offset1:70
	;; [unrolled: 1-line block ×4, first 2 shown]
	s_mov_b32 s0, exec_lo
	s_waitcnt vmcnt(12) lgkmcnt(3)
	v_fma_f32 v19, v4, v19, 0
	s_delay_alu instid0(VALU_DEP_1) | instskip(SKIP_4) | instid1(VALU_DEP_1)
	v_fmac_f32_e32 v19, v5, v20
	ds_load_2addr_b32 v[4:5], v2 offset0:75 offset1:76
	s_waitcnt lgkmcnt(3)
	v_fmac_f32_e32 v19, v6, v170
	s_waitcnt vmcnt(11)
	v_fmac_f32_e32 v19, v7, v171
	ds_load_2addr_b32 v[6:7], v2 offset0:77 offset1:78
	s_waitcnt lgkmcnt(3)
	v_fmac_f32_e32 v19, v8, v172
	s_delay_alu instid0(VALU_DEP_1) | instskip(SKIP_1) | instid1(VALU_DEP_1)
	v_fmac_f32_e32 v19, v9, v173
	s_waitcnt lgkmcnt(2)
	v_fmac_f32_e32 v19, v10, v174
	s_waitcnt vmcnt(10)
	s_delay_alu instid0(VALU_DEP_1) | instskip(SKIP_4) | instid1(VALU_DEP_1)
	v_fmac_f32_e32 v19, v11, v175
	ds_load_2addr_b32 v[8:9], v2 offset0:79 offset1:80
	ds_load_2addr_b32 v[10:11], v2 offset0:81 offset1:82
	s_waitcnt lgkmcnt(3)
	v_fmac_f32_e32 v19, v12, v4
	v_fmac_f32_e32 v19, v13, v5
	ds_load_2addr_b32 v[4:5], v2 offset0:83 offset1:84
	s_waitcnt lgkmcnt(3)
	v_fmac_f32_e32 v19, v14, v6
	s_waitcnt vmcnt(9)
	s_delay_alu instid0(VALU_DEP_1) | instskip(SKIP_3) | instid1(VALU_DEP_1)
	v_fmac_f32_e32 v19, v15, v7
	ds_load_2addr_b32 v[6:7], v2 offset0:85 offset1:86
	s_waitcnt lgkmcnt(3)
	v_fmac_f32_e32 v19, v16, v8
	v_fmac_f32_e32 v19, v17, v9
	s_waitcnt lgkmcnt(2)
	s_delay_alu instid0(VALU_DEP_1) | instskip(SKIP_1) | instid1(VALU_DEP_1)
	v_fmac_f32_e32 v19, v18, v10
	s_waitcnt vmcnt(8)
	v_fmac_f32_e32 v19, v135, v11
	ds_load_2addr_b32 v[8:9], v2 offset0:87 offset1:88
	ds_load_2addr_b32 v[10:11], v2 offset0:89 offset1:90
	s_waitcnt lgkmcnt(3)
	v_fmac_f32_e32 v19, v136, v4
	s_delay_alu instid0(VALU_DEP_1) | instskip(SKIP_4) | instid1(VALU_DEP_1)
	v_fmac_f32_e32 v19, v137, v5
	ds_load_2addr_b32 v[4:5], v2 offset0:91 offset1:92
	s_waitcnt lgkmcnt(3)
	v_fmac_f32_e32 v19, v138, v6
	s_waitcnt vmcnt(7)
	v_fmac_f32_e32 v19, v139, v7
	ds_load_2addr_b32 v[6:7], v2 offset0:93 offset1:94
	s_waitcnt lgkmcnt(3)
	v_fmac_f32_e32 v19, v140, v8
	s_delay_alu instid0(VALU_DEP_1) | instskip(SKIP_1) | instid1(VALU_DEP_1)
	v_fmac_f32_e32 v19, v141, v9
	s_waitcnt lgkmcnt(2)
	v_fmac_f32_e32 v19, v142, v10
	s_waitcnt vmcnt(6)
	s_delay_alu instid0(VALU_DEP_1) | instskip(SKIP_4) | instid1(VALU_DEP_1)
	v_fmac_f32_e32 v19, v143, v11
	ds_load_2addr_b32 v[8:9], v2 offset0:95 offset1:96
	ds_load_2addr_b32 v[10:11], v2 offset0:97 offset1:98
	s_waitcnt lgkmcnt(3)
	v_fmac_f32_e32 v19, v144, v4
	v_fmac_f32_e32 v19, v145, v5
	ds_load_2addr_b32 v[4:5], v2 offset0:99 offset1:100
	s_waitcnt lgkmcnt(3)
	v_fmac_f32_e32 v19, v146, v6
	s_waitcnt vmcnt(5)
	s_delay_alu instid0(VALU_DEP_1) | instskip(SKIP_3) | instid1(VALU_DEP_1)
	v_fmac_f32_e32 v19, v147, v7
	ds_load_2addr_b32 v[6:7], v2 offset0:101 offset1:102
	s_waitcnt lgkmcnt(3)
	v_fmac_f32_e32 v19, v148, v8
	v_fmac_f32_e32 v19, v149, v9
	s_waitcnt lgkmcnt(2)
	s_delay_alu instid0(VALU_DEP_1) | instskip(SKIP_1) | instid1(VALU_DEP_1)
	v_fmac_f32_e32 v19, v150, v10
	s_waitcnt vmcnt(4)
	v_fmac_f32_e32 v19, v151, v11
	ds_load_2addr_b32 v[8:9], v2 offset0:103 offset1:104
	ds_load_2addr_b32 v[10:11], v2 offset0:105 offset1:106
	s_waitcnt lgkmcnt(3)
	v_fmac_f32_e32 v19, v152, v4
	s_delay_alu instid0(VALU_DEP_1) | instskip(SKIP_4) | instid1(VALU_DEP_1)
	v_fmac_f32_e32 v19, v153, v5
	ds_load_2addr_b32 v[4:5], v2 offset0:107 offset1:108
	s_waitcnt lgkmcnt(3)
	v_fmac_f32_e32 v19, v154, v6
	s_waitcnt vmcnt(3)
	v_fmac_f32_e32 v19, v155, v7
	ds_load_2addr_b32 v[6:7], v2 offset0:109 offset1:110
	s_waitcnt lgkmcnt(3)
	v_fmac_f32_e32 v19, v156, v8
	s_delay_alu instid0(VALU_DEP_1) | instskip(SKIP_1) | instid1(VALU_DEP_1)
	v_fmac_f32_e32 v19, v157, v9
	s_waitcnt lgkmcnt(2)
	v_fmac_f32_e32 v19, v158, v10
	s_waitcnt vmcnt(2)
	s_delay_alu instid0(VALU_DEP_1) | instskip(SKIP_4) | instid1(VALU_DEP_1)
	v_fmac_f32_e32 v19, v159, v11
	ds_load_2addr_b32 v[8:9], v2 offset0:111 offset1:112
	ds_load_2addr_b32 v[10:11], v2 offset0:113 offset1:114
	s_waitcnt lgkmcnt(3)
	v_fmac_f32_e32 v19, v160, v4
	v_fmac_f32_e32 v19, v161, v5
	ds_load_2addr_b32 v[4:5], v2 offset0:115 offset1:116
	s_waitcnt lgkmcnt(3)
	v_fmac_f32_e32 v19, v162, v6
	s_waitcnt vmcnt(1)
	s_delay_alu instid0(VALU_DEP_1) | instskip(SKIP_1) | instid1(VALU_DEP_1)
	v_fmac_f32_e32 v19, v163, v7
	s_waitcnt lgkmcnt(2)
	v_fmac_f32_e32 v19, v164, v8
	s_delay_alu instid0(VALU_DEP_1) | instskip(SKIP_1) | instid1(VALU_DEP_1)
	v_fmac_f32_e32 v19, v165, v9
	s_waitcnt lgkmcnt(1)
	v_fmac_f32_e32 v19, v166, v10
	s_waitcnt vmcnt(0)
	s_delay_alu instid0(VALU_DEP_1) | instskip(SKIP_1) | instid1(VALU_DEP_1)
	v_fmac_f32_e32 v19, v167, v11
	s_waitcnt lgkmcnt(0)
	v_fmac_f32_e32 v19, v168, v4
	s_delay_alu instid0(VALU_DEP_1) | instskip(NEXT) | instid1(VALU_DEP_1)
	v_fmac_f32_e32 v19, v169, v5
	v_sub_f32_e32 v2, v3, v19
	scratch_store_b32 off, v2, off offset:24
	v_cmpx_lt_u32_e32 5, v0
	s_cbranch_execz .LBB120_339
; %bb.338:
	scratch_load_b32 v2, off, off offset:20
	v_mov_b32_e32 v3, 0
	scratch_store_b32 off, v3, off offset:20
	s_waitcnt vmcnt(0)
	ds_store_b32 v1, v2
.LBB120_339:
	s_or_b32 exec_lo, exec_lo, s0
	s_waitcnt lgkmcnt(0)
	s_waitcnt_vscnt null, 0x0
	s_barrier
	buffer_gl0_inv
	s_clause 0xc
	scratch_load_b128 v[3:6], off, off offset:20
	scratch_load_b128 v[7:10], off, off offset:36
	;; [unrolled: 1-line block ×13, first 2 shown]
	v_mov_b32_e32 v2, 0
	ds_load_2addr_b64 v[171:174], v2 offset0:33 offset1:34
	ds_load_2addr_b64 v[175:178], v2 offset0:35 offset1:36
	s_mov_b32 s0, exec_lo
	s_waitcnt vmcnt(12) lgkmcnt(1)
	v_fma_f32 v19, v4, v171, 0
	s_delay_alu instid0(VALU_DEP_1) | instskip(NEXT) | instid1(VALU_DEP_1)
	v_fmac_f32_e32 v19, v5, v172
	v_fmac_f32_e32 v19, v6, v173
	s_waitcnt vmcnt(11)
	s_delay_alu instid0(VALU_DEP_1) | instskip(SKIP_3) | instid1(VALU_DEP_1)
	v_fmac_f32_e32 v19, v7, v174
	ds_load_2addr_b64 v[4:7], v2 offset0:37 offset1:38
	s_waitcnt lgkmcnt(1)
	v_fmac_f32_e32 v19, v8, v175
	v_fmac_f32_e32 v19, v9, v176
	s_delay_alu instid0(VALU_DEP_1) | instskip(SKIP_1) | instid1(VALU_DEP_1)
	v_fmac_f32_e32 v19, v10, v177
	s_waitcnt vmcnt(10)
	v_fmac_f32_e32 v19, v11, v178
	ds_load_2addr_b64 v[8:11], v2 offset0:39 offset1:40
	s_waitcnt lgkmcnt(1)
	v_fmac_f32_e32 v19, v12, v4
	s_delay_alu instid0(VALU_DEP_1) | instskip(NEXT) | instid1(VALU_DEP_1)
	v_fmac_f32_e32 v19, v13, v5
	v_fmac_f32_e32 v19, v14, v6
	s_waitcnt vmcnt(9)
	s_delay_alu instid0(VALU_DEP_1) | instskip(SKIP_3) | instid1(VALU_DEP_1)
	v_fmac_f32_e32 v19, v15, v7
	ds_load_2addr_b64 v[4:7], v2 offset0:41 offset1:42
	s_waitcnt lgkmcnt(1)
	v_fmac_f32_e32 v19, v16, v8
	v_fmac_f32_e32 v19, v17, v9
	s_delay_alu instid0(VALU_DEP_1) | instskip(SKIP_1) | instid1(VALU_DEP_1)
	v_fmac_f32_e32 v19, v18, v10
	s_waitcnt vmcnt(8)
	v_fmac_f32_e32 v19, v135, v11
	ds_load_2addr_b64 v[8:11], v2 offset0:43 offset1:44
	s_waitcnt lgkmcnt(1)
	v_fmac_f32_e32 v19, v136, v4
	;; [unrolled: 17-line block ×5, first 2 shown]
	s_delay_alu instid0(VALU_DEP_1)
	v_fmac_f32_e32 v19, v161, v5
	ds_load_b64 v[4:5], v2 offset:456
	v_fmac_f32_e32 v19, v162, v6
	ds_load_b32 v6, v2 offset:464
	s_waitcnt vmcnt(1)
	v_fmac_f32_e32 v19, v163, v7
	s_waitcnt lgkmcnt(2)
	s_delay_alu instid0(VALU_DEP_1) | instskip(NEXT) | instid1(VALU_DEP_1)
	v_fmac_f32_e32 v19, v164, v8
	v_fmac_f32_e32 v19, v165, v9
	s_delay_alu instid0(VALU_DEP_1) | instskip(SKIP_1) | instid1(VALU_DEP_1)
	v_fmac_f32_e32 v19, v166, v10
	s_waitcnt vmcnt(0)
	v_fmac_f32_e32 v19, v167, v11
	s_waitcnt lgkmcnt(1)
	s_delay_alu instid0(VALU_DEP_1) | instskip(NEXT) | instid1(VALU_DEP_1)
	v_fmac_f32_e32 v19, v168, v4
	v_fmac_f32_e32 v19, v169, v5
	s_waitcnt lgkmcnt(0)
	s_delay_alu instid0(VALU_DEP_1) | instskip(NEXT) | instid1(VALU_DEP_1)
	v_fmac_f32_e32 v19, v170, v6
	v_sub_f32_e32 v3, v3, v19
	scratch_store_b32 off, v3, off offset:20
	v_cmpx_lt_u32_e32 4, v0
	s_cbranch_execz .LBB120_341
; %bb.340:
	scratch_load_b32 v3, off, off offset:16
	scratch_store_b32 off, v2, off offset:16
	s_waitcnt vmcnt(0)
	ds_store_b32 v1, v3
.LBB120_341:
	s_or_b32 exec_lo, exec_lo, s0
	s_waitcnt lgkmcnt(0)
	s_waitcnt_vscnt null, 0x0
	s_barrier
	buffer_gl0_inv
	s_clause 0xd
	scratch_load_b128 v[3:6], off, off offset:16
	scratch_load_b128 v[7:10], off, off offset:32
	;; [unrolled: 1-line block ×13, first 2 shown]
	scratch_load_b32 v177, off, off offset:224
	ds_load_2addr_b32 v[19:20], v2 offset0:65 offset1:66
	ds_load_2addr_b32 v[171:172], v2 offset0:67 offset1:68
	;; [unrolled: 1-line block ×4, first 2 shown]
	s_mov_b32 s0, exec_lo
	s_waitcnt vmcnt(13) lgkmcnt(3)
	v_fma_f32 v19, v4, v19, 0
	s_delay_alu instid0(VALU_DEP_1) | instskip(SKIP_4) | instid1(VALU_DEP_1)
	v_fmac_f32_e32 v19, v5, v20
	ds_load_2addr_b32 v[4:5], v2 offset0:73 offset1:74
	s_waitcnt lgkmcnt(3)
	v_fmac_f32_e32 v19, v6, v171
	s_waitcnt vmcnt(12)
	v_fmac_f32_e32 v19, v7, v172
	ds_load_2addr_b32 v[6:7], v2 offset0:75 offset1:76
	s_waitcnt lgkmcnt(3)
	v_fmac_f32_e32 v19, v8, v173
	s_delay_alu instid0(VALU_DEP_1) | instskip(SKIP_1) | instid1(VALU_DEP_1)
	v_fmac_f32_e32 v19, v9, v174
	s_waitcnt lgkmcnt(2)
	v_fmac_f32_e32 v19, v10, v175
	s_waitcnt vmcnt(11)
	s_delay_alu instid0(VALU_DEP_1) | instskip(SKIP_4) | instid1(VALU_DEP_1)
	v_fmac_f32_e32 v19, v11, v176
	ds_load_2addr_b32 v[8:9], v2 offset0:77 offset1:78
	ds_load_2addr_b32 v[10:11], v2 offset0:79 offset1:80
	s_waitcnt lgkmcnt(3)
	v_fmac_f32_e32 v19, v12, v4
	v_fmac_f32_e32 v19, v13, v5
	ds_load_2addr_b32 v[4:5], v2 offset0:81 offset1:82
	s_waitcnt lgkmcnt(3)
	v_fmac_f32_e32 v19, v14, v6
	s_waitcnt vmcnt(10)
	s_delay_alu instid0(VALU_DEP_1) | instskip(SKIP_3) | instid1(VALU_DEP_1)
	v_fmac_f32_e32 v19, v15, v7
	ds_load_2addr_b32 v[6:7], v2 offset0:83 offset1:84
	s_waitcnt lgkmcnt(3)
	v_fmac_f32_e32 v19, v16, v8
	v_fmac_f32_e32 v19, v17, v9
	s_waitcnt lgkmcnt(2)
	s_delay_alu instid0(VALU_DEP_1) | instskip(SKIP_1) | instid1(VALU_DEP_1)
	v_fmac_f32_e32 v19, v18, v10
	s_waitcnt vmcnt(9)
	v_fmac_f32_e32 v19, v135, v11
	ds_load_2addr_b32 v[8:9], v2 offset0:85 offset1:86
	ds_load_2addr_b32 v[10:11], v2 offset0:87 offset1:88
	s_waitcnt lgkmcnt(3)
	v_fmac_f32_e32 v19, v136, v4
	s_delay_alu instid0(VALU_DEP_1) | instskip(SKIP_4) | instid1(VALU_DEP_1)
	v_fmac_f32_e32 v19, v137, v5
	ds_load_2addr_b32 v[4:5], v2 offset0:89 offset1:90
	s_waitcnt lgkmcnt(3)
	v_fmac_f32_e32 v19, v138, v6
	s_waitcnt vmcnt(8)
	v_fmac_f32_e32 v19, v139, v7
	ds_load_2addr_b32 v[6:7], v2 offset0:91 offset1:92
	s_waitcnt lgkmcnt(3)
	v_fmac_f32_e32 v19, v140, v8
	s_delay_alu instid0(VALU_DEP_1) | instskip(SKIP_1) | instid1(VALU_DEP_1)
	v_fmac_f32_e32 v19, v141, v9
	s_waitcnt lgkmcnt(2)
	v_fmac_f32_e32 v19, v142, v10
	s_waitcnt vmcnt(7)
	s_delay_alu instid0(VALU_DEP_1) | instskip(SKIP_4) | instid1(VALU_DEP_1)
	v_fmac_f32_e32 v19, v143, v11
	ds_load_2addr_b32 v[8:9], v2 offset0:93 offset1:94
	ds_load_2addr_b32 v[10:11], v2 offset0:95 offset1:96
	s_waitcnt lgkmcnt(3)
	v_fmac_f32_e32 v19, v144, v4
	v_fmac_f32_e32 v19, v145, v5
	ds_load_2addr_b32 v[4:5], v2 offset0:97 offset1:98
	s_waitcnt lgkmcnt(3)
	v_fmac_f32_e32 v19, v146, v6
	s_waitcnt vmcnt(6)
	s_delay_alu instid0(VALU_DEP_1) | instskip(SKIP_3) | instid1(VALU_DEP_1)
	v_fmac_f32_e32 v19, v147, v7
	ds_load_2addr_b32 v[6:7], v2 offset0:99 offset1:100
	s_waitcnt lgkmcnt(3)
	v_fmac_f32_e32 v19, v148, v8
	v_fmac_f32_e32 v19, v149, v9
	s_waitcnt lgkmcnt(2)
	s_delay_alu instid0(VALU_DEP_1) | instskip(SKIP_1) | instid1(VALU_DEP_1)
	v_fmac_f32_e32 v19, v150, v10
	s_waitcnt vmcnt(5)
	v_fmac_f32_e32 v19, v151, v11
	ds_load_2addr_b32 v[8:9], v2 offset0:101 offset1:102
	ds_load_2addr_b32 v[10:11], v2 offset0:103 offset1:104
	s_waitcnt lgkmcnt(3)
	v_fmac_f32_e32 v19, v152, v4
	s_delay_alu instid0(VALU_DEP_1) | instskip(SKIP_4) | instid1(VALU_DEP_1)
	v_fmac_f32_e32 v19, v153, v5
	ds_load_2addr_b32 v[4:5], v2 offset0:105 offset1:106
	s_waitcnt lgkmcnt(3)
	v_fmac_f32_e32 v19, v154, v6
	s_waitcnt vmcnt(4)
	v_fmac_f32_e32 v19, v155, v7
	ds_load_2addr_b32 v[6:7], v2 offset0:107 offset1:108
	s_waitcnt lgkmcnt(3)
	v_fmac_f32_e32 v19, v156, v8
	s_delay_alu instid0(VALU_DEP_1) | instskip(SKIP_1) | instid1(VALU_DEP_1)
	v_fmac_f32_e32 v19, v157, v9
	s_waitcnt lgkmcnt(2)
	v_fmac_f32_e32 v19, v158, v10
	s_waitcnt vmcnt(3)
	s_delay_alu instid0(VALU_DEP_1) | instskip(SKIP_4) | instid1(VALU_DEP_1)
	v_fmac_f32_e32 v19, v159, v11
	ds_load_2addr_b32 v[8:9], v2 offset0:109 offset1:110
	ds_load_2addr_b32 v[10:11], v2 offset0:111 offset1:112
	s_waitcnt lgkmcnt(3)
	v_fmac_f32_e32 v19, v160, v4
	v_fmac_f32_e32 v19, v161, v5
	ds_load_2addr_b32 v[4:5], v2 offset0:113 offset1:114
	s_waitcnt lgkmcnt(3)
	v_fmac_f32_e32 v19, v162, v6
	s_waitcnt vmcnt(2)
	s_delay_alu instid0(VALU_DEP_1) | instskip(SKIP_3) | instid1(VALU_DEP_1)
	v_fmac_f32_e32 v19, v163, v7
	ds_load_2addr_b32 v[6:7], v2 offset0:115 offset1:116
	s_waitcnt lgkmcnt(3)
	v_fmac_f32_e32 v19, v164, v8
	v_fmac_f32_e32 v19, v165, v9
	s_waitcnt lgkmcnt(2)
	s_delay_alu instid0(VALU_DEP_1) | instskip(SKIP_1) | instid1(VALU_DEP_1)
	v_fmac_f32_e32 v19, v166, v10
	s_waitcnt vmcnt(1)
	v_fmac_f32_e32 v19, v167, v11
	s_waitcnt lgkmcnt(1)
	s_delay_alu instid0(VALU_DEP_1) | instskip(NEXT) | instid1(VALU_DEP_1)
	v_fmac_f32_e32 v19, v168, v4
	v_fmac_f32_e32 v19, v169, v5
	s_waitcnt lgkmcnt(0)
	s_delay_alu instid0(VALU_DEP_1) | instskip(SKIP_1) | instid1(VALU_DEP_1)
	v_fmac_f32_e32 v19, v170, v6
	s_waitcnt vmcnt(0)
	v_fmac_f32_e32 v19, v177, v7
	s_delay_alu instid0(VALU_DEP_1)
	v_sub_f32_e32 v2, v3, v19
	scratch_store_b32 off, v2, off offset:16
	v_cmpx_lt_u32_e32 3, v0
	s_cbranch_execz .LBB120_343
; %bb.342:
	scratch_load_b32 v2, off, off offset:12
	v_mov_b32_e32 v3, 0
	scratch_store_b32 off, v3, off offset:12
	s_waitcnt vmcnt(0)
	ds_store_b32 v1, v2
.LBB120_343:
	s_or_b32 exec_lo, exec_lo, s0
	s_waitcnt lgkmcnt(0)
	s_waitcnt_vscnt null, 0x0
	s_barrier
	buffer_gl0_inv
	s_clause 0xd
	scratch_load_b128 v[3:6], off, off offset:12
	scratch_load_b128 v[7:10], off, off offset:28
	;; [unrolled: 1-line block ×13, first 2 shown]
	scratch_load_b64 v[19:20], off, off offset:220
	v_mov_b32_e32 v2, 0
	ds_load_b128 v[171:174], v2 offset:256
	ds_load_b128 v[175:178], v2 offset:272
	s_mov_b32 s0, exec_lo
	s_waitcnt vmcnt(13) lgkmcnt(1)
	v_fma_f32 v171, v4, v171, 0
	s_delay_alu instid0(VALU_DEP_1) | instskip(NEXT) | instid1(VALU_DEP_1)
	v_fmac_f32_e32 v171, v5, v172
	v_fmac_f32_e32 v171, v6, v173
	s_waitcnt vmcnt(12)
	s_delay_alu instid0(VALU_DEP_1) | instskip(SKIP_3) | instid1(VALU_DEP_1)
	v_fmac_f32_e32 v171, v7, v174
	ds_load_b128 v[4:7], v2 offset:288
	s_waitcnt lgkmcnt(1)
	v_fmac_f32_e32 v171, v8, v175
	v_fmac_f32_e32 v171, v9, v176
	s_delay_alu instid0(VALU_DEP_1) | instskip(SKIP_1) | instid1(VALU_DEP_1)
	v_fmac_f32_e32 v171, v10, v177
	s_waitcnt vmcnt(11)
	v_fmac_f32_e32 v171, v11, v178
	ds_load_b128 v[8:11], v2 offset:304
	s_waitcnt lgkmcnt(1)
	v_fmac_f32_e32 v171, v12, v4
	s_delay_alu instid0(VALU_DEP_1) | instskip(NEXT) | instid1(VALU_DEP_1)
	v_fmac_f32_e32 v171, v13, v5
	v_fmac_f32_e32 v171, v14, v6
	s_waitcnt vmcnt(10)
	s_delay_alu instid0(VALU_DEP_1) | instskip(SKIP_3) | instid1(VALU_DEP_1)
	v_fmac_f32_e32 v171, v15, v7
	ds_load_b128 v[4:7], v2 offset:320
	s_waitcnt lgkmcnt(1)
	v_fmac_f32_e32 v171, v16, v8
	v_fmac_f32_e32 v171, v17, v9
	s_delay_alu instid0(VALU_DEP_1) | instskip(SKIP_1) | instid1(VALU_DEP_1)
	v_fmac_f32_e32 v171, v18, v10
	s_waitcnt vmcnt(9)
	v_fmac_f32_e32 v171, v135, v11
	ds_load_b128 v[8:11], v2 offset:336
	s_waitcnt lgkmcnt(1)
	v_fmac_f32_e32 v171, v136, v4
	s_delay_alu instid0(VALU_DEP_1) | instskip(NEXT) | instid1(VALU_DEP_1)
	v_fmac_f32_e32 v171, v137, v5
	v_fmac_f32_e32 v171, v138, v6
	s_waitcnt vmcnt(8)
	s_delay_alu instid0(VALU_DEP_1) | instskip(SKIP_3) | instid1(VALU_DEP_1)
	v_fmac_f32_e32 v171, v139, v7
	ds_load_b128 v[4:7], v2 offset:352
	s_waitcnt lgkmcnt(1)
	v_fmac_f32_e32 v171, v140, v8
	v_fmac_f32_e32 v171, v141, v9
	s_delay_alu instid0(VALU_DEP_1) | instskip(SKIP_1) | instid1(VALU_DEP_1)
	v_fmac_f32_e32 v171, v142, v10
	s_waitcnt vmcnt(7)
	v_fmac_f32_e32 v171, v143, v11
	ds_load_b128 v[8:11], v2 offset:368
	s_waitcnt lgkmcnt(1)
	v_fmac_f32_e32 v171, v144, v4
	s_delay_alu instid0(VALU_DEP_1) | instskip(NEXT) | instid1(VALU_DEP_1)
	v_fmac_f32_e32 v171, v145, v5
	v_fmac_f32_e32 v171, v146, v6
	s_waitcnt vmcnt(6)
	s_delay_alu instid0(VALU_DEP_1) | instskip(SKIP_3) | instid1(VALU_DEP_1)
	v_fmac_f32_e32 v171, v147, v7
	ds_load_b128 v[4:7], v2 offset:384
	s_waitcnt lgkmcnt(1)
	v_fmac_f32_e32 v171, v148, v8
	v_fmac_f32_e32 v171, v149, v9
	s_delay_alu instid0(VALU_DEP_1) | instskip(SKIP_1) | instid1(VALU_DEP_1)
	v_fmac_f32_e32 v171, v150, v10
	s_waitcnt vmcnt(5)
	v_fmac_f32_e32 v171, v151, v11
	ds_load_b128 v[8:11], v2 offset:400
	s_waitcnt lgkmcnt(1)
	v_fmac_f32_e32 v171, v152, v4
	s_delay_alu instid0(VALU_DEP_1) | instskip(NEXT) | instid1(VALU_DEP_1)
	v_fmac_f32_e32 v171, v153, v5
	v_fmac_f32_e32 v171, v154, v6
	s_waitcnt vmcnt(4)
	s_delay_alu instid0(VALU_DEP_1) | instskip(SKIP_3) | instid1(VALU_DEP_1)
	v_fmac_f32_e32 v171, v155, v7
	ds_load_b128 v[4:7], v2 offset:416
	s_waitcnt lgkmcnt(1)
	v_fmac_f32_e32 v171, v156, v8
	v_fmac_f32_e32 v171, v157, v9
	s_delay_alu instid0(VALU_DEP_1) | instskip(SKIP_1) | instid1(VALU_DEP_1)
	v_fmac_f32_e32 v171, v158, v10
	s_waitcnt vmcnt(3)
	v_fmac_f32_e32 v171, v159, v11
	ds_load_b128 v[8:11], v2 offset:432
	s_waitcnt lgkmcnt(1)
	v_fmac_f32_e32 v171, v160, v4
	s_delay_alu instid0(VALU_DEP_1) | instskip(NEXT) | instid1(VALU_DEP_1)
	v_fmac_f32_e32 v171, v161, v5
	v_fmac_f32_e32 v171, v162, v6
	s_waitcnt vmcnt(2)
	s_delay_alu instid0(VALU_DEP_1)
	v_fmac_f32_e32 v171, v163, v7
	ds_load_b128 v[4:7], v2 offset:448
	s_waitcnt lgkmcnt(1)
	v_fmac_f32_e32 v171, v164, v8
	ds_load_b32 v8, v2 offset:464
	v_fmac_f32_e32 v171, v165, v9
	s_delay_alu instid0(VALU_DEP_1) | instskip(SKIP_1) | instid1(VALU_DEP_1)
	v_fmac_f32_e32 v171, v166, v10
	s_waitcnt vmcnt(1)
	v_fmac_f32_e32 v171, v167, v11
	s_waitcnt lgkmcnt(1)
	s_delay_alu instid0(VALU_DEP_1) | instskip(NEXT) | instid1(VALU_DEP_1)
	v_fmac_f32_e32 v171, v168, v4
	v_fmac_f32_e32 v171, v169, v5
	s_delay_alu instid0(VALU_DEP_1) | instskip(SKIP_1) | instid1(VALU_DEP_1)
	v_fmac_f32_e32 v171, v170, v6
	s_waitcnt vmcnt(0)
	v_fmac_f32_e32 v171, v19, v7
	s_waitcnt lgkmcnt(0)
	s_delay_alu instid0(VALU_DEP_1) | instskip(NEXT) | instid1(VALU_DEP_1)
	v_fmac_f32_e32 v171, v20, v8
	v_sub_f32_e32 v3, v3, v171
	scratch_store_b32 off, v3, off offset:12
	v_cmpx_lt_u32_e32 2, v0
	s_cbranch_execz .LBB120_345
; %bb.344:
	scratch_load_b32 v3, off, off offset:8
	scratch_store_b32 off, v2, off offset:8
	s_waitcnt vmcnt(0)
	ds_store_b32 v1, v3
.LBB120_345:
	s_or_b32 exec_lo, exec_lo, s0
	s_waitcnt lgkmcnt(0)
	s_waitcnt_vscnt null, 0x0
	s_barrier
	buffer_gl0_inv
	s_clause 0xd
	scratch_load_b128 v[3:6], off, off offset:8
	scratch_load_b128 v[7:10], off, off offset:24
	;; [unrolled: 1-line block ×13, first 2 shown]
	scratch_load_b96 v[171:173], off, off offset:216
	ds_load_2addr_b32 v[19:20], v2 offset0:63 offset1:64
	ds_load_2addr_b32 v[174:175], v2 offset0:65 offset1:66
	;; [unrolled: 1-line block ×4, first 2 shown]
	s_mov_b32 s0, exec_lo
	s_waitcnt vmcnt(13) lgkmcnt(3)
	v_fma_f32 v19, v4, v19, 0
	s_delay_alu instid0(VALU_DEP_1) | instskip(SKIP_4) | instid1(VALU_DEP_1)
	v_fmac_f32_e32 v19, v5, v20
	ds_load_2addr_b32 v[4:5], v2 offset0:71 offset1:72
	s_waitcnt lgkmcnt(3)
	v_fmac_f32_e32 v19, v6, v174
	s_waitcnt vmcnt(12)
	v_fmac_f32_e32 v19, v7, v175
	ds_load_2addr_b32 v[6:7], v2 offset0:73 offset1:74
	s_waitcnt lgkmcnt(3)
	v_fmac_f32_e32 v19, v8, v176
	s_delay_alu instid0(VALU_DEP_1) | instskip(SKIP_1) | instid1(VALU_DEP_1)
	v_fmac_f32_e32 v19, v9, v177
	s_waitcnt lgkmcnt(2)
	v_fmac_f32_e32 v19, v10, v178
	s_waitcnt vmcnt(11)
	s_delay_alu instid0(VALU_DEP_1) | instskip(SKIP_4) | instid1(VALU_DEP_1)
	v_fmac_f32_e32 v19, v11, v179
	ds_load_2addr_b32 v[8:9], v2 offset0:75 offset1:76
	ds_load_2addr_b32 v[10:11], v2 offset0:77 offset1:78
	s_waitcnt lgkmcnt(3)
	v_fmac_f32_e32 v19, v12, v4
	v_fmac_f32_e32 v19, v13, v5
	ds_load_2addr_b32 v[4:5], v2 offset0:79 offset1:80
	s_waitcnt lgkmcnt(3)
	v_fmac_f32_e32 v19, v14, v6
	s_waitcnt vmcnt(10)
	s_delay_alu instid0(VALU_DEP_1) | instskip(SKIP_3) | instid1(VALU_DEP_1)
	v_fmac_f32_e32 v19, v15, v7
	ds_load_2addr_b32 v[6:7], v2 offset0:81 offset1:82
	s_waitcnt lgkmcnt(3)
	v_fmac_f32_e32 v19, v16, v8
	v_fmac_f32_e32 v19, v17, v9
	s_waitcnt lgkmcnt(2)
	s_delay_alu instid0(VALU_DEP_1) | instskip(SKIP_1) | instid1(VALU_DEP_1)
	v_fmac_f32_e32 v19, v18, v10
	s_waitcnt vmcnt(9)
	v_fmac_f32_e32 v19, v135, v11
	ds_load_2addr_b32 v[8:9], v2 offset0:83 offset1:84
	ds_load_2addr_b32 v[10:11], v2 offset0:85 offset1:86
	s_waitcnt lgkmcnt(3)
	v_fmac_f32_e32 v19, v136, v4
	s_delay_alu instid0(VALU_DEP_1) | instskip(SKIP_4) | instid1(VALU_DEP_1)
	v_fmac_f32_e32 v19, v137, v5
	ds_load_2addr_b32 v[4:5], v2 offset0:87 offset1:88
	s_waitcnt lgkmcnt(3)
	v_fmac_f32_e32 v19, v138, v6
	s_waitcnt vmcnt(8)
	v_fmac_f32_e32 v19, v139, v7
	ds_load_2addr_b32 v[6:7], v2 offset0:89 offset1:90
	s_waitcnt lgkmcnt(3)
	v_fmac_f32_e32 v19, v140, v8
	s_delay_alu instid0(VALU_DEP_1) | instskip(SKIP_1) | instid1(VALU_DEP_1)
	v_fmac_f32_e32 v19, v141, v9
	s_waitcnt lgkmcnt(2)
	v_fmac_f32_e32 v19, v142, v10
	s_waitcnt vmcnt(7)
	s_delay_alu instid0(VALU_DEP_1) | instskip(SKIP_4) | instid1(VALU_DEP_1)
	v_fmac_f32_e32 v19, v143, v11
	ds_load_2addr_b32 v[8:9], v2 offset0:91 offset1:92
	ds_load_2addr_b32 v[10:11], v2 offset0:93 offset1:94
	s_waitcnt lgkmcnt(3)
	v_fmac_f32_e32 v19, v144, v4
	v_fmac_f32_e32 v19, v145, v5
	ds_load_2addr_b32 v[4:5], v2 offset0:95 offset1:96
	s_waitcnt lgkmcnt(3)
	v_fmac_f32_e32 v19, v146, v6
	s_waitcnt vmcnt(6)
	s_delay_alu instid0(VALU_DEP_1) | instskip(SKIP_3) | instid1(VALU_DEP_1)
	v_fmac_f32_e32 v19, v147, v7
	ds_load_2addr_b32 v[6:7], v2 offset0:97 offset1:98
	s_waitcnt lgkmcnt(3)
	v_fmac_f32_e32 v19, v148, v8
	v_fmac_f32_e32 v19, v149, v9
	s_waitcnt lgkmcnt(2)
	s_delay_alu instid0(VALU_DEP_1) | instskip(SKIP_1) | instid1(VALU_DEP_1)
	v_fmac_f32_e32 v19, v150, v10
	s_waitcnt vmcnt(5)
	v_fmac_f32_e32 v19, v151, v11
	ds_load_2addr_b32 v[8:9], v2 offset0:99 offset1:100
	ds_load_2addr_b32 v[10:11], v2 offset0:101 offset1:102
	s_waitcnt lgkmcnt(3)
	v_fmac_f32_e32 v19, v152, v4
	s_delay_alu instid0(VALU_DEP_1) | instskip(SKIP_4) | instid1(VALU_DEP_1)
	v_fmac_f32_e32 v19, v153, v5
	ds_load_2addr_b32 v[4:5], v2 offset0:103 offset1:104
	s_waitcnt lgkmcnt(3)
	v_fmac_f32_e32 v19, v154, v6
	s_waitcnt vmcnt(4)
	v_fmac_f32_e32 v19, v155, v7
	ds_load_2addr_b32 v[6:7], v2 offset0:105 offset1:106
	s_waitcnt lgkmcnt(3)
	v_fmac_f32_e32 v19, v156, v8
	s_delay_alu instid0(VALU_DEP_1) | instskip(SKIP_1) | instid1(VALU_DEP_1)
	v_fmac_f32_e32 v19, v157, v9
	s_waitcnt lgkmcnt(2)
	v_fmac_f32_e32 v19, v158, v10
	s_waitcnt vmcnt(3)
	s_delay_alu instid0(VALU_DEP_1) | instskip(SKIP_4) | instid1(VALU_DEP_1)
	v_fmac_f32_e32 v19, v159, v11
	ds_load_2addr_b32 v[8:9], v2 offset0:107 offset1:108
	ds_load_2addr_b32 v[10:11], v2 offset0:109 offset1:110
	s_waitcnt lgkmcnt(3)
	v_fmac_f32_e32 v19, v160, v4
	v_fmac_f32_e32 v19, v161, v5
	ds_load_2addr_b32 v[4:5], v2 offset0:111 offset1:112
	s_waitcnt lgkmcnt(3)
	v_fmac_f32_e32 v19, v162, v6
	s_waitcnt vmcnt(2)
	s_delay_alu instid0(VALU_DEP_1) | instskip(SKIP_3) | instid1(VALU_DEP_1)
	v_fmac_f32_e32 v19, v163, v7
	ds_load_2addr_b32 v[6:7], v2 offset0:113 offset1:114
	s_waitcnt lgkmcnt(3)
	v_fmac_f32_e32 v19, v164, v8
	v_fmac_f32_e32 v19, v165, v9
	ds_load_2addr_b32 v[8:9], v2 offset0:115 offset1:116
	s_waitcnt lgkmcnt(3)
	v_fmac_f32_e32 v19, v166, v10
	s_waitcnt vmcnt(1)
	s_delay_alu instid0(VALU_DEP_1) | instskip(SKIP_1) | instid1(VALU_DEP_1)
	v_fmac_f32_e32 v19, v167, v11
	s_waitcnt lgkmcnt(2)
	v_fmac_f32_e32 v19, v168, v4
	s_delay_alu instid0(VALU_DEP_1) | instskip(SKIP_1) | instid1(VALU_DEP_1)
	v_fmac_f32_e32 v19, v169, v5
	s_waitcnt lgkmcnt(1)
	v_fmac_f32_e32 v19, v170, v6
	s_waitcnt vmcnt(0)
	s_delay_alu instid0(VALU_DEP_1) | instskip(SKIP_1) | instid1(VALU_DEP_1)
	v_fmac_f32_e32 v19, v171, v7
	s_waitcnt lgkmcnt(0)
	v_fmac_f32_e32 v19, v172, v8
	s_delay_alu instid0(VALU_DEP_1) | instskip(NEXT) | instid1(VALU_DEP_1)
	v_fmac_f32_e32 v19, v173, v9
	v_sub_f32_e32 v2, v3, v19
	scratch_store_b32 off, v2, off offset:8
	v_cmpx_lt_u32_e32 1, v0
	s_cbranch_execz .LBB120_347
; %bb.346:
	scratch_load_b32 v2, off, off offset:4
	v_mov_b32_e32 v3, 0
	scratch_store_b32 off, v3, off offset:4
	s_waitcnt vmcnt(0)
	ds_store_b32 v1, v2
.LBB120_347:
	s_or_b32 exec_lo, exec_lo, s0
	s_waitcnt lgkmcnt(0)
	s_waitcnt_vscnt null, 0x0
	s_barrier
	buffer_gl0_inv
	s_clause 0xd
	scratch_load_b128 v[5:8], off, off offset:4
	scratch_load_b128 v[9:12], off, off offset:20
	;; [unrolled: 1-line block ×14, first 2 shown]
	v_mov_b32_e32 v4, 0
	ds_load_2addr_b64 v[175:178], v4 offset0:31 offset1:32
	ds_load_2addr_b64 v[179:182], v4 offset0:33 offset1:34
	s_mov_b32 s0, exec_lo
	s_waitcnt vmcnt(13) lgkmcnt(1)
	v_fma_f32 v175, v6, v175, 0
	s_delay_alu instid0(VALU_DEP_1) | instskip(SKIP_3) | instid1(VALU_DEP_1)
	v_fmac_f32_e32 v175, v7, v176
	ds_load_b64 v[2:3], v4 offset:456
	v_fmac_f32_e32 v175, v8, v177
	s_waitcnt vmcnt(12)
	v_fmac_f32_e32 v175, v9, v178
	ds_load_2addr_b64 v[6:9], v4 offset0:35 offset1:36
	s_waitcnt lgkmcnt(2)
	v_fmac_f32_e32 v175, v10, v179
	s_delay_alu instid0(VALU_DEP_1) | instskip(NEXT) | instid1(VALU_DEP_1)
	v_fmac_f32_e32 v175, v11, v180
	v_fmac_f32_e32 v175, v12, v181
	s_waitcnt vmcnt(11)
	s_delay_alu instid0(VALU_DEP_1) | instskip(SKIP_3) | instid1(VALU_DEP_1)
	v_fmac_f32_e32 v175, v13, v182
	ds_load_2addr_b64 v[10:13], v4 offset0:37 offset1:38
	s_waitcnt lgkmcnt(1)
	v_fmac_f32_e32 v175, v14, v6
	v_fmac_f32_e32 v175, v15, v7
	s_delay_alu instid0(VALU_DEP_1) | instskip(SKIP_1) | instid1(VALU_DEP_1)
	v_fmac_f32_e32 v175, v16, v8
	s_waitcnt vmcnt(10)
	v_fmac_f32_e32 v175, v17, v9
	ds_load_2addr_b64 v[6:9], v4 offset0:39 offset1:40
	s_waitcnt lgkmcnt(1)
	v_fmac_f32_e32 v175, v18, v10
	s_delay_alu instid0(VALU_DEP_1) | instskip(NEXT) | instid1(VALU_DEP_1)
	v_fmac_f32_e32 v175, v19, v11
	v_fmac_f32_e32 v175, v20, v12
	s_waitcnt vmcnt(9)
	s_delay_alu instid0(VALU_DEP_1) | instskip(SKIP_3) | instid1(VALU_DEP_1)
	v_fmac_f32_e32 v175, v135, v13
	ds_load_2addr_b64 v[10:13], v4 offset0:41 offset1:42
	s_waitcnt lgkmcnt(1)
	v_fmac_f32_e32 v175, v136, v6
	v_fmac_f32_e32 v175, v137, v7
	s_delay_alu instid0(VALU_DEP_1) | instskip(SKIP_1) | instid1(VALU_DEP_1)
	;; [unrolled: 17-line block ×5, first 2 shown]
	v_fmac_f32_e32 v175, v162, v8
	s_waitcnt vmcnt(2)
	v_fmac_f32_e32 v175, v163, v9
	ds_load_2addr_b64 v[6:9], v4 offset0:55 offset1:56
	s_waitcnt lgkmcnt(1)
	v_fmac_f32_e32 v175, v164, v10
	s_delay_alu instid0(VALU_DEP_1) | instskip(NEXT) | instid1(VALU_DEP_1)
	v_fmac_f32_e32 v175, v165, v11
	v_fmac_f32_e32 v175, v166, v12
	s_waitcnt vmcnt(1)
	s_delay_alu instid0(VALU_DEP_1) | instskip(SKIP_1) | instid1(VALU_DEP_1)
	v_fmac_f32_e32 v175, v167, v13
	s_waitcnt lgkmcnt(0)
	v_fmac_f32_e32 v175, v168, v6
	ds_load_b32 v6, v4 offset:464
	v_fmac_f32_e32 v175, v169, v7
	s_delay_alu instid0(VALU_DEP_1) | instskip(SKIP_1) | instid1(VALU_DEP_1)
	v_fmac_f32_e32 v175, v170, v8
	s_waitcnt vmcnt(0)
	v_fmac_f32_e32 v175, v171, v9
	s_delay_alu instid0(VALU_DEP_1) | instskip(NEXT) | instid1(VALU_DEP_1)
	v_fmac_f32_e32 v175, v172, v2
	v_fmac_f32_e32 v175, v173, v3
	s_waitcnt lgkmcnt(0)
	s_delay_alu instid0(VALU_DEP_1) | instskip(NEXT) | instid1(VALU_DEP_1)
	v_fmac_f32_e32 v175, v174, v6
	v_sub_f32_e32 v2, v5, v175
	scratch_store_b32 off, v2, off offset:4
	v_cmpx_ne_u32_e32 0, v0
	s_cbranch_execz .LBB120_349
; %bb.348:
	scratch_load_b32 v0, off, off
	scratch_store_b32 off, v4, off
	s_waitcnt vmcnt(0)
	ds_store_b32 v1, v0
.LBB120_349:
	s_or_b32 exec_lo, exec_lo, s0
	s_waitcnt lgkmcnt(0)
	s_waitcnt_vscnt null, 0x0
	s_barrier
	buffer_gl0_inv
	s_clause 0xe
	scratch_load_b128 v[5:8], off, off
	scratch_load_b128 v[9:12], off, off offset:16
	scratch_load_b128 v[13:16], off, off offset:32
	;; [unrolled: 1-line block ×13, first 2 shown]
	scratch_load_b32 v179, off, off offset:224
	ds_load_2addr_b32 v[171:172], v4 offset0:61 offset1:62
	ds_load_2addr_b32 v[173:174], v4 offset0:63 offset1:64
	;; [unrolled: 1-line block ×4, first 2 shown]
	s_and_b32 vcc_lo, exec_lo, s12
	s_waitcnt vmcnt(14) lgkmcnt(3)
	v_fma_f32 v171, v6, v171, 0
	s_delay_alu instid0(VALU_DEP_1) | instskip(SKIP_4) | instid1(VALU_DEP_1)
	v_fmac_f32_e32 v171, v7, v172
	ds_load_2addr_b32 v[6:7], v4 offset0:69 offset1:70
	s_waitcnt lgkmcnt(3)
	v_fmac_f32_e32 v171, v8, v173
	s_waitcnt vmcnt(13)
	v_fmac_f32_e32 v171, v9, v174
	ds_load_2addr_b32 v[8:9], v4 offset0:71 offset1:72
	s_waitcnt lgkmcnt(3)
	v_fmac_f32_e32 v171, v10, v175
	s_delay_alu instid0(VALU_DEP_1) | instskip(SKIP_1) | instid1(VALU_DEP_1)
	v_fmac_f32_e32 v171, v11, v176
	s_waitcnt lgkmcnt(2)
	v_fmac_f32_e32 v171, v12, v177
	s_waitcnt vmcnt(12)
	s_delay_alu instid0(VALU_DEP_1) | instskip(SKIP_4) | instid1(VALU_DEP_1)
	v_fmac_f32_e32 v171, v13, v178
	ds_load_2addr_b32 v[10:11], v4 offset0:73 offset1:74
	ds_load_2addr_b32 v[12:13], v4 offset0:75 offset1:76
	s_waitcnt lgkmcnt(3)
	v_fmac_f32_e32 v171, v14, v6
	v_fmac_f32_e32 v171, v15, v7
	ds_load_2addr_b32 v[6:7], v4 offset0:77 offset1:78
	s_waitcnt lgkmcnt(3)
	v_fmac_f32_e32 v171, v16, v8
	s_waitcnt vmcnt(11)
	s_delay_alu instid0(VALU_DEP_1) | instskip(SKIP_3) | instid1(VALU_DEP_1)
	v_fmac_f32_e32 v171, v17, v9
	ds_load_2addr_b32 v[8:9], v4 offset0:79 offset1:80
	s_waitcnt lgkmcnt(3)
	v_fmac_f32_e32 v171, v18, v10
	v_fmac_f32_e32 v171, v19, v11
	s_waitcnt lgkmcnt(2)
	s_delay_alu instid0(VALU_DEP_1) | instskip(SKIP_1) | instid1(VALU_DEP_1)
	v_fmac_f32_e32 v171, v20, v12
	s_waitcnt vmcnt(10)
	v_fmac_f32_e32 v171, v135, v13
	ds_load_2addr_b32 v[10:11], v4 offset0:81 offset1:82
	ds_load_2addr_b32 v[12:13], v4 offset0:83 offset1:84
	s_waitcnt lgkmcnt(3)
	v_fmac_f32_e32 v171, v136, v6
	s_delay_alu instid0(VALU_DEP_1) | instskip(SKIP_4) | instid1(VALU_DEP_1)
	v_fmac_f32_e32 v171, v137, v7
	ds_load_2addr_b32 v[6:7], v4 offset0:85 offset1:86
	s_waitcnt lgkmcnt(3)
	v_fmac_f32_e32 v171, v138, v8
	s_waitcnt vmcnt(9)
	v_fmac_f32_e32 v171, v139, v9
	ds_load_2addr_b32 v[8:9], v4 offset0:87 offset1:88
	s_waitcnt lgkmcnt(3)
	v_fmac_f32_e32 v171, v140, v10
	s_delay_alu instid0(VALU_DEP_1) | instskip(SKIP_1) | instid1(VALU_DEP_1)
	v_fmac_f32_e32 v171, v141, v11
	s_waitcnt lgkmcnt(2)
	v_fmac_f32_e32 v171, v142, v12
	s_waitcnt vmcnt(8)
	s_delay_alu instid0(VALU_DEP_1) | instskip(SKIP_4) | instid1(VALU_DEP_1)
	v_fmac_f32_e32 v171, v143, v13
	ds_load_2addr_b32 v[10:11], v4 offset0:89 offset1:90
	ds_load_2addr_b32 v[12:13], v4 offset0:91 offset1:92
	s_waitcnt lgkmcnt(3)
	v_fmac_f32_e32 v171, v144, v6
	v_fmac_f32_e32 v171, v145, v7
	ds_load_2addr_b32 v[6:7], v4 offset0:93 offset1:94
	s_waitcnt lgkmcnt(3)
	v_fmac_f32_e32 v171, v146, v8
	s_waitcnt vmcnt(7)
	s_delay_alu instid0(VALU_DEP_1) | instskip(SKIP_3) | instid1(VALU_DEP_1)
	v_fmac_f32_e32 v171, v147, v9
	ds_load_2addr_b32 v[8:9], v4 offset0:95 offset1:96
	s_waitcnt lgkmcnt(3)
	v_fmac_f32_e32 v171, v148, v10
	v_fmac_f32_e32 v171, v149, v11
	s_waitcnt lgkmcnt(2)
	s_delay_alu instid0(VALU_DEP_1) | instskip(SKIP_1) | instid1(VALU_DEP_1)
	v_fmac_f32_e32 v171, v150, v12
	s_waitcnt vmcnt(6)
	v_fmac_f32_e32 v171, v151, v13
	ds_load_2addr_b32 v[10:11], v4 offset0:97 offset1:98
	ds_load_2addr_b32 v[12:13], v4 offset0:99 offset1:100
	s_waitcnt lgkmcnt(3)
	v_fmac_f32_e32 v171, v152, v6
	;; [unrolled: 41-line block ×3, first 2 shown]
	s_delay_alu instid0(VALU_DEP_1) | instskip(SKIP_1) | instid1(VALU_DEP_1)
	v_fmac_f32_e32 v171, v169, v7
	s_waitcnt lgkmcnt(2)
	v_fmac_f32_e32 v171, v170, v8
	s_waitcnt vmcnt(1)
	s_delay_alu instid0(VALU_DEP_1) | instskip(SKIP_1) | instid1(VALU_DEP_1)
	v_fmac_f32_e32 v171, v0, v9
	s_waitcnt lgkmcnt(1)
	v_fmac_f32_e32 v171, v1, v10
	s_delay_alu instid0(VALU_DEP_1) | instskip(SKIP_1) | instid1(VALU_DEP_1)
	v_fmac_f32_e32 v171, v2, v11
	s_waitcnt lgkmcnt(0)
	v_fmac_f32_e32 v171, v3, v12
	s_waitcnt vmcnt(0)
	s_delay_alu instid0(VALU_DEP_1) | instskip(NEXT) | instid1(VALU_DEP_1)
	v_fmac_f32_e32 v171, v179, v13
	v_sub_f32_e32 v0, v5, v171
	scratch_store_b32 off, v0, off
	s_cbranch_vccz .LBB120_463
; %bb.350:
	v_dual_mov_b32 v0, s2 :: v_dual_mov_b32 v1, s3
	s_mov_b32 s0, exec_lo
	flat_load_b32 v0, v[0:1] offset:220
	s_waitcnt vmcnt(0) lgkmcnt(0)
	v_cmpx_ne_u32_e32 56, v0
	s_cbranch_execz .LBB120_352
; %bb.351:
	v_lshl_add_u32 v0, v0, 2, 0
	scratch_load_b32 v1, v0, off offset:-4
	s_waitcnt vmcnt(0)
	scratch_store_b32 off, v1, off offset:220
	scratch_store_b32 v0, v3, off offset:-4
.LBB120_352:
	s_or_b32 exec_lo, exec_lo, s0
	v_dual_mov_b32 v0, s2 :: v_dual_mov_b32 v1, s3
	s_mov_b32 s0, exec_lo
	flat_load_b32 v0, v[0:1] offset:216
	s_waitcnt vmcnt(0) lgkmcnt(0)
	v_cmpx_ne_u32_e32 55, v0
	s_cbranch_execz .LBB120_354
; %bb.353:
	v_lshl_add_u32 v0, v0, 2, 0
	scratch_load_b32 v1, v0, off offset:-4
	scratch_load_b32 v2, off, off offset:216
	s_waitcnt vmcnt(1)
	scratch_store_b32 off, v1, off offset:216
	s_waitcnt vmcnt(0)
	scratch_store_b32 v0, v2, off offset:-4
.LBB120_354:
	s_or_b32 exec_lo, exec_lo, s0
	v_dual_mov_b32 v0, s2 :: v_dual_mov_b32 v1, s3
	s_mov_b32 s0, exec_lo
	flat_load_b32 v0, v[0:1] offset:212
	s_waitcnt vmcnt(0) lgkmcnt(0)
	v_cmpx_ne_u32_e32 54, v0
	s_cbranch_execz .LBB120_356
; %bb.355:
	v_lshl_add_u32 v0, v0, 2, 0
	scratch_load_b32 v1, v0, off offset:-4
	scratch_load_b32 v2, off, off offset:212
	s_waitcnt vmcnt(1)
	scratch_store_b32 off, v1, off offset:212
	s_waitcnt vmcnt(0)
	scratch_store_b32 v0, v2, off offset:-4
.LBB120_356:
	;; [unrolled: 16-line block ×54, first 2 shown]
	s_or_b32 exec_lo, exec_lo, s0
	v_dual_mov_b32 v0, s2 :: v_dual_mov_b32 v1, s3
	s_mov_b32 s0, exec_lo
	flat_load_b32 v1, v[0:1]
	scratch_load_b32 v0, off, off
	s_waitcnt vmcnt(1) lgkmcnt(0)
	v_cmpx_ne_u32_e32 1, v1
	s_cbranch_execz .LBB120_462
; %bb.461:
	v_lshl_add_u32 v1, v1, 2, 0
	scratch_load_b32 v2, v1, off offset:-4
	s_waitcnt vmcnt(0)
	scratch_store_b32 off, v2, off
	scratch_store_b32 v1, v0, off offset:-4
	scratch_load_b32 v0, off, off
.LBB120_462:
	s_or_b32 exec_lo, exec_lo, s0
.LBB120_463:
	s_clause 0xd
	scratch_load_b128 v[1:4], off, off offset:4
	scratch_load_b128 v[5:8], off, off offset:20
	;; [unrolled: 1-line block ×14, first 2 shown]
	s_waitcnt vmcnt(14)
	global_store_b32 v[21:22], v0, off
	s_waitcnt vmcnt(13)
	s_clause 0x3
	global_store_b32 v[23:24], v1, off
	global_store_b32 v[25:26], v2, off
	global_store_b32 v[27:28], v3, off
	global_store_b32 v[29:30], v4, off
	s_waitcnt vmcnt(12)
	s_clause 0x3
	global_store_b32 v[31:32], v5, off
	global_store_b32 v[33:34], v6, off
	global_store_b32 v[35:36], v7, off
	;; [unrolled: 6-line block ×14, first 2 shown]
	global_store_b32 v[133:134], v170, off
	s_endpgm
	.section	.rodata,"a",@progbits
	.p2align	6, 0x0
	.amdhsa_kernel _ZN9rocsolver6v33100L18getri_kernel_smallILi57EfPKPfEEvT1_iilPiilS6_bb
		.amdhsa_group_segment_fixed_size 468
		.amdhsa_private_segment_fixed_size 240
		.amdhsa_kernarg_size 60
		.amdhsa_user_sgpr_count 15
		.amdhsa_user_sgpr_dispatch_ptr 0
		.amdhsa_user_sgpr_queue_ptr 0
		.amdhsa_user_sgpr_kernarg_segment_ptr 1
		.amdhsa_user_sgpr_dispatch_id 0
		.amdhsa_user_sgpr_private_segment_size 0
		.amdhsa_wavefront_size32 1
		.amdhsa_uses_dynamic_stack 0
		.amdhsa_enable_private_segment 1
		.amdhsa_system_sgpr_workgroup_id_x 1
		.amdhsa_system_sgpr_workgroup_id_y 0
		.amdhsa_system_sgpr_workgroup_id_z 0
		.amdhsa_system_sgpr_workgroup_info 0
		.amdhsa_system_vgpr_workitem_id 0
		.amdhsa_next_free_vgpr 183
		.amdhsa_next_free_sgpr 17
		.amdhsa_reserve_vcc 1
		.amdhsa_float_round_mode_32 0
		.amdhsa_float_round_mode_16_64 0
		.amdhsa_float_denorm_mode_32 3
		.amdhsa_float_denorm_mode_16_64 3
		.amdhsa_dx10_clamp 1
		.amdhsa_ieee_mode 1
		.amdhsa_fp16_overflow 0
		.amdhsa_workgroup_processor_mode 1
		.amdhsa_memory_ordered 1
		.amdhsa_forward_progress 0
		.amdhsa_shared_vgpr_count 0
		.amdhsa_exception_fp_ieee_invalid_op 0
		.amdhsa_exception_fp_denorm_src 0
		.amdhsa_exception_fp_ieee_div_zero 0
		.amdhsa_exception_fp_ieee_overflow 0
		.amdhsa_exception_fp_ieee_underflow 0
		.amdhsa_exception_fp_ieee_inexact 0
		.amdhsa_exception_int_div_zero 0
	.end_amdhsa_kernel
	.section	.text._ZN9rocsolver6v33100L18getri_kernel_smallILi57EfPKPfEEvT1_iilPiilS6_bb,"axG",@progbits,_ZN9rocsolver6v33100L18getri_kernel_smallILi57EfPKPfEEvT1_iilPiilS6_bb,comdat
.Lfunc_end120:
	.size	_ZN9rocsolver6v33100L18getri_kernel_smallILi57EfPKPfEEvT1_iilPiilS6_bb, .Lfunc_end120-_ZN9rocsolver6v33100L18getri_kernel_smallILi57EfPKPfEEvT1_iilPiilS6_bb
                                        ; -- End function
	.section	.AMDGPU.csdata,"",@progbits
; Kernel info:
; codeLenInByte = 44704
; NumSgprs: 19
; NumVgprs: 183
; ScratchSize: 240
; MemoryBound: 0
; FloatMode: 240
; IeeeMode: 1
; LDSByteSize: 468 bytes/workgroup (compile time only)
; SGPRBlocks: 2
; VGPRBlocks: 22
; NumSGPRsForWavesPerEU: 19
; NumVGPRsForWavesPerEU: 183
; Occupancy: 8
; WaveLimiterHint : 1
; COMPUTE_PGM_RSRC2:SCRATCH_EN: 1
; COMPUTE_PGM_RSRC2:USER_SGPR: 15
; COMPUTE_PGM_RSRC2:TRAP_HANDLER: 0
; COMPUTE_PGM_RSRC2:TGID_X_EN: 1
; COMPUTE_PGM_RSRC2:TGID_Y_EN: 0
; COMPUTE_PGM_RSRC2:TGID_Z_EN: 0
; COMPUTE_PGM_RSRC2:TIDIG_COMP_CNT: 0
	.section	.text._ZN9rocsolver6v33100L18getri_kernel_smallILi58EfPKPfEEvT1_iilPiilS6_bb,"axG",@progbits,_ZN9rocsolver6v33100L18getri_kernel_smallILi58EfPKPfEEvT1_iilPiilS6_bb,comdat
	.globl	_ZN9rocsolver6v33100L18getri_kernel_smallILi58EfPKPfEEvT1_iilPiilS6_bb ; -- Begin function _ZN9rocsolver6v33100L18getri_kernel_smallILi58EfPKPfEEvT1_iilPiilS6_bb
	.p2align	8
	.type	_ZN9rocsolver6v33100L18getri_kernel_smallILi58EfPKPfEEvT1_iilPiilS6_bb,@function
_ZN9rocsolver6v33100L18getri_kernel_smallILi58EfPKPfEEvT1_iilPiilS6_bb: ; @_ZN9rocsolver6v33100L18getri_kernel_smallILi58EfPKPfEEvT1_iilPiilS6_bb
; %bb.0:
	s_mov_b32 s2, exec_lo
	v_cmpx_gt_u32_e32 58, v0
	s_cbranch_execz .LBB121_240
; %bb.1:
	s_clause 0x1
	s_load_b32 s13, s[0:1], 0x38
	s_load_b64 s[2:3], s[0:1], 0x0
	s_mov_b32 s8, s15
	s_load_b128 s[4:7], s[0:1], 0x28
	s_waitcnt lgkmcnt(0)
	s_bitcmp1_b32 s13, 8
	s_cselect_b32 s12, -1, 0
	s_ashr_i32 s9, s15, 31
	s_delay_alu instid0(SALU_CYCLE_1) | instskip(NEXT) | instid1(SALU_CYCLE_1)
	s_lshl_b64 s[10:11], s[8:9], 3
	s_add_u32 s2, s2, s10
	s_addc_u32 s3, s3, s11
	s_load_b64 s[10:11], s[2:3], 0x0
	s_bfe_u32 s2, s13, 0x10008
	s_delay_alu instid0(SALU_CYCLE_1)
	s_cmp_eq_u32 s2, 0
                                        ; implicit-def: $sgpr2_sgpr3
	s_cbranch_scc1 .LBB121_3
; %bb.2:
	s_clause 0x1
	s_load_b32 s2, s[0:1], 0x20
	s_load_b64 s[14:15], s[0:1], 0x18
	s_mul_i32 s3, s8, s5
	s_mul_hi_u32 s5, s8, s4
	s_mul_i32 s16, s9, s4
	s_add_i32 s3, s5, s3
	s_mul_i32 s4, s8, s4
	s_add_i32 s5, s3, s16
	s_delay_alu instid0(SALU_CYCLE_1)
	s_lshl_b64 s[4:5], s[4:5], 2
	s_waitcnt lgkmcnt(0)
	s_ashr_i32 s3, s2, 31
	s_add_u32 s4, s14, s4
	s_addc_u32 s5, s15, s5
	s_lshl_b64 s[2:3], s[2:3], 2
	s_delay_alu instid0(SALU_CYCLE_1)
	s_add_u32 s2, s4, s2
	s_addc_u32 s3, s5, s3
.LBB121_3:
	s_load_b64 s[0:1], s[0:1], 0x8
	v_lshlrev_b32_e32 v117, 2, v0
	s_waitcnt lgkmcnt(0)
	v_add3_u32 v3, s1, s1, v0
	s_ashr_i32 s5, s0, 31
	s_mov_b32 s4, s0
	s_mov_b32 s14, s1
	s_lshl_b64 s[4:5], s[4:5], 2
	v_add_nc_u32_e32 v5, s1, v3
	v_ashrrev_i32_e32 v4, 31, v3
	s_add_u32 s4, s10, s4
	s_addc_u32 s5, s11, s5
	v_add_co_u32 v1, s0, s4, v117
	v_add_nc_u32_e32 v7, s1, v5
	v_ashrrev_i32_e32 v6, 31, v5
	s_ashr_i32 s15, s1, 31
	v_add_co_ci_u32_e64 v2, null, s5, 0, s0
	s_delay_alu instid0(VALU_DEP_3)
	v_add_nc_u32_e32 v9, s1, v7
	v_lshlrev_b64 v[44:45], 2, v[3:4]
	s_lshl_b64 s[10:11], s[14:15], 2
	v_lshlrev_b64 v[47:48], 2, v[5:6]
	v_add_co_u32 v3, vcc_lo, v1, s10
	v_add_nc_u32_e32 v11, s1, v9
	v_ashrrev_i32_e32 v8, 31, v7
	v_add_co_ci_u32_e32 v4, vcc_lo, s11, v2, vcc_lo
	v_add_co_u32 v5, vcc_lo, s4, v44
	s_delay_alu instid0(VALU_DEP_4) | instskip(SKIP_3) | instid1(VALU_DEP_4)
	v_add_nc_u32_e32 v13, s1, v11
	v_ashrrev_i32_e32 v10, 31, v9
	v_add_co_ci_u32_e32 v6, vcc_lo, s5, v45, vcc_lo
	v_lshlrev_b64 v[44:45], 2, v[7:8]
	v_add_nc_u32_e32 v15, s1, v13
	v_add_co_u32 v7, vcc_lo, s4, v47
	v_add_co_ci_u32_e32 v8, vcc_lo, s5, v48, vcc_lo
	s_delay_alu instid0(VALU_DEP_3) | instskip(SKIP_3) | instid1(VALU_DEP_4)
	v_add_nc_u32_e32 v17, s1, v15
	v_lshlrev_b64 v[47:48], 2, v[9:10]
	v_ashrrev_i32_e32 v12, 31, v11
	v_add_co_u32 v9, vcc_lo, s4, v44
	v_add_nc_u32_e32 v19, s1, v17
	v_ashrrev_i32_e32 v14, 31, v13
	v_add_co_ci_u32_e32 v10, vcc_lo, s5, v45, vcc_lo
	v_lshlrev_b64 v[44:45], 2, v[11:12]
	s_delay_alu instid0(VALU_DEP_4) | instskip(SKIP_2) | instid1(VALU_DEP_3)
	v_add_nc_u32_e32 v21, s1, v19
	v_add_co_u32 v11, vcc_lo, s4, v47
	v_add_co_ci_u32_e32 v12, vcc_lo, s5, v48, vcc_lo
	v_add_nc_u32_e32 v23, s1, v21
	v_lshlrev_b64 v[47:48], 2, v[13:14]
	v_ashrrev_i32_e32 v16, 31, v15
	v_add_co_u32 v13, vcc_lo, s4, v44
	s_delay_alu instid0(VALU_DEP_4) | instskip(SKIP_3) | instid1(VALU_DEP_4)
	v_add_nc_u32_e32 v25, s1, v23
	v_ashrrev_i32_e32 v18, 31, v17
	v_add_co_ci_u32_e32 v14, vcc_lo, s5, v45, vcc_lo
	v_lshlrev_b64 v[44:45], 2, v[15:16]
	v_add_nc_u32_e32 v27, s1, v25
	v_add_co_u32 v15, vcc_lo, s4, v47
	v_add_co_ci_u32_e32 v16, vcc_lo, s5, v48, vcc_lo
	s_delay_alu instid0(VALU_DEP_3) | instskip(SKIP_3) | instid1(VALU_DEP_4)
	v_add_nc_u32_e32 v29, s1, v27
	v_lshlrev_b64 v[47:48], 2, v[17:18]
	v_ashrrev_i32_e32 v20, 31, v19
	v_add_co_u32 v17, vcc_lo, s4, v44
	v_add_nc_u32_e32 v31, s1, v29
	v_ashrrev_i32_e32 v22, 31, v21
	v_add_co_ci_u32_e32 v18, vcc_lo, s5, v45, vcc_lo
	v_lshlrev_b64 v[44:45], 2, v[19:20]
	s_delay_alu instid0(VALU_DEP_4) | instskip(SKIP_2) | instid1(VALU_DEP_3)
	v_add_nc_u32_e32 v33, s1, v31
	v_add_co_u32 v19, vcc_lo, s4, v47
	v_add_co_ci_u32_e32 v20, vcc_lo, s5, v48, vcc_lo
	v_add_nc_u32_e32 v35, s1, v33
	v_lshlrev_b64 v[47:48], 2, v[21:22]
	v_ashrrev_i32_e32 v24, 31, v23
	;; [unrolled: 25-line block ×3, first 2 shown]
	v_add_co_u32 v29, vcc_lo, s4, v44
	s_delay_alu instid0(VALU_DEP_4) | instskip(SKIP_3) | instid1(VALU_DEP_4)
	v_add_nc_u32_e32 v51, s1, v49
	v_ashrrev_i32_e32 v34, 31, v33
	v_add_co_ci_u32_e32 v30, vcc_lo, s5, v45, vcc_lo
	v_lshlrev_b64 v[44:45], 2, v[31:32]
	v_add_nc_u32_e32 v53, s1, v51
	v_add_co_u32 v31, vcc_lo, s4, v47
	v_add_co_ci_u32_e32 v32, vcc_lo, s5, v48, vcc_lo
	s_delay_alu instid0(VALU_DEP_3) | instskip(SKIP_3) | instid1(VALU_DEP_4)
	v_add_nc_u32_e32 v55, s1, v53
	v_lshlrev_b64 v[47:48], 2, v[33:34]
	v_ashrrev_i32_e32 v36, 31, v35
	v_add_co_u32 v33, vcc_lo, s4, v44
	v_add_nc_u32_e32 v57, s1, v55
	v_ashrrev_i32_e32 v38, 31, v37
	v_add_co_ci_u32_e32 v34, vcc_lo, s5, v45, vcc_lo
	v_lshlrev_b64 v[44:45], 2, v[35:36]
	s_delay_alu instid0(VALU_DEP_4) | instskip(SKIP_3) | instid1(VALU_DEP_4)
	v_add_nc_u32_e32 v59, s1, v57
	v_add_co_u32 v35, vcc_lo, s4, v47
	v_ashrrev_i32_e32 v40, 31, v39
	v_add_co_ci_u32_e32 v36, vcc_lo, s5, v48, vcc_lo
	v_add_nc_u32_e32 v61, s1, v59
	v_lshlrev_b64 v[47:48], 2, v[37:38]
	v_add_co_u32 v37, vcc_lo, s4, v44
	v_lshlrev_b64 v[82:83], 2, v[39:40]
	s_delay_alu instid0(VALU_DEP_4) | instskip(SKIP_3) | instid1(VALU_DEP_4)
	v_add_nc_u32_e32 v63, s1, v61
	v_ashrrev_i32_e32 v42, 31, v41
	v_add_co_ci_u32_e32 v38, vcc_lo, s5, v45, vcc_lo
	v_add_co_u32 v39, vcc_lo, s4, v47
	v_add_nc_u32_e32 v65, s1, v63
	v_ashrrev_i32_e32 v44, 31, v43
	v_add_co_ci_u32_e32 v40, vcc_lo, s5, v48, vcc_lo
	v_lshlrev_b64 v[90:91], 2, v[41:42]
	s_delay_alu instid0(VALU_DEP_4) | instskip(SKIP_3) | instid1(VALU_DEP_4)
	v_add_nc_u32_e32 v67, s1, v65
	v_add_co_u32 v41, vcc_lo, s4, v82
	v_ashrrev_i32_e32 v47, 31, v46
	v_add_co_ci_u32_e32 v42, vcc_lo, s5, v83, vcc_lo
	v_add_nc_u32_e32 v69, s1, v67
	v_lshlrev_b64 v[82:83], 2, v[43:44]
	v_ashrrev_i32_e32 v50, 31, v49
	v_add_co_u32 v43, vcc_lo, s4, v90
	s_delay_alu instid0(VALU_DEP_4) | instskip(SKIP_3) | instid1(VALU_DEP_4)
	v_add_nc_u32_e32 v71, s1, v69
	v_lshlrev_b64 v[47:48], 2, v[46:47]
	v_ashrrev_i32_e32 v52, 31, v51
	v_add_co_ci_u32_e32 v44, vcc_lo, s5, v91, vcc_lo
	v_add_nc_u32_e32 v73, s1, v71
	v_add_co_u32 v45, vcc_lo, s4, v82
	v_lshlrev_b64 v[49:50], 2, v[49:50]
	v_ashrrev_i32_e32 v54, 31, v53
	s_delay_alu instid0(VALU_DEP_4) | instskip(SKIP_2) | instid1(VALU_DEP_3)
	v_add_nc_u32_e32 v75, s1, v73
	v_add_co_ci_u32_e32 v46, vcc_lo, s5, v83, vcc_lo
	v_add_co_u32 v47, vcc_lo, s4, v47
	v_add_nc_u32_e32 v77, s1, v75
	v_lshlrev_b64 v[51:52], 2, v[51:52]
	v_ashrrev_i32_e32 v56, 31, v55
	v_add_co_ci_u32_e32 v48, vcc_lo, s5, v48, vcc_lo
	s_delay_alu instid0(VALU_DEP_4) | instskip(SKIP_3) | instid1(VALU_DEP_4)
	v_add_nc_u32_e32 v79, s1, v77
	v_add_co_u32 v49, vcc_lo, s4, v49
	v_lshlrev_b64 v[53:54], 2, v[53:54]
	v_ashrrev_i32_e32 v58, 31, v57
	v_add_nc_u32_e32 v81, s1, v79
	v_add_co_ci_u32_e32 v50, vcc_lo, s5, v50, vcc_lo
	v_add_co_u32 v51, vcc_lo, s4, v51
	s_delay_alu instid0(VALU_DEP_3) | instskip(SKIP_3) | instid1(VALU_DEP_4)
	v_add_nc_u32_e32 v85, s1, v81
	v_lshlrev_b64 v[55:56], 2, v[55:56]
	v_ashrrev_i32_e32 v60, 31, v59
	v_add_co_ci_u32_e32 v52, vcc_lo, s5, v52, vcc_lo
	v_add_nc_u32_e32 v87, s1, v85
	v_add_co_u32 v53, vcc_lo, s4, v53
	v_lshlrev_b64 v[57:58], 2, v[57:58]
	v_ashrrev_i32_e32 v62, 31, v61
	s_delay_alu instid0(VALU_DEP_4) | instskip(SKIP_2) | instid1(VALU_DEP_3)
	v_add_nc_u32_e32 v89, s1, v87
	v_add_co_ci_u32_e32 v54, vcc_lo, s5, v54, vcc_lo
	v_add_co_u32 v55, vcc_lo, s4, v55
	v_add_nc_u32_e32 v92, s1, v89
	v_lshlrev_b64 v[59:60], 2, v[59:60]
	v_ashrrev_i32_e32 v64, 31, v63
	v_add_co_ci_u32_e32 v56, vcc_lo, s5, v56, vcc_lo
	s_delay_alu instid0(VALU_DEP_4) | instskip(SKIP_3) | instid1(VALU_DEP_4)
	v_add_nc_u32_e32 v94, s1, v92
	v_add_co_u32 v57, vcc_lo, s4, v57
	v_lshlrev_b64 v[61:62], 2, v[61:62]
	v_ashrrev_i32_e32 v66, 31, v65
	v_add_nc_u32_e32 v96, s1, v94
	v_add_co_ci_u32_e32 v58, vcc_lo, s5, v58, vcc_lo
	v_add_co_u32 v59, vcc_lo, s4, v59
	s_delay_alu instid0(VALU_DEP_3) | instskip(SKIP_3) | instid1(VALU_DEP_4)
	v_add_nc_u32_e32 v98, s1, v96
	v_lshlrev_b64 v[63:64], 2, v[63:64]
	v_add_co_ci_u32_e32 v60, vcc_lo, s5, v60, vcc_lo
	v_add_co_u32 v61, vcc_lo, s4, v61
	v_add_nc_u32_e32 v100, s1, v98
	v_lshlrev_b64 v[65:66], 2, v[65:66]
	v_ashrrev_i32_e32 v68, 31, v67
	v_add_co_ci_u32_e32 v62, vcc_lo, s5, v62, vcc_lo
	s_delay_alu instid0(VALU_DEP_4) | instskip(SKIP_2) | instid1(VALU_DEP_3)
	v_add_nc_u32_e32 v102, s1, v100
	v_add_co_u32 v63, vcc_lo, s4, v63
	v_add_co_ci_u32_e32 v64, vcc_lo, s5, v64, vcc_lo
	v_add_nc_u32_e32 v104, s1, v102
	v_lshlrev_b64 v[82:83], 2, v[67:68]
	v_ashrrev_i32_e32 v70, 31, v69
	v_add_co_u32 v67, vcc_lo, s4, v65
	s_delay_alu instid0(VALU_DEP_4) | instskip(SKIP_3) | instid1(VALU_DEP_4)
	v_add_nc_u32_e32 v106, s1, v104
	v_add_co_ci_u32_e32 v68, vcc_lo, s5, v66, vcc_lo
	v_ashrrev_i32_e32 v72, 31, v71
	v_lshlrev_b64 v[115:116], 2, v[69:70]
	v_add_nc_u32_e32 v108, s1, v106
	v_add_co_u32 v69, vcc_lo, s4, v82
	v_ashrrev_i32_e32 v74, 31, v73
	v_add_co_ci_u32_e32 v70, vcc_lo, s5, v83, vcc_lo
	s_delay_alu instid0(VALU_DEP_4)
	v_add_nc_u32_e32 v110, s1, v108
	v_lshlrev_b64 v[82:83], 2, v[71:72]
	v_ashrrev_i32_e32 v76, 31, v75
	v_ashrrev_i32_e32 v78, 31, v77
	;; [unrolled: 1-line block ×3, first 2 shown]
	v_add_nc_u32_e32 v112, s1, v110
	v_ashrrev_i32_e32 v86, 31, v85
	v_ashrrev_i32_e32 v88, 31, v87
	;; [unrolled: 1-line block ×4, first 2 shown]
	v_add_nc_u32_e32 v114, s1, v112
	v_lshlrev_b64 v[85:86], 2, v[85:86]
	v_lshlrev_b64 v[87:88], 2, v[87:88]
	v_ashrrev_i32_e32 v97, 31, v96
	v_ashrrev_i32_e32 v99, 31, v98
	v_add_nc_u32_e32 v167, s1, v114
	v_ashrrev_i32_e32 v101, 31, v100
	v_ashrrev_i32_e32 v103, 31, v102
	;; [unrolled: 1-line block ×4, first 2 shown]
	v_add_nc_u32_e32 v90, s1, v167
	v_ashrrev_i32_e32 v109, 31, v108
	v_ashrrev_i32_e32 v111, 31, v110
	;; [unrolled: 1-line block ×5, first 2 shown]
	s_clause 0x18
	global_load_b32 v118, v117, s[4:5]
	global_load_b32 v119, v[3:4], off
	global_load_b32 v120, v[5:6], off
	global_load_b32 v121, v[7:8], off
	global_load_b32 v122, v[9:10], off
	global_load_b32 v123, v[11:12], off
	global_load_b32 v124, v[13:14], off
	global_load_b32 v125, v[15:16], off
	global_load_b32 v126, v[17:18], off
	global_load_b32 v127, v[19:20], off
	global_load_b32 v128, v[21:22], off
	global_load_b32 v129, v[23:24], off
	global_load_b32 v130, v[25:26], off
	global_load_b32 v131, v[27:28], off
	global_load_b32 v132, v[29:30], off
	global_load_b32 v133, v[31:32], off
	global_load_b32 v134, v[33:34], off
	global_load_b32 v135, v[35:36], off
	global_load_b32 v136, v[37:38], off
	global_load_b32 v137, v[39:40], off
	global_load_b32 v138, v[41:42], off
	global_load_b32 v139, v[43:44], off
	global_load_b32 v140, v[45:46], off
	global_load_b32 v141, v[47:48], off
	global_load_b32 v142, v[49:50], off
	v_lshlrev_b64 v[65:66], 2, v[90:91]
	v_lshlrev_b64 v[90:91], 2, v[73:74]
	s_clause 0x7
	global_load_b32 v143, v[51:52], off
	global_load_b32 v144, v[53:54], off
	;; [unrolled: 1-line block ×8, first 2 shown]
	s_bitcmp0_b32 s13, 0
	s_mov_b32 s1, -1
	v_add_co_u32 v65, vcc_lo, s4, v65
	v_add_co_ci_u32_e32 v66, vcc_lo, s5, v66, vcc_lo
	v_add_co_u32 v71, vcc_lo, s4, v115
	v_add_co_ci_u32_e32 v72, vcc_lo, s5, v116, vcc_lo
	;; [unrolled: 2-line block ×3, first 2 shown]
	v_lshlrev_b64 v[82:83], 2, v[75:76]
	v_add_co_u32 v75, vcc_lo, s4, v90
	v_add_co_ci_u32_e32 v76, vcc_lo, s5, v91, vcc_lo
	v_lshlrev_b64 v[90:91], 2, v[77:78]
	s_delay_alu instid0(VALU_DEP_4)
	v_add_co_u32 v77, vcc_lo, s4, v82
	v_ashrrev_i32_e32 v82, 31, v81
	v_add_co_ci_u32_e32 v78, vcc_lo, s5, v83, vcc_lo
	v_lshlrev_b64 v[83:84], 2, v[79:80]
	v_add_co_u32 v79, vcc_lo, s4, v90
	v_add_co_ci_u32_e32 v80, vcc_lo, s5, v91, vcc_lo
	v_lshlrev_b64 v[90:91], 2, v[81:82]
	s_delay_alu instid0(VALU_DEP_4) | instskip(SKIP_2) | instid1(VALU_DEP_4)
	v_add_co_u32 v81, vcc_lo, s4, v83
	v_add_co_ci_u32_e32 v82, vcc_lo, s5, v84, vcc_lo
	v_ashrrev_i32_e32 v115, 31, v114
	v_add_co_u32 v83, vcc_lo, s4, v90
	v_ashrrev_i32_e32 v90, 31, v89
	v_add_co_ci_u32_e32 v84, vcc_lo, s5, v91, vcc_lo
	v_add_co_u32 v85, vcc_lo, s4, v85
	s_delay_alu instid0(VALU_DEP_3)
	v_lshlrev_b64 v[89:90], 2, v[89:90]
	v_add_co_ci_u32_e32 v86, vcc_lo, s5, v86, vcc_lo
	v_add_co_u32 v87, vcc_lo, s4, v87
	v_lshlrev_b64 v[91:92], 2, v[92:93]
	v_add_co_ci_u32_e32 v88, vcc_lo, s5, v88, vcc_lo
	v_add_co_u32 v89, vcc_lo, s4, v89
	;; [unrolled: 3-line block ×14, first 2 shown]
	v_add_co_ci_u32_e32 v114, vcc_lo, s5, v114, vcc_lo
	s_delay_alu instid0(VALU_DEP_4)
	v_add_co_u32 v115, vcc_lo, s4, v115
	s_clause 0xf
	global_load_b32 v151, v[69:70], off
	global_load_b32 v152, v[71:72], off
	;; [unrolled: 1-line block ×16, first 2 shown]
	v_add_co_ci_u32_e32 v116, vcc_lo, s5, v116, vcc_lo
	s_clause 0x8
	global_load_b32 v167, v[101:102], off
	global_load_b32 v168, v[103:104], off
	;; [unrolled: 1-line block ×9, first 2 shown]
	s_waitcnt vmcnt(54)
	scratch_store_b128 off, v[118:121], off
	s_waitcnt vmcnt(50)
	scratch_store_b128 off, v[122:125], off offset:16
	s_waitcnt vmcnt(46)
	scratch_store_b128 off, v[126:129], off offset:32
	;; [unrolled: 2-line block ×13, first 2 shown]
	s_waitcnt vmcnt(0)
	scratch_store_b64 off, v[174:175], off offset:224
	s_cbranch_scc1 .LBB121_238
; %bb.4:
	v_cmp_eq_u32_e64 s0, 0, v0
	s_delay_alu instid0(VALU_DEP_1)
	s_and_saveexec_b32 s1, s0
	s_cbranch_execz .LBB121_6
; %bb.5:
	v_mov_b32_e32 v118, 0
	ds_store_b32 v118, v118 offset:232
.LBB121_6:
	s_or_b32 exec_lo, exec_lo, s1
	s_waitcnt lgkmcnt(0)
	s_waitcnt_vscnt null, 0x0
	s_barrier
	buffer_gl0_inv
	scratch_load_b32 v118, v117, off
	s_mov_b32 s4, exec_lo
	s_waitcnt vmcnt(0)
	v_cmpx_eq_f32_e32 0, v118
	s_cbranch_execz .LBB121_10
; %bb.7:
	v_mov_b32_e32 v118, 0
	s_mov_b32 s5, 0
	ds_load_b32 v119, v118 offset:232
	s_waitcnt lgkmcnt(0)
	v_readfirstlane_b32 s1, v119
	v_add_nc_u32_e32 v119, 1, v0
	s_delay_alu instid0(VALU_DEP_2) | instskip(NEXT) | instid1(VALU_DEP_1)
	s_cmp_eq_u32 s1, 0
	v_cmp_gt_i32_e32 vcc_lo, s1, v119
	s_cselect_b32 s10, -1, 0
	s_delay_alu instid0(SALU_CYCLE_1) | instskip(NEXT) | instid1(SALU_CYCLE_1)
	s_or_b32 s10, s10, vcc_lo
	s_and_b32 exec_lo, exec_lo, s10
	s_cbranch_execz .LBB121_10
; %bb.8:
	v_mov_b32_e32 v120, s1
.LBB121_9:                              ; =>This Inner Loop Header: Depth=1
	ds_cmpstore_rtn_b32 v120, v118, v119, v120 offset:232
	s_waitcnt lgkmcnt(0)
	v_cmp_ne_u32_e32 vcc_lo, 0, v120
	v_cmp_le_i32_e64 s1, v120, v119
	s_delay_alu instid0(VALU_DEP_1) | instskip(NEXT) | instid1(SALU_CYCLE_1)
	s_and_b32 s1, vcc_lo, s1
	s_and_b32 s1, exec_lo, s1
	s_delay_alu instid0(SALU_CYCLE_1) | instskip(NEXT) | instid1(SALU_CYCLE_1)
	s_or_b32 s5, s1, s5
	s_and_not1_b32 exec_lo, exec_lo, s5
	s_cbranch_execnz .LBB121_9
.LBB121_10:
	s_or_b32 exec_lo, exec_lo, s4
	v_mov_b32_e32 v118, 0
	s_barrier
	buffer_gl0_inv
	ds_load_b32 v119, v118 offset:232
	s_and_saveexec_b32 s1, s0
	s_cbranch_execz .LBB121_12
; %bb.11:
	s_lshl_b64 s[4:5], s[8:9], 2
	s_delay_alu instid0(SALU_CYCLE_1)
	s_add_u32 s4, s6, s4
	s_addc_u32 s5, s7, s5
	s_waitcnt lgkmcnt(0)
	global_store_b32 v118, v119, s[4:5]
.LBB121_12:
	s_or_b32 exec_lo, exec_lo, s1
	s_waitcnt lgkmcnt(0)
	v_cmp_ne_u32_e32 vcc_lo, 0, v119
	s_mov_b32 s1, 0
	s_cbranch_vccnz .LBB121_238
; %bb.13:
	v_add_nc_u32_e32 v118, 0, v117
	scratch_load_b32 v119, v118, off
	s_waitcnt vmcnt(0)
	v_div_scale_f32 v120, null, v119, v119, 1.0
	v_div_scale_f32 v123, vcc_lo, 1.0, v119, 1.0
	s_delay_alu instid0(VALU_DEP_2) | instskip(SKIP_2) | instid1(VALU_DEP_1)
	v_rcp_f32_e32 v121, v120
	s_waitcnt_depctr 0xfff
	v_fma_f32 v122, -v120, v121, 1.0
	v_fmac_f32_e32 v121, v122, v121
	s_delay_alu instid0(VALU_DEP_1) | instskip(NEXT) | instid1(VALU_DEP_1)
	v_mul_f32_e32 v122, v123, v121
	v_fma_f32 v124, -v120, v122, v123
	s_delay_alu instid0(VALU_DEP_1) | instskip(NEXT) | instid1(VALU_DEP_1)
	v_fmac_f32_e32 v122, v124, v121
	v_fma_f32 v120, -v120, v122, v123
	s_delay_alu instid0(VALU_DEP_1) | instskip(NEXT) | instid1(VALU_DEP_1)
	v_div_fmas_f32 v120, v120, v121, v122
	v_div_fixup_f32 v119, v120, v119, 1.0
	scratch_store_b32 v118, v119, off
	scratch_load_b32 v120, off, off offset:4
	v_xor_b32_e32 v121, 0x80000000, v119
	v_add_nc_u32_e32 v119, 0xf0, v117
	s_waitcnt vmcnt(0)
	ds_store_2addr_b32 v117, v121, v120 offset1:60
	s_waitcnt lgkmcnt(0)
	s_waitcnt_vscnt null, 0x0
	s_barrier
	buffer_gl0_inv
	s_and_saveexec_b32 s1, s0
	s_cbranch_execz .LBB121_15
; %bb.14:
	scratch_load_b32 v120, v118, off
	ds_load_b32 v121, v119
	v_mov_b32_e32 v122, 0
	ds_load_b32 v122, v122 offset:4
	s_waitcnt vmcnt(0) lgkmcnt(1)
	v_fma_f32 v120, v120, v121, 0
	s_waitcnt lgkmcnt(0)
	s_delay_alu instid0(VALU_DEP_1)
	v_mul_f32_e32 v120, v120, v122
	scratch_store_b32 off, v120, off offset:4
.LBB121_15:
	s_or_b32 exec_lo, exec_lo, s1
	s_waitcnt_vscnt null, 0x0
	s_barrier
	buffer_gl0_inv
	scratch_load_b32 v120, off, off offset:8
	s_mov_b32 s1, exec_lo
	s_waitcnt vmcnt(0)
	ds_store_b32 v119, v120
	s_waitcnt lgkmcnt(0)
	s_barrier
	buffer_gl0_inv
	v_cmpx_gt_u32_e32 2, v0
	s_cbranch_execz .LBB121_17
; %bb.16:
	scratch_load_b32 v122, v118, off
	scratch_load_b32 v123, off, off offset:4
	ds_load_b32 v124, v119
	v_mov_b32_e32 v120, 0
	ds_load_2addr_b32 v[120:121], v120 offset0:2 offset1:61
	s_waitcnt vmcnt(1) lgkmcnt(1)
	v_fma_f32 v122, v122, v124, 0
	s_waitcnt vmcnt(0) lgkmcnt(0)
	s_delay_alu instid0(VALU_DEP_1) | instskip(NEXT) | instid1(VALU_DEP_1)
	v_fma_f32 v121, v123, v121, v122
	v_cndmask_b32_e64 v121, v122, v121, s0
	s_delay_alu instid0(VALU_DEP_1)
	v_mul_f32_e32 v120, v121, v120
	scratch_store_b32 off, v120, off offset:8
.LBB121_17:
	s_or_b32 exec_lo, exec_lo, s1
	s_waitcnt_vscnt null, 0x0
	s_barrier
	buffer_gl0_inv
	scratch_load_b32 v121, off, off offset:12
	v_add_nc_u32_e32 v120, -1, v0
	s_mov_b32 s0, exec_lo
	s_waitcnt vmcnt(0)
	ds_store_b32 v119, v121
	s_waitcnt lgkmcnt(0)
	s_barrier
	buffer_gl0_inv
	v_cmpx_gt_u32_e32 3, v0
	s_cbranch_execz .LBB121_21
; %bb.18:
	v_dual_mov_b32 v121, 0 :: v_dual_add_nc_u32 v122, -1, v0
	v_add_nc_u32_e32 v123, 0xf0, v117
	v_add_nc_u32_e32 v124, 0, v117
	s_mov_b32 s1, 0
.LBB121_19:                             ; =>This Inner Loop Header: Depth=1
	scratch_load_b32 v125, v124, off
	ds_load_b32 v126, v123
	v_add_nc_u32_e32 v122, 1, v122
	v_add_nc_u32_e32 v123, 4, v123
	v_add_nc_u32_e32 v124, 4, v124
	s_delay_alu instid0(VALU_DEP_3)
	v_cmp_lt_u32_e32 vcc_lo, 1, v122
	s_or_b32 s1, vcc_lo, s1
	s_waitcnt vmcnt(0) lgkmcnt(0)
	v_fmac_f32_e32 v121, v125, v126
	s_and_not1_b32 exec_lo, exec_lo, s1
	s_cbranch_execnz .LBB121_19
; %bb.20:
	s_or_b32 exec_lo, exec_lo, s1
	v_mov_b32_e32 v122, 0
	ds_load_b32 v122, v122 offset:12
	s_waitcnt lgkmcnt(0)
	v_mul_f32_e32 v121, v121, v122
	scratch_store_b32 off, v121, off offset:12
.LBB121_21:
	s_or_b32 exec_lo, exec_lo, s0
	s_waitcnt_vscnt null, 0x0
	s_barrier
	buffer_gl0_inv
	scratch_load_b32 v121, off, off offset:16
	s_mov_b32 s0, exec_lo
	s_waitcnt vmcnt(0)
	ds_store_b32 v119, v121
	s_waitcnt lgkmcnt(0)
	s_barrier
	buffer_gl0_inv
	v_cmpx_gt_u32_e32 4, v0
	s_cbranch_execz .LBB121_25
; %bb.22:
	v_dual_mov_b32 v121, 0 :: v_dual_add_nc_u32 v122, -1, v0
	v_add_nc_u32_e32 v123, 0xf0, v117
	v_add_nc_u32_e32 v124, 0, v117
	s_mov_b32 s1, 0
.LBB121_23:                             ; =>This Inner Loop Header: Depth=1
	scratch_load_b32 v125, v124, off
	ds_load_b32 v126, v123
	v_add_nc_u32_e32 v122, 1, v122
	v_add_nc_u32_e32 v123, 4, v123
	v_add_nc_u32_e32 v124, 4, v124
	s_delay_alu instid0(VALU_DEP_3)
	v_cmp_lt_u32_e32 vcc_lo, 2, v122
	s_or_b32 s1, vcc_lo, s1
	s_waitcnt vmcnt(0) lgkmcnt(0)
	v_fmac_f32_e32 v121, v125, v126
	s_and_not1_b32 exec_lo, exec_lo, s1
	s_cbranch_execnz .LBB121_23
; %bb.24:
	s_or_b32 exec_lo, exec_lo, s1
	v_mov_b32_e32 v122, 0
	ds_load_b32 v122, v122 offset:16
	s_waitcnt lgkmcnt(0)
	v_mul_f32_e32 v121, v121, v122
	scratch_store_b32 off, v121, off offset:16
.LBB121_25:
	s_or_b32 exec_lo, exec_lo, s0
	s_waitcnt_vscnt null, 0x0
	s_barrier
	buffer_gl0_inv
	scratch_load_b32 v121, off, off offset:20
	;; [unrolled: 39-line block ×21, first 2 shown]
	s_mov_b32 s0, exec_lo
	s_waitcnt vmcnt(0)
	ds_store_b32 v119, v121
	s_waitcnt lgkmcnt(0)
	s_barrier
	buffer_gl0_inv
	v_cmpx_gt_u32_e32 24, v0
	s_cbranch_execz .LBB121_105
; %bb.102:
	v_dual_mov_b32 v121, 0 :: v_dual_add_nc_u32 v122, -1, v0
	v_add_nc_u32_e32 v123, 0xf0, v117
	v_add_nc_u32_e32 v124, 0, v117
	s_mov_b32 s1, 0
.LBB121_103:                            ; =>This Inner Loop Header: Depth=1
	scratch_load_b32 v125, v124, off
	ds_load_b32 v126, v123
	v_add_nc_u32_e32 v122, 1, v122
	v_add_nc_u32_e32 v123, 4, v123
	v_add_nc_u32_e32 v124, 4, v124
	s_delay_alu instid0(VALU_DEP_3)
	v_cmp_lt_u32_e32 vcc_lo, 22, v122
	s_or_b32 s1, vcc_lo, s1
	s_waitcnt vmcnt(0) lgkmcnt(0)
	v_fmac_f32_e32 v121, v125, v126
	s_and_not1_b32 exec_lo, exec_lo, s1
	s_cbranch_execnz .LBB121_103
; %bb.104:
	s_or_b32 exec_lo, exec_lo, s1
	v_mov_b32_e32 v122, 0
	ds_load_b32 v122, v122 offset:96
	s_waitcnt lgkmcnt(0)
	v_mul_f32_e32 v121, v121, v122
	scratch_store_b32 off, v121, off offset:96
.LBB121_105:
	s_or_b32 exec_lo, exec_lo, s0
	s_waitcnt_vscnt null, 0x0
	s_barrier
	buffer_gl0_inv
	scratch_load_b32 v121, off, off offset:100
	s_mov_b32 s0, exec_lo
	s_waitcnt vmcnt(0)
	ds_store_b32 v119, v121
	s_waitcnt lgkmcnt(0)
	s_barrier
	buffer_gl0_inv
	v_cmpx_gt_u32_e32 25, v0
	s_cbranch_execz .LBB121_109
; %bb.106:
	v_dual_mov_b32 v121, 0 :: v_dual_add_nc_u32 v122, -1, v0
	v_add_nc_u32_e32 v123, 0xf0, v117
	v_add_nc_u32_e32 v124, 0, v117
	s_mov_b32 s1, 0
.LBB121_107:                            ; =>This Inner Loop Header: Depth=1
	scratch_load_b32 v125, v124, off
	ds_load_b32 v126, v123
	v_add_nc_u32_e32 v122, 1, v122
	v_add_nc_u32_e32 v123, 4, v123
	v_add_nc_u32_e32 v124, 4, v124
	s_delay_alu instid0(VALU_DEP_3)
	v_cmp_lt_u32_e32 vcc_lo, 23, v122
	s_or_b32 s1, vcc_lo, s1
	s_waitcnt vmcnt(0) lgkmcnt(0)
	v_fmac_f32_e32 v121, v125, v126
	s_and_not1_b32 exec_lo, exec_lo, s1
	s_cbranch_execnz .LBB121_107
; %bb.108:
	s_or_b32 exec_lo, exec_lo, s1
	v_mov_b32_e32 v122, 0
	ds_load_b32 v122, v122 offset:100
	s_waitcnt lgkmcnt(0)
	v_mul_f32_e32 v121, v121, v122
	scratch_store_b32 off, v121, off offset:100
.LBB121_109:
	s_or_b32 exec_lo, exec_lo, s0
	s_waitcnt_vscnt null, 0x0
	s_barrier
	buffer_gl0_inv
	scratch_load_b32 v121, off, off offset:104
	;; [unrolled: 39-line block ×32, first 2 shown]
	s_mov_b32 s0, exec_lo
	s_waitcnt vmcnt(0)
	ds_store_b32 v119, v121
	s_waitcnt lgkmcnt(0)
	s_barrier
	buffer_gl0_inv
	v_cmpx_gt_u32_e32 56, v0
	s_cbranch_execz .LBB121_233
; %bb.230:
	v_add_nc_u32_e32 v121, -1, v0
	v_add_nc_u32_e32 v122, 0xf0, v117
	v_add_nc_u32_e32 v123, 0, v117
	v_mov_b32_e32 v117, 0
	s_mov_b32 s1, 0
.LBB121_231:                            ; =>This Inner Loop Header: Depth=1
	scratch_load_b32 v124, v123, off
	ds_load_b32 v125, v122
	v_add_nc_u32_e32 v121, 1, v121
	v_add_nc_u32_e32 v122, 4, v122
	v_add_nc_u32_e32 v123, 4, v123
	s_delay_alu instid0(VALU_DEP_3)
	v_cmp_lt_u32_e32 vcc_lo, 54, v121
	s_or_b32 s1, vcc_lo, s1
	s_waitcnt vmcnt(0) lgkmcnt(0)
	v_fmac_f32_e32 v117, v124, v125
	s_and_not1_b32 exec_lo, exec_lo, s1
	s_cbranch_execnz .LBB121_231
; %bb.232:
	s_or_b32 exec_lo, exec_lo, s1
	v_mov_b32_e32 v121, 0
	ds_load_b32 v121, v121 offset:224
	s_waitcnt lgkmcnt(0)
	v_mul_f32_e32 v117, v117, v121
	scratch_store_b32 off, v117, off offset:224
.LBB121_233:
	s_or_b32 exec_lo, exec_lo, s0
	s_waitcnt_vscnt null, 0x0
	s_barrier
	buffer_gl0_inv
	scratch_load_b32 v117, off, off offset:228
	s_mov_b32 s0, exec_lo
	s_waitcnt vmcnt(0)
	ds_store_b32 v119, v117
	s_waitcnt lgkmcnt(0)
	s_barrier
	buffer_gl0_inv
	v_cmpx_ne_u32_e32 57, v0
	s_cbranch_execz .LBB121_237
; %bb.234:
	v_mov_b32_e32 v117, 0
	s_mov_b32 s1, 0
.LBB121_235:                            ; =>This Inner Loop Header: Depth=1
	scratch_load_b32 v121, v118, off
	ds_load_b32 v122, v119
	v_add_nc_u32_e32 v120, 1, v120
	v_add_nc_u32_e32 v119, 4, v119
	;; [unrolled: 1-line block ×3, first 2 shown]
	s_waitcnt vmcnt(0) lgkmcnt(0)
	v_fmac_f32_e32 v117, v121, v122
	v_cmp_lt_u32_e32 vcc_lo, 55, v120
	s_or_b32 s1, vcc_lo, s1
	s_delay_alu instid0(SALU_CYCLE_1)
	s_and_not1_b32 exec_lo, exec_lo, s1
	s_cbranch_execnz .LBB121_235
; %bb.236:
	s_or_b32 exec_lo, exec_lo, s1
	v_mov_b32_e32 v118, 0
	ds_load_b32 v118, v118 offset:228
	s_waitcnt lgkmcnt(0)
	v_mul_f32_e32 v117, v117, v118
	scratch_store_b32 off, v117, off offset:228
.LBB121_237:
	s_or_b32 exec_lo, exec_lo, s0
	s_mov_b32 s1, -1
	s_waitcnt_vscnt null, 0x0
	s_barrier
	buffer_gl0_inv
.LBB121_238:
	s_and_b32 vcc_lo, exec_lo, s1
	s_cbranch_vccz .LBB121_240
; %bb.239:
	s_lshl_b64 s[0:1], s[8:9], 2
	v_mov_b32_e32 v117, 0
	s_add_u32 s0, s6, s0
	s_addc_u32 s1, s7, s1
	global_load_b32 v117, v117, s[0:1]
	s_waitcnt vmcnt(0)
	v_cmp_ne_u32_e32 vcc_lo, 0, v117
	s_cbranch_vccz .LBB121_241
.LBB121_240:
	s_endpgm
.LBB121_241:
	v_lshl_add_u32 v117, v0, 2, 0xf0
	s_mov_b32 s0, exec_lo
	v_cmpx_eq_u32_e32 57, v0
	s_cbranch_execz .LBB121_243
; %bb.242:
	scratch_load_b32 v118, off, off offset:224
	v_mov_b32_e32 v119, 0
	scratch_store_b32 off, v119, off offset:224
	s_waitcnt vmcnt(0)
	ds_store_b32 v117, v118
.LBB121_243:
	s_or_b32 exec_lo, exec_lo, s0
	s_waitcnt lgkmcnt(0)
	s_waitcnt_vscnt null, 0x0
	s_barrier
	buffer_gl0_inv
	scratch_load_b64 v[119:120], off, off offset:224
	v_mov_b32_e32 v118, 0
	s_mov_b32 s0, exec_lo
	ds_load_b32 v121, v118 offset:468
	s_waitcnt vmcnt(0) lgkmcnt(0)
	v_fma_f32 v120, v120, v121, 0
	s_delay_alu instid0(VALU_DEP_1)
	v_sub_f32_e32 v119, v119, v120
	scratch_store_b32 off, v119, off offset:224
	v_cmpx_lt_u32_e32 55, v0
	s_cbranch_execz .LBB121_245
; %bb.244:
	scratch_load_b32 v119, off, off offset:220
	scratch_store_b32 off, v118, off offset:220
	s_waitcnt vmcnt(0)
	ds_store_b32 v117, v119
.LBB121_245:
	s_or_b32 exec_lo, exec_lo, s0
	s_waitcnt lgkmcnt(0)
	s_waitcnt_vscnt null, 0x0
	s_barrier
	buffer_gl0_inv
	scratch_load_b96 v[119:121], off, off offset:220
	ds_load_b64 v[122:123], v118 offset:464
	s_mov_b32 s0, exec_lo
	s_waitcnt vmcnt(0) lgkmcnt(0)
	v_fma_f32 v118, v120, v122, 0
	s_delay_alu instid0(VALU_DEP_1) | instskip(NEXT) | instid1(VALU_DEP_1)
	v_fmac_f32_e32 v118, v121, v123
	v_sub_f32_e32 v118, v119, v118
	scratch_store_b32 off, v118, off offset:220
	v_cmpx_lt_u32_e32 54, v0
	s_cbranch_execz .LBB121_247
; %bb.246:
	scratch_load_b32 v118, off, off offset:216
	v_mov_b32_e32 v119, 0
	scratch_store_b32 off, v119, off offset:216
	s_waitcnt vmcnt(0)
	ds_store_b32 v117, v118
.LBB121_247:
	s_or_b32 exec_lo, exec_lo, s0
	s_waitcnt lgkmcnt(0)
	s_waitcnt_vscnt null, 0x0
	s_barrier
	buffer_gl0_inv
	scratch_load_b128 v[119:122], off, off offset:216
	v_mov_b32_e32 v118, 0
	ds_load_2addr_b32 v[123:124], v118 offset0:115 offset1:116
	ds_load_b32 v125, v118 offset:468
	s_mov_b32 s0, exec_lo
	s_waitcnt vmcnt(0) lgkmcnt(1)
	v_fma_f32 v120, v120, v123, 0
	s_delay_alu instid0(VALU_DEP_1) | instskip(SKIP_1) | instid1(VALU_DEP_1)
	v_fmac_f32_e32 v120, v121, v124
	s_waitcnt lgkmcnt(0)
	v_fmac_f32_e32 v120, v122, v125
	s_delay_alu instid0(VALU_DEP_1)
	v_sub_f32_e32 v119, v119, v120
	scratch_store_b32 off, v119, off offset:216
	v_cmpx_lt_u32_e32 53, v0
	s_cbranch_execz .LBB121_249
; %bb.248:
	scratch_load_b32 v119, off, off offset:212
	scratch_store_b32 off, v118, off offset:212
	s_waitcnt vmcnt(0)
	ds_store_b32 v117, v119
.LBB121_249:
	s_or_b32 exec_lo, exec_lo, s0
	s_waitcnt lgkmcnt(0)
	s_waitcnt_vscnt null, 0x0
	s_barrier
	buffer_gl0_inv
	s_clause 0x1
	scratch_load_b128 v[119:122], off, off offset:212
	scratch_load_b32 v127, off, off offset:228
	ds_load_2addr_b64 v[123:126], v118 offset0:57 offset1:58
	s_mov_b32 s0, exec_lo
	s_waitcnt vmcnt(1) lgkmcnt(0)
	v_fma_f32 v118, v120, v123, 0
	s_delay_alu instid0(VALU_DEP_1) | instskip(NEXT) | instid1(VALU_DEP_1)
	v_fmac_f32_e32 v118, v121, v124
	v_fmac_f32_e32 v118, v122, v125
	s_waitcnt vmcnt(0)
	s_delay_alu instid0(VALU_DEP_1) | instskip(NEXT) | instid1(VALU_DEP_1)
	v_fmac_f32_e32 v118, v127, v126
	v_sub_f32_e32 v118, v119, v118
	scratch_store_b32 off, v118, off offset:212
	v_cmpx_lt_u32_e32 52, v0
	s_cbranch_execz .LBB121_251
; %bb.250:
	scratch_load_b32 v118, off, off offset:208
	v_mov_b32_e32 v119, 0
	scratch_store_b32 off, v119, off offset:208
	s_waitcnt vmcnt(0)
	ds_store_b32 v117, v118
.LBB121_251:
	s_or_b32 exec_lo, exec_lo, s0
	s_waitcnt lgkmcnt(0)
	s_waitcnt_vscnt null, 0x0
	s_barrier
	buffer_gl0_inv
	s_clause 0x1
	scratch_load_b128 v[119:122], off, off offset:208
	scratch_load_b64 v[123:124], off, off offset:224
	v_mov_b32_e32 v118, 0
	ds_load_2addr_b32 v[125:126], v118 offset0:113 offset1:114
	ds_load_2addr_b32 v[127:128], v118 offset0:115 offset1:116
	ds_load_b32 v129, v118 offset:468
	s_mov_b32 s0, exec_lo
	s_waitcnt vmcnt(1) lgkmcnt(2)
	v_fma_f32 v120, v120, v125, 0
	s_delay_alu instid0(VALU_DEP_1) | instskip(SKIP_1) | instid1(VALU_DEP_1)
	v_fmac_f32_e32 v120, v121, v126
	s_waitcnt lgkmcnt(1)
	v_fmac_f32_e32 v120, v122, v127
	s_waitcnt vmcnt(0)
	s_delay_alu instid0(VALU_DEP_1) | instskip(SKIP_1) | instid1(VALU_DEP_1)
	v_fmac_f32_e32 v120, v123, v128
	s_waitcnt lgkmcnt(0)
	v_fmac_f32_e32 v120, v124, v129
	s_delay_alu instid0(VALU_DEP_1)
	v_sub_f32_e32 v119, v119, v120
	scratch_store_b32 off, v119, off offset:208
	v_cmpx_lt_u32_e32 51, v0
	s_cbranch_execz .LBB121_253
; %bb.252:
	scratch_load_b32 v119, off, off offset:204
	scratch_store_b32 off, v118, off offset:204
	s_waitcnt vmcnt(0)
	ds_store_b32 v117, v119
.LBB121_253:
	s_or_b32 exec_lo, exec_lo, s0
	s_waitcnt lgkmcnt(0)
	s_waitcnt_vscnt null, 0x0
	s_barrier
	buffer_gl0_inv
	s_clause 0x1
	scratch_load_b128 v[119:122], off, off offset:204
	scratch_load_b96 v[127:129], off, off offset:220
	ds_load_b128 v[123:126], v118 offset:448
	ds_load_b64 v[130:131], v118 offset:464
	s_mov_b32 s0, exec_lo
	s_waitcnt vmcnt(1) lgkmcnt(1)
	v_fma_f32 v118, v120, v123, 0
	s_delay_alu instid0(VALU_DEP_1) | instskip(NEXT) | instid1(VALU_DEP_1)
	v_fmac_f32_e32 v118, v121, v124
	v_fmac_f32_e32 v118, v122, v125
	s_waitcnt vmcnt(0)
	s_delay_alu instid0(VALU_DEP_1) | instskip(SKIP_1) | instid1(VALU_DEP_1)
	v_fmac_f32_e32 v118, v127, v126
	s_waitcnt lgkmcnt(0)
	v_fmac_f32_e32 v118, v128, v130
	s_delay_alu instid0(VALU_DEP_1) | instskip(NEXT) | instid1(VALU_DEP_1)
	v_fmac_f32_e32 v118, v129, v131
	v_sub_f32_e32 v118, v119, v118
	scratch_store_b32 off, v118, off offset:204
	v_cmpx_lt_u32_e32 50, v0
	s_cbranch_execz .LBB121_255
; %bb.254:
	scratch_load_b32 v118, off, off offset:200
	v_mov_b32_e32 v119, 0
	scratch_store_b32 off, v119, off offset:200
	s_waitcnt vmcnt(0)
	ds_store_b32 v117, v118
.LBB121_255:
	s_or_b32 exec_lo, exec_lo, s0
	s_waitcnt lgkmcnt(0)
	s_waitcnt_vscnt null, 0x0
	s_barrier
	buffer_gl0_inv
	s_clause 0x1
	scratch_load_b128 v[119:122], off, off offset:200
	scratch_load_b128 v[123:126], off, off offset:216
	v_mov_b32_e32 v118, 0
	ds_load_2addr_b32 v[127:128], v118 offset0:111 offset1:112
	ds_load_2addr_b32 v[129:130], v118 offset0:113 offset1:114
	;; [unrolled: 1-line block ×3, first 2 shown]
	ds_load_b32 v133, v118 offset:468
	s_mov_b32 s0, exec_lo
	s_waitcnt vmcnt(1) lgkmcnt(3)
	v_fma_f32 v120, v120, v127, 0
	s_delay_alu instid0(VALU_DEP_1) | instskip(SKIP_1) | instid1(VALU_DEP_1)
	v_fmac_f32_e32 v120, v121, v128
	s_waitcnt lgkmcnt(2)
	v_fmac_f32_e32 v120, v122, v129
	s_waitcnt vmcnt(0)
	s_delay_alu instid0(VALU_DEP_1) | instskip(SKIP_1) | instid1(VALU_DEP_1)
	v_fmac_f32_e32 v120, v123, v130
	s_waitcnt lgkmcnt(1)
	v_fmac_f32_e32 v120, v124, v131
	s_delay_alu instid0(VALU_DEP_1) | instskip(SKIP_1) | instid1(VALU_DEP_1)
	v_fmac_f32_e32 v120, v125, v132
	s_waitcnt lgkmcnt(0)
	v_fmac_f32_e32 v120, v126, v133
	s_delay_alu instid0(VALU_DEP_1)
	v_sub_f32_e32 v119, v119, v120
	scratch_store_b32 off, v119, off offset:200
	v_cmpx_lt_u32_e32 49, v0
	s_cbranch_execz .LBB121_257
; %bb.256:
	scratch_load_b32 v119, off, off offset:196
	scratch_store_b32 off, v118, off offset:196
	s_waitcnt vmcnt(0)
	ds_store_b32 v117, v119
.LBB121_257:
	s_or_b32 exec_lo, exec_lo, s0
	s_waitcnt lgkmcnt(0)
	s_waitcnt_vscnt null, 0x0
	s_barrier
	buffer_gl0_inv
	s_clause 0x2
	scratch_load_b128 v[119:122], off, off offset:196
	scratch_load_b128 v[123:126], off, off offset:212
	scratch_load_b32 v135, off, off offset:228
	ds_load_2addr_b64 v[127:130], v118 offset0:55 offset1:56
	ds_load_2addr_b64 v[131:134], v118 offset0:57 offset1:58
	s_mov_b32 s0, exec_lo
	s_waitcnt vmcnt(2) lgkmcnt(1)
	v_fma_f32 v118, v120, v127, 0
	s_delay_alu instid0(VALU_DEP_1) | instskip(NEXT) | instid1(VALU_DEP_1)
	v_fmac_f32_e32 v118, v121, v128
	v_fmac_f32_e32 v118, v122, v129
	s_waitcnt vmcnt(1)
	s_delay_alu instid0(VALU_DEP_1) | instskip(SKIP_1) | instid1(VALU_DEP_1)
	v_fmac_f32_e32 v118, v123, v130
	s_waitcnt lgkmcnt(0)
	v_fmac_f32_e32 v118, v124, v131
	s_delay_alu instid0(VALU_DEP_1) | instskip(NEXT) | instid1(VALU_DEP_1)
	v_fmac_f32_e32 v118, v125, v132
	v_fmac_f32_e32 v118, v126, v133
	s_waitcnt vmcnt(0)
	s_delay_alu instid0(VALU_DEP_1) | instskip(NEXT) | instid1(VALU_DEP_1)
	v_fmac_f32_e32 v118, v135, v134
	v_sub_f32_e32 v118, v119, v118
	scratch_store_b32 off, v118, off offset:196
	v_cmpx_lt_u32_e32 48, v0
	s_cbranch_execz .LBB121_259
; %bb.258:
	scratch_load_b32 v118, off, off offset:192
	v_mov_b32_e32 v119, 0
	scratch_store_b32 off, v119, off offset:192
	s_waitcnt vmcnt(0)
	ds_store_b32 v117, v118
.LBB121_259:
	s_or_b32 exec_lo, exec_lo, s0
	s_waitcnt lgkmcnt(0)
	s_waitcnt_vscnt null, 0x0
	s_barrier
	buffer_gl0_inv
	s_clause 0x2
	scratch_load_b128 v[119:122], off, off offset:192
	scratch_load_b128 v[123:126], off, off offset:208
	scratch_load_b64 v[127:128], off, off offset:224
	v_mov_b32_e32 v118, 0
	ds_load_2addr_b32 v[129:130], v118 offset0:109 offset1:110
	ds_load_2addr_b32 v[131:132], v118 offset0:111 offset1:112
	;; [unrolled: 1-line block ×4, first 2 shown]
	s_mov_b32 s0, exec_lo
	s_waitcnt vmcnt(2) lgkmcnt(3)
	v_fma_f32 v120, v120, v129, 0
	s_delay_alu instid0(VALU_DEP_1) | instskip(SKIP_4) | instid1(VALU_DEP_1)
	v_fmac_f32_e32 v120, v121, v130
	ds_load_b32 v121, v118 offset:468
	s_waitcnt lgkmcnt(3)
	v_fmac_f32_e32 v120, v122, v131
	s_waitcnt vmcnt(1)
	v_fmac_f32_e32 v120, v123, v132
	s_waitcnt lgkmcnt(2)
	s_delay_alu instid0(VALU_DEP_1) | instskip(NEXT) | instid1(VALU_DEP_1)
	v_fmac_f32_e32 v120, v124, v133
	v_fmac_f32_e32 v120, v125, v134
	s_waitcnt lgkmcnt(1)
	s_delay_alu instid0(VALU_DEP_1) | instskip(SKIP_1) | instid1(VALU_DEP_1)
	v_fmac_f32_e32 v120, v126, v135
	s_waitcnt vmcnt(0)
	v_fmac_f32_e32 v120, v127, v136
	s_waitcnt lgkmcnt(0)
	s_delay_alu instid0(VALU_DEP_1) | instskip(NEXT) | instid1(VALU_DEP_1)
	v_fmac_f32_e32 v120, v128, v121
	v_sub_f32_e32 v119, v119, v120
	scratch_store_b32 off, v119, off offset:192
	v_cmpx_lt_u32_e32 47, v0
	s_cbranch_execz .LBB121_261
; %bb.260:
	scratch_load_b32 v119, off, off offset:188
	scratch_store_b32 off, v118, off offset:188
	s_waitcnt vmcnt(0)
	ds_store_b32 v117, v119
.LBB121_261:
	s_or_b32 exec_lo, exec_lo, s0
	s_waitcnt lgkmcnt(0)
	s_waitcnt_vscnt null, 0x0
	s_barrier
	buffer_gl0_inv
	s_clause 0x2
	scratch_load_b128 v[119:122], off, off offset:188
	scratch_load_b128 v[123:126], off, off offset:204
	scratch_load_b96 v[135:137], off, off offset:220
	ds_load_b128 v[127:130], v118 offset:432
	ds_load_b128 v[131:134], v118 offset:448
	s_mov_b32 s0, exec_lo
	s_waitcnt vmcnt(2) lgkmcnt(1)
	v_fma_f32 v127, v120, v127, 0
	s_delay_alu instid0(VALU_DEP_1) | instskip(SKIP_3) | instid1(VALU_DEP_1)
	v_fmac_f32_e32 v127, v121, v128
	ds_load_b64 v[120:121], v118 offset:464
	v_fmac_f32_e32 v127, v122, v129
	s_waitcnt vmcnt(1)
	v_fmac_f32_e32 v127, v123, v130
	s_waitcnt lgkmcnt(1)
	s_delay_alu instid0(VALU_DEP_1) | instskip(NEXT) | instid1(VALU_DEP_1)
	v_fmac_f32_e32 v127, v124, v131
	v_fmac_f32_e32 v127, v125, v132
	s_delay_alu instid0(VALU_DEP_1) | instskip(SKIP_1) | instid1(VALU_DEP_1)
	v_fmac_f32_e32 v127, v126, v133
	s_waitcnt vmcnt(0)
	v_fmac_f32_e32 v127, v135, v134
	s_waitcnt lgkmcnt(0)
	s_delay_alu instid0(VALU_DEP_1) | instskip(NEXT) | instid1(VALU_DEP_1)
	v_fmac_f32_e32 v127, v136, v120
	v_fmac_f32_e32 v127, v137, v121
	s_delay_alu instid0(VALU_DEP_1)
	v_sub_f32_e32 v118, v119, v127
	scratch_store_b32 off, v118, off offset:188
	v_cmpx_lt_u32_e32 46, v0
	s_cbranch_execz .LBB121_263
; %bb.262:
	scratch_load_b32 v118, off, off offset:184
	v_mov_b32_e32 v119, 0
	scratch_store_b32 off, v119, off offset:184
	s_waitcnt vmcnt(0)
	ds_store_b32 v117, v118
.LBB121_263:
	s_or_b32 exec_lo, exec_lo, s0
	s_waitcnt lgkmcnt(0)
	s_waitcnt_vscnt null, 0x0
	s_barrier
	buffer_gl0_inv
	s_clause 0x2
	scratch_load_b128 v[119:122], off, off offset:184
	scratch_load_b128 v[123:126], off, off offset:200
	scratch_load_b128 v[127:130], off, off offset:216
	v_mov_b32_e32 v118, 0
	ds_load_2addr_b32 v[131:132], v118 offset0:107 offset1:108
	ds_load_2addr_b32 v[133:134], v118 offset0:109 offset1:110
	;; [unrolled: 1-line block ×4, first 2 shown]
	s_mov_b32 s0, exec_lo
	s_waitcnt vmcnt(2) lgkmcnt(3)
	v_fma_f32 v131, v120, v131, 0
	s_delay_alu instid0(VALU_DEP_1)
	v_fmac_f32_e32 v131, v121, v132
	ds_load_2addr_b32 v[120:121], v118 offset0:115 offset1:116
	s_waitcnt lgkmcnt(3)
	v_fmac_f32_e32 v131, v122, v133
	ds_load_b32 v122, v118 offset:468
	s_waitcnt vmcnt(1)
	v_fmac_f32_e32 v131, v123, v134
	s_waitcnt lgkmcnt(3)
	s_delay_alu instid0(VALU_DEP_1) | instskip(NEXT) | instid1(VALU_DEP_1)
	v_fmac_f32_e32 v131, v124, v135
	v_fmac_f32_e32 v131, v125, v136
	s_waitcnt lgkmcnt(2)
	s_delay_alu instid0(VALU_DEP_1) | instskip(SKIP_1) | instid1(VALU_DEP_1)
	v_fmac_f32_e32 v131, v126, v137
	s_waitcnt vmcnt(0)
	v_fmac_f32_e32 v131, v127, v138
	s_waitcnt lgkmcnt(1)
	s_delay_alu instid0(VALU_DEP_1) | instskip(NEXT) | instid1(VALU_DEP_1)
	v_fmac_f32_e32 v131, v128, v120
	v_fmac_f32_e32 v131, v129, v121
	s_waitcnt lgkmcnt(0)
	s_delay_alu instid0(VALU_DEP_1) | instskip(NEXT) | instid1(VALU_DEP_1)
	v_fmac_f32_e32 v131, v130, v122
	v_sub_f32_e32 v119, v119, v131
	scratch_store_b32 off, v119, off offset:184
	v_cmpx_lt_u32_e32 45, v0
	s_cbranch_execz .LBB121_265
; %bb.264:
	scratch_load_b32 v119, off, off offset:180
	scratch_store_b32 off, v118, off offset:180
	s_waitcnt vmcnt(0)
	ds_store_b32 v117, v119
.LBB121_265:
	s_or_b32 exec_lo, exec_lo, s0
	s_waitcnt lgkmcnt(0)
	s_waitcnt_vscnt null, 0x0
	s_barrier
	buffer_gl0_inv
	s_clause 0x3
	scratch_load_b128 v[119:122], off, off offset:180
	scratch_load_b128 v[123:126], off, off offset:196
	;; [unrolled: 1-line block ×3, first 2 shown]
	scratch_load_b32 v139, off, off offset:228
	ds_load_2addr_b64 v[131:134], v118 offset0:53 offset1:54
	ds_load_2addr_b64 v[135:138], v118 offset0:55 offset1:56
	s_mov_b32 s0, exec_lo
	s_waitcnt vmcnt(3) lgkmcnt(1)
	v_fma_f32 v131, v120, v131, 0
	s_delay_alu instid0(VALU_DEP_1) | instskip(NEXT) | instid1(VALU_DEP_1)
	v_fmac_f32_e32 v131, v121, v132
	v_fmac_f32_e32 v131, v122, v133
	s_waitcnt vmcnt(2)
	s_delay_alu instid0(VALU_DEP_1) | instskip(SKIP_3) | instid1(VALU_DEP_1)
	v_fmac_f32_e32 v131, v123, v134
	ds_load_2addr_b64 v[120:123], v118 offset0:57 offset1:58
	s_waitcnt lgkmcnt(1)
	v_fmac_f32_e32 v131, v124, v135
	v_fmac_f32_e32 v131, v125, v136
	s_delay_alu instid0(VALU_DEP_1) | instskip(SKIP_1) | instid1(VALU_DEP_1)
	v_fmac_f32_e32 v131, v126, v137
	s_waitcnt vmcnt(1)
	v_fmac_f32_e32 v131, v127, v138
	s_waitcnt lgkmcnt(0)
	s_delay_alu instid0(VALU_DEP_1) | instskip(NEXT) | instid1(VALU_DEP_1)
	v_fmac_f32_e32 v131, v128, v120
	v_fmac_f32_e32 v131, v129, v121
	s_delay_alu instid0(VALU_DEP_1) | instskip(SKIP_1) | instid1(VALU_DEP_1)
	v_fmac_f32_e32 v131, v130, v122
	s_waitcnt vmcnt(0)
	v_fmac_f32_e32 v131, v139, v123
	s_delay_alu instid0(VALU_DEP_1)
	v_sub_f32_e32 v118, v119, v131
	scratch_store_b32 off, v118, off offset:180
	v_cmpx_lt_u32_e32 44, v0
	s_cbranch_execz .LBB121_267
; %bb.266:
	scratch_load_b32 v118, off, off offset:176
	v_mov_b32_e32 v119, 0
	scratch_store_b32 off, v119, off offset:176
	s_waitcnt vmcnt(0)
	ds_store_b32 v117, v118
.LBB121_267:
	s_or_b32 exec_lo, exec_lo, s0
	s_waitcnt lgkmcnt(0)
	s_waitcnt_vscnt null, 0x0
	s_barrier
	buffer_gl0_inv
	s_clause 0x3
	scratch_load_b128 v[119:122], off, off offset:176
	scratch_load_b128 v[123:126], off, off offset:192
	;; [unrolled: 1-line block ×3, first 2 shown]
	scratch_load_b64 v[131:132], off, off offset:224
	v_mov_b32_e32 v118, 0
	ds_load_2addr_b32 v[133:134], v118 offset0:105 offset1:106
	ds_load_2addr_b32 v[135:136], v118 offset0:107 offset1:108
	;; [unrolled: 1-line block ×4, first 2 shown]
	s_mov_b32 s0, exec_lo
	s_waitcnt vmcnt(3) lgkmcnt(3)
	v_fma_f32 v133, v120, v133, 0
	s_delay_alu instid0(VALU_DEP_1) | instskip(SKIP_4) | instid1(VALU_DEP_1)
	v_fmac_f32_e32 v133, v121, v134
	ds_load_2addr_b32 v[120:121], v118 offset0:113 offset1:114
	s_waitcnt lgkmcnt(3)
	v_fmac_f32_e32 v133, v122, v135
	s_waitcnt vmcnt(2)
	v_fmac_f32_e32 v133, v123, v136
	ds_load_2addr_b32 v[122:123], v118 offset0:115 offset1:116
	s_waitcnt lgkmcnt(3)
	v_fmac_f32_e32 v133, v124, v137
	ds_load_b32 v124, v118 offset:468
	v_fmac_f32_e32 v133, v125, v138
	s_waitcnt lgkmcnt(3)
	s_delay_alu instid0(VALU_DEP_1) | instskip(SKIP_1) | instid1(VALU_DEP_1)
	v_fmac_f32_e32 v133, v126, v139
	s_waitcnt vmcnt(1)
	v_fmac_f32_e32 v133, v127, v140
	s_waitcnt lgkmcnt(2)
	s_delay_alu instid0(VALU_DEP_1) | instskip(NEXT) | instid1(VALU_DEP_1)
	v_fmac_f32_e32 v133, v128, v120
	v_fmac_f32_e32 v133, v129, v121
	s_waitcnt lgkmcnt(1)
	s_delay_alu instid0(VALU_DEP_1) | instskip(SKIP_1) | instid1(VALU_DEP_1)
	v_fmac_f32_e32 v133, v130, v122
	s_waitcnt vmcnt(0)
	v_fmac_f32_e32 v133, v131, v123
	s_waitcnt lgkmcnt(0)
	s_delay_alu instid0(VALU_DEP_1) | instskip(NEXT) | instid1(VALU_DEP_1)
	v_fmac_f32_e32 v133, v132, v124
	v_sub_f32_e32 v119, v119, v133
	scratch_store_b32 off, v119, off offset:176
	v_cmpx_lt_u32_e32 43, v0
	s_cbranch_execz .LBB121_269
; %bb.268:
	scratch_load_b32 v119, off, off offset:172
	scratch_store_b32 off, v118, off offset:172
	s_waitcnt vmcnt(0)
	ds_store_b32 v117, v119
.LBB121_269:
	s_or_b32 exec_lo, exec_lo, s0
	s_waitcnt lgkmcnt(0)
	s_waitcnt_vscnt null, 0x0
	s_barrier
	buffer_gl0_inv
	s_clause 0x3
	scratch_load_b128 v[119:122], off, off offset:172
	scratch_load_b128 v[123:126], off, off offset:188
	;; [unrolled: 1-line block ×3, first 2 shown]
	scratch_load_b96 v[139:141], off, off offset:220
	ds_load_b128 v[131:134], v118 offset:416
	ds_load_b128 v[135:138], v118 offset:432
	s_mov_b32 s0, exec_lo
	s_waitcnt vmcnt(3) lgkmcnt(1)
	v_fma_f32 v131, v120, v131, 0
	s_delay_alu instid0(VALU_DEP_1) | instskip(NEXT) | instid1(VALU_DEP_1)
	v_fmac_f32_e32 v131, v121, v132
	v_fmac_f32_e32 v131, v122, v133
	s_waitcnt vmcnt(2)
	s_delay_alu instid0(VALU_DEP_1) | instskip(SKIP_3) | instid1(VALU_DEP_1)
	v_fmac_f32_e32 v131, v123, v134
	ds_load_b128 v[120:123], v118 offset:448
	s_waitcnt lgkmcnt(1)
	v_fmac_f32_e32 v131, v124, v135
	v_fmac_f32_e32 v131, v125, v136
	ds_load_b64 v[124:125], v118 offset:464
	v_fmac_f32_e32 v131, v126, v137
	s_waitcnt vmcnt(1)
	s_delay_alu instid0(VALU_DEP_1) | instskip(SKIP_1) | instid1(VALU_DEP_1)
	v_fmac_f32_e32 v131, v127, v138
	s_waitcnt lgkmcnt(1)
	v_fmac_f32_e32 v131, v128, v120
	s_delay_alu instid0(VALU_DEP_1) | instskip(NEXT) | instid1(VALU_DEP_1)
	v_fmac_f32_e32 v131, v129, v121
	v_fmac_f32_e32 v131, v130, v122
	s_waitcnt vmcnt(0)
	s_delay_alu instid0(VALU_DEP_1) | instskip(SKIP_1) | instid1(VALU_DEP_1)
	v_fmac_f32_e32 v131, v139, v123
	s_waitcnt lgkmcnt(0)
	v_fmac_f32_e32 v131, v140, v124
	s_delay_alu instid0(VALU_DEP_1) | instskip(NEXT) | instid1(VALU_DEP_1)
	v_fmac_f32_e32 v131, v141, v125
	v_sub_f32_e32 v118, v119, v131
	scratch_store_b32 off, v118, off offset:172
	v_cmpx_lt_u32_e32 42, v0
	s_cbranch_execz .LBB121_271
; %bb.270:
	scratch_load_b32 v118, off, off offset:168
	v_mov_b32_e32 v119, 0
	scratch_store_b32 off, v119, off offset:168
	s_waitcnt vmcnt(0)
	ds_store_b32 v117, v118
.LBB121_271:
	s_or_b32 exec_lo, exec_lo, s0
	s_waitcnt lgkmcnt(0)
	s_waitcnt_vscnt null, 0x0
	s_barrier
	buffer_gl0_inv
	s_clause 0x3
	scratch_load_b128 v[119:122], off, off offset:168
	scratch_load_b128 v[123:126], off, off offset:184
	;; [unrolled: 1-line block ×4, first 2 shown]
	v_mov_b32_e32 v118, 0
	ds_load_2addr_b32 v[135:136], v118 offset0:103 offset1:104
	ds_load_2addr_b32 v[137:138], v118 offset0:105 offset1:106
	;; [unrolled: 1-line block ×4, first 2 shown]
	s_mov_b32 s0, exec_lo
	s_waitcnt vmcnt(3) lgkmcnt(3)
	v_fma_f32 v135, v120, v135, 0
	s_delay_alu instid0(VALU_DEP_1) | instskip(SKIP_4) | instid1(VALU_DEP_1)
	v_fmac_f32_e32 v135, v121, v136
	ds_load_2addr_b32 v[120:121], v118 offset0:111 offset1:112
	s_waitcnt lgkmcnt(3)
	v_fmac_f32_e32 v135, v122, v137
	s_waitcnt vmcnt(2)
	v_fmac_f32_e32 v135, v123, v138
	ds_load_2addr_b32 v[122:123], v118 offset0:113 offset1:114
	s_waitcnt lgkmcnt(3)
	v_fmac_f32_e32 v135, v124, v139
	s_delay_alu instid0(VALU_DEP_1) | instskip(SKIP_1) | instid1(VALU_DEP_1)
	v_fmac_f32_e32 v135, v125, v140
	s_waitcnt lgkmcnt(2)
	v_fmac_f32_e32 v135, v126, v141
	ds_load_2addr_b32 v[124:125], v118 offset0:115 offset1:116
	ds_load_b32 v126, v118 offset:468
	s_waitcnt vmcnt(1)
	v_fmac_f32_e32 v135, v127, v142
	s_waitcnt lgkmcnt(3)
	s_delay_alu instid0(VALU_DEP_1) | instskip(NEXT) | instid1(VALU_DEP_1)
	v_fmac_f32_e32 v135, v128, v120
	v_fmac_f32_e32 v135, v129, v121
	s_waitcnt lgkmcnt(2)
	s_delay_alu instid0(VALU_DEP_1) | instskip(SKIP_1) | instid1(VALU_DEP_1)
	v_fmac_f32_e32 v135, v130, v122
	s_waitcnt vmcnt(0)
	v_fmac_f32_e32 v135, v131, v123
	s_waitcnt lgkmcnt(1)
	s_delay_alu instid0(VALU_DEP_1) | instskip(NEXT) | instid1(VALU_DEP_1)
	v_fmac_f32_e32 v135, v132, v124
	v_fmac_f32_e32 v135, v133, v125
	s_waitcnt lgkmcnt(0)
	s_delay_alu instid0(VALU_DEP_1) | instskip(NEXT) | instid1(VALU_DEP_1)
	v_fmac_f32_e32 v135, v134, v126
	v_sub_f32_e32 v119, v119, v135
	scratch_store_b32 off, v119, off offset:168
	v_cmpx_lt_u32_e32 41, v0
	s_cbranch_execz .LBB121_273
; %bb.272:
	scratch_load_b32 v119, off, off offset:164
	scratch_store_b32 off, v118, off offset:164
	s_waitcnt vmcnt(0)
	ds_store_b32 v117, v119
.LBB121_273:
	s_or_b32 exec_lo, exec_lo, s0
	s_waitcnt lgkmcnt(0)
	s_waitcnt_vscnt null, 0x0
	s_barrier
	buffer_gl0_inv
	s_clause 0x4
	scratch_load_b128 v[119:122], off, off offset:164
	scratch_load_b128 v[123:126], off, off offset:180
	;; [unrolled: 1-line block ×4, first 2 shown]
	scratch_load_b32 v143, off, off offset:228
	ds_load_2addr_b64 v[135:138], v118 offset0:51 offset1:52
	ds_load_2addr_b64 v[139:142], v118 offset0:53 offset1:54
	s_mov_b32 s0, exec_lo
	s_waitcnt vmcnt(4) lgkmcnt(1)
	v_fma_f32 v135, v120, v135, 0
	s_delay_alu instid0(VALU_DEP_1) | instskip(NEXT) | instid1(VALU_DEP_1)
	v_fmac_f32_e32 v135, v121, v136
	v_fmac_f32_e32 v135, v122, v137
	s_waitcnt vmcnt(3)
	s_delay_alu instid0(VALU_DEP_1) | instskip(SKIP_3) | instid1(VALU_DEP_1)
	v_fmac_f32_e32 v135, v123, v138
	ds_load_2addr_b64 v[120:123], v118 offset0:55 offset1:56
	s_waitcnt lgkmcnt(1)
	v_fmac_f32_e32 v135, v124, v139
	v_fmac_f32_e32 v135, v125, v140
	s_delay_alu instid0(VALU_DEP_1) | instskip(SKIP_1) | instid1(VALU_DEP_1)
	v_fmac_f32_e32 v135, v126, v141
	s_waitcnt vmcnt(2)
	v_fmac_f32_e32 v135, v127, v142
	ds_load_2addr_b64 v[124:127], v118 offset0:57 offset1:58
	s_waitcnt lgkmcnt(1)
	v_fmac_f32_e32 v135, v128, v120
	s_delay_alu instid0(VALU_DEP_1) | instskip(NEXT) | instid1(VALU_DEP_1)
	v_fmac_f32_e32 v135, v129, v121
	v_fmac_f32_e32 v135, v130, v122
	s_waitcnt vmcnt(1)
	s_delay_alu instid0(VALU_DEP_1) | instskip(SKIP_1) | instid1(VALU_DEP_1)
	v_fmac_f32_e32 v135, v131, v123
	s_waitcnt lgkmcnt(0)
	v_fmac_f32_e32 v135, v132, v124
	s_delay_alu instid0(VALU_DEP_1) | instskip(NEXT) | instid1(VALU_DEP_1)
	v_fmac_f32_e32 v135, v133, v125
	v_fmac_f32_e32 v135, v134, v126
	s_waitcnt vmcnt(0)
	s_delay_alu instid0(VALU_DEP_1) | instskip(NEXT) | instid1(VALU_DEP_1)
	v_fmac_f32_e32 v135, v143, v127
	v_sub_f32_e32 v118, v119, v135
	scratch_store_b32 off, v118, off offset:164
	v_cmpx_lt_u32_e32 40, v0
	s_cbranch_execz .LBB121_275
; %bb.274:
	scratch_load_b32 v118, off, off offset:160
	v_mov_b32_e32 v119, 0
	scratch_store_b32 off, v119, off offset:160
	s_waitcnt vmcnt(0)
	ds_store_b32 v117, v118
.LBB121_275:
	s_or_b32 exec_lo, exec_lo, s0
	s_waitcnt lgkmcnt(0)
	s_waitcnt_vscnt null, 0x0
	s_barrier
	buffer_gl0_inv
	s_clause 0x4
	scratch_load_b128 v[119:122], off, off offset:160
	scratch_load_b128 v[123:126], off, off offset:176
	;; [unrolled: 1-line block ×4, first 2 shown]
	scratch_load_b64 v[135:136], off, off offset:224
	v_mov_b32_e32 v118, 0
	ds_load_2addr_b32 v[137:138], v118 offset0:101 offset1:102
	ds_load_2addr_b32 v[139:140], v118 offset0:103 offset1:104
	;; [unrolled: 1-line block ×4, first 2 shown]
	s_mov_b32 s0, exec_lo
	s_waitcnt vmcnt(4) lgkmcnt(3)
	v_fma_f32 v137, v120, v137, 0
	s_delay_alu instid0(VALU_DEP_1) | instskip(SKIP_4) | instid1(VALU_DEP_1)
	v_fmac_f32_e32 v137, v121, v138
	ds_load_2addr_b32 v[120:121], v118 offset0:109 offset1:110
	s_waitcnt lgkmcnt(3)
	v_fmac_f32_e32 v137, v122, v139
	s_waitcnt vmcnt(3)
	v_fmac_f32_e32 v137, v123, v140
	ds_load_2addr_b32 v[122:123], v118 offset0:111 offset1:112
	s_waitcnt lgkmcnt(3)
	v_fmac_f32_e32 v137, v124, v141
	s_delay_alu instid0(VALU_DEP_1) | instskip(SKIP_1) | instid1(VALU_DEP_1)
	v_fmac_f32_e32 v137, v125, v142
	s_waitcnt lgkmcnt(2)
	v_fmac_f32_e32 v137, v126, v143
	s_waitcnt vmcnt(2)
	s_delay_alu instid0(VALU_DEP_1)
	v_fmac_f32_e32 v137, v127, v144
	ds_load_2addr_b32 v[124:125], v118 offset0:113 offset1:114
	ds_load_2addr_b32 v[126:127], v118 offset0:115 offset1:116
	s_waitcnt lgkmcnt(3)
	v_fmac_f32_e32 v137, v128, v120
	ds_load_b32 v120, v118 offset:468
	v_fmac_f32_e32 v137, v129, v121
	s_waitcnt lgkmcnt(3)
	s_delay_alu instid0(VALU_DEP_1) | instskip(SKIP_1) | instid1(VALU_DEP_1)
	v_fmac_f32_e32 v137, v130, v122
	s_waitcnt vmcnt(1)
	v_fmac_f32_e32 v137, v131, v123
	s_waitcnt lgkmcnt(2)
	s_delay_alu instid0(VALU_DEP_1) | instskip(NEXT) | instid1(VALU_DEP_1)
	v_fmac_f32_e32 v137, v132, v124
	v_fmac_f32_e32 v137, v133, v125
	s_waitcnt lgkmcnt(1)
	s_delay_alu instid0(VALU_DEP_1) | instskip(SKIP_1) | instid1(VALU_DEP_1)
	v_fmac_f32_e32 v137, v134, v126
	s_waitcnt vmcnt(0)
	v_fmac_f32_e32 v137, v135, v127
	s_waitcnt lgkmcnt(0)
	s_delay_alu instid0(VALU_DEP_1) | instskip(NEXT) | instid1(VALU_DEP_1)
	v_fmac_f32_e32 v137, v136, v120
	v_sub_f32_e32 v119, v119, v137
	scratch_store_b32 off, v119, off offset:160
	v_cmpx_lt_u32_e32 39, v0
	s_cbranch_execz .LBB121_277
; %bb.276:
	scratch_load_b32 v119, off, off offset:156
	scratch_store_b32 off, v118, off offset:156
	s_waitcnt vmcnt(0)
	ds_store_b32 v117, v119
.LBB121_277:
	s_or_b32 exec_lo, exec_lo, s0
	s_waitcnt lgkmcnt(0)
	s_waitcnt_vscnt null, 0x0
	s_barrier
	buffer_gl0_inv
	s_clause 0x4
	scratch_load_b128 v[119:122], off, off offset:156
	scratch_load_b128 v[123:126], off, off offset:172
	;; [unrolled: 1-line block ×4, first 2 shown]
	scratch_load_b96 v[143:145], off, off offset:220
	ds_load_b128 v[135:138], v118 offset:400
	ds_load_b128 v[139:142], v118 offset:416
	s_mov_b32 s0, exec_lo
	s_waitcnt vmcnt(4) lgkmcnt(1)
	v_fma_f32 v135, v120, v135, 0
	s_delay_alu instid0(VALU_DEP_1) | instskip(NEXT) | instid1(VALU_DEP_1)
	v_fmac_f32_e32 v135, v121, v136
	v_fmac_f32_e32 v135, v122, v137
	s_waitcnt vmcnt(3)
	s_delay_alu instid0(VALU_DEP_1) | instskip(SKIP_3) | instid1(VALU_DEP_1)
	v_fmac_f32_e32 v135, v123, v138
	ds_load_b128 v[120:123], v118 offset:432
	s_waitcnt lgkmcnt(1)
	v_fmac_f32_e32 v135, v124, v139
	v_fmac_f32_e32 v135, v125, v140
	s_delay_alu instid0(VALU_DEP_1) | instskip(SKIP_1) | instid1(VALU_DEP_1)
	v_fmac_f32_e32 v135, v126, v141
	s_waitcnt vmcnt(2)
	v_fmac_f32_e32 v135, v127, v142
	ds_load_b128 v[124:127], v118 offset:448
	s_waitcnt lgkmcnt(1)
	v_fmac_f32_e32 v135, v128, v120
	s_delay_alu instid0(VALU_DEP_1) | instskip(SKIP_3) | instid1(VALU_DEP_1)
	v_fmac_f32_e32 v135, v129, v121
	ds_load_b64 v[120:121], v118 offset:464
	v_fmac_f32_e32 v135, v130, v122
	s_waitcnt vmcnt(1)
	v_fmac_f32_e32 v135, v131, v123
	s_waitcnt lgkmcnt(1)
	s_delay_alu instid0(VALU_DEP_1) | instskip(NEXT) | instid1(VALU_DEP_1)
	v_fmac_f32_e32 v135, v132, v124
	v_fmac_f32_e32 v135, v133, v125
	s_delay_alu instid0(VALU_DEP_1) | instskip(SKIP_1) | instid1(VALU_DEP_1)
	v_fmac_f32_e32 v135, v134, v126
	s_waitcnt vmcnt(0)
	v_fmac_f32_e32 v135, v143, v127
	s_waitcnt lgkmcnt(0)
	s_delay_alu instid0(VALU_DEP_1) | instskip(NEXT) | instid1(VALU_DEP_1)
	v_fmac_f32_e32 v135, v144, v120
	v_fmac_f32_e32 v135, v145, v121
	s_delay_alu instid0(VALU_DEP_1)
	v_sub_f32_e32 v118, v119, v135
	scratch_store_b32 off, v118, off offset:156
	v_cmpx_lt_u32_e32 38, v0
	s_cbranch_execz .LBB121_279
; %bb.278:
	scratch_load_b32 v118, off, off offset:152
	v_mov_b32_e32 v119, 0
	scratch_store_b32 off, v119, off offset:152
	s_waitcnt vmcnt(0)
	ds_store_b32 v117, v118
.LBB121_279:
	s_or_b32 exec_lo, exec_lo, s0
	s_waitcnt lgkmcnt(0)
	s_waitcnt_vscnt null, 0x0
	s_barrier
	buffer_gl0_inv
	s_clause 0x4
	scratch_load_b128 v[119:122], off, off offset:152
	scratch_load_b128 v[123:126], off, off offset:168
	;; [unrolled: 1-line block ×5, first 2 shown]
	v_mov_b32_e32 v118, 0
	ds_load_2addr_b32 v[139:140], v118 offset0:99 offset1:100
	ds_load_2addr_b32 v[141:142], v118 offset0:101 offset1:102
	;; [unrolled: 1-line block ×4, first 2 shown]
	s_mov_b32 s0, exec_lo
	s_waitcnt vmcnt(4) lgkmcnt(3)
	v_fma_f32 v139, v120, v139, 0
	s_delay_alu instid0(VALU_DEP_1) | instskip(SKIP_4) | instid1(VALU_DEP_1)
	v_fmac_f32_e32 v139, v121, v140
	ds_load_2addr_b32 v[120:121], v118 offset0:107 offset1:108
	s_waitcnt lgkmcnt(3)
	v_fmac_f32_e32 v139, v122, v141
	s_waitcnt vmcnt(3)
	v_fmac_f32_e32 v139, v123, v142
	ds_load_2addr_b32 v[122:123], v118 offset0:109 offset1:110
	s_waitcnt lgkmcnt(3)
	v_fmac_f32_e32 v139, v124, v143
	s_delay_alu instid0(VALU_DEP_1) | instskip(SKIP_1) | instid1(VALU_DEP_1)
	v_fmac_f32_e32 v139, v125, v144
	s_waitcnt lgkmcnt(2)
	v_fmac_f32_e32 v139, v126, v145
	s_waitcnt vmcnt(2)
	s_delay_alu instid0(VALU_DEP_1) | instskip(SKIP_4) | instid1(VALU_DEP_1)
	v_fmac_f32_e32 v139, v127, v146
	ds_load_2addr_b32 v[124:125], v118 offset0:111 offset1:112
	ds_load_2addr_b32 v[126:127], v118 offset0:113 offset1:114
	s_waitcnt lgkmcnt(3)
	v_fmac_f32_e32 v139, v128, v120
	v_fmac_f32_e32 v139, v129, v121
	ds_load_2addr_b32 v[120:121], v118 offset0:115 offset1:116
	s_waitcnt lgkmcnt(3)
	v_fmac_f32_e32 v139, v130, v122
	ds_load_b32 v122, v118 offset:468
	s_waitcnt vmcnt(1)
	v_fmac_f32_e32 v139, v131, v123
	s_waitcnt lgkmcnt(3)
	s_delay_alu instid0(VALU_DEP_1) | instskip(NEXT) | instid1(VALU_DEP_1)
	v_fmac_f32_e32 v139, v132, v124
	v_fmac_f32_e32 v139, v133, v125
	s_waitcnt lgkmcnt(2)
	s_delay_alu instid0(VALU_DEP_1) | instskip(SKIP_1) | instid1(VALU_DEP_1)
	v_fmac_f32_e32 v139, v134, v126
	s_waitcnt vmcnt(0)
	v_fmac_f32_e32 v139, v135, v127
	s_waitcnt lgkmcnt(1)
	s_delay_alu instid0(VALU_DEP_1) | instskip(NEXT) | instid1(VALU_DEP_1)
	v_fmac_f32_e32 v139, v136, v120
	v_fmac_f32_e32 v139, v137, v121
	s_waitcnt lgkmcnt(0)
	s_delay_alu instid0(VALU_DEP_1) | instskip(NEXT) | instid1(VALU_DEP_1)
	v_fmac_f32_e32 v139, v138, v122
	v_sub_f32_e32 v119, v119, v139
	scratch_store_b32 off, v119, off offset:152
	v_cmpx_lt_u32_e32 37, v0
	s_cbranch_execz .LBB121_281
; %bb.280:
	scratch_load_b32 v119, off, off offset:148
	scratch_store_b32 off, v118, off offset:148
	s_waitcnt vmcnt(0)
	ds_store_b32 v117, v119
.LBB121_281:
	s_or_b32 exec_lo, exec_lo, s0
	s_waitcnt lgkmcnt(0)
	s_waitcnt_vscnt null, 0x0
	s_barrier
	buffer_gl0_inv
	s_clause 0x5
	scratch_load_b128 v[119:122], off, off offset:148
	scratch_load_b128 v[123:126], off, off offset:164
	;; [unrolled: 1-line block ×5, first 2 shown]
	scratch_load_b32 v147, off, off offset:228
	ds_load_2addr_b64 v[139:142], v118 offset0:49 offset1:50
	ds_load_2addr_b64 v[143:146], v118 offset0:51 offset1:52
	s_mov_b32 s0, exec_lo
	s_waitcnt vmcnt(5) lgkmcnt(1)
	v_fma_f32 v139, v120, v139, 0
	s_delay_alu instid0(VALU_DEP_1) | instskip(NEXT) | instid1(VALU_DEP_1)
	v_fmac_f32_e32 v139, v121, v140
	v_fmac_f32_e32 v139, v122, v141
	s_waitcnt vmcnt(4)
	s_delay_alu instid0(VALU_DEP_1) | instskip(SKIP_3) | instid1(VALU_DEP_1)
	v_fmac_f32_e32 v139, v123, v142
	ds_load_2addr_b64 v[120:123], v118 offset0:53 offset1:54
	s_waitcnt lgkmcnt(1)
	v_fmac_f32_e32 v139, v124, v143
	v_fmac_f32_e32 v139, v125, v144
	s_delay_alu instid0(VALU_DEP_1) | instskip(SKIP_1) | instid1(VALU_DEP_1)
	v_fmac_f32_e32 v139, v126, v145
	s_waitcnt vmcnt(3)
	v_fmac_f32_e32 v139, v127, v146
	ds_load_2addr_b64 v[124:127], v118 offset0:55 offset1:56
	s_waitcnt lgkmcnt(1)
	v_fmac_f32_e32 v139, v128, v120
	s_delay_alu instid0(VALU_DEP_1) | instskip(NEXT) | instid1(VALU_DEP_1)
	v_fmac_f32_e32 v139, v129, v121
	v_fmac_f32_e32 v139, v130, v122
	s_waitcnt vmcnt(2)
	s_delay_alu instid0(VALU_DEP_1) | instskip(SKIP_3) | instid1(VALU_DEP_1)
	v_fmac_f32_e32 v139, v131, v123
	ds_load_2addr_b64 v[120:123], v118 offset0:57 offset1:58
	s_waitcnt lgkmcnt(1)
	v_fmac_f32_e32 v139, v132, v124
	v_fmac_f32_e32 v139, v133, v125
	s_delay_alu instid0(VALU_DEP_1) | instskip(SKIP_1) | instid1(VALU_DEP_1)
	v_fmac_f32_e32 v139, v134, v126
	s_waitcnt vmcnt(1)
	v_fmac_f32_e32 v139, v135, v127
	s_waitcnt lgkmcnt(0)
	s_delay_alu instid0(VALU_DEP_1) | instskip(NEXT) | instid1(VALU_DEP_1)
	v_fmac_f32_e32 v139, v136, v120
	v_fmac_f32_e32 v139, v137, v121
	s_delay_alu instid0(VALU_DEP_1) | instskip(SKIP_1) | instid1(VALU_DEP_1)
	v_fmac_f32_e32 v139, v138, v122
	s_waitcnt vmcnt(0)
	v_fmac_f32_e32 v139, v147, v123
	s_delay_alu instid0(VALU_DEP_1)
	v_sub_f32_e32 v118, v119, v139
	scratch_store_b32 off, v118, off offset:148
	v_cmpx_lt_u32_e32 36, v0
	s_cbranch_execz .LBB121_283
; %bb.282:
	scratch_load_b32 v118, off, off offset:144
	v_mov_b32_e32 v119, 0
	scratch_store_b32 off, v119, off offset:144
	s_waitcnt vmcnt(0)
	ds_store_b32 v117, v118
.LBB121_283:
	s_or_b32 exec_lo, exec_lo, s0
	s_waitcnt lgkmcnt(0)
	s_waitcnt_vscnt null, 0x0
	s_barrier
	buffer_gl0_inv
	s_clause 0x5
	scratch_load_b128 v[119:122], off, off offset:144
	scratch_load_b128 v[123:126], off, off offset:160
	;; [unrolled: 1-line block ×5, first 2 shown]
	scratch_load_b64 v[139:140], off, off offset:224
	v_mov_b32_e32 v118, 0
	ds_load_2addr_b32 v[141:142], v118 offset0:97 offset1:98
	ds_load_2addr_b32 v[143:144], v118 offset0:99 offset1:100
	;; [unrolled: 1-line block ×4, first 2 shown]
	s_mov_b32 s0, exec_lo
	s_waitcnt vmcnt(5) lgkmcnt(3)
	v_fma_f32 v141, v120, v141, 0
	s_delay_alu instid0(VALU_DEP_1) | instskip(SKIP_4) | instid1(VALU_DEP_1)
	v_fmac_f32_e32 v141, v121, v142
	ds_load_2addr_b32 v[120:121], v118 offset0:105 offset1:106
	s_waitcnt lgkmcnt(3)
	v_fmac_f32_e32 v141, v122, v143
	s_waitcnt vmcnt(4)
	v_fmac_f32_e32 v141, v123, v144
	ds_load_2addr_b32 v[122:123], v118 offset0:107 offset1:108
	s_waitcnt lgkmcnt(3)
	v_fmac_f32_e32 v141, v124, v145
	s_delay_alu instid0(VALU_DEP_1) | instskip(SKIP_1) | instid1(VALU_DEP_1)
	v_fmac_f32_e32 v141, v125, v146
	s_waitcnt lgkmcnt(2)
	v_fmac_f32_e32 v141, v126, v147
	s_waitcnt vmcnt(3)
	s_delay_alu instid0(VALU_DEP_1) | instskip(SKIP_4) | instid1(VALU_DEP_1)
	v_fmac_f32_e32 v141, v127, v148
	ds_load_2addr_b32 v[124:125], v118 offset0:109 offset1:110
	ds_load_2addr_b32 v[126:127], v118 offset0:111 offset1:112
	s_waitcnt lgkmcnt(3)
	v_fmac_f32_e32 v141, v128, v120
	v_fmac_f32_e32 v141, v129, v121
	ds_load_2addr_b32 v[120:121], v118 offset0:113 offset1:114
	s_waitcnt lgkmcnt(3)
	v_fmac_f32_e32 v141, v130, v122
	s_waitcnt vmcnt(2)
	s_delay_alu instid0(VALU_DEP_1)
	v_fmac_f32_e32 v141, v131, v123
	ds_load_2addr_b32 v[122:123], v118 offset0:115 offset1:116
	s_waitcnt lgkmcnt(3)
	v_fmac_f32_e32 v141, v132, v124
	ds_load_b32 v124, v118 offset:468
	v_fmac_f32_e32 v141, v133, v125
	s_waitcnt lgkmcnt(3)
	s_delay_alu instid0(VALU_DEP_1) | instskip(SKIP_1) | instid1(VALU_DEP_1)
	v_fmac_f32_e32 v141, v134, v126
	s_waitcnt vmcnt(1)
	v_fmac_f32_e32 v141, v135, v127
	s_waitcnt lgkmcnt(2)
	s_delay_alu instid0(VALU_DEP_1) | instskip(NEXT) | instid1(VALU_DEP_1)
	v_fmac_f32_e32 v141, v136, v120
	v_fmac_f32_e32 v141, v137, v121
	s_waitcnt lgkmcnt(1)
	s_delay_alu instid0(VALU_DEP_1) | instskip(SKIP_1) | instid1(VALU_DEP_1)
	v_fmac_f32_e32 v141, v138, v122
	s_waitcnt vmcnt(0)
	v_fmac_f32_e32 v141, v139, v123
	s_waitcnt lgkmcnt(0)
	s_delay_alu instid0(VALU_DEP_1) | instskip(NEXT) | instid1(VALU_DEP_1)
	v_fmac_f32_e32 v141, v140, v124
	v_sub_f32_e32 v119, v119, v141
	scratch_store_b32 off, v119, off offset:144
	v_cmpx_lt_u32_e32 35, v0
	s_cbranch_execz .LBB121_285
; %bb.284:
	scratch_load_b32 v119, off, off offset:140
	scratch_store_b32 off, v118, off offset:140
	s_waitcnt vmcnt(0)
	ds_store_b32 v117, v119
.LBB121_285:
	s_or_b32 exec_lo, exec_lo, s0
	s_waitcnt lgkmcnt(0)
	s_waitcnt_vscnt null, 0x0
	s_barrier
	buffer_gl0_inv
	s_clause 0x5
	scratch_load_b128 v[119:122], off, off offset:140
	scratch_load_b128 v[123:126], off, off offset:156
	;; [unrolled: 1-line block ×5, first 2 shown]
	scratch_load_b96 v[147:149], off, off offset:220
	ds_load_b128 v[139:142], v118 offset:384
	ds_load_b128 v[143:146], v118 offset:400
	s_mov_b32 s0, exec_lo
	s_waitcnt vmcnt(5) lgkmcnt(1)
	v_fma_f32 v139, v120, v139, 0
	s_delay_alu instid0(VALU_DEP_1) | instskip(NEXT) | instid1(VALU_DEP_1)
	v_fmac_f32_e32 v139, v121, v140
	v_fmac_f32_e32 v139, v122, v141
	s_waitcnt vmcnt(4)
	s_delay_alu instid0(VALU_DEP_1) | instskip(SKIP_3) | instid1(VALU_DEP_1)
	v_fmac_f32_e32 v139, v123, v142
	ds_load_b128 v[120:123], v118 offset:416
	s_waitcnt lgkmcnt(1)
	v_fmac_f32_e32 v139, v124, v143
	v_fmac_f32_e32 v139, v125, v144
	s_delay_alu instid0(VALU_DEP_1) | instskip(SKIP_1) | instid1(VALU_DEP_1)
	v_fmac_f32_e32 v139, v126, v145
	s_waitcnt vmcnt(3)
	v_fmac_f32_e32 v139, v127, v146
	ds_load_b128 v[124:127], v118 offset:432
	s_waitcnt lgkmcnt(1)
	v_fmac_f32_e32 v139, v128, v120
	s_delay_alu instid0(VALU_DEP_1) | instskip(NEXT) | instid1(VALU_DEP_1)
	v_fmac_f32_e32 v139, v129, v121
	v_fmac_f32_e32 v139, v130, v122
	s_waitcnt vmcnt(2)
	s_delay_alu instid0(VALU_DEP_1) | instskip(SKIP_3) | instid1(VALU_DEP_1)
	v_fmac_f32_e32 v139, v131, v123
	ds_load_b128 v[120:123], v118 offset:448
	s_waitcnt lgkmcnt(1)
	v_fmac_f32_e32 v139, v132, v124
	v_fmac_f32_e32 v139, v133, v125
	ds_load_b64 v[124:125], v118 offset:464
	v_fmac_f32_e32 v139, v134, v126
	s_waitcnt vmcnt(1)
	s_delay_alu instid0(VALU_DEP_1) | instskip(SKIP_1) | instid1(VALU_DEP_1)
	v_fmac_f32_e32 v139, v135, v127
	s_waitcnt lgkmcnt(1)
	v_fmac_f32_e32 v139, v136, v120
	s_delay_alu instid0(VALU_DEP_1) | instskip(NEXT) | instid1(VALU_DEP_1)
	v_fmac_f32_e32 v139, v137, v121
	v_fmac_f32_e32 v139, v138, v122
	s_waitcnt vmcnt(0)
	s_delay_alu instid0(VALU_DEP_1) | instskip(SKIP_1) | instid1(VALU_DEP_1)
	v_fmac_f32_e32 v139, v147, v123
	s_waitcnt lgkmcnt(0)
	v_fmac_f32_e32 v139, v148, v124
	s_delay_alu instid0(VALU_DEP_1) | instskip(NEXT) | instid1(VALU_DEP_1)
	v_fmac_f32_e32 v139, v149, v125
	v_sub_f32_e32 v118, v119, v139
	scratch_store_b32 off, v118, off offset:140
	v_cmpx_lt_u32_e32 34, v0
	s_cbranch_execz .LBB121_287
; %bb.286:
	scratch_load_b32 v118, off, off offset:136
	v_mov_b32_e32 v119, 0
	scratch_store_b32 off, v119, off offset:136
	s_waitcnt vmcnt(0)
	ds_store_b32 v117, v118
.LBB121_287:
	s_or_b32 exec_lo, exec_lo, s0
	s_waitcnt lgkmcnt(0)
	s_waitcnt_vscnt null, 0x0
	s_barrier
	buffer_gl0_inv
	s_clause 0x5
	scratch_load_b128 v[119:122], off, off offset:136
	scratch_load_b128 v[123:126], off, off offset:152
	;; [unrolled: 1-line block ×6, first 2 shown]
	v_mov_b32_e32 v118, 0
	ds_load_2addr_b32 v[143:144], v118 offset0:95 offset1:96
	ds_load_2addr_b32 v[145:146], v118 offset0:97 offset1:98
	;; [unrolled: 1-line block ×4, first 2 shown]
	s_mov_b32 s0, exec_lo
	s_waitcnt vmcnt(5) lgkmcnt(3)
	v_fma_f32 v143, v120, v143, 0
	s_delay_alu instid0(VALU_DEP_1) | instskip(SKIP_4) | instid1(VALU_DEP_1)
	v_fmac_f32_e32 v143, v121, v144
	ds_load_2addr_b32 v[120:121], v118 offset0:103 offset1:104
	s_waitcnt lgkmcnt(3)
	v_fmac_f32_e32 v143, v122, v145
	s_waitcnt vmcnt(4)
	v_fmac_f32_e32 v143, v123, v146
	ds_load_2addr_b32 v[122:123], v118 offset0:105 offset1:106
	s_waitcnt lgkmcnt(3)
	v_fmac_f32_e32 v143, v124, v147
	s_delay_alu instid0(VALU_DEP_1) | instskip(SKIP_1) | instid1(VALU_DEP_1)
	v_fmac_f32_e32 v143, v125, v148
	s_waitcnt lgkmcnt(2)
	v_fmac_f32_e32 v143, v126, v149
	s_waitcnt vmcnt(3)
	s_delay_alu instid0(VALU_DEP_1) | instskip(SKIP_4) | instid1(VALU_DEP_1)
	v_fmac_f32_e32 v143, v127, v150
	ds_load_2addr_b32 v[124:125], v118 offset0:107 offset1:108
	ds_load_2addr_b32 v[126:127], v118 offset0:109 offset1:110
	s_waitcnt lgkmcnt(3)
	v_fmac_f32_e32 v143, v128, v120
	v_fmac_f32_e32 v143, v129, v121
	ds_load_2addr_b32 v[120:121], v118 offset0:111 offset1:112
	s_waitcnt lgkmcnt(3)
	v_fmac_f32_e32 v143, v130, v122
	s_waitcnt vmcnt(2)
	s_delay_alu instid0(VALU_DEP_1) | instskip(SKIP_3) | instid1(VALU_DEP_1)
	v_fmac_f32_e32 v143, v131, v123
	ds_load_2addr_b32 v[122:123], v118 offset0:113 offset1:114
	s_waitcnt lgkmcnt(3)
	v_fmac_f32_e32 v143, v132, v124
	v_fmac_f32_e32 v143, v133, v125
	s_waitcnt lgkmcnt(2)
	s_delay_alu instid0(VALU_DEP_1)
	v_fmac_f32_e32 v143, v134, v126
	ds_load_2addr_b32 v[124:125], v118 offset0:115 offset1:116
	ds_load_b32 v126, v118 offset:468
	s_waitcnt vmcnt(1)
	v_fmac_f32_e32 v143, v135, v127
	s_waitcnt lgkmcnt(3)
	s_delay_alu instid0(VALU_DEP_1) | instskip(NEXT) | instid1(VALU_DEP_1)
	v_fmac_f32_e32 v143, v136, v120
	v_fmac_f32_e32 v143, v137, v121
	s_waitcnt lgkmcnt(2)
	s_delay_alu instid0(VALU_DEP_1) | instskip(SKIP_1) | instid1(VALU_DEP_1)
	v_fmac_f32_e32 v143, v138, v122
	s_waitcnt vmcnt(0)
	v_fmac_f32_e32 v143, v139, v123
	s_waitcnt lgkmcnt(1)
	s_delay_alu instid0(VALU_DEP_1) | instskip(NEXT) | instid1(VALU_DEP_1)
	v_fmac_f32_e32 v143, v140, v124
	v_fmac_f32_e32 v143, v141, v125
	s_waitcnt lgkmcnt(0)
	s_delay_alu instid0(VALU_DEP_1) | instskip(NEXT) | instid1(VALU_DEP_1)
	v_fmac_f32_e32 v143, v142, v126
	v_sub_f32_e32 v119, v119, v143
	scratch_store_b32 off, v119, off offset:136
	v_cmpx_lt_u32_e32 33, v0
	s_cbranch_execz .LBB121_289
; %bb.288:
	scratch_load_b32 v119, off, off offset:132
	scratch_store_b32 off, v118, off offset:132
	s_waitcnt vmcnt(0)
	ds_store_b32 v117, v119
.LBB121_289:
	s_or_b32 exec_lo, exec_lo, s0
	s_waitcnt lgkmcnt(0)
	s_waitcnt_vscnt null, 0x0
	s_barrier
	buffer_gl0_inv
	s_clause 0x6
	scratch_load_b128 v[119:122], off, off offset:132
	scratch_load_b128 v[123:126], off, off offset:148
	;; [unrolled: 1-line block ×6, first 2 shown]
	scratch_load_b32 v151, off, off offset:228
	ds_load_2addr_b64 v[143:146], v118 offset0:47 offset1:48
	ds_load_2addr_b64 v[147:150], v118 offset0:49 offset1:50
	s_mov_b32 s0, exec_lo
	s_waitcnt vmcnt(6) lgkmcnt(1)
	v_fma_f32 v143, v120, v143, 0
	s_delay_alu instid0(VALU_DEP_1) | instskip(NEXT) | instid1(VALU_DEP_1)
	v_fmac_f32_e32 v143, v121, v144
	v_fmac_f32_e32 v143, v122, v145
	s_waitcnt vmcnt(5)
	s_delay_alu instid0(VALU_DEP_1) | instskip(SKIP_3) | instid1(VALU_DEP_1)
	v_fmac_f32_e32 v143, v123, v146
	ds_load_2addr_b64 v[120:123], v118 offset0:51 offset1:52
	s_waitcnt lgkmcnt(1)
	v_fmac_f32_e32 v143, v124, v147
	v_fmac_f32_e32 v143, v125, v148
	s_delay_alu instid0(VALU_DEP_1) | instskip(SKIP_1) | instid1(VALU_DEP_1)
	v_fmac_f32_e32 v143, v126, v149
	s_waitcnt vmcnt(4)
	v_fmac_f32_e32 v143, v127, v150
	ds_load_2addr_b64 v[124:127], v118 offset0:53 offset1:54
	s_waitcnt lgkmcnt(1)
	v_fmac_f32_e32 v143, v128, v120
	s_delay_alu instid0(VALU_DEP_1) | instskip(NEXT) | instid1(VALU_DEP_1)
	v_fmac_f32_e32 v143, v129, v121
	v_fmac_f32_e32 v143, v130, v122
	s_waitcnt vmcnt(3)
	s_delay_alu instid0(VALU_DEP_1) | instskip(SKIP_3) | instid1(VALU_DEP_1)
	v_fmac_f32_e32 v143, v131, v123
	ds_load_2addr_b64 v[120:123], v118 offset0:55 offset1:56
	s_waitcnt lgkmcnt(1)
	v_fmac_f32_e32 v143, v132, v124
	v_fmac_f32_e32 v143, v133, v125
	s_delay_alu instid0(VALU_DEP_1) | instskip(SKIP_1) | instid1(VALU_DEP_1)
	v_fmac_f32_e32 v143, v134, v126
	s_waitcnt vmcnt(2)
	v_fmac_f32_e32 v143, v135, v127
	ds_load_2addr_b64 v[124:127], v118 offset0:57 offset1:58
	s_waitcnt lgkmcnt(1)
	v_fmac_f32_e32 v143, v136, v120
	s_delay_alu instid0(VALU_DEP_1) | instskip(NEXT) | instid1(VALU_DEP_1)
	v_fmac_f32_e32 v143, v137, v121
	v_fmac_f32_e32 v143, v138, v122
	s_waitcnt vmcnt(1)
	s_delay_alu instid0(VALU_DEP_1) | instskip(SKIP_1) | instid1(VALU_DEP_1)
	v_fmac_f32_e32 v143, v139, v123
	s_waitcnt lgkmcnt(0)
	v_fmac_f32_e32 v143, v140, v124
	s_delay_alu instid0(VALU_DEP_1) | instskip(NEXT) | instid1(VALU_DEP_1)
	v_fmac_f32_e32 v143, v141, v125
	v_fmac_f32_e32 v143, v142, v126
	s_waitcnt vmcnt(0)
	s_delay_alu instid0(VALU_DEP_1) | instskip(NEXT) | instid1(VALU_DEP_1)
	v_fmac_f32_e32 v143, v151, v127
	v_sub_f32_e32 v118, v119, v143
	scratch_store_b32 off, v118, off offset:132
	v_cmpx_lt_u32_e32 32, v0
	s_cbranch_execz .LBB121_291
; %bb.290:
	scratch_load_b32 v118, off, off offset:128
	v_mov_b32_e32 v119, 0
	scratch_store_b32 off, v119, off offset:128
	s_waitcnt vmcnt(0)
	ds_store_b32 v117, v118
.LBB121_291:
	s_or_b32 exec_lo, exec_lo, s0
	s_waitcnt lgkmcnt(0)
	s_waitcnt_vscnt null, 0x0
	s_barrier
	buffer_gl0_inv
	s_clause 0x6
	scratch_load_b128 v[119:122], off, off offset:128
	scratch_load_b128 v[123:126], off, off offset:144
	;; [unrolled: 1-line block ×6, first 2 shown]
	scratch_load_b64 v[143:144], off, off offset:224
	v_mov_b32_e32 v118, 0
	ds_load_2addr_b32 v[145:146], v118 offset0:93 offset1:94
	ds_load_2addr_b32 v[147:148], v118 offset0:95 offset1:96
	;; [unrolled: 1-line block ×4, first 2 shown]
	s_mov_b32 s0, exec_lo
	s_waitcnt vmcnt(6) lgkmcnt(3)
	v_fma_f32 v145, v120, v145, 0
	s_delay_alu instid0(VALU_DEP_1) | instskip(SKIP_4) | instid1(VALU_DEP_1)
	v_fmac_f32_e32 v145, v121, v146
	ds_load_2addr_b32 v[120:121], v118 offset0:101 offset1:102
	s_waitcnt lgkmcnt(3)
	v_fmac_f32_e32 v145, v122, v147
	s_waitcnt vmcnt(5)
	v_fmac_f32_e32 v145, v123, v148
	ds_load_2addr_b32 v[122:123], v118 offset0:103 offset1:104
	s_waitcnt lgkmcnt(3)
	v_fmac_f32_e32 v145, v124, v149
	s_delay_alu instid0(VALU_DEP_1) | instskip(SKIP_1) | instid1(VALU_DEP_1)
	v_fmac_f32_e32 v145, v125, v150
	s_waitcnt lgkmcnt(2)
	v_fmac_f32_e32 v145, v126, v151
	s_waitcnt vmcnt(4)
	s_delay_alu instid0(VALU_DEP_1) | instskip(SKIP_4) | instid1(VALU_DEP_1)
	v_fmac_f32_e32 v145, v127, v152
	ds_load_2addr_b32 v[124:125], v118 offset0:105 offset1:106
	ds_load_2addr_b32 v[126:127], v118 offset0:107 offset1:108
	s_waitcnt lgkmcnt(3)
	v_fmac_f32_e32 v145, v128, v120
	v_fmac_f32_e32 v145, v129, v121
	ds_load_2addr_b32 v[120:121], v118 offset0:109 offset1:110
	s_waitcnt lgkmcnt(3)
	v_fmac_f32_e32 v145, v130, v122
	s_waitcnt vmcnt(3)
	s_delay_alu instid0(VALU_DEP_1) | instskip(SKIP_3) | instid1(VALU_DEP_1)
	v_fmac_f32_e32 v145, v131, v123
	ds_load_2addr_b32 v[122:123], v118 offset0:111 offset1:112
	s_waitcnt lgkmcnt(3)
	v_fmac_f32_e32 v145, v132, v124
	v_fmac_f32_e32 v145, v133, v125
	s_waitcnt lgkmcnt(2)
	s_delay_alu instid0(VALU_DEP_1) | instskip(SKIP_1) | instid1(VALU_DEP_1)
	v_fmac_f32_e32 v145, v134, v126
	s_waitcnt vmcnt(2)
	v_fmac_f32_e32 v145, v135, v127
	ds_load_2addr_b32 v[124:125], v118 offset0:113 offset1:114
	ds_load_2addr_b32 v[126:127], v118 offset0:115 offset1:116
	s_waitcnt lgkmcnt(3)
	v_fmac_f32_e32 v145, v136, v120
	ds_load_b32 v120, v118 offset:468
	v_fmac_f32_e32 v145, v137, v121
	s_waitcnt lgkmcnt(3)
	s_delay_alu instid0(VALU_DEP_1) | instskip(SKIP_1) | instid1(VALU_DEP_1)
	v_fmac_f32_e32 v145, v138, v122
	s_waitcnt vmcnt(1)
	v_fmac_f32_e32 v145, v139, v123
	s_waitcnt lgkmcnt(2)
	s_delay_alu instid0(VALU_DEP_1) | instskip(NEXT) | instid1(VALU_DEP_1)
	v_fmac_f32_e32 v145, v140, v124
	v_fmac_f32_e32 v145, v141, v125
	s_waitcnt lgkmcnt(1)
	s_delay_alu instid0(VALU_DEP_1) | instskip(SKIP_1) | instid1(VALU_DEP_1)
	v_fmac_f32_e32 v145, v142, v126
	s_waitcnt vmcnt(0)
	v_fmac_f32_e32 v145, v143, v127
	s_waitcnt lgkmcnt(0)
	s_delay_alu instid0(VALU_DEP_1) | instskip(NEXT) | instid1(VALU_DEP_1)
	v_fmac_f32_e32 v145, v144, v120
	v_sub_f32_e32 v119, v119, v145
	scratch_store_b32 off, v119, off offset:128
	v_cmpx_lt_u32_e32 31, v0
	s_cbranch_execz .LBB121_293
; %bb.292:
	scratch_load_b32 v119, off, off offset:124
	scratch_store_b32 off, v118, off offset:124
	s_waitcnt vmcnt(0)
	ds_store_b32 v117, v119
.LBB121_293:
	s_or_b32 exec_lo, exec_lo, s0
	s_waitcnt lgkmcnt(0)
	s_waitcnt_vscnt null, 0x0
	s_barrier
	buffer_gl0_inv
	s_clause 0x6
	scratch_load_b128 v[119:122], off, off offset:124
	scratch_load_b128 v[123:126], off, off offset:140
	;; [unrolled: 1-line block ×6, first 2 shown]
	scratch_load_b96 v[151:153], off, off offset:220
	ds_load_b128 v[143:146], v118 offset:368
	ds_load_b128 v[147:150], v118 offset:384
	s_mov_b32 s0, exec_lo
	s_waitcnt vmcnt(6) lgkmcnt(1)
	v_fma_f32 v143, v120, v143, 0
	s_delay_alu instid0(VALU_DEP_1) | instskip(NEXT) | instid1(VALU_DEP_1)
	v_fmac_f32_e32 v143, v121, v144
	v_fmac_f32_e32 v143, v122, v145
	s_waitcnt vmcnt(5)
	s_delay_alu instid0(VALU_DEP_1) | instskip(SKIP_3) | instid1(VALU_DEP_1)
	v_fmac_f32_e32 v143, v123, v146
	ds_load_b128 v[120:123], v118 offset:400
	s_waitcnt lgkmcnt(1)
	v_fmac_f32_e32 v143, v124, v147
	v_fmac_f32_e32 v143, v125, v148
	s_delay_alu instid0(VALU_DEP_1) | instskip(SKIP_1) | instid1(VALU_DEP_1)
	v_fmac_f32_e32 v143, v126, v149
	s_waitcnt vmcnt(4)
	v_fmac_f32_e32 v143, v127, v150
	ds_load_b128 v[124:127], v118 offset:416
	s_waitcnt lgkmcnt(1)
	v_fmac_f32_e32 v143, v128, v120
	s_delay_alu instid0(VALU_DEP_1) | instskip(NEXT) | instid1(VALU_DEP_1)
	v_fmac_f32_e32 v143, v129, v121
	v_fmac_f32_e32 v143, v130, v122
	s_waitcnt vmcnt(3)
	s_delay_alu instid0(VALU_DEP_1) | instskip(SKIP_3) | instid1(VALU_DEP_1)
	v_fmac_f32_e32 v143, v131, v123
	ds_load_b128 v[120:123], v118 offset:432
	s_waitcnt lgkmcnt(1)
	v_fmac_f32_e32 v143, v132, v124
	v_fmac_f32_e32 v143, v133, v125
	s_delay_alu instid0(VALU_DEP_1) | instskip(SKIP_1) | instid1(VALU_DEP_1)
	v_fmac_f32_e32 v143, v134, v126
	s_waitcnt vmcnt(2)
	v_fmac_f32_e32 v143, v135, v127
	ds_load_b128 v[124:127], v118 offset:448
	s_waitcnt lgkmcnt(1)
	v_fmac_f32_e32 v143, v136, v120
	s_delay_alu instid0(VALU_DEP_1) | instskip(SKIP_3) | instid1(VALU_DEP_1)
	v_fmac_f32_e32 v143, v137, v121
	ds_load_b64 v[120:121], v118 offset:464
	v_fmac_f32_e32 v143, v138, v122
	s_waitcnt vmcnt(1)
	v_fmac_f32_e32 v143, v139, v123
	s_waitcnt lgkmcnt(1)
	s_delay_alu instid0(VALU_DEP_1) | instskip(NEXT) | instid1(VALU_DEP_1)
	v_fmac_f32_e32 v143, v140, v124
	v_fmac_f32_e32 v143, v141, v125
	s_delay_alu instid0(VALU_DEP_1) | instskip(SKIP_1) | instid1(VALU_DEP_1)
	v_fmac_f32_e32 v143, v142, v126
	s_waitcnt vmcnt(0)
	v_fmac_f32_e32 v143, v151, v127
	s_waitcnt lgkmcnt(0)
	s_delay_alu instid0(VALU_DEP_1) | instskip(NEXT) | instid1(VALU_DEP_1)
	v_fmac_f32_e32 v143, v152, v120
	v_fmac_f32_e32 v143, v153, v121
	s_delay_alu instid0(VALU_DEP_1)
	v_sub_f32_e32 v118, v119, v143
	scratch_store_b32 off, v118, off offset:124
	v_cmpx_lt_u32_e32 30, v0
	s_cbranch_execz .LBB121_295
; %bb.294:
	scratch_load_b32 v118, off, off offset:120
	v_mov_b32_e32 v119, 0
	scratch_store_b32 off, v119, off offset:120
	s_waitcnt vmcnt(0)
	ds_store_b32 v117, v118
.LBB121_295:
	s_or_b32 exec_lo, exec_lo, s0
	s_waitcnt lgkmcnt(0)
	s_waitcnt_vscnt null, 0x0
	s_barrier
	buffer_gl0_inv
	s_clause 0x6
	scratch_load_b128 v[119:122], off, off offset:120
	scratch_load_b128 v[123:126], off, off offset:136
	;; [unrolled: 1-line block ×7, first 2 shown]
	v_mov_b32_e32 v118, 0
	ds_load_2addr_b32 v[147:148], v118 offset0:91 offset1:92
	ds_load_2addr_b32 v[149:150], v118 offset0:93 offset1:94
	;; [unrolled: 1-line block ×4, first 2 shown]
	s_mov_b32 s0, exec_lo
	s_waitcnt vmcnt(6) lgkmcnt(3)
	v_fma_f32 v147, v120, v147, 0
	s_delay_alu instid0(VALU_DEP_1) | instskip(SKIP_4) | instid1(VALU_DEP_1)
	v_fmac_f32_e32 v147, v121, v148
	ds_load_2addr_b32 v[120:121], v118 offset0:99 offset1:100
	s_waitcnt lgkmcnt(3)
	v_fmac_f32_e32 v147, v122, v149
	s_waitcnt vmcnt(5)
	v_fmac_f32_e32 v147, v123, v150
	ds_load_2addr_b32 v[122:123], v118 offset0:101 offset1:102
	s_waitcnt lgkmcnt(3)
	v_fmac_f32_e32 v147, v124, v151
	s_delay_alu instid0(VALU_DEP_1) | instskip(SKIP_1) | instid1(VALU_DEP_1)
	v_fmac_f32_e32 v147, v125, v152
	s_waitcnt lgkmcnt(2)
	v_fmac_f32_e32 v147, v126, v153
	s_waitcnt vmcnt(4)
	s_delay_alu instid0(VALU_DEP_1) | instskip(SKIP_4) | instid1(VALU_DEP_1)
	v_fmac_f32_e32 v147, v127, v154
	ds_load_2addr_b32 v[124:125], v118 offset0:103 offset1:104
	ds_load_2addr_b32 v[126:127], v118 offset0:105 offset1:106
	s_waitcnt lgkmcnt(3)
	v_fmac_f32_e32 v147, v128, v120
	v_fmac_f32_e32 v147, v129, v121
	ds_load_2addr_b32 v[120:121], v118 offset0:107 offset1:108
	s_waitcnt lgkmcnt(3)
	v_fmac_f32_e32 v147, v130, v122
	s_waitcnt vmcnt(3)
	s_delay_alu instid0(VALU_DEP_1) | instskip(SKIP_3) | instid1(VALU_DEP_1)
	v_fmac_f32_e32 v147, v131, v123
	ds_load_2addr_b32 v[122:123], v118 offset0:109 offset1:110
	s_waitcnt lgkmcnt(3)
	v_fmac_f32_e32 v147, v132, v124
	v_fmac_f32_e32 v147, v133, v125
	s_waitcnt lgkmcnt(2)
	s_delay_alu instid0(VALU_DEP_1) | instskip(SKIP_1) | instid1(VALU_DEP_1)
	v_fmac_f32_e32 v147, v134, v126
	s_waitcnt vmcnt(2)
	v_fmac_f32_e32 v147, v135, v127
	ds_load_2addr_b32 v[124:125], v118 offset0:111 offset1:112
	ds_load_2addr_b32 v[126:127], v118 offset0:113 offset1:114
	s_waitcnt lgkmcnt(3)
	v_fmac_f32_e32 v147, v136, v120
	s_delay_alu instid0(VALU_DEP_1)
	v_fmac_f32_e32 v147, v137, v121
	ds_load_2addr_b32 v[120:121], v118 offset0:115 offset1:116
	s_waitcnt lgkmcnt(3)
	v_fmac_f32_e32 v147, v138, v122
	ds_load_b32 v122, v118 offset:468
	s_waitcnt vmcnt(1)
	v_fmac_f32_e32 v147, v139, v123
	s_waitcnt lgkmcnt(3)
	s_delay_alu instid0(VALU_DEP_1) | instskip(NEXT) | instid1(VALU_DEP_1)
	v_fmac_f32_e32 v147, v140, v124
	v_fmac_f32_e32 v147, v141, v125
	s_waitcnt lgkmcnt(2)
	s_delay_alu instid0(VALU_DEP_1) | instskip(SKIP_1) | instid1(VALU_DEP_1)
	v_fmac_f32_e32 v147, v142, v126
	s_waitcnt vmcnt(0)
	v_fmac_f32_e32 v147, v143, v127
	s_waitcnt lgkmcnt(1)
	s_delay_alu instid0(VALU_DEP_1) | instskip(NEXT) | instid1(VALU_DEP_1)
	v_fmac_f32_e32 v147, v144, v120
	v_fmac_f32_e32 v147, v145, v121
	s_waitcnt lgkmcnt(0)
	s_delay_alu instid0(VALU_DEP_1) | instskip(NEXT) | instid1(VALU_DEP_1)
	v_fmac_f32_e32 v147, v146, v122
	v_sub_f32_e32 v119, v119, v147
	scratch_store_b32 off, v119, off offset:120
	v_cmpx_lt_u32_e32 29, v0
	s_cbranch_execz .LBB121_297
; %bb.296:
	scratch_load_b32 v119, off, off offset:116
	scratch_store_b32 off, v118, off offset:116
	s_waitcnt vmcnt(0)
	ds_store_b32 v117, v119
.LBB121_297:
	s_or_b32 exec_lo, exec_lo, s0
	s_waitcnt lgkmcnt(0)
	s_waitcnt_vscnt null, 0x0
	s_barrier
	buffer_gl0_inv
	s_clause 0x7
	scratch_load_b128 v[119:122], off, off offset:116
	scratch_load_b128 v[123:126], off, off offset:132
	scratch_load_b128 v[127:130], off, off offset:148
	scratch_load_b128 v[131:134], off, off offset:164
	scratch_load_b128 v[135:138], off, off offset:180
	scratch_load_b128 v[139:142], off, off offset:196
	scratch_load_b128 v[143:146], off, off offset:212
	scratch_load_b32 v155, off, off offset:228
	ds_load_2addr_b64 v[147:150], v118 offset0:45 offset1:46
	ds_load_2addr_b64 v[151:154], v118 offset0:47 offset1:48
	s_mov_b32 s0, exec_lo
	s_waitcnt vmcnt(7) lgkmcnt(1)
	v_fma_f32 v147, v120, v147, 0
	s_delay_alu instid0(VALU_DEP_1) | instskip(NEXT) | instid1(VALU_DEP_1)
	v_fmac_f32_e32 v147, v121, v148
	v_fmac_f32_e32 v147, v122, v149
	s_waitcnt vmcnt(6)
	s_delay_alu instid0(VALU_DEP_1) | instskip(SKIP_3) | instid1(VALU_DEP_1)
	v_fmac_f32_e32 v147, v123, v150
	ds_load_2addr_b64 v[120:123], v118 offset0:49 offset1:50
	s_waitcnt lgkmcnt(1)
	v_fmac_f32_e32 v147, v124, v151
	v_fmac_f32_e32 v147, v125, v152
	s_delay_alu instid0(VALU_DEP_1) | instskip(SKIP_1) | instid1(VALU_DEP_1)
	v_fmac_f32_e32 v147, v126, v153
	s_waitcnt vmcnt(5)
	v_fmac_f32_e32 v147, v127, v154
	ds_load_2addr_b64 v[124:127], v118 offset0:51 offset1:52
	s_waitcnt lgkmcnt(1)
	v_fmac_f32_e32 v147, v128, v120
	s_delay_alu instid0(VALU_DEP_1) | instskip(NEXT) | instid1(VALU_DEP_1)
	v_fmac_f32_e32 v147, v129, v121
	v_fmac_f32_e32 v147, v130, v122
	s_waitcnt vmcnt(4)
	s_delay_alu instid0(VALU_DEP_1) | instskip(SKIP_3) | instid1(VALU_DEP_1)
	v_fmac_f32_e32 v147, v131, v123
	ds_load_2addr_b64 v[120:123], v118 offset0:53 offset1:54
	s_waitcnt lgkmcnt(1)
	v_fmac_f32_e32 v147, v132, v124
	v_fmac_f32_e32 v147, v133, v125
	s_delay_alu instid0(VALU_DEP_1) | instskip(SKIP_1) | instid1(VALU_DEP_1)
	v_fmac_f32_e32 v147, v134, v126
	s_waitcnt vmcnt(3)
	v_fmac_f32_e32 v147, v135, v127
	ds_load_2addr_b64 v[124:127], v118 offset0:55 offset1:56
	s_waitcnt lgkmcnt(1)
	v_fmac_f32_e32 v147, v136, v120
	s_delay_alu instid0(VALU_DEP_1) | instskip(NEXT) | instid1(VALU_DEP_1)
	v_fmac_f32_e32 v147, v137, v121
	v_fmac_f32_e32 v147, v138, v122
	s_waitcnt vmcnt(2)
	s_delay_alu instid0(VALU_DEP_1) | instskip(SKIP_3) | instid1(VALU_DEP_1)
	v_fmac_f32_e32 v147, v139, v123
	ds_load_2addr_b64 v[120:123], v118 offset0:57 offset1:58
	s_waitcnt lgkmcnt(1)
	v_fmac_f32_e32 v147, v140, v124
	v_fmac_f32_e32 v147, v141, v125
	s_delay_alu instid0(VALU_DEP_1) | instskip(SKIP_1) | instid1(VALU_DEP_1)
	v_fmac_f32_e32 v147, v142, v126
	s_waitcnt vmcnt(1)
	v_fmac_f32_e32 v147, v143, v127
	s_waitcnt lgkmcnt(0)
	s_delay_alu instid0(VALU_DEP_1) | instskip(NEXT) | instid1(VALU_DEP_1)
	v_fmac_f32_e32 v147, v144, v120
	v_fmac_f32_e32 v147, v145, v121
	s_delay_alu instid0(VALU_DEP_1) | instskip(SKIP_1) | instid1(VALU_DEP_1)
	v_fmac_f32_e32 v147, v146, v122
	s_waitcnt vmcnt(0)
	v_fmac_f32_e32 v147, v155, v123
	s_delay_alu instid0(VALU_DEP_1)
	v_sub_f32_e32 v118, v119, v147
	scratch_store_b32 off, v118, off offset:116
	v_cmpx_lt_u32_e32 28, v0
	s_cbranch_execz .LBB121_299
; %bb.298:
	scratch_load_b32 v118, off, off offset:112
	v_mov_b32_e32 v119, 0
	scratch_store_b32 off, v119, off offset:112
	s_waitcnt vmcnt(0)
	ds_store_b32 v117, v118
.LBB121_299:
	s_or_b32 exec_lo, exec_lo, s0
	s_waitcnt lgkmcnt(0)
	s_waitcnt_vscnt null, 0x0
	s_barrier
	buffer_gl0_inv
	s_clause 0x7
	scratch_load_b128 v[119:122], off, off offset:112
	scratch_load_b128 v[123:126], off, off offset:128
	;; [unrolled: 1-line block ×7, first 2 shown]
	scratch_load_b64 v[147:148], off, off offset:224
	v_mov_b32_e32 v118, 0
	ds_load_2addr_b32 v[149:150], v118 offset0:89 offset1:90
	ds_load_2addr_b32 v[151:152], v118 offset0:91 offset1:92
	;; [unrolled: 1-line block ×4, first 2 shown]
	s_mov_b32 s0, exec_lo
	s_waitcnt vmcnt(7) lgkmcnt(3)
	v_fma_f32 v149, v120, v149, 0
	s_delay_alu instid0(VALU_DEP_1) | instskip(SKIP_4) | instid1(VALU_DEP_1)
	v_fmac_f32_e32 v149, v121, v150
	ds_load_2addr_b32 v[120:121], v118 offset0:97 offset1:98
	s_waitcnt lgkmcnt(3)
	v_fmac_f32_e32 v149, v122, v151
	s_waitcnt vmcnt(6)
	v_fmac_f32_e32 v149, v123, v152
	ds_load_2addr_b32 v[122:123], v118 offset0:99 offset1:100
	s_waitcnt lgkmcnt(3)
	v_fmac_f32_e32 v149, v124, v153
	s_delay_alu instid0(VALU_DEP_1) | instskip(SKIP_1) | instid1(VALU_DEP_1)
	v_fmac_f32_e32 v149, v125, v154
	s_waitcnt lgkmcnt(2)
	v_fmac_f32_e32 v149, v126, v155
	s_waitcnt vmcnt(5)
	s_delay_alu instid0(VALU_DEP_1) | instskip(SKIP_4) | instid1(VALU_DEP_1)
	v_fmac_f32_e32 v149, v127, v156
	ds_load_2addr_b32 v[124:125], v118 offset0:101 offset1:102
	ds_load_2addr_b32 v[126:127], v118 offset0:103 offset1:104
	s_waitcnt lgkmcnt(3)
	v_fmac_f32_e32 v149, v128, v120
	v_fmac_f32_e32 v149, v129, v121
	ds_load_2addr_b32 v[120:121], v118 offset0:105 offset1:106
	s_waitcnt lgkmcnt(3)
	v_fmac_f32_e32 v149, v130, v122
	s_waitcnt vmcnt(4)
	s_delay_alu instid0(VALU_DEP_1) | instskip(SKIP_3) | instid1(VALU_DEP_1)
	v_fmac_f32_e32 v149, v131, v123
	ds_load_2addr_b32 v[122:123], v118 offset0:107 offset1:108
	s_waitcnt lgkmcnt(3)
	v_fmac_f32_e32 v149, v132, v124
	v_fmac_f32_e32 v149, v133, v125
	s_waitcnt lgkmcnt(2)
	s_delay_alu instid0(VALU_DEP_1) | instskip(SKIP_1) | instid1(VALU_DEP_1)
	v_fmac_f32_e32 v149, v134, v126
	s_waitcnt vmcnt(3)
	v_fmac_f32_e32 v149, v135, v127
	ds_load_2addr_b32 v[124:125], v118 offset0:109 offset1:110
	ds_load_2addr_b32 v[126:127], v118 offset0:111 offset1:112
	s_waitcnt lgkmcnt(3)
	v_fmac_f32_e32 v149, v136, v120
	s_delay_alu instid0(VALU_DEP_1) | instskip(SKIP_4) | instid1(VALU_DEP_1)
	v_fmac_f32_e32 v149, v137, v121
	ds_load_2addr_b32 v[120:121], v118 offset0:113 offset1:114
	s_waitcnt lgkmcnt(3)
	v_fmac_f32_e32 v149, v138, v122
	s_waitcnt vmcnt(2)
	v_fmac_f32_e32 v149, v139, v123
	ds_load_2addr_b32 v[122:123], v118 offset0:115 offset1:116
	s_waitcnt lgkmcnt(3)
	v_fmac_f32_e32 v149, v140, v124
	ds_load_b32 v124, v118 offset:468
	v_fmac_f32_e32 v149, v141, v125
	s_waitcnt lgkmcnt(3)
	s_delay_alu instid0(VALU_DEP_1) | instskip(SKIP_1) | instid1(VALU_DEP_1)
	v_fmac_f32_e32 v149, v142, v126
	s_waitcnt vmcnt(1)
	v_fmac_f32_e32 v149, v143, v127
	s_waitcnt lgkmcnt(2)
	s_delay_alu instid0(VALU_DEP_1) | instskip(NEXT) | instid1(VALU_DEP_1)
	v_fmac_f32_e32 v149, v144, v120
	v_fmac_f32_e32 v149, v145, v121
	s_waitcnt lgkmcnt(1)
	s_delay_alu instid0(VALU_DEP_1) | instskip(SKIP_1) | instid1(VALU_DEP_1)
	v_fmac_f32_e32 v149, v146, v122
	s_waitcnt vmcnt(0)
	v_fmac_f32_e32 v149, v147, v123
	s_waitcnt lgkmcnt(0)
	s_delay_alu instid0(VALU_DEP_1) | instskip(NEXT) | instid1(VALU_DEP_1)
	v_fmac_f32_e32 v149, v148, v124
	v_sub_f32_e32 v119, v119, v149
	scratch_store_b32 off, v119, off offset:112
	v_cmpx_lt_u32_e32 27, v0
	s_cbranch_execz .LBB121_301
; %bb.300:
	scratch_load_b32 v119, off, off offset:108
	scratch_store_b32 off, v118, off offset:108
	s_waitcnt vmcnt(0)
	ds_store_b32 v117, v119
.LBB121_301:
	s_or_b32 exec_lo, exec_lo, s0
	s_waitcnt lgkmcnt(0)
	s_waitcnt_vscnt null, 0x0
	s_barrier
	buffer_gl0_inv
	s_clause 0x7
	scratch_load_b128 v[119:122], off, off offset:108
	scratch_load_b128 v[123:126], off, off offset:124
	;; [unrolled: 1-line block ×7, first 2 shown]
	scratch_load_b96 v[155:157], off, off offset:220
	ds_load_b128 v[147:150], v118 offset:352
	ds_load_b128 v[151:154], v118 offset:368
	s_mov_b32 s0, exec_lo
	s_waitcnt vmcnt(7) lgkmcnt(1)
	v_fma_f32 v147, v120, v147, 0
	s_delay_alu instid0(VALU_DEP_1) | instskip(NEXT) | instid1(VALU_DEP_1)
	v_fmac_f32_e32 v147, v121, v148
	v_fmac_f32_e32 v147, v122, v149
	s_waitcnt vmcnt(6)
	s_delay_alu instid0(VALU_DEP_1) | instskip(SKIP_3) | instid1(VALU_DEP_1)
	v_fmac_f32_e32 v147, v123, v150
	ds_load_b128 v[120:123], v118 offset:384
	s_waitcnt lgkmcnt(1)
	v_fmac_f32_e32 v147, v124, v151
	v_fmac_f32_e32 v147, v125, v152
	s_delay_alu instid0(VALU_DEP_1) | instskip(SKIP_1) | instid1(VALU_DEP_1)
	v_fmac_f32_e32 v147, v126, v153
	s_waitcnt vmcnt(5)
	v_fmac_f32_e32 v147, v127, v154
	ds_load_b128 v[124:127], v118 offset:400
	s_waitcnt lgkmcnt(1)
	v_fmac_f32_e32 v147, v128, v120
	s_delay_alu instid0(VALU_DEP_1) | instskip(NEXT) | instid1(VALU_DEP_1)
	v_fmac_f32_e32 v147, v129, v121
	v_fmac_f32_e32 v147, v130, v122
	s_waitcnt vmcnt(4)
	s_delay_alu instid0(VALU_DEP_1) | instskip(SKIP_3) | instid1(VALU_DEP_1)
	v_fmac_f32_e32 v147, v131, v123
	ds_load_b128 v[120:123], v118 offset:416
	s_waitcnt lgkmcnt(1)
	v_fmac_f32_e32 v147, v132, v124
	v_fmac_f32_e32 v147, v133, v125
	s_delay_alu instid0(VALU_DEP_1) | instskip(SKIP_1) | instid1(VALU_DEP_1)
	v_fmac_f32_e32 v147, v134, v126
	s_waitcnt vmcnt(3)
	v_fmac_f32_e32 v147, v135, v127
	ds_load_b128 v[124:127], v118 offset:432
	s_waitcnt lgkmcnt(1)
	v_fmac_f32_e32 v147, v136, v120
	s_delay_alu instid0(VALU_DEP_1) | instskip(NEXT) | instid1(VALU_DEP_1)
	v_fmac_f32_e32 v147, v137, v121
	v_fmac_f32_e32 v147, v138, v122
	s_waitcnt vmcnt(2)
	s_delay_alu instid0(VALU_DEP_1) | instskip(SKIP_3) | instid1(VALU_DEP_1)
	v_fmac_f32_e32 v147, v139, v123
	ds_load_b128 v[120:123], v118 offset:448
	s_waitcnt lgkmcnt(1)
	v_fmac_f32_e32 v147, v140, v124
	v_fmac_f32_e32 v147, v141, v125
	ds_load_b64 v[124:125], v118 offset:464
	v_fmac_f32_e32 v147, v142, v126
	s_waitcnt vmcnt(1)
	s_delay_alu instid0(VALU_DEP_1) | instskip(SKIP_1) | instid1(VALU_DEP_1)
	v_fmac_f32_e32 v147, v143, v127
	s_waitcnt lgkmcnt(1)
	v_fmac_f32_e32 v147, v144, v120
	s_delay_alu instid0(VALU_DEP_1) | instskip(NEXT) | instid1(VALU_DEP_1)
	v_fmac_f32_e32 v147, v145, v121
	v_fmac_f32_e32 v147, v146, v122
	s_waitcnt vmcnt(0)
	s_delay_alu instid0(VALU_DEP_1) | instskip(SKIP_1) | instid1(VALU_DEP_1)
	v_fmac_f32_e32 v147, v155, v123
	s_waitcnt lgkmcnt(0)
	v_fmac_f32_e32 v147, v156, v124
	s_delay_alu instid0(VALU_DEP_1) | instskip(NEXT) | instid1(VALU_DEP_1)
	v_fmac_f32_e32 v147, v157, v125
	v_sub_f32_e32 v118, v119, v147
	scratch_store_b32 off, v118, off offset:108
	v_cmpx_lt_u32_e32 26, v0
	s_cbranch_execz .LBB121_303
; %bb.302:
	scratch_load_b32 v118, off, off offset:104
	v_mov_b32_e32 v119, 0
	scratch_store_b32 off, v119, off offset:104
	s_waitcnt vmcnt(0)
	ds_store_b32 v117, v118
.LBB121_303:
	s_or_b32 exec_lo, exec_lo, s0
	s_waitcnt lgkmcnt(0)
	s_waitcnt_vscnt null, 0x0
	s_barrier
	buffer_gl0_inv
	s_clause 0x7
	scratch_load_b128 v[119:122], off, off offset:104
	scratch_load_b128 v[123:126], off, off offset:120
	;; [unrolled: 1-line block ×8, first 2 shown]
	v_mov_b32_e32 v118, 0
	ds_load_2addr_b32 v[151:152], v118 offset0:87 offset1:88
	ds_load_2addr_b32 v[153:154], v118 offset0:89 offset1:90
	;; [unrolled: 1-line block ×4, first 2 shown]
	s_mov_b32 s0, exec_lo
	s_waitcnt vmcnt(7) lgkmcnt(3)
	v_fma_f32 v151, v120, v151, 0
	s_delay_alu instid0(VALU_DEP_1) | instskip(SKIP_4) | instid1(VALU_DEP_1)
	v_fmac_f32_e32 v151, v121, v152
	ds_load_2addr_b32 v[120:121], v118 offset0:95 offset1:96
	s_waitcnt lgkmcnt(3)
	v_fmac_f32_e32 v151, v122, v153
	s_waitcnt vmcnt(6)
	v_fmac_f32_e32 v151, v123, v154
	ds_load_2addr_b32 v[122:123], v118 offset0:97 offset1:98
	s_waitcnt lgkmcnt(3)
	v_fmac_f32_e32 v151, v124, v155
	s_delay_alu instid0(VALU_DEP_1) | instskip(SKIP_1) | instid1(VALU_DEP_1)
	v_fmac_f32_e32 v151, v125, v156
	s_waitcnt lgkmcnt(2)
	v_fmac_f32_e32 v151, v126, v157
	s_waitcnt vmcnt(5)
	s_delay_alu instid0(VALU_DEP_1) | instskip(SKIP_4) | instid1(VALU_DEP_1)
	v_fmac_f32_e32 v151, v127, v158
	ds_load_2addr_b32 v[124:125], v118 offset0:99 offset1:100
	ds_load_2addr_b32 v[126:127], v118 offset0:101 offset1:102
	s_waitcnt lgkmcnt(3)
	v_fmac_f32_e32 v151, v128, v120
	v_fmac_f32_e32 v151, v129, v121
	ds_load_2addr_b32 v[120:121], v118 offset0:103 offset1:104
	s_waitcnt lgkmcnt(3)
	v_fmac_f32_e32 v151, v130, v122
	s_waitcnt vmcnt(4)
	s_delay_alu instid0(VALU_DEP_1) | instskip(SKIP_3) | instid1(VALU_DEP_1)
	v_fmac_f32_e32 v151, v131, v123
	ds_load_2addr_b32 v[122:123], v118 offset0:105 offset1:106
	s_waitcnt lgkmcnt(3)
	v_fmac_f32_e32 v151, v132, v124
	v_fmac_f32_e32 v151, v133, v125
	s_waitcnt lgkmcnt(2)
	s_delay_alu instid0(VALU_DEP_1) | instskip(SKIP_1) | instid1(VALU_DEP_1)
	v_fmac_f32_e32 v151, v134, v126
	s_waitcnt vmcnt(3)
	v_fmac_f32_e32 v151, v135, v127
	ds_load_2addr_b32 v[124:125], v118 offset0:107 offset1:108
	ds_load_2addr_b32 v[126:127], v118 offset0:109 offset1:110
	s_waitcnt lgkmcnt(3)
	v_fmac_f32_e32 v151, v136, v120
	s_delay_alu instid0(VALU_DEP_1) | instskip(SKIP_4) | instid1(VALU_DEP_1)
	v_fmac_f32_e32 v151, v137, v121
	ds_load_2addr_b32 v[120:121], v118 offset0:111 offset1:112
	s_waitcnt lgkmcnt(3)
	v_fmac_f32_e32 v151, v138, v122
	s_waitcnt vmcnt(2)
	v_fmac_f32_e32 v151, v139, v123
	ds_load_2addr_b32 v[122:123], v118 offset0:113 offset1:114
	s_waitcnt lgkmcnt(3)
	v_fmac_f32_e32 v151, v140, v124
	s_delay_alu instid0(VALU_DEP_1) | instskip(SKIP_1) | instid1(VALU_DEP_1)
	v_fmac_f32_e32 v151, v141, v125
	s_waitcnt lgkmcnt(2)
	v_fmac_f32_e32 v151, v142, v126
	ds_load_2addr_b32 v[124:125], v118 offset0:115 offset1:116
	ds_load_b32 v126, v118 offset:468
	s_waitcnt vmcnt(1)
	v_fmac_f32_e32 v151, v143, v127
	s_waitcnt lgkmcnt(3)
	s_delay_alu instid0(VALU_DEP_1) | instskip(NEXT) | instid1(VALU_DEP_1)
	v_fmac_f32_e32 v151, v144, v120
	v_fmac_f32_e32 v151, v145, v121
	s_waitcnt lgkmcnt(2)
	s_delay_alu instid0(VALU_DEP_1) | instskip(SKIP_1) | instid1(VALU_DEP_1)
	v_fmac_f32_e32 v151, v146, v122
	s_waitcnt vmcnt(0)
	v_fmac_f32_e32 v151, v147, v123
	s_waitcnt lgkmcnt(1)
	s_delay_alu instid0(VALU_DEP_1) | instskip(NEXT) | instid1(VALU_DEP_1)
	v_fmac_f32_e32 v151, v148, v124
	v_fmac_f32_e32 v151, v149, v125
	s_waitcnt lgkmcnt(0)
	s_delay_alu instid0(VALU_DEP_1) | instskip(NEXT) | instid1(VALU_DEP_1)
	v_fmac_f32_e32 v151, v150, v126
	v_sub_f32_e32 v119, v119, v151
	scratch_store_b32 off, v119, off offset:104
	v_cmpx_lt_u32_e32 25, v0
	s_cbranch_execz .LBB121_305
; %bb.304:
	scratch_load_b32 v119, off, off offset:100
	scratch_store_b32 off, v118, off offset:100
	s_waitcnt vmcnt(0)
	ds_store_b32 v117, v119
.LBB121_305:
	s_or_b32 exec_lo, exec_lo, s0
	s_waitcnt lgkmcnt(0)
	s_waitcnt_vscnt null, 0x0
	s_barrier
	buffer_gl0_inv
	s_clause 0x8
	scratch_load_b128 v[119:122], off, off offset:100
	scratch_load_b128 v[123:126], off, off offset:116
	;; [unrolled: 1-line block ×8, first 2 shown]
	scratch_load_b32 v159, off, off offset:228
	ds_load_2addr_b64 v[151:154], v118 offset0:43 offset1:44
	ds_load_2addr_b64 v[155:158], v118 offset0:45 offset1:46
	s_mov_b32 s0, exec_lo
	s_waitcnt vmcnt(8) lgkmcnt(1)
	v_fma_f32 v151, v120, v151, 0
	s_delay_alu instid0(VALU_DEP_1) | instskip(NEXT) | instid1(VALU_DEP_1)
	v_fmac_f32_e32 v151, v121, v152
	v_fmac_f32_e32 v151, v122, v153
	s_waitcnt vmcnt(7)
	s_delay_alu instid0(VALU_DEP_1) | instskip(SKIP_3) | instid1(VALU_DEP_1)
	v_fmac_f32_e32 v151, v123, v154
	ds_load_2addr_b64 v[120:123], v118 offset0:47 offset1:48
	s_waitcnt lgkmcnt(1)
	v_fmac_f32_e32 v151, v124, v155
	v_fmac_f32_e32 v151, v125, v156
	s_delay_alu instid0(VALU_DEP_1) | instskip(SKIP_1) | instid1(VALU_DEP_1)
	v_fmac_f32_e32 v151, v126, v157
	s_waitcnt vmcnt(6)
	v_fmac_f32_e32 v151, v127, v158
	ds_load_2addr_b64 v[124:127], v118 offset0:49 offset1:50
	s_waitcnt lgkmcnt(1)
	v_fmac_f32_e32 v151, v128, v120
	s_delay_alu instid0(VALU_DEP_1) | instskip(NEXT) | instid1(VALU_DEP_1)
	v_fmac_f32_e32 v151, v129, v121
	v_fmac_f32_e32 v151, v130, v122
	s_waitcnt vmcnt(5)
	s_delay_alu instid0(VALU_DEP_1) | instskip(SKIP_3) | instid1(VALU_DEP_1)
	v_fmac_f32_e32 v151, v131, v123
	ds_load_2addr_b64 v[120:123], v118 offset0:51 offset1:52
	s_waitcnt lgkmcnt(1)
	v_fmac_f32_e32 v151, v132, v124
	v_fmac_f32_e32 v151, v133, v125
	s_delay_alu instid0(VALU_DEP_1) | instskip(SKIP_1) | instid1(VALU_DEP_1)
	v_fmac_f32_e32 v151, v134, v126
	s_waitcnt vmcnt(4)
	v_fmac_f32_e32 v151, v135, v127
	ds_load_2addr_b64 v[124:127], v118 offset0:53 offset1:54
	s_waitcnt lgkmcnt(1)
	v_fmac_f32_e32 v151, v136, v120
	;; [unrolled: 17-line block ×3, first 2 shown]
	s_delay_alu instid0(VALU_DEP_1) | instskip(NEXT) | instid1(VALU_DEP_1)
	v_fmac_f32_e32 v151, v145, v121
	v_fmac_f32_e32 v151, v146, v122
	s_waitcnt vmcnt(1)
	s_delay_alu instid0(VALU_DEP_1) | instskip(SKIP_1) | instid1(VALU_DEP_1)
	v_fmac_f32_e32 v151, v147, v123
	s_waitcnt lgkmcnt(0)
	v_fmac_f32_e32 v151, v148, v124
	s_delay_alu instid0(VALU_DEP_1) | instskip(NEXT) | instid1(VALU_DEP_1)
	v_fmac_f32_e32 v151, v149, v125
	v_fmac_f32_e32 v151, v150, v126
	s_waitcnt vmcnt(0)
	s_delay_alu instid0(VALU_DEP_1) | instskip(NEXT) | instid1(VALU_DEP_1)
	v_fmac_f32_e32 v151, v159, v127
	v_sub_f32_e32 v118, v119, v151
	scratch_store_b32 off, v118, off offset:100
	v_cmpx_lt_u32_e32 24, v0
	s_cbranch_execz .LBB121_307
; %bb.306:
	scratch_load_b32 v118, off, off offset:96
	v_mov_b32_e32 v119, 0
	scratch_store_b32 off, v119, off offset:96
	s_waitcnt vmcnt(0)
	ds_store_b32 v117, v118
.LBB121_307:
	s_or_b32 exec_lo, exec_lo, s0
	s_waitcnt lgkmcnt(0)
	s_waitcnt_vscnt null, 0x0
	s_barrier
	buffer_gl0_inv
	s_clause 0x8
	scratch_load_b128 v[119:122], off, off offset:96
	scratch_load_b128 v[123:126], off, off offset:112
	;; [unrolled: 1-line block ×8, first 2 shown]
	scratch_load_b64 v[151:152], off, off offset:224
	v_mov_b32_e32 v118, 0
	ds_load_2addr_b32 v[153:154], v118 offset0:85 offset1:86
	ds_load_2addr_b32 v[155:156], v118 offset0:87 offset1:88
	;; [unrolled: 1-line block ×4, first 2 shown]
	s_mov_b32 s0, exec_lo
	s_waitcnt vmcnt(8) lgkmcnt(3)
	v_fma_f32 v153, v120, v153, 0
	s_delay_alu instid0(VALU_DEP_1) | instskip(SKIP_4) | instid1(VALU_DEP_1)
	v_fmac_f32_e32 v153, v121, v154
	ds_load_2addr_b32 v[120:121], v118 offset0:93 offset1:94
	s_waitcnt lgkmcnt(3)
	v_fmac_f32_e32 v153, v122, v155
	s_waitcnt vmcnt(7)
	v_fmac_f32_e32 v153, v123, v156
	ds_load_2addr_b32 v[122:123], v118 offset0:95 offset1:96
	s_waitcnt lgkmcnt(3)
	v_fmac_f32_e32 v153, v124, v157
	s_delay_alu instid0(VALU_DEP_1) | instskip(SKIP_1) | instid1(VALU_DEP_1)
	v_fmac_f32_e32 v153, v125, v158
	s_waitcnt lgkmcnt(2)
	v_fmac_f32_e32 v153, v126, v159
	s_waitcnt vmcnt(6)
	s_delay_alu instid0(VALU_DEP_1) | instskip(SKIP_4) | instid1(VALU_DEP_1)
	v_fmac_f32_e32 v153, v127, v160
	ds_load_2addr_b32 v[124:125], v118 offset0:97 offset1:98
	ds_load_2addr_b32 v[126:127], v118 offset0:99 offset1:100
	s_waitcnt lgkmcnt(3)
	v_fmac_f32_e32 v153, v128, v120
	v_fmac_f32_e32 v153, v129, v121
	ds_load_2addr_b32 v[120:121], v118 offset0:101 offset1:102
	s_waitcnt lgkmcnt(3)
	v_fmac_f32_e32 v153, v130, v122
	s_waitcnt vmcnt(5)
	s_delay_alu instid0(VALU_DEP_1) | instskip(SKIP_3) | instid1(VALU_DEP_1)
	v_fmac_f32_e32 v153, v131, v123
	ds_load_2addr_b32 v[122:123], v118 offset0:103 offset1:104
	s_waitcnt lgkmcnt(3)
	v_fmac_f32_e32 v153, v132, v124
	v_fmac_f32_e32 v153, v133, v125
	s_waitcnt lgkmcnt(2)
	s_delay_alu instid0(VALU_DEP_1) | instskip(SKIP_1) | instid1(VALU_DEP_1)
	v_fmac_f32_e32 v153, v134, v126
	s_waitcnt vmcnt(4)
	v_fmac_f32_e32 v153, v135, v127
	ds_load_2addr_b32 v[124:125], v118 offset0:105 offset1:106
	ds_load_2addr_b32 v[126:127], v118 offset0:107 offset1:108
	s_waitcnt lgkmcnt(3)
	v_fmac_f32_e32 v153, v136, v120
	s_delay_alu instid0(VALU_DEP_1) | instskip(SKIP_4) | instid1(VALU_DEP_1)
	v_fmac_f32_e32 v153, v137, v121
	ds_load_2addr_b32 v[120:121], v118 offset0:109 offset1:110
	s_waitcnt lgkmcnt(3)
	v_fmac_f32_e32 v153, v138, v122
	s_waitcnt vmcnt(3)
	v_fmac_f32_e32 v153, v139, v123
	ds_load_2addr_b32 v[122:123], v118 offset0:111 offset1:112
	s_waitcnt lgkmcnt(3)
	v_fmac_f32_e32 v153, v140, v124
	s_delay_alu instid0(VALU_DEP_1) | instskip(SKIP_1) | instid1(VALU_DEP_1)
	v_fmac_f32_e32 v153, v141, v125
	s_waitcnt lgkmcnt(2)
	v_fmac_f32_e32 v153, v142, v126
	s_waitcnt vmcnt(2)
	s_delay_alu instid0(VALU_DEP_1)
	v_fmac_f32_e32 v153, v143, v127
	ds_load_2addr_b32 v[124:125], v118 offset0:113 offset1:114
	ds_load_2addr_b32 v[126:127], v118 offset0:115 offset1:116
	s_waitcnt lgkmcnt(3)
	v_fmac_f32_e32 v153, v144, v120
	ds_load_b32 v120, v118 offset:468
	v_fmac_f32_e32 v153, v145, v121
	s_waitcnt lgkmcnt(3)
	s_delay_alu instid0(VALU_DEP_1) | instskip(SKIP_1) | instid1(VALU_DEP_1)
	v_fmac_f32_e32 v153, v146, v122
	s_waitcnt vmcnt(1)
	v_fmac_f32_e32 v153, v147, v123
	s_waitcnt lgkmcnt(2)
	s_delay_alu instid0(VALU_DEP_1) | instskip(NEXT) | instid1(VALU_DEP_1)
	v_fmac_f32_e32 v153, v148, v124
	v_fmac_f32_e32 v153, v149, v125
	s_waitcnt lgkmcnt(1)
	s_delay_alu instid0(VALU_DEP_1) | instskip(SKIP_1) | instid1(VALU_DEP_1)
	v_fmac_f32_e32 v153, v150, v126
	s_waitcnt vmcnt(0)
	v_fmac_f32_e32 v153, v151, v127
	s_waitcnt lgkmcnt(0)
	s_delay_alu instid0(VALU_DEP_1) | instskip(NEXT) | instid1(VALU_DEP_1)
	v_fmac_f32_e32 v153, v152, v120
	v_sub_f32_e32 v119, v119, v153
	scratch_store_b32 off, v119, off offset:96
	v_cmpx_lt_u32_e32 23, v0
	s_cbranch_execz .LBB121_309
; %bb.308:
	scratch_load_b32 v119, off, off offset:92
	scratch_store_b32 off, v118, off offset:92
	s_waitcnt vmcnt(0)
	ds_store_b32 v117, v119
.LBB121_309:
	s_or_b32 exec_lo, exec_lo, s0
	s_waitcnt lgkmcnt(0)
	s_waitcnt_vscnt null, 0x0
	s_barrier
	buffer_gl0_inv
	s_clause 0x8
	scratch_load_b128 v[119:122], off, off offset:92
	scratch_load_b128 v[123:126], off, off offset:108
	;; [unrolled: 1-line block ×8, first 2 shown]
	scratch_load_b96 v[159:161], off, off offset:220
	ds_load_b128 v[151:154], v118 offset:336
	ds_load_b128 v[155:158], v118 offset:352
	s_mov_b32 s0, exec_lo
	s_waitcnt vmcnt(8) lgkmcnt(1)
	v_fma_f32 v151, v120, v151, 0
	s_delay_alu instid0(VALU_DEP_1) | instskip(NEXT) | instid1(VALU_DEP_1)
	v_fmac_f32_e32 v151, v121, v152
	v_fmac_f32_e32 v151, v122, v153
	s_waitcnt vmcnt(7)
	s_delay_alu instid0(VALU_DEP_1) | instskip(SKIP_3) | instid1(VALU_DEP_1)
	v_fmac_f32_e32 v151, v123, v154
	ds_load_b128 v[120:123], v118 offset:368
	s_waitcnt lgkmcnt(1)
	v_fmac_f32_e32 v151, v124, v155
	v_fmac_f32_e32 v151, v125, v156
	s_delay_alu instid0(VALU_DEP_1) | instskip(SKIP_1) | instid1(VALU_DEP_1)
	v_fmac_f32_e32 v151, v126, v157
	s_waitcnt vmcnt(6)
	v_fmac_f32_e32 v151, v127, v158
	ds_load_b128 v[124:127], v118 offset:384
	s_waitcnt lgkmcnt(1)
	v_fmac_f32_e32 v151, v128, v120
	s_delay_alu instid0(VALU_DEP_1) | instskip(NEXT) | instid1(VALU_DEP_1)
	v_fmac_f32_e32 v151, v129, v121
	v_fmac_f32_e32 v151, v130, v122
	s_waitcnt vmcnt(5)
	s_delay_alu instid0(VALU_DEP_1) | instskip(SKIP_3) | instid1(VALU_DEP_1)
	v_fmac_f32_e32 v151, v131, v123
	ds_load_b128 v[120:123], v118 offset:400
	s_waitcnt lgkmcnt(1)
	v_fmac_f32_e32 v151, v132, v124
	v_fmac_f32_e32 v151, v133, v125
	s_delay_alu instid0(VALU_DEP_1) | instskip(SKIP_1) | instid1(VALU_DEP_1)
	v_fmac_f32_e32 v151, v134, v126
	s_waitcnt vmcnt(4)
	v_fmac_f32_e32 v151, v135, v127
	ds_load_b128 v[124:127], v118 offset:416
	s_waitcnt lgkmcnt(1)
	v_fmac_f32_e32 v151, v136, v120
	;; [unrolled: 17-line block ×3, first 2 shown]
	s_delay_alu instid0(VALU_DEP_1) | instskip(SKIP_3) | instid1(VALU_DEP_1)
	v_fmac_f32_e32 v151, v145, v121
	ds_load_b64 v[120:121], v118 offset:464
	v_fmac_f32_e32 v151, v146, v122
	s_waitcnt vmcnt(1)
	v_fmac_f32_e32 v151, v147, v123
	s_waitcnt lgkmcnt(1)
	s_delay_alu instid0(VALU_DEP_1) | instskip(NEXT) | instid1(VALU_DEP_1)
	v_fmac_f32_e32 v151, v148, v124
	v_fmac_f32_e32 v151, v149, v125
	s_delay_alu instid0(VALU_DEP_1) | instskip(SKIP_1) | instid1(VALU_DEP_1)
	v_fmac_f32_e32 v151, v150, v126
	s_waitcnt vmcnt(0)
	v_fmac_f32_e32 v151, v159, v127
	s_waitcnt lgkmcnt(0)
	s_delay_alu instid0(VALU_DEP_1) | instskip(NEXT) | instid1(VALU_DEP_1)
	v_fmac_f32_e32 v151, v160, v120
	v_fmac_f32_e32 v151, v161, v121
	s_delay_alu instid0(VALU_DEP_1)
	v_sub_f32_e32 v118, v119, v151
	scratch_store_b32 off, v118, off offset:92
	v_cmpx_lt_u32_e32 22, v0
	s_cbranch_execz .LBB121_311
; %bb.310:
	scratch_load_b32 v118, off, off offset:88
	v_mov_b32_e32 v119, 0
	scratch_store_b32 off, v119, off offset:88
	s_waitcnt vmcnt(0)
	ds_store_b32 v117, v118
.LBB121_311:
	s_or_b32 exec_lo, exec_lo, s0
	s_waitcnt lgkmcnt(0)
	s_waitcnt_vscnt null, 0x0
	s_barrier
	buffer_gl0_inv
	s_clause 0x8
	scratch_load_b128 v[119:122], off, off offset:88
	scratch_load_b128 v[123:126], off, off offset:104
	;; [unrolled: 1-line block ×9, first 2 shown]
	v_mov_b32_e32 v118, 0
	ds_load_2addr_b32 v[155:156], v118 offset0:83 offset1:84
	ds_load_2addr_b32 v[157:158], v118 offset0:85 offset1:86
	ds_load_2addr_b32 v[159:160], v118 offset0:87 offset1:88
	ds_load_2addr_b32 v[161:162], v118 offset0:89 offset1:90
	s_mov_b32 s0, exec_lo
	s_waitcnt vmcnt(8) lgkmcnt(3)
	v_fma_f32 v155, v120, v155, 0
	s_delay_alu instid0(VALU_DEP_1) | instskip(SKIP_4) | instid1(VALU_DEP_1)
	v_fmac_f32_e32 v155, v121, v156
	ds_load_2addr_b32 v[120:121], v118 offset0:91 offset1:92
	s_waitcnt lgkmcnt(3)
	v_fmac_f32_e32 v155, v122, v157
	s_waitcnt vmcnt(7)
	v_fmac_f32_e32 v155, v123, v158
	ds_load_2addr_b32 v[122:123], v118 offset0:93 offset1:94
	s_waitcnt lgkmcnt(3)
	v_fmac_f32_e32 v155, v124, v159
	s_delay_alu instid0(VALU_DEP_1) | instskip(SKIP_1) | instid1(VALU_DEP_1)
	v_fmac_f32_e32 v155, v125, v160
	s_waitcnt lgkmcnt(2)
	v_fmac_f32_e32 v155, v126, v161
	s_waitcnt vmcnt(6)
	s_delay_alu instid0(VALU_DEP_1) | instskip(SKIP_4) | instid1(VALU_DEP_1)
	v_fmac_f32_e32 v155, v127, v162
	ds_load_2addr_b32 v[124:125], v118 offset0:95 offset1:96
	ds_load_2addr_b32 v[126:127], v118 offset0:97 offset1:98
	s_waitcnt lgkmcnt(3)
	v_fmac_f32_e32 v155, v128, v120
	v_fmac_f32_e32 v155, v129, v121
	ds_load_2addr_b32 v[120:121], v118 offset0:99 offset1:100
	s_waitcnt lgkmcnt(3)
	v_fmac_f32_e32 v155, v130, v122
	s_waitcnt vmcnt(5)
	s_delay_alu instid0(VALU_DEP_1) | instskip(SKIP_3) | instid1(VALU_DEP_1)
	v_fmac_f32_e32 v155, v131, v123
	ds_load_2addr_b32 v[122:123], v118 offset0:101 offset1:102
	s_waitcnt lgkmcnt(3)
	v_fmac_f32_e32 v155, v132, v124
	v_fmac_f32_e32 v155, v133, v125
	s_waitcnt lgkmcnt(2)
	s_delay_alu instid0(VALU_DEP_1) | instskip(SKIP_1) | instid1(VALU_DEP_1)
	v_fmac_f32_e32 v155, v134, v126
	s_waitcnt vmcnt(4)
	v_fmac_f32_e32 v155, v135, v127
	ds_load_2addr_b32 v[124:125], v118 offset0:103 offset1:104
	ds_load_2addr_b32 v[126:127], v118 offset0:105 offset1:106
	s_waitcnt lgkmcnt(3)
	v_fmac_f32_e32 v155, v136, v120
	s_delay_alu instid0(VALU_DEP_1) | instskip(SKIP_4) | instid1(VALU_DEP_1)
	v_fmac_f32_e32 v155, v137, v121
	ds_load_2addr_b32 v[120:121], v118 offset0:107 offset1:108
	s_waitcnt lgkmcnt(3)
	v_fmac_f32_e32 v155, v138, v122
	s_waitcnt vmcnt(3)
	v_fmac_f32_e32 v155, v139, v123
	ds_load_2addr_b32 v[122:123], v118 offset0:109 offset1:110
	s_waitcnt lgkmcnt(3)
	v_fmac_f32_e32 v155, v140, v124
	s_delay_alu instid0(VALU_DEP_1) | instskip(SKIP_1) | instid1(VALU_DEP_1)
	v_fmac_f32_e32 v155, v141, v125
	s_waitcnt lgkmcnt(2)
	v_fmac_f32_e32 v155, v142, v126
	s_waitcnt vmcnt(2)
	s_delay_alu instid0(VALU_DEP_1) | instskip(SKIP_4) | instid1(VALU_DEP_1)
	v_fmac_f32_e32 v155, v143, v127
	ds_load_2addr_b32 v[124:125], v118 offset0:111 offset1:112
	ds_load_2addr_b32 v[126:127], v118 offset0:113 offset1:114
	s_waitcnt lgkmcnt(3)
	v_fmac_f32_e32 v155, v144, v120
	v_fmac_f32_e32 v155, v145, v121
	ds_load_2addr_b32 v[120:121], v118 offset0:115 offset1:116
	s_waitcnt lgkmcnt(3)
	v_fmac_f32_e32 v155, v146, v122
	ds_load_b32 v122, v118 offset:468
	s_waitcnt vmcnt(1)
	v_fmac_f32_e32 v155, v147, v123
	s_waitcnt lgkmcnt(3)
	s_delay_alu instid0(VALU_DEP_1) | instskip(NEXT) | instid1(VALU_DEP_1)
	v_fmac_f32_e32 v155, v148, v124
	v_fmac_f32_e32 v155, v149, v125
	s_waitcnt lgkmcnt(2)
	s_delay_alu instid0(VALU_DEP_1) | instskip(SKIP_1) | instid1(VALU_DEP_1)
	v_fmac_f32_e32 v155, v150, v126
	s_waitcnt vmcnt(0)
	v_fmac_f32_e32 v155, v151, v127
	s_waitcnt lgkmcnt(1)
	s_delay_alu instid0(VALU_DEP_1) | instskip(NEXT) | instid1(VALU_DEP_1)
	v_fmac_f32_e32 v155, v152, v120
	v_fmac_f32_e32 v155, v153, v121
	s_waitcnt lgkmcnt(0)
	s_delay_alu instid0(VALU_DEP_1) | instskip(NEXT) | instid1(VALU_DEP_1)
	v_fmac_f32_e32 v155, v154, v122
	v_sub_f32_e32 v119, v119, v155
	scratch_store_b32 off, v119, off offset:88
	v_cmpx_lt_u32_e32 21, v0
	s_cbranch_execz .LBB121_313
; %bb.312:
	scratch_load_b32 v119, off, off offset:84
	scratch_store_b32 off, v118, off offset:84
	s_waitcnt vmcnt(0)
	ds_store_b32 v117, v119
.LBB121_313:
	s_or_b32 exec_lo, exec_lo, s0
	s_waitcnt lgkmcnt(0)
	s_waitcnt_vscnt null, 0x0
	s_barrier
	buffer_gl0_inv
	s_clause 0x9
	scratch_load_b128 v[119:122], off, off offset:84
	scratch_load_b128 v[123:126], off, off offset:100
	;; [unrolled: 1-line block ×9, first 2 shown]
	scratch_load_b32 v163, off, off offset:228
	ds_load_2addr_b64 v[155:158], v118 offset0:41 offset1:42
	ds_load_2addr_b64 v[159:162], v118 offset0:43 offset1:44
	s_mov_b32 s0, exec_lo
	s_waitcnt vmcnt(9) lgkmcnt(1)
	v_fma_f32 v155, v120, v155, 0
	s_delay_alu instid0(VALU_DEP_1) | instskip(NEXT) | instid1(VALU_DEP_1)
	v_fmac_f32_e32 v155, v121, v156
	v_fmac_f32_e32 v155, v122, v157
	s_waitcnt vmcnt(8)
	s_delay_alu instid0(VALU_DEP_1) | instskip(SKIP_3) | instid1(VALU_DEP_1)
	v_fmac_f32_e32 v155, v123, v158
	ds_load_2addr_b64 v[120:123], v118 offset0:45 offset1:46
	s_waitcnt lgkmcnt(1)
	v_fmac_f32_e32 v155, v124, v159
	v_fmac_f32_e32 v155, v125, v160
	s_delay_alu instid0(VALU_DEP_1) | instskip(SKIP_1) | instid1(VALU_DEP_1)
	v_fmac_f32_e32 v155, v126, v161
	s_waitcnt vmcnt(7)
	v_fmac_f32_e32 v155, v127, v162
	ds_load_2addr_b64 v[124:127], v118 offset0:47 offset1:48
	s_waitcnt lgkmcnt(1)
	v_fmac_f32_e32 v155, v128, v120
	s_delay_alu instid0(VALU_DEP_1) | instskip(NEXT) | instid1(VALU_DEP_1)
	v_fmac_f32_e32 v155, v129, v121
	v_fmac_f32_e32 v155, v130, v122
	s_waitcnt vmcnt(6)
	s_delay_alu instid0(VALU_DEP_1) | instskip(SKIP_3) | instid1(VALU_DEP_1)
	v_fmac_f32_e32 v155, v131, v123
	ds_load_2addr_b64 v[120:123], v118 offset0:49 offset1:50
	s_waitcnt lgkmcnt(1)
	v_fmac_f32_e32 v155, v132, v124
	v_fmac_f32_e32 v155, v133, v125
	s_delay_alu instid0(VALU_DEP_1) | instskip(SKIP_1) | instid1(VALU_DEP_1)
	v_fmac_f32_e32 v155, v134, v126
	s_waitcnt vmcnt(5)
	v_fmac_f32_e32 v155, v135, v127
	ds_load_2addr_b64 v[124:127], v118 offset0:51 offset1:52
	s_waitcnt lgkmcnt(1)
	v_fmac_f32_e32 v155, v136, v120
	s_delay_alu instid0(VALU_DEP_1) | instskip(NEXT) | instid1(VALU_DEP_1)
	v_fmac_f32_e32 v155, v137, v121
	v_fmac_f32_e32 v155, v138, v122
	s_waitcnt vmcnt(4)
	s_delay_alu instid0(VALU_DEP_1) | instskip(SKIP_3) | instid1(VALU_DEP_1)
	v_fmac_f32_e32 v155, v139, v123
	ds_load_2addr_b64 v[120:123], v118 offset0:53 offset1:54
	s_waitcnt lgkmcnt(1)
	v_fmac_f32_e32 v155, v140, v124
	v_fmac_f32_e32 v155, v141, v125
	s_delay_alu instid0(VALU_DEP_1) | instskip(SKIP_1) | instid1(VALU_DEP_1)
	v_fmac_f32_e32 v155, v142, v126
	s_waitcnt vmcnt(3)
	v_fmac_f32_e32 v155, v143, v127
	ds_load_2addr_b64 v[124:127], v118 offset0:55 offset1:56
	s_waitcnt lgkmcnt(1)
	v_fmac_f32_e32 v155, v144, v120
	s_delay_alu instid0(VALU_DEP_1) | instskip(NEXT) | instid1(VALU_DEP_1)
	v_fmac_f32_e32 v155, v145, v121
	v_fmac_f32_e32 v155, v146, v122
	s_waitcnt vmcnt(2)
	s_delay_alu instid0(VALU_DEP_1) | instskip(SKIP_3) | instid1(VALU_DEP_1)
	v_fmac_f32_e32 v155, v147, v123
	ds_load_2addr_b64 v[120:123], v118 offset0:57 offset1:58
	s_waitcnt lgkmcnt(1)
	v_fmac_f32_e32 v155, v148, v124
	v_fmac_f32_e32 v155, v149, v125
	s_delay_alu instid0(VALU_DEP_1) | instskip(SKIP_1) | instid1(VALU_DEP_1)
	v_fmac_f32_e32 v155, v150, v126
	s_waitcnt vmcnt(1)
	v_fmac_f32_e32 v155, v151, v127
	s_waitcnt lgkmcnt(0)
	s_delay_alu instid0(VALU_DEP_1) | instskip(NEXT) | instid1(VALU_DEP_1)
	v_fmac_f32_e32 v155, v152, v120
	v_fmac_f32_e32 v155, v153, v121
	s_delay_alu instid0(VALU_DEP_1) | instskip(SKIP_1) | instid1(VALU_DEP_1)
	v_fmac_f32_e32 v155, v154, v122
	s_waitcnt vmcnt(0)
	v_fmac_f32_e32 v155, v163, v123
	s_delay_alu instid0(VALU_DEP_1)
	v_sub_f32_e32 v118, v119, v155
	scratch_store_b32 off, v118, off offset:84
	v_cmpx_lt_u32_e32 20, v0
	s_cbranch_execz .LBB121_315
; %bb.314:
	scratch_load_b32 v118, off, off offset:80
	v_mov_b32_e32 v119, 0
	scratch_store_b32 off, v119, off offset:80
	s_waitcnt vmcnt(0)
	ds_store_b32 v117, v118
.LBB121_315:
	s_or_b32 exec_lo, exec_lo, s0
	s_waitcnt lgkmcnt(0)
	s_waitcnt_vscnt null, 0x0
	s_barrier
	buffer_gl0_inv
	s_clause 0x9
	scratch_load_b128 v[119:122], off, off offset:80
	scratch_load_b128 v[123:126], off, off offset:96
	;; [unrolled: 1-line block ×9, first 2 shown]
	scratch_load_b64 v[155:156], off, off offset:224
	v_mov_b32_e32 v118, 0
	ds_load_2addr_b32 v[157:158], v118 offset0:81 offset1:82
	ds_load_2addr_b32 v[159:160], v118 offset0:83 offset1:84
	;; [unrolled: 1-line block ×4, first 2 shown]
	s_mov_b32 s0, exec_lo
	s_waitcnt vmcnt(9) lgkmcnt(3)
	v_fma_f32 v157, v120, v157, 0
	s_delay_alu instid0(VALU_DEP_1) | instskip(SKIP_4) | instid1(VALU_DEP_1)
	v_fmac_f32_e32 v157, v121, v158
	ds_load_2addr_b32 v[120:121], v118 offset0:89 offset1:90
	s_waitcnt lgkmcnt(3)
	v_fmac_f32_e32 v157, v122, v159
	s_waitcnt vmcnt(8)
	v_fmac_f32_e32 v157, v123, v160
	ds_load_2addr_b32 v[122:123], v118 offset0:91 offset1:92
	s_waitcnt lgkmcnt(3)
	v_fmac_f32_e32 v157, v124, v161
	s_delay_alu instid0(VALU_DEP_1) | instskip(SKIP_1) | instid1(VALU_DEP_1)
	v_fmac_f32_e32 v157, v125, v162
	s_waitcnt lgkmcnt(2)
	v_fmac_f32_e32 v157, v126, v163
	s_waitcnt vmcnt(7)
	s_delay_alu instid0(VALU_DEP_1) | instskip(SKIP_4) | instid1(VALU_DEP_1)
	v_fmac_f32_e32 v157, v127, v164
	ds_load_2addr_b32 v[124:125], v118 offset0:93 offset1:94
	ds_load_2addr_b32 v[126:127], v118 offset0:95 offset1:96
	s_waitcnt lgkmcnt(3)
	v_fmac_f32_e32 v157, v128, v120
	v_fmac_f32_e32 v157, v129, v121
	ds_load_2addr_b32 v[120:121], v118 offset0:97 offset1:98
	s_waitcnt lgkmcnt(3)
	v_fmac_f32_e32 v157, v130, v122
	s_waitcnt vmcnt(6)
	s_delay_alu instid0(VALU_DEP_1) | instskip(SKIP_3) | instid1(VALU_DEP_1)
	v_fmac_f32_e32 v157, v131, v123
	ds_load_2addr_b32 v[122:123], v118 offset0:99 offset1:100
	s_waitcnt lgkmcnt(3)
	v_fmac_f32_e32 v157, v132, v124
	v_fmac_f32_e32 v157, v133, v125
	s_waitcnt lgkmcnt(2)
	s_delay_alu instid0(VALU_DEP_1) | instskip(SKIP_1) | instid1(VALU_DEP_1)
	v_fmac_f32_e32 v157, v134, v126
	s_waitcnt vmcnt(5)
	v_fmac_f32_e32 v157, v135, v127
	ds_load_2addr_b32 v[124:125], v118 offset0:101 offset1:102
	ds_load_2addr_b32 v[126:127], v118 offset0:103 offset1:104
	s_waitcnt lgkmcnt(3)
	v_fmac_f32_e32 v157, v136, v120
	s_delay_alu instid0(VALU_DEP_1) | instskip(SKIP_4) | instid1(VALU_DEP_1)
	v_fmac_f32_e32 v157, v137, v121
	ds_load_2addr_b32 v[120:121], v118 offset0:105 offset1:106
	s_waitcnt lgkmcnt(3)
	v_fmac_f32_e32 v157, v138, v122
	s_waitcnt vmcnt(4)
	v_fmac_f32_e32 v157, v139, v123
	ds_load_2addr_b32 v[122:123], v118 offset0:107 offset1:108
	s_waitcnt lgkmcnt(3)
	v_fmac_f32_e32 v157, v140, v124
	s_delay_alu instid0(VALU_DEP_1) | instskip(SKIP_1) | instid1(VALU_DEP_1)
	v_fmac_f32_e32 v157, v141, v125
	s_waitcnt lgkmcnt(2)
	v_fmac_f32_e32 v157, v142, v126
	s_waitcnt vmcnt(3)
	s_delay_alu instid0(VALU_DEP_1) | instskip(SKIP_4) | instid1(VALU_DEP_1)
	v_fmac_f32_e32 v157, v143, v127
	ds_load_2addr_b32 v[124:125], v118 offset0:109 offset1:110
	ds_load_2addr_b32 v[126:127], v118 offset0:111 offset1:112
	s_waitcnt lgkmcnt(3)
	v_fmac_f32_e32 v157, v144, v120
	v_fmac_f32_e32 v157, v145, v121
	ds_load_2addr_b32 v[120:121], v118 offset0:113 offset1:114
	s_waitcnt lgkmcnt(3)
	v_fmac_f32_e32 v157, v146, v122
	s_waitcnt vmcnt(2)
	s_delay_alu instid0(VALU_DEP_1)
	v_fmac_f32_e32 v157, v147, v123
	ds_load_2addr_b32 v[122:123], v118 offset0:115 offset1:116
	s_waitcnt lgkmcnt(3)
	v_fmac_f32_e32 v157, v148, v124
	ds_load_b32 v124, v118 offset:468
	v_fmac_f32_e32 v157, v149, v125
	s_waitcnt lgkmcnt(3)
	s_delay_alu instid0(VALU_DEP_1) | instskip(SKIP_1) | instid1(VALU_DEP_1)
	v_fmac_f32_e32 v157, v150, v126
	s_waitcnt vmcnt(1)
	v_fmac_f32_e32 v157, v151, v127
	s_waitcnt lgkmcnt(2)
	s_delay_alu instid0(VALU_DEP_1) | instskip(NEXT) | instid1(VALU_DEP_1)
	v_fmac_f32_e32 v157, v152, v120
	v_fmac_f32_e32 v157, v153, v121
	s_waitcnt lgkmcnt(1)
	s_delay_alu instid0(VALU_DEP_1) | instskip(SKIP_1) | instid1(VALU_DEP_1)
	v_fmac_f32_e32 v157, v154, v122
	s_waitcnt vmcnt(0)
	v_fmac_f32_e32 v157, v155, v123
	s_waitcnt lgkmcnt(0)
	s_delay_alu instid0(VALU_DEP_1) | instskip(NEXT) | instid1(VALU_DEP_1)
	v_fmac_f32_e32 v157, v156, v124
	v_sub_f32_e32 v119, v119, v157
	scratch_store_b32 off, v119, off offset:80
	v_cmpx_lt_u32_e32 19, v0
	s_cbranch_execz .LBB121_317
; %bb.316:
	scratch_load_b32 v119, off, off offset:76
	scratch_store_b32 off, v118, off offset:76
	s_waitcnt vmcnt(0)
	ds_store_b32 v117, v119
.LBB121_317:
	s_or_b32 exec_lo, exec_lo, s0
	s_waitcnt lgkmcnt(0)
	s_waitcnt_vscnt null, 0x0
	s_barrier
	buffer_gl0_inv
	s_clause 0x9
	scratch_load_b128 v[119:122], off, off offset:76
	scratch_load_b128 v[123:126], off, off offset:92
	;; [unrolled: 1-line block ×9, first 2 shown]
	scratch_load_b96 v[163:165], off, off offset:220
	ds_load_b128 v[155:158], v118 offset:320
	ds_load_b128 v[159:162], v118 offset:336
	s_mov_b32 s0, exec_lo
	s_waitcnt vmcnt(9) lgkmcnt(1)
	v_fma_f32 v155, v120, v155, 0
	s_delay_alu instid0(VALU_DEP_1) | instskip(NEXT) | instid1(VALU_DEP_1)
	v_fmac_f32_e32 v155, v121, v156
	v_fmac_f32_e32 v155, v122, v157
	s_waitcnt vmcnt(8)
	s_delay_alu instid0(VALU_DEP_1) | instskip(SKIP_3) | instid1(VALU_DEP_1)
	v_fmac_f32_e32 v155, v123, v158
	ds_load_b128 v[120:123], v118 offset:352
	s_waitcnt lgkmcnt(1)
	v_fmac_f32_e32 v155, v124, v159
	v_fmac_f32_e32 v155, v125, v160
	s_delay_alu instid0(VALU_DEP_1) | instskip(SKIP_1) | instid1(VALU_DEP_1)
	v_fmac_f32_e32 v155, v126, v161
	s_waitcnt vmcnt(7)
	v_fmac_f32_e32 v155, v127, v162
	ds_load_b128 v[124:127], v118 offset:368
	s_waitcnt lgkmcnt(1)
	v_fmac_f32_e32 v155, v128, v120
	s_delay_alu instid0(VALU_DEP_1) | instskip(NEXT) | instid1(VALU_DEP_1)
	v_fmac_f32_e32 v155, v129, v121
	v_fmac_f32_e32 v155, v130, v122
	s_waitcnt vmcnt(6)
	s_delay_alu instid0(VALU_DEP_1) | instskip(SKIP_3) | instid1(VALU_DEP_1)
	v_fmac_f32_e32 v155, v131, v123
	ds_load_b128 v[120:123], v118 offset:384
	s_waitcnt lgkmcnt(1)
	v_fmac_f32_e32 v155, v132, v124
	v_fmac_f32_e32 v155, v133, v125
	s_delay_alu instid0(VALU_DEP_1) | instskip(SKIP_1) | instid1(VALU_DEP_1)
	v_fmac_f32_e32 v155, v134, v126
	s_waitcnt vmcnt(5)
	v_fmac_f32_e32 v155, v135, v127
	ds_load_b128 v[124:127], v118 offset:400
	s_waitcnt lgkmcnt(1)
	v_fmac_f32_e32 v155, v136, v120
	;; [unrolled: 17-line block ×3, first 2 shown]
	s_delay_alu instid0(VALU_DEP_1) | instskip(NEXT) | instid1(VALU_DEP_1)
	v_fmac_f32_e32 v155, v145, v121
	v_fmac_f32_e32 v155, v146, v122
	s_waitcnt vmcnt(2)
	s_delay_alu instid0(VALU_DEP_1) | instskip(SKIP_3) | instid1(VALU_DEP_1)
	v_fmac_f32_e32 v155, v147, v123
	ds_load_b128 v[120:123], v118 offset:448
	s_waitcnt lgkmcnt(1)
	v_fmac_f32_e32 v155, v148, v124
	v_fmac_f32_e32 v155, v149, v125
	ds_load_b64 v[124:125], v118 offset:464
	v_fmac_f32_e32 v155, v150, v126
	s_waitcnt vmcnt(1)
	s_delay_alu instid0(VALU_DEP_1) | instskip(SKIP_1) | instid1(VALU_DEP_1)
	v_fmac_f32_e32 v155, v151, v127
	s_waitcnt lgkmcnt(1)
	v_fmac_f32_e32 v155, v152, v120
	s_delay_alu instid0(VALU_DEP_1) | instskip(NEXT) | instid1(VALU_DEP_1)
	v_fmac_f32_e32 v155, v153, v121
	v_fmac_f32_e32 v155, v154, v122
	s_waitcnt vmcnt(0)
	s_delay_alu instid0(VALU_DEP_1) | instskip(SKIP_1) | instid1(VALU_DEP_1)
	v_fmac_f32_e32 v155, v163, v123
	s_waitcnt lgkmcnt(0)
	v_fmac_f32_e32 v155, v164, v124
	s_delay_alu instid0(VALU_DEP_1) | instskip(NEXT) | instid1(VALU_DEP_1)
	v_fmac_f32_e32 v155, v165, v125
	v_sub_f32_e32 v118, v119, v155
	scratch_store_b32 off, v118, off offset:76
	v_cmpx_lt_u32_e32 18, v0
	s_cbranch_execz .LBB121_319
; %bb.318:
	scratch_load_b32 v118, off, off offset:72
	v_mov_b32_e32 v119, 0
	scratch_store_b32 off, v119, off offset:72
	s_waitcnt vmcnt(0)
	ds_store_b32 v117, v118
.LBB121_319:
	s_or_b32 exec_lo, exec_lo, s0
	s_waitcnt lgkmcnt(0)
	s_waitcnt_vscnt null, 0x0
	s_barrier
	buffer_gl0_inv
	s_clause 0x9
	scratch_load_b128 v[119:122], off, off offset:72
	scratch_load_b128 v[123:126], off, off offset:88
	scratch_load_b128 v[127:130], off, off offset:104
	scratch_load_b128 v[131:134], off, off offset:120
	scratch_load_b128 v[135:138], off, off offset:136
	scratch_load_b128 v[139:142], off, off offset:152
	scratch_load_b128 v[143:146], off, off offset:168
	scratch_load_b128 v[147:150], off, off offset:184
	scratch_load_b128 v[151:154], off, off offset:200
	scratch_load_b128 v[155:158], off, off offset:216
	v_mov_b32_e32 v118, 0
	ds_load_2addr_b32 v[159:160], v118 offset0:79 offset1:80
	ds_load_2addr_b32 v[161:162], v118 offset0:81 offset1:82
	;; [unrolled: 1-line block ×4, first 2 shown]
	s_mov_b32 s0, exec_lo
	s_waitcnt vmcnt(9) lgkmcnt(3)
	v_fma_f32 v159, v120, v159, 0
	s_delay_alu instid0(VALU_DEP_1) | instskip(SKIP_4) | instid1(VALU_DEP_1)
	v_fmac_f32_e32 v159, v121, v160
	ds_load_2addr_b32 v[120:121], v118 offset0:87 offset1:88
	s_waitcnt lgkmcnt(3)
	v_fmac_f32_e32 v159, v122, v161
	s_waitcnt vmcnt(8)
	v_fmac_f32_e32 v159, v123, v162
	ds_load_2addr_b32 v[122:123], v118 offset0:89 offset1:90
	s_waitcnt lgkmcnt(3)
	v_fmac_f32_e32 v159, v124, v163
	s_delay_alu instid0(VALU_DEP_1) | instskip(SKIP_1) | instid1(VALU_DEP_1)
	v_fmac_f32_e32 v159, v125, v164
	s_waitcnt lgkmcnt(2)
	v_fmac_f32_e32 v159, v126, v165
	s_waitcnt vmcnt(7)
	s_delay_alu instid0(VALU_DEP_1) | instskip(SKIP_4) | instid1(VALU_DEP_1)
	v_fmac_f32_e32 v159, v127, v166
	ds_load_2addr_b32 v[124:125], v118 offset0:91 offset1:92
	ds_load_2addr_b32 v[126:127], v118 offset0:93 offset1:94
	s_waitcnt lgkmcnt(3)
	v_fmac_f32_e32 v159, v128, v120
	v_fmac_f32_e32 v159, v129, v121
	ds_load_2addr_b32 v[120:121], v118 offset0:95 offset1:96
	s_waitcnt lgkmcnt(3)
	v_fmac_f32_e32 v159, v130, v122
	s_waitcnt vmcnt(6)
	s_delay_alu instid0(VALU_DEP_1) | instskip(SKIP_3) | instid1(VALU_DEP_1)
	v_fmac_f32_e32 v159, v131, v123
	ds_load_2addr_b32 v[122:123], v118 offset0:97 offset1:98
	s_waitcnt lgkmcnt(3)
	v_fmac_f32_e32 v159, v132, v124
	v_fmac_f32_e32 v159, v133, v125
	s_waitcnt lgkmcnt(2)
	s_delay_alu instid0(VALU_DEP_1) | instskip(SKIP_1) | instid1(VALU_DEP_1)
	v_fmac_f32_e32 v159, v134, v126
	s_waitcnt vmcnt(5)
	v_fmac_f32_e32 v159, v135, v127
	ds_load_2addr_b32 v[124:125], v118 offset0:99 offset1:100
	ds_load_2addr_b32 v[126:127], v118 offset0:101 offset1:102
	s_waitcnt lgkmcnt(3)
	v_fmac_f32_e32 v159, v136, v120
	s_delay_alu instid0(VALU_DEP_1) | instskip(SKIP_4) | instid1(VALU_DEP_1)
	v_fmac_f32_e32 v159, v137, v121
	ds_load_2addr_b32 v[120:121], v118 offset0:103 offset1:104
	s_waitcnt lgkmcnt(3)
	v_fmac_f32_e32 v159, v138, v122
	s_waitcnt vmcnt(4)
	v_fmac_f32_e32 v159, v139, v123
	ds_load_2addr_b32 v[122:123], v118 offset0:105 offset1:106
	s_waitcnt lgkmcnt(3)
	v_fmac_f32_e32 v159, v140, v124
	s_delay_alu instid0(VALU_DEP_1) | instskip(SKIP_1) | instid1(VALU_DEP_1)
	v_fmac_f32_e32 v159, v141, v125
	s_waitcnt lgkmcnt(2)
	v_fmac_f32_e32 v159, v142, v126
	s_waitcnt vmcnt(3)
	s_delay_alu instid0(VALU_DEP_1) | instskip(SKIP_4) | instid1(VALU_DEP_1)
	v_fmac_f32_e32 v159, v143, v127
	ds_load_2addr_b32 v[124:125], v118 offset0:107 offset1:108
	ds_load_2addr_b32 v[126:127], v118 offset0:109 offset1:110
	s_waitcnt lgkmcnt(3)
	v_fmac_f32_e32 v159, v144, v120
	v_fmac_f32_e32 v159, v145, v121
	ds_load_2addr_b32 v[120:121], v118 offset0:111 offset1:112
	s_waitcnt lgkmcnt(3)
	v_fmac_f32_e32 v159, v146, v122
	s_waitcnt vmcnt(2)
	s_delay_alu instid0(VALU_DEP_1) | instskip(SKIP_3) | instid1(VALU_DEP_1)
	v_fmac_f32_e32 v159, v147, v123
	ds_load_2addr_b32 v[122:123], v118 offset0:113 offset1:114
	s_waitcnt lgkmcnt(3)
	v_fmac_f32_e32 v159, v148, v124
	v_fmac_f32_e32 v159, v149, v125
	s_waitcnt lgkmcnt(2)
	s_delay_alu instid0(VALU_DEP_1)
	v_fmac_f32_e32 v159, v150, v126
	ds_load_2addr_b32 v[124:125], v118 offset0:115 offset1:116
	ds_load_b32 v126, v118 offset:468
	s_waitcnt vmcnt(1)
	v_fmac_f32_e32 v159, v151, v127
	s_waitcnt lgkmcnt(3)
	s_delay_alu instid0(VALU_DEP_1) | instskip(NEXT) | instid1(VALU_DEP_1)
	v_fmac_f32_e32 v159, v152, v120
	v_fmac_f32_e32 v159, v153, v121
	s_waitcnt lgkmcnt(2)
	s_delay_alu instid0(VALU_DEP_1) | instskip(SKIP_1) | instid1(VALU_DEP_1)
	v_fmac_f32_e32 v159, v154, v122
	s_waitcnt vmcnt(0)
	v_fmac_f32_e32 v159, v155, v123
	s_waitcnt lgkmcnt(1)
	s_delay_alu instid0(VALU_DEP_1) | instskip(NEXT) | instid1(VALU_DEP_1)
	v_fmac_f32_e32 v159, v156, v124
	v_fmac_f32_e32 v159, v157, v125
	s_waitcnt lgkmcnt(0)
	s_delay_alu instid0(VALU_DEP_1) | instskip(NEXT) | instid1(VALU_DEP_1)
	v_fmac_f32_e32 v159, v158, v126
	v_sub_f32_e32 v119, v119, v159
	scratch_store_b32 off, v119, off offset:72
	v_cmpx_lt_u32_e32 17, v0
	s_cbranch_execz .LBB121_321
; %bb.320:
	scratch_load_b32 v119, off, off offset:68
	scratch_store_b32 off, v118, off offset:68
	s_waitcnt vmcnt(0)
	ds_store_b32 v117, v119
.LBB121_321:
	s_or_b32 exec_lo, exec_lo, s0
	s_waitcnt lgkmcnt(0)
	s_waitcnt_vscnt null, 0x0
	s_barrier
	buffer_gl0_inv
	s_clause 0xa
	scratch_load_b128 v[119:122], off, off offset:68
	scratch_load_b128 v[123:126], off, off offset:84
	;; [unrolled: 1-line block ×10, first 2 shown]
	scratch_load_b32 v167, off, off offset:228
	ds_load_2addr_b64 v[159:162], v118 offset0:39 offset1:40
	ds_load_2addr_b64 v[163:166], v118 offset0:41 offset1:42
	s_mov_b32 s0, exec_lo
	s_waitcnt vmcnt(10) lgkmcnt(1)
	v_fma_f32 v159, v120, v159, 0
	s_delay_alu instid0(VALU_DEP_1) | instskip(NEXT) | instid1(VALU_DEP_1)
	v_fmac_f32_e32 v159, v121, v160
	v_fmac_f32_e32 v159, v122, v161
	s_waitcnt vmcnt(9)
	s_delay_alu instid0(VALU_DEP_1) | instskip(SKIP_3) | instid1(VALU_DEP_1)
	v_fmac_f32_e32 v159, v123, v162
	ds_load_2addr_b64 v[120:123], v118 offset0:43 offset1:44
	s_waitcnt lgkmcnt(1)
	v_fmac_f32_e32 v159, v124, v163
	v_fmac_f32_e32 v159, v125, v164
	s_delay_alu instid0(VALU_DEP_1) | instskip(SKIP_1) | instid1(VALU_DEP_1)
	v_fmac_f32_e32 v159, v126, v165
	s_waitcnt vmcnt(8)
	v_fmac_f32_e32 v159, v127, v166
	ds_load_2addr_b64 v[124:127], v118 offset0:45 offset1:46
	s_waitcnt lgkmcnt(1)
	v_fmac_f32_e32 v159, v128, v120
	s_delay_alu instid0(VALU_DEP_1) | instskip(NEXT) | instid1(VALU_DEP_1)
	v_fmac_f32_e32 v159, v129, v121
	v_fmac_f32_e32 v159, v130, v122
	s_waitcnt vmcnt(7)
	s_delay_alu instid0(VALU_DEP_1) | instskip(SKIP_3) | instid1(VALU_DEP_1)
	v_fmac_f32_e32 v159, v131, v123
	ds_load_2addr_b64 v[120:123], v118 offset0:47 offset1:48
	s_waitcnt lgkmcnt(1)
	v_fmac_f32_e32 v159, v132, v124
	v_fmac_f32_e32 v159, v133, v125
	s_delay_alu instid0(VALU_DEP_1) | instskip(SKIP_1) | instid1(VALU_DEP_1)
	v_fmac_f32_e32 v159, v134, v126
	s_waitcnt vmcnt(6)
	v_fmac_f32_e32 v159, v135, v127
	ds_load_2addr_b64 v[124:127], v118 offset0:49 offset1:50
	s_waitcnt lgkmcnt(1)
	v_fmac_f32_e32 v159, v136, v120
	;; [unrolled: 17-line block ×4, first 2 shown]
	s_delay_alu instid0(VALU_DEP_1) | instskip(NEXT) | instid1(VALU_DEP_1)
	v_fmac_f32_e32 v159, v153, v121
	v_fmac_f32_e32 v159, v154, v122
	s_waitcnt vmcnt(1)
	s_delay_alu instid0(VALU_DEP_1) | instskip(SKIP_1) | instid1(VALU_DEP_1)
	v_fmac_f32_e32 v159, v155, v123
	s_waitcnt lgkmcnt(0)
	v_fmac_f32_e32 v159, v156, v124
	s_delay_alu instid0(VALU_DEP_1) | instskip(NEXT) | instid1(VALU_DEP_1)
	v_fmac_f32_e32 v159, v157, v125
	v_fmac_f32_e32 v159, v158, v126
	s_waitcnt vmcnt(0)
	s_delay_alu instid0(VALU_DEP_1) | instskip(NEXT) | instid1(VALU_DEP_1)
	v_fmac_f32_e32 v159, v167, v127
	v_sub_f32_e32 v118, v119, v159
	scratch_store_b32 off, v118, off offset:68
	v_cmpx_lt_u32_e32 16, v0
	s_cbranch_execz .LBB121_323
; %bb.322:
	scratch_load_b32 v118, off, off offset:64
	v_mov_b32_e32 v119, 0
	scratch_store_b32 off, v119, off offset:64
	s_waitcnt vmcnt(0)
	ds_store_b32 v117, v118
.LBB121_323:
	s_or_b32 exec_lo, exec_lo, s0
	s_waitcnt lgkmcnt(0)
	s_waitcnt_vscnt null, 0x0
	s_barrier
	buffer_gl0_inv
	s_clause 0xa
	scratch_load_b128 v[119:122], off, off offset:64
	scratch_load_b128 v[123:126], off, off offset:80
	;; [unrolled: 1-line block ×10, first 2 shown]
	scratch_load_b64 v[159:160], off, off offset:224
	v_mov_b32_e32 v118, 0
	ds_load_2addr_b32 v[161:162], v118 offset0:77 offset1:78
	ds_load_2addr_b32 v[163:164], v118 offset0:79 offset1:80
	;; [unrolled: 1-line block ×4, first 2 shown]
	s_mov_b32 s0, exec_lo
	s_waitcnt vmcnt(10) lgkmcnt(3)
	v_fma_f32 v161, v120, v161, 0
	s_delay_alu instid0(VALU_DEP_1) | instskip(SKIP_4) | instid1(VALU_DEP_1)
	v_fmac_f32_e32 v161, v121, v162
	ds_load_2addr_b32 v[120:121], v118 offset0:85 offset1:86
	s_waitcnt lgkmcnt(3)
	v_fmac_f32_e32 v161, v122, v163
	s_waitcnt vmcnt(9)
	v_fmac_f32_e32 v161, v123, v164
	ds_load_2addr_b32 v[122:123], v118 offset0:87 offset1:88
	s_waitcnt lgkmcnt(3)
	v_fmac_f32_e32 v161, v124, v165
	s_delay_alu instid0(VALU_DEP_1) | instskip(SKIP_1) | instid1(VALU_DEP_1)
	v_fmac_f32_e32 v161, v125, v166
	s_waitcnt lgkmcnt(2)
	v_fmac_f32_e32 v161, v126, v167
	s_waitcnt vmcnt(8)
	s_delay_alu instid0(VALU_DEP_1) | instskip(SKIP_4) | instid1(VALU_DEP_1)
	v_fmac_f32_e32 v161, v127, v168
	ds_load_2addr_b32 v[124:125], v118 offset0:89 offset1:90
	ds_load_2addr_b32 v[126:127], v118 offset0:91 offset1:92
	s_waitcnt lgkmcnt(3)
	v_fmac_f32_e32 v161, v128, v120
	v_fmac_f32_e32 v161, v129, v121
	ds_load_2addr_b32 v[120:121], v118 offset0:93 offset1:94
	s_waitcnt lgkmcnt(3)
	v_fmac_f32_e32 v161, v130, v122
	s_waitcnt vmcnt(7)
	s_delay_alu instid0(VALU_DEP_1) | instskip(SKIP_3) | instid1(VALU_DEP_1)
	v_fmac_f32_e32 v161, v131, v123
	ds_load_2addr_b32 v[122:123], v118 offset0:95 offset1:96
	s_waitcnt lgkmcnt(3)
	v_fmac_f32_e32 v161, v132, v124
	v_fmac_f32_e32 v161, v133, v125
	s_waitcnt lgkmcnt(2)
	s_delay_alu instid0(VALU_DEP_1) | instskip(SKIP_1) | instid1(VALU_DEP_1)
	v_fmac_f32_e32 v161, v134, v126
	s_waitcnt vmcnt(6)
	v_fmac_f32_e32 v161, v135, v127
	ds_load_2addr_b32 v[124:125], v118 offset0:97 offset1:98
	ds_load_2addr_b32 v[126:127], v118 offset0:99 offset1:100
	s_waitcnt lgkmcnt(3)
	v_fmac_f32_e32 v161, v136, v120
	s_delay_alu instid0(VALU_DEP_1) | instskip(SKIP_4) | instid1(VALU_DEP_1)
	v_fmac_f32_e32 v161, v137, v121
	ds_load_2addr_b32 v[120:121], v118 offset0:101 offset1:102
	s_waitcnt lgkmcnt(3)
	v_fmac_f32_e32 v161, v138, v122
	s_waitcnt vmcnt(5)
	v_fmac_f32_e32 v161, v139, v123
	ds_load_2addr_b32 v[122:123], v118 offset0:103 offset1:104
	s_waitcnt lgkmcnt(3)
	v_fmac_f32_e32 v161, v140, v124
	s_delay_alu instid0(VALU_DEP_1) | instskip(SKIP_1) | instid1(VALU_DEP_1)
	v_fmac_f32_e32 v161, v141, v125
	s_waitcnt lgkmcnt(2)
	v_fmac_f32_e32 v161, v142, v126
	s_waitcnt vmcnt(4)
	s_delay_alu instid0(VALU_DEP_1) | instskip(SKIP_4) | instid1(VALU_DEP_1)
	v_fmac_f32_e32 v161, v143, v127
	ds_load_2addr_b32 v[124:125], v118 offset0:105 offset1:106
	ds_load_2addr_b32 v[126:127], v118 offset0:107 offset1:108
	s_waitcnt lgkmcnt(3)
	v_fmac_f32_e32 v161, v144, v120
	v_fmac_f32_e32 v161, v145, v121
	ds_load_2addr_b32 v[120:121], v118 offset0:109 offset1:110
	s_waitcnt lgkmcnt(3)
	v_fmac_f32_e32 v161, v146, v122
	s_waitcnt vmcnt(3)
	s_delay_alu instid0(VALU_DEP_1) | instskip(SKIP_3) | instid1(VALU_DEP_1)
	v_fmac_f32_e32 v161, v147, v123
	ds_load_2addr_b32 v[122:123], v118 offset0:111 offset1:112
	s_waitcnt lgkmcnt(3)
	v_fmac_f32_e32 v161, v148, v124
	v_fmac_f32_e32 v161, v149, v125
	s_waitcnt lgkmcnt(2)
	s_delay_alu instid0(VALU_DEP_1) | instskip(SKIP_1) | instid1(VALU_DEP_1)
	v_fmac_f32_e32 v161, v150, v126
	s_waitcnt vmcnt(2)
	v_fmac_f32_e32 v161, v151, v127
	ds_load_2addr_b32 v[124:125], v118 offset0:113 offset1:114
	ds_load_2addr_b32 v[126:127], v118 offset0:115 offset1:116
	s_waitcnt lgkmcnt(3)
	v_fmac_f32_e32 v161, v152, v120
	ds_load_b32 v120, v118 offset:468
	v_fmac_f32_e32 v161, v153, v121
	s_waitcnt lgkmcnt(3)
	s_delay_alu instid0(VALU_DEP_1) | instskip(SKIP_1) | instid1(VALU_DEP_1)
	v_fmac_f32_e32 v161, v154, v122
	s_waitcnt vmcnt(1)
	v_fmac_f32_e32 v161, v155, v123
	s_waitcnt lgkmcnt(2)
	s_delay_alu instid0(VALU_DEP_1) | instskip(NEXT) | instid1(VALU_DEP_1)
	v_fmac_f32_e32 v161, v156, v124
	v_fmac_f32_e32 v161, v157, v125
	s_waitcnt lgkmcnt(1)
	s_delay_alu instid0(VALU_DEP_1) | instskip(SKIP_1) | instid1(VALU_DEP_1)
	v_fmac_f32_e32 v161, v158, v126
	s_waitcnt vmcnt(0)
	v_fmac_f32_e32 v161, v159, v127
	s_waitcnt lgkmcnt(0)
	s_delay_alu instid0(VALU_DEP_1) | instskip(NEXT) | instid1(VALU_DEP_1)
	v_fmac_f32_e32 v161, v160, v120
	v_sub_f32_e32 v119, v119, v161
	scratch_store_b32 off, v119, off offset:64
	v_cmpx_lt_u32_e32 15, v0
	s_cbranch_execz .LBB121_325
; %bb.324:
	scratch_load_b32 v119, off, off offset:60
	scratch_store_b32 off, v118, off offset:60
	s_waitcnt vmcnt(0)
	ds_store_b32 v117, v119
.LBB121_325:
	s_or_b32 exec_lo, exec_lo, s0
	s_waitcnt lgkmcnt(0)
	s_waitcnt_vscnt null, 0x0
	s_barrier
	buffer_gl0_inv
	s_clause 0xa
	scratch_load_b128 v[119:122], off, off offset:60
	scratch_load_b128 v[123:126], off, off offset:76
	;; [unrolled: 1-line block ×10, first 2 shown]
	scratch_load_b96 v[167:169], off, off offset:220
	ds_load_b128 v[159:162], v118 offset:304
	ds_load_b128 v[163:166], v118 offset:320
	s_mov_b32 s0, exec_lo
	s_waitcnt vmcnt(10) lgkmcnt(1)
	v_fma_f32 v159, v120, v159, 0
	s_delay_alu instid0(VALU_DEP_1) | instskip(NEXT) | instid1(VALU_DEP_1)
	v_fmac_f32_e32 v159, v121, v160
	v_fmac_f32_e32 v159, v122, v161
	s_waitcnt vmcnt(9)
	s_delay_alu instid0(VALU_DEP_1) | instskip(SKIP_3) | instid1(VALU_DEP_1)
	v_fmac_f32_e32 v159, v123, v162
	ds_load_b128 v[120:123], v118 offset:336
	s_waitcnt lgkmcnt(1)
	v_fmac_f32_e32 v159, v124, v163
	v_fmac_f32_e32 v159, v125, v164
	s_delay_alu instid0(VALU_DEP_1) | instskip(SKIP_1) | instid1(VALU_DEP_1)
	v_fmac_f32_e32 v159, v126, v165
	s_waitcnt vmcnt(8)
	v_fmac_f32_e32 v159, v127, v166
	ds_load_b128 v[124:127], v118 offset:352
	s_waitcnt lgkmcnt(1)
	v_fmac_f32_e32 v159, v128, v120
	s_delay_alu instid0(VALU_DEP_1) | instskip(NEXT) | instid1(VALU_DEP_1)
	v_fmac_f32_e32 v159, v129, v121
	v_fmac_f32_e32 v159, v130, v122
	s_waitcnt vmcnt(7)
	s_delay_alu instid0(VALU_DEP_1) | instskip(SKIP_3) | instid1(VALU_DEP_1)
	v_fmac_f32_e32 v159, v131, v123
	ds_load_b128 v[120:123], v118 offset:368
	s_waitcnt lgkmcnt(1)
	v_fmac_f32_e32 v159, v132, v124
	v_fmac_f32_e32 v159, v133, v125
	s_delay_alu instid0(VALU_DEP_1) | instskip(SKIP_1) | instid1(VALU_DEP_1)
	v_fmac_f32_e32 v159, v134, v126
	s_waitcnt vmcnt(6)
	v_fmac_f32_e32 v159, v135, v127
	ds_load_b128 v[124:127], v118 offset:384
	s_waitcnt lgkmcnt(1)
	v_fmac_f32_e32 v159, v136, v120
	;; [unrolled: 17-line block ×4, first 2 shown]
	s_delay_alu instid0(VALU_DEP_1) | instskip(SKIP_3) | instid1(VALU_DEP_1)
	v_fmac_f32_e32 v159, v153, v121
	ds_load_b64 v[120:121], v118 offset:464
	v_fmac_f32_e32 v159, v154, v122
	s_waitcnt vmcnt(1)
	v_fmac_f32_e32 v159, v155, v123
	s_waitcnt lgkmcnt(1)
	s_delay_alu instid0(VALU_DEP_1) | instskip(NEXT) | instid1(VALU_DEP_1)
	v_fmac_f32_e32 v159, v156, v124
	v_fmac_f32_e32 v159, v157, v125
	s_delay_alu instid0(VALU_DEP_1) | instskip(SKIP_1) | instid1(VALU_DEP_1)
	v_fmac_f32_e32 v159, v158, v126
	s_waitcnt vmcnt(0)
	v_fmac_f32_e32 v159, v167, v127
	s_waitcnt lgkmcnt(0)
	s_delay_alu instid0(VALU_DEP_1) | instskip(NEXT) | instid1(VALU_DEP_1)
	v_fmac_f32_e32 v159, v168, v120
	v_fmac_f32_e32 v159, v169, v121
	s_delay_alu instid0(VALU_DEP_1)
	v_sub_f32_e32 v118, v119, v159
	scratch_store_b32 off, v118, off offset:60
	v_cmpx_lt_u32_e32 14, v0
	s_cbranch_execz .LBB121_327
; %bb.326:
	scratch_load_b32 v118, off, off offset:56
	v_mov_b32_e32 v119, 0
	scratch_store_b32 off, v119, off offset:56
	s_waitcnt vmcnt(0)
	ds_store_b32 v117, v118
.LBB121_327:
	s_or_b32 exec_lo, exec_lo, s0
	s_waitcnt lgkmcnt(0)
	s_waitcnt_vscnt null, 0x0
	s_barrier
	buffer_gl0_inv
	s_clause 0xa
	scratch_load_b128 v[119:122], off, off offset:56
	scratch_load_b128 v[123:126], off, off offset:72
	;; [unrolled: 1-line block ×11, first 2 shown]
	v_mov_b32_e32 v118, 0
	ds_load_2addr_b32 v[163:164], v118 offset0:75 offset1:76
	ds_load_2addr_b32 v[165:166], v118 offset0:77 offset1:78
	;; [unrolled: 1-line block ×4, first 2 shown]
	s_mov_b32 s0, exec_lo
	s_waitcnt vmcnt(10) lgkmcnt(3)
	v_fma_f32 v163, v120, v163, 0
	s_delay_alu instid0(VALU_DEP_1) | instskip(SKIP_4) | instid1(VALU_DEP_1)
	v_fmac_f32_e32 v163, v121, v164
	ds_load_2addr_b32 v[120:121], v118 offset0:83 offset1:84
	s_waitcnt lgkmcnt(3)
	v_fmac_f32_e32 v163, v122, v165
	s_waitcnt vmcnt(9)
	v_fmac_f32_e32 v163, v123, v166
	ds_load_2addr_b32 v[122:123], v118 offset0:85 offset1:86
	s_waitcnt lgkmcnt(3)
	v_fmac_f32_e32 v163, v124, v167
	s_delay_alu instid0(VALU_DEP_1) | instskip(SKIP_1) | instid1(VALU_DEP_1)
	v_fmac_f32_e32 v163, v125, v168
	s_waitcnt lgkmcnt(2)
	v_fmac_f32_e32 v163, v126, v169
	s_waitcnt vmcnt(8)
	s_delay_alu instid0(VALU_DEP_1) | instskip(SKIP_4) | instid1(VALU_DEP_1)
	v_fmac_f32_e32 v163, v127, v170
	ds_load_2addr_b32 v[124:125], v118 offset0:87 offset1:88
	ds_load_2addr_b32 v[126:127], v118 offset0:89 offset1:90
	s_waitcnt lgkmcnt(3)
	v_fmac_f32_e32 v163, v128, v120
	v_fmac_f32_e32 v163, v129, v121
	ds_load_2addr_b32 v[120:121], v118 offset0:91 offset1:92
	s_waitcnt lgkmcnt(3)
	v_fmac_f32_e32 v163, v130, v122
	s_waitcnt vmcnt(7)
	s_delay_alu instid0(VALU_DEP_1) | instskip(SKIP_3) | instid1(VALU_DEP_1)
	v_fmac_f32_e32 v163, v131, v123
	ds_load_2addr_b32 v[122:123], v118 offset0:93 offset1:94
	s_waitcnt lgkmcnt(3)
	v_fmac_f32_e32 v163, v132, v124
	v_fmac_f32_e32 v163, v133, v125
	s_waitcnt lgkmcnt(2)
	s_delay_alu instid0(VALU_DEP_1) | instskip(SKIP_1) | instid1(VALU_DEP_1)
	v_fmac_f32_e32 v163, v134, v126
	s_waitcnt vmcnt(6)
	v_fmac_f32_e32 v163, v135, v127
	ds_load_2addr_b32 v[124:125], v118 offset0:95 offset1:96
	ds_load_2addr_b32 v[126:127], v118 offset0:97 offset1:98
	s_waitcnt lgkmcnt(3)
	v_fmac_f32_e32 v163, v136, v120
	s_delay_alu instid0(VALU_DEP_1) | instskip(SKIP_4) | instid1(VALU_DEP_1)
	v_fmac_f32_e32 v163, v137, v121
	ds_load_2addr_b32 v[120:121], v118 offset0:99 offset1:100
	s_waitcnt lgkmcnt(3)
	v_fmac_f32_e32 v163, v138, v122
	s_waitcnt vmcnt(5)
	v_fmac_f32_e32 v163, v139, v123
	ds_load_2addr_b32 v[122:123], v118 offset0:101 offset1:102
	s_waitcnt lgkmcnt(3)
	v_fmac_f32_e32 v163, v140, v124
	s_delay_alu instid0(VALU_DEP_1) | instskip(SKIP_1) | instid1(VALU_DEP_1)
	v_fmac_f32_e32 v163, v141, v125
	s_waitcnt lgkmcnt(2)
	v_fmac_f32_e32 v163, v142, v126
	s_waitcnt vmcnt(4)
	s_delay_alu instid0(VALU_DEP_1) | instskip(SKIP_4) | instid1(VALU_DEP_1)
	v_fmac_f32_e32 v163, v143, v127
	ds_load_2addr_b32 v[124:125], v118 offset0:103 offset1:104
	ds_load_2addr_b32 v[126:127], v118 offset0:105 offset1:106
	s_waitcnt lgkmcnt(3)
	v_fmac_f32_e32 v163, v144, v120
	v_fmac_f32_e32 v163, v145, v121
	ds_load_2addr_b32 v[120:121], v118 offset0:107 offset1:108
	s_waitcnt lgkmcnt(3)
	v_fmac_f32_e32 v163, v146, v122
	s_waitcnt vmcnt(3)
	s_delay_alu instid0(VALU_DEP_1) | instskip(SKIP_3) | instid1(VALU_DEP_1)
	v_fmac_f32_e32 v163, v147, v123
	ds_load_2addr_b32 v[122:123], v118 offset0:109 offset1:110
	s_waitcnt lgkmcnt(3)
	v_fmac_f32_e32 v163, v148, v124
	v_fmac_f32_e32 v163, v149, v125
	s_waitcnt lgkmcnt(2)
	s_delay_alu instid0(VALU_DEP_1) | instskip(SKIP_1) | instid1(VALU_DEP_1)
	v_fmac_f32_e32 v163, v150, v126
	s_waitcnt vmcnt(2)
	v_fmac_f32_e32 v163, v151, v127
	ds_load_2addr_b32 v[124:125], v118 offset0:111 offset1:112
	ds_load_2addr_b32 v[126:127], v118 offset0:113 offset1:114
	s_waitcnt lgkmcnt(3)
	v_fmac_f32_e32 v163, v152, v120
	s_delay_alu instid0(VALU_DEP_1)
	v_fmac_f32_e32 v163, v153, v121
	ds_load_2addr_b32 v[120:121], v118 offset0:115 offset1:116
	s_waitcnt lgkmcnt(3)
	v_fmac_f32_e32 v163, v154, v122
	ds_load_b32 v122, v118 offset:468
	s_waitcnt vmcnt(1)
	v_fmac_f32_e32 v163, v155, v123
	s_waitcnt lgkmcnt(3)
	s_delay_alu instid0(VALU_DEP_1) | instskip(NEXT) | instid1(VALU_DEP_1)
	v_fmac_f32_e32 v163, v156, v124
	v_fmac_f32_e32 v163, v157, v125
	s_waitcnt lgkmcnt(2)
	s_delay_alu instid0(VALU_DEP_1) | instskip(SKIP_1) | instid1(VALU_DEP_1)
	v_fmac_f32_e32 v163, v158, v126
	s_waitcnt vmcnt(0)
	v_fmac_f32_e32 v163, v159, v127
	s_waitcnt lgkmcnt(1)
	s_delay_alu instid0(VALU_DEP_1) | instskip(NEXT) | instid1(VALU_DEP_1)
	v_fmac_f32_e32 v163, v160, v120
	v_fmac_f32_e32 v163, v161, v121
	s_waitcnt lgkmcnt(0)
	s_delay_alu instid0(VALU_DEP_1) | instskip(NEXT) | instid1(VALU_DEP_1)
	v_fmac_f32_e32 v163, v162, v122
	v_sub_f32_e32 v119, v119, v163
	scratch_store_b32 off, v119, off offset:56
	v_cmpx_lt_u32_e32 13, v0
	s_cbranch_execz .LBB121_329
; %bb.328:
	scratch_load_b32 v119, off, off offset:52
	scratch_store_b32 off, v118, off offset:52
	s_waitcnt vmcnt(0)
	ds_store_b32 v117, v119
.LBB121_329:
	s_or_b32 exec_lo, exec_lo, s0
	s_waitcnt lgkmcnt(0)
	s_waitcnt_vscnt null, 0x0
	s_barrier
	buffer_gl0_inv
	s_clause 0xb
	scratch_load_b128 v[119:122], off, off offset:52
	scratch_load_b128 v[123:126], off, off offset:68
	;; [unrolled: 1-line block ×11, first 2 shown]
	scratch_load_b32 v171, off, off offset:228
	ds_load_2addr_b64 v[163:166], v118 offset0:37 offset1:38
	ds_load_2addr_b64 v[167:170], v118 offset0:39 offset1:40
	s_mov_b32 s0, exec_lo
	s_waitcnt vmcnt(11) lgkmcnt(1)
	v_fma_f32 v163, v120, v163, 0
	s_delay_alu instid0(VALU_DEP_1) | instskip(NEXT) | instid1(VALU_DEP_1)
	v_fmac_f32_e32 v163, v121, v164
	v_fmac_f32_e32 v163, v122, v165
	s_waitcnt vmcnt(10)
	s_delay_alu instid0(VALU_DEP_1) | instskip(SKIP_3) | instid1(VALU_DEP_1)
	v_fmac_f32_e32 v163, v123, v166
	ds_load_2addr_b64 v[120:123], v118 offset0:41 offset1:42
	s_waitcnt lgkmcnt(1)
	v_fmac_f32_e32 v163, v124, v167
	v_fmac_f32_e32 v163, v125, v168
	s_delay_alu instid0(VALU_DEP_1) | instskip(SKIP_1) | instid1(VALU_DEP_1)
	v_fmac_f32_e32 v163, v126, v169
	s_waitcnt vmcnt(9)
	v_fmac_f32_e32 v163, v127, v170
	ds_load_2addr_b64 v[124:127], v118 offset0:43 offset1:44
	s_waitcnt lgkmcnt(1)
	v_fmac_f32_e32 v163, v128, v120
	s_delay_alu instid0(VALU_DEP_1) | instskip(NEXT) | instid1(VALU_DEP_1)
	v_fmac_f32_e32 v163, v129, v121
	v_fmac_f32_e32 v163, v130, v122
	s_waitcnt vmcnt(8)
	s_delay_alu instid0(VALU_DEP_1) | instskip(SKIP_3) | instid1(VALU_DEP_1)
	v_fmac_f32_e32 v163, v131, v123
	ds_load_2addr_b64 v[120:123], v118 offset0:45 offset1:46
	s_waitcnt lgkmcnt(1)
	v_fmac_f32_e32 v163, v132, v124
	v_fmac_f32_e32 v163, v133, v125
	s_delay_alu instid0(VALU_DEP_1) | instskip(SKIP_1) | instid1(VALU_DEP_1)
	v_fmac_f32_e32 v163, v134, v126
	s_waitcnt vmcnt(7)
	v_fmac_f32_e32 v163, v135, v127
	ds_load_2addr_b64 v[124:127], v118 offset0:47 offset1:48
	s_waitcnt lgkmcnt(1)
	v_fmac_f32_e32 v163, v136, v120
	;; [unrolled: 17-line block ×4, first 2 shown]
	s_delay_alu instid0(VALU_DEP_1) | instskip(NEXT) | instid1(VALU_DEP_1)
	v_fmac_f32_e32 v163, v153, v121
	v_fmac_f32_e32 v163, v154, v122
	s_waitcnt vmcnt(2)
	s_delay_alu instid0(VALU_DEP_1) | instskip(SKIP_3) | instid1(VALU_DEP_1)
	v_fmac_f32_e32 v163, v155, v123
	ds_load_2addr_b64 v[120:123], v118 offset0:57 offset1:58
	s_waitcnt lgkmcnt(1)
	v_fmac_f32_e32 v163, v156, v124
	v_fmac_f32_e32 v163, v157, v125
	s_delay_alu instid0(VALU_DEP_1) | instskip(SKIP_1) | instid1(VALU_DEP_1)
	v_fmac_f32_e32 v163, v158, v126
	s_waitcnt vmcnt(1)
	v_fmac_f32_e32 v163, v159, v127
	s_waitcnt lgkmcnt(0)
	s_delay_alu instid0(VALU_DEP_1) | instskip(NEXT) | instid1(VALU_DEP_1)
	v_fmac_f32_e32 v163, v160, v120
	v_fmac_f32_e32 v163, v161, v121
	s_delay_alu instid0(VALU_DEP_1) | instskip(SKIP_1) | instid1(VALU_DEP_1)
	v_fmac_f32_e32 v163, v162, v122
	s_waitcnt vmcnt(0)
	v_fmac_f32_e32 v163, v171, v123
	s_delay_alu instid0(VALU_DEP_1)
	v_sub_f32_e32 v118, v119, v163
	scratch_store_b32 off, v118, off offset:52
	v_cmpx_lt_u32_e32 12, v0
	s_cbranch_execz .LBB121_331
; %bb.330:
	scratch_load_b32 v118, off, off offset:48
	v_mov_b32_e32 v119, 0
	scratch_store_b32 off, v119, off offset:48
	s_waitcnt vmcnt(0)
	ds_store_b32 v117, v118
.LBB121_331:
	s_or_b32 exec_lo, exec_lo, s0
	s_waitcnt lgkmcnt(0)
	s_waitcnt_vscnt null, 0x0
	s_barrier
	buffer_gl0_inv
	s_clause 0xb
	scratch_load_b128 v[119:122], off, off offset:48
	scratch_load_b128 v[123:126], off, off offset:64
	;; [unrolled: 1-line block ×11, first 2 shown]
	scratch_load_b64 v[163:164], off, off offset:224
	v_mov_b32_e32 v118, 0
	ds_load_2addr_b32 v[165:166], v118 offset0:73 offset1:74
	ds_load_2addr_b32 v[167:168], v118 offset0:75 offset1:76
	;; [unrolled: 1-line block ×4, first 2 shown]
	s_mov_b32 s0, exec_lo
	s_waitcnt vmcnt(11) lgkmcnt(3)
	v_fma_f32 v165, v120, v165, 0
	s_delay_alu instid0(VALU_DEP_1) | instskip(SKIP_4) | instid1(VALU_DEP_1)
	v_fmac_f32_e32 v165, v121, v166
	ds_load_2addr_b32 v[120:121], v118 offset0:81 offset1:82
	s_waitcnt lgkmcnt(3)
	v_fmac_f32_e32 v165, v122, v167
	s_waitcnt vmcnt(10)
	v_fmac_f32_e32 v165, v123, v168
	ds_load_2addr_b32 v[122:123], v118 offset0:83 offset1:84
	s_waitcnt lgkmcnt(3)
	v_fmac_f32_e32 v165, v124, v169
	s_delay_alu instid0(VALU_DEP_1) | instskip(SKIP_1) | instid1(VALU_DEP_1)
	v_fmac_f32_e32 v165, v125, v170
	s_waitcnt lgkmcnt(2)
	v_fmac_f32_e32 v165, v126, v171
	s_waitcnt vmcnt(9)
	s_delay_alu instid0(VALU_DEP_1) | instskip(SKIP_4) | instid1(VALU_DEP_1)
	v_fmac_f32_e32 v165, v127, v172
	ds_load_2addr_b32 v[124:125], v118 offset0:85 offset1:86
	ds_load_2addr_b32 v[126:127], v118 offset0:87 offset1:88
	s_waitcnt lgkmcnt(3)
	v_fmac_f32_e32 v165, v128, v120
	v_fmac_f32_e32 v165, v129, v121
	ds_load_2addr_b32 v[120:121], v118 offset0:89 offset1:90
	s_waitcnt lgkmcnt(3)
	v_fmac_f32_e32 v165, v130, v122
	s_waitcnt vmcnt(8)
	s_delay_alu instid0(VALU_DEP_1) | instskip(SKIP_3) | instid1(VALU_DEP_1)
	v_fmac_f32_e32 v165, v131, v123
	ds_load_2addr_b32 v[122:123], v118 offset0:91 offset1:92
	s_waitcnt lgkmcnt(3)
	v_fmac_f32_e32 v165, v132, v124
	v_fmac_f32_e32 v165, v133, v125
	s_waitcnt lgkmcnt(2)
	s_delay_alu instid0(VALU_DEP_1) | instskip(SKIP_1) | instid1(VALU_DEP_1)
	v_fmac_f32_e32 v165, v134, v126
	s_waitcnt vmcnt(7)
	v_fmac_f32_e32 v165, v135, v127
	ds_load_2addr_b32 v[124:125], v118 offset0:93 offset1:94
	ds_load_2addr_b32 v[126:127], v118 offset0:95 offset1:96
	s_waitcnt lgkmcnt(3)
	v_fmac_f32_e32 v165, v136, v120
	s_delay_alu instid0(VALU_DEP_1) | instskip(SKIP_4) | instid1(VALU_DEP_1)
	v_fmac_f32_e32 v165, v137, v121
	ds_load_2addr_b32 v[120:121], v118 offset0:97 offset1:98
	s_waitcnt lgkmcnt(3)
	v_fmac_f32_e32 v165, v138, v122
	s_waitcnt vmcnt(6)
	v_fmac_f32_e32 v165, v139, v123
	ds_load_2addr_b32 v[122:123], v118 offset0:99 offset1:100
	s_waitcnt lgkmcnt(3)
	v_fmac_f32_e32 v165, v140, v124
	s_delay_alu instid0(VALU_DEP_1) | instskip(SKIP_1) | instid1(VALU_DEP_1)
	v_fmac_f32_e32 v165, v141, v125
	s_waitcnt lgkmcnt(2)
	v_fmac_f32_e32 v165, v142, v126
	s_waitcnt vmcnt(5)
	s_delay_alu instid0(VALU_DEP_1) | instskip(SKIP_4) | instid1(VALU_DEP_1)
	v_fmac_f32_e32 v165, v143, v127
	ds_load_2addr_b32 v[124:125], v118 offset0:101 offset1:102
	ds_load_2addr_b32 v[126:127], v118 offset0:103 offset1:104
	s_waitcnt lgkmcnt(3)
	v_fmac_f32_e32 v165, v144, v120
	v_fmac_f32_e32 v165, v145, v121
	ds_load_2addr_b32 v[120:121], v118 offset0:105 offset1:106
	s_waitcnt lgkmcnt(3)
	v_fmac_f32_e32 v165, v146, v122
	s_waitcnt vmcnt(4)
	s_delay_alu instid0(VALU_DEP_1) | instskip(SKIP_3) | instid1(VALU_DEP_1)
	v_fmac_f32_e32 v165, v147, v123
	ds_load_2addr_b32 v[122:123], v118 offset0:107 offset1:108
	s_waitcnt lgkmcnt(3)
	v_fmac_f32_e32 v165, v148, v124
	v_fmac_f32_e32 v165, v149, v125
	s_waitcnt lgkmcnt(2)
	s_delay_alu instid0(VALU_DEP_1) | instskip(SKIP_1) | instid1(VALU_DEP_1)
	v_fmac_f32_e32 v165, v150, v126
	s_waitcnt vmcnt(3)
	v_fmac_f32_e32 v165, v151, v127
	ds_load_2addr_b32 v[124:125], v118 offset0:109 offset1:110
	ds_load_2addr_b32 v[126:127], v118 offset0:111 offset1:112
	s_waitcnt lgkmcnt(3)
	v_fmac_f32_e32 v165, v152, v120
	s_delay_alu instid0(VALU_DEP_1) | instskip(SKIP_4) | instid1(VALU_DEP_1)
	v_fmac_f32_e32 v165, v153, v121
	ds_load_2addr_b32 v[120:121], v118 offset0:113 offset1:114
	s_waitcnt lgkmcnt(3)
	v_fmac_f32_e32 v165, v154, v122
	s_waitcnt vmcnt(2)
	v_fmac_f32_e32 v165, v155, v123
	ds_load_2addr_b32 v[122:123], v118 offset0:115 offset1:116
	s_waitcnt lgkmcnt(3)
	v_fmac_f32_e32 v165, v156, v124
	ds_load_b32 v124, v118 offset:468
	v_fmac_f32_e32 v165, v157, v125
	s_waitcnt lgkmcnt(3)
	s_delay_alu instid0(VALU_DEP_1) | instskip(SKIP_1) | instid1(VALU_DEP_1)
	v_fmac_f32_e32 v165, v158, v126
	s_waitcnt vmcnt(1)
	v_fmac_f32_e32 v165, v159, v127
	s_waitcnt lgkmcnt(2)
	s_delay_alu instid0(VALU_DEP_1) | instskip(NEXT) | instid1(VALU_DEP_1)
	v_fmac_f32_e32 v165, v160, v120
	v_fmac_f32_e32 v165, v161, v121
	s_waitcnt lgkmcnt(1)
	s_delay_alu instid0(VALU_DEP_1) | instskip(SKIP_1) | instid1(VALU_DEP_1)
	v_fmac_f32_e32 v165, v162, v122
	s_waitcnt vmcnt(0)
	v_fmac_f32_e32 v165, v163, v123
	s_waitcnt lgkmcnt(0)
	s_delay_alu instid0(VALU_DEP_1) | instskip(NEXT) | instid1(VALU_DEP_1)
	v_fmac_f32_e32 v165, v164, v124
	v_sub_f32_e32 v119, v119, v165
	scratch_store_b32 off, v119, off offset:48
	v_cmpx_lt_u32_e32 11, v0
	s_cbranch_execz .LBB121_333
; %bb.332:
	scratch_load_b32 v119, off, off offset:44
	scratch_store_b32 off, v118, off offset:44
	s_waitcnt vmcnt(0)
	ds_store_b32 v117, v119
.LBB121_333:
	s_or_b32 exec_lo, exec_lo, s0
	s_waitcnt lgkmcnt(0)
	s_waitcnt_vscnt null, 0x0
	s_barrier
	buffer_gl0_inv
	s_clause 0xb
	scratch_load_b128 v[119:122], off, off offset:44
	scratch_load_b128 v[123:126], off, off offset:60
	;; [unrolled: 1-line block ×11, first 2 shown]
	scratch_load_b96 v[171:173], off, off offset:220
	ds_load_b128 v[163:166], v118 offset:288
	ds_load_b128 v[167:170], v118 offset:304
	s_mov_b32 s0, exec_lo
	s_waitcnt vmcnt(11) lgkmcnt(1)
	v_fma_f32 v163, v120, v163, 0
	s_delay_alu instid0(VALU_DEP_1) | instskip(NEXT) | instid1(VALU_DEP_1)
	v_fmac_f32_e32 v163, v121, v164
	v_fmac_f32_e32 v163, v122, v165
	s_waitcnt vmcnt(10)
	s_delay_alu instid0(VALU_DEP_1) | instskip(SKIP_3) | instid1(VALU_DEP_1)
	v_fmac_f32_e32 v163, v123, v166
	ds_load_b128 v[120:123], v118 offset:320
	s_waitcnt lgkmcnt(1)
	v_fmac_f32_e32 v163, v124, v167
	v_fmac_f32_e32 v163, v125, v168
	s_delay_alu instid0(VALU_DEP_1) | instskip(SKIP_1) | instid1(VALU_DEP_1)
	v_fmac_f32_e32 v163, v126, v169
	s_waitcnt vmcnt(9)
	v_fmac_f32_e32 v163, v127, v170
	ds_load_b128 v[124:127], v118 offset:336
	s_waitcnt lgkmcnt(1)
	v_fmac_f32_e32 v163, v128, v120
	s_delay_alu instid0(VALU_DEP_1) | instskip(NEXT) | instid1(VALU_DEP_1)
	v_fmac_f32_e32 v163, v129, v121
	v_fmac_f32_e32 v163, v130, v122
	s_waitcnt vmcnt(8)
	s_delay_alu instid0(VALU_DEP_1) | instskip(SKIP_3) | instid1(VALU_DEP_1)
	v_fmac_f32_e32 v163, v131, v123
	ds_load_b128 v[120:123], v118 offset:352
	s_waitcnt lgkmcnt(1)
	v_fmac_f32_e32 v163, v132, v124
	v_fmac_f32_e32 v163, v133, v125
	s_delay_alu instid0(VALU_DEP_1) | instskip(SKIP_1) | instid1(VALU_DEP_1)
	v_fmac_f32_e32 v163, v134, v126
	s_waitcnt vmcnt(7)
	v_fmac_f32_e32 v163, v135, v127
	ds_load_b128 v[124:127], v118 offset:368
	s_waitcnt lgkmcnt(1)
	v_fmac_f32_e32 v163, v136, v120
	;; [unrolled: 17-line block ×4, first 2 shown]
	s_delay_alu instid0(VALU_DEP_1) | instskip(NEXT) | instid1(VALU_DEP_1)
	v_fmac_f32_e32 v163, v153, v121
	v_fmac_f32_e32 v163, v154, v122
	s_waitcnt vmcnt(2)
	s_delay_alu instid0(VALU_DEP_1) | instskip(SKIP_3) | instid1(VALU_DEP_1)
	v_fmac_f32_e32 v163, v155, v123
	ds_load_b128 v[120:123], v118 offset:448
	s_waitcnt lgkmcnt(1)
	v_fmac_f32_e32 v163, v156, v124
	v_fmac_f32_e32 v163, v157, v125
	ds_load_b64 v[124:125], v118 offset:464
	v_fmac_f32_e32 v163, v158, v126
	s_waitcnt vmcnt(1)
	s_delay_alu instid0(VALU_DEP_1) | instskip(SKIP_1) | instid1(VALU_DEP_1)
	v_fmac_f32_e32 v163, v159, v127
	s_waitcnt lgkmcnt(1)
	v_fmac_f32_e32 v163, v160, v120
	s_delay_alu instid0(VALU_DEP_1) | instskip(NEXT) | instid1(VALU_DEP_1)
	v_fmac_f32_e32 v163, v161, v121
	v_fmac_f32_e32 v163, v162, v122
	s_waitcnt vmcnt(0)
	s_delay_alu instid0(VALU_DEP_1) | instskip(SKIP_1) | instid1(VALU_DEP_1)
	v_fmac_f32_e32 v163, v171, v123
	s_waitcnt lgkmcnt(0)
	v_fmac_f32_e32 v163, v172, v124
	s_delay_alu instid0(VALU_DEP_1) | instskip(NEXT) | instid1(VALU_DEP_1)
	v_fmac_f32_e32 v163, v173, v125
	v_sub_f32_e32 v118, v119, v163
	scratch_store_b32 off, v118, off offset:44
	v_cmpx_lt_u32_e32 10, v0
	s_cbranch_execz .LBB121_335
; %bb.334:
	scratch_load_b32 v118, off, off offset:40
	v_mov_b32_e32 v119, 0
	scratch_store_b32 off, v119, off offset:40
	s_waitcnt vmcnt(0)
	ds_store_b32 v117, v118
.LBB121_335:
	s_or_b32 exec_lo, exec_lo, s0
	s_waitcnt lgkmcnt(0)
	s_waitcnt_vscnt null, 0x0
	s_barrier
	buffer_gl0_inv
	s_clause 0xb
	scratch_load_b128 v[119:122], off, off offset:40
	scratch_load_b128 v[123:126], off, off offset:56
	;; [unrolled: 1-line block ×12, first 2 shown]
	v_mov_b32_e32 v118, 0
	ds_load_2addr_b32 v[167:168], v118 offset0:71 offset1:72
	ds_load_2addr_b32 v[169:170], v118 offset0:73 offset1:74
	;; [unrolled: 1-line block ×4, first 2 shown]
	s_mov_b32 s0, exec_lo
	s_waitcnt vmcnt(11) lgkmcnt(3)
	v_fma_f32 v167, v120, v167, 0
	s_delay_alu instid0(VALU_DEP_1) | instskip(SKIP_4) | instid1(VALU_DEP_1)
	v_fmac_f32_e32 v167, v121, v168
	ds_load_2addr_b32 v[120:121], v118 offset0:79 offset1:80
	s_waitcnt lgkmcnt(3)
	v_fmac_f32_e32 v167, v122, v169
	s_waitcnt vmcnt(10)
	v_fmac_f32_e32 v167, v123, v170
	ds_load_2addr_b32 v[122:123], v118 offset0:81 offset1:82
	s_waitcnt lgkmcnt(3)
	v_fmac_f32_e32 v167, v124, v171
	s_delay_alu instid0(VALU_DEP_1) | instskip(SKIP_1) | instid1(VALU_DEP_1)
	v_fmac_f32_e32 v167, v125, v172
	s_waitcnt lgkmcnt(2)
	v_fmac_f32_e32 v167, v126, v173
	s_waitcnt vmcnt(9)
	s_delay_alu instid0(VALU_DEP_1) | instskip(SKIP_4) | instid1(VALU_DEP_1)
	v_fmac_f32_e32 v167, v127, v174
	ds_load_2addr_b32 v[124:125], v118 offset0:83 offset1:84
	ds_load_2addr_b32 v[126:127], v118 offset0:85 offset1:86
	s_waitcnt lgkmcnt(3)
	v_fmac_f32_e32 v167, v128, v120
	v_fmac_f32_e32 v167, v129, v121
	ds_load_2addr_b32 v[120:121], v118 offset0:87 offset1:88
	s_waitcnt lgkmcnt(3)
	v_fmac_f32_e32 v167, v130, v122
	s_waitcnt vmcnt(8)
	s_delay_alu instid0(VALU_DEP_1) | instskip(SKIP_3) | instid1(VALU_DEP_1)
	v_fmac_f32_e32 v167, v131, v123
	ds_load_2addr_b32 v[122:123], v118 offset0:89 offset1:90
	s_waitcnt lgkmcnt(3)
	v_fmac_f32_e32 v167, v132, v124
	v_fmac_f32_e32 v167, v133, v125
	s_waitcnt lgkmcnt(2)
	s_delay_alu instid0(VALU_DEP_1) | instskip(SKIP_1) | instid1(VALU_DEP_1)
	v_fmac_f32_e32 v167, v134, v126
	s_waitcnt vmcnt(7)
	v_fmac_f32_e32 v167, v135, v127
	ds_load_2addr_b32 v[124:125], v118 offset0:91 offset1:92
	ds_load_2addr_b32 v[126:127], v118 offset0:93 offset1:94
	s_waitcnt lgkmcnt(3)
	v_fmac_f32_e32 v167, v136, v120
	s_delay_alu instid0(VALU_DEP_1) | instskip(SKIP_4) | instid1(VALU_DEP_1)
	v_fmac_f32_e32 v167, v137, v121
	ds_load_2addr_b32 v[120:121], v118 offset0:95 offset1:96
	s_waitcnt lgkmcnt(3)
	v_fmac_f32_e32 v167, v138, v122
	s_waitcnt vmcnt(6)
	v_fmac_f32_e32 v167, v139, v123
	ds_load_2addr_b32 v[122:123], v118 offset0:97 offset1:98
	s_waitcnt lgkmcnt(3)
	v_fmac_f32_e32 v167, v140, v124
	s_delay_alu instid0(VALU_DEP_1) | instskip(SKIP_1) | instid1(VALU_DEP_1)
	v_fmac_f32_e32 v167, v141, v125
	s_waitcnt lgkmcnt(2)
	v_fmac_f32_e32 v167, v142, v126
	s_waitcnt vmcnt(5)
	s_delay_alu instid0(VALU_DEP_1) | instskip(SKIP_4) | instid1(VALU_DEP_1)
	v_fmac_f32_e32 v167, v143, v127
	ds_load_2addr_b32 v[124:125], v118 offset0:99 offset1:100
	ds_load_2addr_b32 v[126:127], v118 offset0:101 offset1:102
	s_waitcnt lgkmcnt(3)
	v_fmac_f32_e32 v167, v144, v120
	v_fmac_f32_e32 v167, v145, v121
	ds_load_2addr_b32 v[120:121], v118 offset0:103 offset1:104
	s_waitcnt lgkmcnt(3)
	v_fmac_f32_e32 v167, v146, v122
	s_waitcnt vmcnt(4)
	s_delay_alu instid0(VALU_DEP_1) | instskip(SKIP_3) | instid1(VALU_DEP_1)
	v_fmac_f32_e32 v167, v147, v123
	ds_load_2addr_b32 v[122:123], v118 offset0:105 offset1:106
	s_waitcnt lgkmcnt(3)
	v_fmac_f32_e32 v167, v148, v124
	v_fmac_f32_e32 v167, v149, v125
	s_waitcnt lgkmcnt(2)
	s_delay_alu instid0(VALU_DEP_1) | instskip(SKIP_1) | instid1(VALU_DEP_1)
	v_fmac_f32_e32 v167, v150, v126
	s_waitcnt vmcnt(3)
	v_fmac_f32_e32 v167, v151, v127
	ds_load_2addr_b32 v[124:125], v118 offset0:107 offset1:108
	ds_load_2addr_b32 v[126:127], v118 offset0:109 offset1:110
	s_waitcnt lgkmcnt(3)
	v_fmac_f32_e32 v167, v152, v120
	s_delay_alu instid0(VALU_DEP_1) | instskip(SKIP_4) | instid1(VALU_DEP_1)
	v_fmac_f32_e32 v167, v153, v121
	ds_load_2addr_b32 v[120:121], v118 offset0:111 offset1:112
	s_waitcnt lgkmcnt(3)
	v_fmac_f32_e32 v167, v154, v122
	s_waitcnt vmcnt(2)
	v_fmac_f32_e32 v167, v155, v123
	ds_load_2addr_b32 v[122:123], v118 offset0:113 offset1:114
	s_waitcnt lgkmcnt(3)
	v_fmac_f32_e32 v167, v156, v124
	s_delay_alu instid0(VALU_DEP_1) | instskip(SKIP_1) | instid1(VALU_DEP_1)
	v_fmac_f32_e32 v167, v157, v125
	s_waitcnt lgkmcnt(2)
	v_fmac_f32_e32 v167, v158, v126
	ds_load_2addr_b32 v[124:125], v118 offset0:115 offset1:116
	ds_load_b32 v126, v118 offset:468
	s_waitcnt vmcnt(1)
	v_fmac_f32_e32 v167, v159, v127
	s_waitcnt lgkmcnt(3)
	s_delay_alu instid0(VALU_DEP_1) | instskip(NEXT) | instid1(VALU_DEP_1)
	v_fmac_f32_e32 v167, v160, v120
	v_fmac_f32_e32 v167, v161, v121
	s_waitcnt lgkmcnt(2)
	s_delay_alu instid0(VALU_DEP_1) | instskip(SKIP_1) | instid1(VALU_DEP_1)
	v_fmac_f32_e32 v167, v162, v122
	s_waitcnt vmcnt(0)
	v_fmac_f32_e32 v167, v163, v123
	s_waitcnt lgkmcnt(1)
	s_delay_alu instid0(VALU_DEP_1) | instskip(NEXT) | instid1(VALU_DEP_1)
	v_fmac_f32_e32 v167, v164, v124
	v_fmac_f32_e32 v167, v165, v125
	s_waitcnt lgkmcnt(0)
	s_delay_alu instid0(VALU_DEP_1) | instskip(NEXT) | instid1(VALU_DEP_1)
	v_fmac_f32_e32 v167, v166, v126
	v_sub_f32_e32 v119, v119, v167
	scratch_store_b32 off, v119, off offset:40
	v_cmpx_lt_u32_e32 9, v0
	s_cbranch_execz .LBB121_337
; %bb.336:
	scratch_load_b32 v119, off, off offset:36
	scratch_store_b32 off, v118, off offset:36
	s_waitcnt vmcnt(0)
	ds_store_b32 v117, v119
.LBB121_337:
	s_or_b32 exec_lo, exec_lo, s0
	s_waitcnt lgkmcnt(0)
	s_waitcnt_vscnt null, 0x0
	s_barrier
	buffer_gl0_inv
	s_clause 0xc
	scratch_load_b128 v[119:122], off, off offset:36
	scratch_load_b128 v[123:126], off, off offset:52
	;; [unrolled: 1-line block ×12, first 2 shown]
	scratch_load_b32 v175, off, off offset:228
	ds_load_2addr_b64 v[167:170], v118 offset0:35 offset1:36
	ds_load_2addr_b64 v[171:174], v118 offset0:37 offset1:38
	s_mov_b32 s0, exec_lo
	s_waitcnt vmcnt(12) lgkmcnt(1)
	v_fma_f32 v167, v120, v167, 0
	s_delay_alu instid0(VALU_DEP_1) | instskip(NEXT) | instid1(VALU_DEP_1)
	v_fmac_f32_e32 v167, v121, v168
	v_fmac_f32_e32 v167, v122, v169
	s_waitcnt vmcnt(11)
	s_delay_alu instid0(VALU_DEP_1) | instskip(SKIP_3) | instid1(VALU_DEP_1)
	v_fmac_f32_e32 v167, v123, v170
	ds_load_2addr_b64 v[120:123], v118 offset0:39 offset1:40
	s_waitcnt lgkmcnt(1)
	v_fmac_f32_e32 v167, v124, v171
	v_fmac_f32_e32 v167, v125, v172
	s_delay_alu instid0(VALU_DEP_1) | instskip(SKIP_1) | instid1(VALU_DEP_1)
	v_fmac_f32_e32 v167, v126, v173
	s_waitcnt vmcnt(10)
	v_fmac_f32_e32 v167, v127, v174
	ds_load_2addr_b64 v[124:127], v118 offset0:41 offset1:42
	s_waitcnt lgkmcnt(1)
	v_fmac_f32_e32 v167, v128, v120
	s_delay_alu instid0(VALU_DEP_1) | instskip(NEXT) | instid1(VALU_DEP_1)
	v_fmac_f32_e32 v167, v129, v121
	v_fmac_f32_e32 v167, v130, v122
	s_waitcnt vmcnt(9)
	s_delay_alu instid0(VALU_DEP_1) | instskip(SKIP_3) | instid1(VALU_DEP_1)
	v_fmac_f32_e32 v167, v131, v123
	ds_load_2addr_b64 v[120:123], v118 offset0:43 offset1:44
	s_waitcnt lgkmcnt(1)
	v_fmac_f32_e32 v167, v132, v124
	v_fmac_f32_e32 v167, v133, v125
	s_delay_alu instid0(VALU_DEP_1) | instskip(SKIP_1) | instid1(VALU_DEP_1)
	v_fmac_f32_e32 v167, v134, v126
	s_waitcnt vmcnt(8)
	v_fmac_f32_e32 v167, v135, v127
	ds_load_2addr_b64 v[124:127], v118 offset0:45 offset1:46
	s_waitcnt lgkmcnt(1)
	v_fmac_f32_e32 v167, v136, v120
	;; [unrolled: 17-line block ×5, first 2 shown]
	s_delay_alu instid0(VALU_DEP_1) | instskip(NEXT) | instid1(VALU_DEP_1)
	v_fmac_f32_e32 v167, v161, v121
	v_fmac_f32_e32 v167, v162, v122
	s_waitcnt vmcnt(1)
	s_delay_alu instid0(VALU_DEP_1) | instskip(SKIP_1) | instid1(VALU_DEP_1)
	v_fmac_f32_e32 v167, v163, v123
	s_waitcnt lgkmcnt(0)
	v_fmac_f32_e32 v167, v164, v124
	s_delay_alu instid0(VALU_DEP_1) | instskip(NEXT) | instid1(VALU_DEP_1)
	v_fmac_f32_e32 v167, v165, v125
	v_fmac_f32_e32 v167, v166, v126
	s_waitcnt vmcnt(0)
	s_delay_alu instid0(VALU_DEP_1) | instskip(NEXT) | instid1(VALU_DEP_1)
	v_fmac_f32_e32 v167, v175, v127
	v_sub_f32_e32 v118, v119, v167
	scratch_store_b32 off, v118, off offset:36
	v_cmpx_lt_u32_e32 8, v0
	s_cbranch_execz .LBB121_339
; %bb.338:
	scratch_load_b32 v118, off, off offset:32
	v_mov_b32_e32 v119, 0
	scratch_store_b32 off, v119, off offset:32
	s_waitcnt vmcnt(0)
	ds_store_b32 v117, v118
.LBB121_339:
	s_or_b32 exec_lo, exec_lo, s0
	s_waitcnt lgkmcnt(0)
	s_waitcnt_vscnt null, 0x0
	s_barrier
	buffer_gl0_inv
	s_clause 0xc
	scratch_load_b128 v[119:122], off, off offset:32
	scratch_load_b128 v[123:126], off, off offset:48
	;; [unrolled: 1-line block ×12, first 2 shown]
	scratch_load_b64 v[167:168], off, off offset:224
	v_mov_b32_e32 v118, 0
	ds_load_2addr_b32 v[169:170], v118 offset0:69 offset1:70
	ds_load_2addr_b32 v[171:172], v118 offset0:71 offset1:72
	;; [unrolled: 1-line block ×4, first 2 shown]
	s_mov_b32 s0, exec_lo
	s_waitcnt vmcnt(12) lgkmcnt(3)
	v_fma_f32 v169, v120, v169, 0
	s_delay_alu instid0(VALU_DEP_1) | instskip(SKIP_4) | instid1(VALU_DEP_1)
	v_fmac_f32_e32 v169, v121, v170
	ds_load_2addr_b32 v[120:121], v118 offset0:77 offset1:78
	s_waitcnt lgkmcnt(3)
	v_fmac_f32_e32 v169, v122, v171
	s_waitcnt vmcnt(11)
	v_fmac_f32_e32 v169, v123, v172
	ds_load_2addr_b32 v[122:123], v118 offset0:79 offset1:80
	s_waitcnt lgkmcnt(3)
	v_fmac_f32_e32 v169, v124, v173
	s_delay_alu instid0(VALU_DEP_1) | instskip(SKIP_1) | instid1(VALU_DEP_1)
	v_fmac_f32_e32 v169, v125, v174
	s_waitcnt lgkmcnt(2)
	v_fmac_f32_e32 v169, v126, v175
	s_waitcnt vmcnt(10)
	s_delay_alu instid0(VALU_DEP_1) | instskip(SKIP_4) | instid1(VALU_DEP_1)
	v_fmac_f32_e32 v169, v127, v176
	ds_load_2addr_b32 v[124:125], v118 offset0:81 offset1:82
	ds_load_2addr_b32 v[126:127], v118 offset0:83 offset1:84
	s_waitcnt lgkmcnt(3)
	v_fmac_f32_e32 v169, v128, v120
	v_fmac_f32_e32 v169, v129, v121
	ds_load_2addr_b32 v[120:121], v118 offset0:85 offset1:86
	s_waitcnt lgkmcnt(3)
	v_fmac_f32_e32 v169, v130, v122
	s_waitcnt vmcnt(9)
	s_delay_alu instid0(VALU_DEP_1) | instskip(SKIP_3) | instid1(VALU_DEP_1)
	v_fmac_f32_e32 v169, v131, v123
	ds_load_2addr_b32 v[122:123], v118 offset0:87 offset1:88
	s_waitcnt lgkmcnt(3)
	v_fmac_f32_e32 v169, v132, v124
	v_fmac_f32_e32 v169, v133, v125
	s_waitcnt lgkmcnt(2)
	s_delay_alu instid0(VALU_DEP_1) | instskip(SKIP_1) | instid1(VALU_DEP_1)
	v_fmac_f32_e32 v169, v134, v126
	s_waitcnt vmcnt(8)
	v_fmac_f32_e32 v169, v135, v127
	ds_load_2addr_b32 v[124:125], v118 offset0:89 offset1:90
	ds_load_2addr_b32 v[126:127], v118 offset0:91 offset1:92
	s_waitcnt lgkmcnt(3)
	v_fmac_f32_e32 v169, v136, v120
	s_delay_alu instid0(VALU_DEP_1) | instskip(SKIP_4) | instid1(VALU_DEP_1)
	v_fmac_f32_e32 v169, v137, v121
	ds_load_2addr_b32 v[120:121], v118 offset0:93 offset1:94
	s_waitcnt lgkmcnt(3)
	v_fmac_f32_e32 v169, v138, v122
	s_waitcnt vmcnt(7)
	v_fmac_f32_e32 v169, v139, v123
	ds_load_2addr_b32 v[122:123], v118 offset0:95 offset1:96
	s_waitcnt lgkmcnt(3)
	v_fmac_f32_e32 v169, v140, v124
	s_delay_alu instid0(VALU_DEP_1) | instskip(SKIP_1) | instid1(VALU_DEP_1)
	v_fmac_f32_e32 v169, v141, v125
	s_waitcnt lgkmcnt(2)
	v_fmac_f32_e32 v169, v142, v126
	s_waitcnt vmcnt(6)
	s_delay_alu instid0(VALU_DEP_1) | instskip(SKIP_4) | instid1(VALU_DEP_1)
	v_fmac_f32_e32 v169, v143, v127
	ds_load_2addr_b32 v[124:125], v118 offset0:97 offset1:98
	ds_load_2addr_b32 v[126:127], v118 offset0:99 offset1:100
	s_waitcnt lgkmcnt(3)
	v_fmac_f32_e32 v169, v144, v120
	v_fmac_f32_e32 v169, v145, v121
	ds_load_2addr_b32 v[120:121], v118 offset0:101 offset1:102
	s_waitcnt lgkmcnt(3)
	v_fmac_f32_e32 v169, v146, v122
	s_waitcnt vmcnt(5)
	s_delay_alu instid0(VALU_DEP_1) | instskip(SKIP_3) | instid1(VALU_DEP_1)
	v_fmac_f32_e32 v169, v147, v123
	ds_load_2addr_b32 v[122:123], v118 offset0:103 offset1:104
	s_waitcnt lgkmcnt(3)
	v_fmac_f32_e32 v169, v148, v124
	v_fmac_f32_e32 v169, v149, v125
	s_waitcnt lgkmcnt(2)
	s_delay_alu instid0(VALU_DEP_1) | instskip(SKIP_1) | instid1(VALU_DEP_1)
	v_fmac_f32_e32 v169, v150, v126
	s_waitcnt vmcnt(4)
	v_fmac_f32_e32 v169, v151, v127
	ds_load_2addr_b32 v[124:125], v118 offset0:105 offset1:106
	ds_load_2addr_b32 v[126:127], v118 offset0:107 offset1:108
	s_waitcnt lgkmcnt(3)
	v_fmac_f32_e32 v169, v152, v120
	s_delay_alu instid0(VALU_DEP_1) | instskip(SKIP_4) | instid1(VALU_DEP_1)
	v_fmac_f32_e32 v169, v153, v121
	ds_load_2addr_b32 v[120:121], v118 offset0:109 offset1:110
	s_waitcnt lgkmcnt(3)
	v_fmac_f32_e32 v169, v154, v122
	s_waitcnt vmcnt(3)
	v_fmac_f32_e32 v169, v155, v123
	ds_load_2addr_b32 v[122:123], v118 offset0:111 offset1:112
	s_waitcnt lgkmcnt(3)
	v_fmac_f32_e32 v169, v156, v124
	s_delay_alu instid0(VALU_DEP_1) | instskip(SKIP_1) | instid1(VALU_DEP_1)
	v_fmac_f32_e32 v169, v157, v125
	s_waitcnt lgkmcnt(2)
	v_fmac_f32_e32 v169, v158, v126
	s_waitcnt vmcnt(2)
	s_delay_alu instid0(VALU_DEP_1)
	v_fmac_f32_e32 v169, v159, v127
	ds_load_2addr_b32 v[124:125], v118 offset0:113 offset1:114
	ds_load_2addr_b32 v[126:127], v118 offset0:115 offset1:116
	s_waitcnt lgkmcnt(3)
	v_fmac_f32_e32 v169, v160, v120
	ds_load_b32 v120, v118 offset:468
	v_fmac_f32_e32 v169, v161, v121
	s_waitcnt lgkmcnt(3)
	s_delay_alu instid0(VALU_DEP_1) | instskip(SKIP_1) | instid1(VALU_DEP_1)
	v_fmac_f32_e32 v169, v162, v122
	s_waitcnt vmcnt(1)
	v_fmac_f32_e32 v169, v163, v123
	s_waitcnt lgkmcnt(2)
	s_delay_alu instid0(VALU_DEP_1) | instskip(NEXT) | instid1(VALU_DEP_1)
	v_fmac_f32_e32 v169, v164, v124
	v_fmac_f32_e32 v169, v165, v125
	s_waitcnt lgkmcnt(1)
	s_delay_alu instid0(VALU_DEP_1) | instskip(SKIP_1) | instid1(VALU_DEP_1)
	v_fmac_f32_e32 v169, v166, v126
	s_waitcnt vmcnt(0)
	v_fmac_f32_e32 v169, v167, v127
	s_waitcnt lgkmcnt(0)
	s_delay_alu instid0(VALU_DEP_1) | instskip(NEXT) | instid1(VALU_DEP_1)
	v_fmac_f32_e32 v169, v168, v120
	v_sub_f32_e32 v119, v119, v169
	scratch_store_b32 off, v119, off offset:32
	v_cmpx_lt_u32_e32 7, v0
	s_cbranch_execz .LBB121_341
; %bb.340:
	scratch_load_b32 v119, off, off offset:28
	scratch_store_b32 off, v118, off offset:28
	s_waitcnt vmcnt(0)
	ds_store_b32 v117, v119
.LBB121_341:
	s_or_b32 exec_lo, exec_lo, s0
	s_waitcnt lgkmcnt(0)
	s_waitcnt_vscnt null, 0x0
	s_barrier
	buffer_gl0_inv
	s_clause 0xc
	scratch_load_b128 v[119:122], off, off offset:28
	scratch_load_b128 v[123:126], off, off offset:44
	;; [unrolled: 1-line block ×12, first 2 shown]
	scratch_load_b96 v[175:177], off, off offset:220
	ds_load_b128 v[167:170], v118 offset:272
	ds_load_b128 v[171:174], v118 offset:288
	s_mov_b32 s0, exec_lo
	s_waitcnt vmcnt(12) lgkmcnt(1)
	v_fma_f32 v167, v120, v167, 0
	s_delay_alu instid0(VALU_DEP_1) | instskip(NEXT) | instid1(VALU_DEP_1)
	v_fmac_f32_e32 v167, v121, v168
	v_fmac_f32_e32 v167, v122, v169
	s_waitcnt vmcnt(11)
	s_delay_alu instid0(VALU_DEP_1) | instskip(SKIP_3) | instid1(VALU_DEP_1)
	v_fmac_f32_e32 v167, v123, v170
	ds_load_b128 v[120:123], v118 offset:304
	s_waitcnt lgkmcnt(1)
	v_fmac_f32_e32 v167, v124, v171
	v_fmac_f32_e32 v167, v125, v172
	s_delay_alu instid0(VALU_DEP_1) | instskip(SKIP_1) | instid1(VALU_DEP_1)
	v_fmac_f32_e32 v167, v126, v173
	s_waitcnt vmcnt(10)
	v_fmac_f32_e32 v167, v127, v174
	ds_load_b128 v[124:127], v118 offset:320
	s_waitcnt lgkmcnt(1)
	v_fmac_f32_e32 v167, v128, v120
	s_delay_alu instid0(VALU_DEP_1) | instskip(NEXT) | instid1(VALU_DEP_1)
	v_fmac_f32_e32 v167, v129, v121
	v_fmac_f32_e32 v167, v130, v122
	s_waitcnt vmcnt(9)
	s_delay_alu instid0(VALU_DEP_1) | instskip(SKIP_3) | instid1(VALU_DEP_1)
	v_fmac_f32_e32 v167, v131, v123
	ds_load_b128 v[120:123], v118 offset:336
	s_waitcnt lgkmcnt(1)
	v_fmac_f32_e32 v167, v132, v124
	v_fmac_f32_e32 v167, v133, v125
	s_delay_alu instid0(VALU_DEP_1) | instskip(SKIP_1) | instid1(VALU_DEP_1)
	v_fmac_f32_e32 v167, v134, v126
	s_waitcnt vmcnt(8)
	v_fmac_f32_e32 v167, v135, v127
	ds_load_b128 v[124:127], v118 offset:352
	s_waitcnt lgkmcnt(1)
	v_fmac_f32_e32 v167, v136, v120
	;; [unrolled: 17-line block ×5, first 2 shown]
	s_delay_alu instid0(VALU_DEP_1) | instskip(SKIP_3) | instid1(VALU_DEP_1)
	v_fmac_f32_e32 v167, v161, v121
	ds_load_b64 v[120:121], v118 offset:464
	v_fmac_f32_e32 v167, v162, v122
	s_waitcnt vmcnt(1)
	v_fmac_f32_e32 v167, v163, v123
	s_waitcnt lgkmcnt(1)
	s_delay_alu instid0(VALU_DEP_1) | instskip(NEXT) | instid1(VALU_DEP_1)
	v_fmac_f32_e32 v167, v164, v124
	v_fmac_f32_e32 v167, v165, v125
	s_delay_alu instid0(VALU_DEP_1) | instskip(SKIP_1) | instid1(VALU_DEP_1)
	v_fmac_f32_e32 v167, v166, v126
	s_waitcnt vmcnt(0)
	v_fmac_f32_e32 v167, v175, v127
	s_waitcnt lgkmcnt(0)
	s_delay_alu instid0(VALU_DEP_1) | instskip(NEXT) | instid1(VALU_DEP_1)
	v_fmac_f32_e32 v167, v176, v120
	v_fmac_f32_e32 v167, v177, v121
	s_delay_alu instid0(VALU_DEP_1)
	v_sub_f32_e32 v118, v119, v167
	scratch_store_b32 off, v118, off offset:28
	v_cmpx_lt_u32_e32 6, v0
	s_cbranch_execz .LBB121_343
; %bb.342:
	scratch_load_b32 v118, off, off offset:24
	v_mov_b32_e32 v119, 0
	scratch_store_b32 off, v119, off offset:24
	s_waitcnt vmcnt(0)
	ds_store_b32 v117, v118
.LBB121_343:
	s_or_b32 exec_lo, exec_lo, s0
	s_waitcnt lgkmcnt(0)
	s_waitcnt_vscnt null, 0x0
	s_barrier
	buffer_gl0_inv
	s_clause 0xc
	scratch_load_b128 v[119:122], off, off offset:24
	scratch_load_b128 v[123:126], off, off offset:40
	;; [unrolled: 1-line block ×13, first 2 shown]
	v_mov_b32_e32 v118, 0
	ds_load_2addr_b32 v[171:172], v118 offset0:67 offset1:68
	ds_load_2addr_b32 v[173:174], v118 offset0:69 offset1:70
	;; [unrolled: 1-line block ×4, first 2 shown]
	s_mov_b32 s0, exec_lo
	s_waitcnt vmcnt(12) lgkmcnt(3)
	v_fma_f32 v171, v120, v171, 0
	s_delay_alu instid0(VALU_DEP_1) | instskip(SKIP_4) | instid1(VALU_DEP_1)
	v_fmac_f32_e32 v171, v121, v172
	ds_load_2addr_b32 v[120:121], v118 offset0:75 offset1:76
	s_waitcnt lgkmcnt(3)
	v_fmac_f32_e32 v171, v122, v173
	s_waitcnt vmcnt(11)
	v_fmac_f32_e32 v171, v123, v174
	ds_load_2addr_b32 v[122:123], v118 offset0:77 offset1:78
	s_waitcnt lgkmcnt(3)
	v_fmac_f32_e32 v171, v124, v175
	s_delay_alu instid0(VALU_DEP_1) | instskip(SKIP_1) | instid1(VALU_DEP_1)
	v_fmac_f32_e32 v171, v125, v176
	s_waitcnt lgkmcnt(2)
	v_fmac_f32_e32 v171, v126, v177
	s_waitcnt vmcnt(10)
	s_delay_alu instid0(VALU_DEP_1) | instskip(SKIP_4) | instid1(VALU_DEP_1)
	v_fmac_f32_e32 v171, v127, v178
	ds_load_2addr_b32 v[124:125], v118 offset0:79 offset1:80
	ds_load_2addr_b32 v[126:127], v118 offset0:81 offset1:82
	s_waitcnt lgkmcnt(3)
	v_fmac_f32_e32 v171, v128, v120
	v_fmac_f32_e32 v171, v129, v121
	ds_load_2addr_b32 v[120:121], v118 offset0:83 offset1:84
	s_waitcnt lgkmcnt(3)
	v_fmac_f32_e32 v171, v130, v122
	s_waitcnt vmcnt(9)
	s_delay_alu instid0(VALU_DEP_1) | instskip(SKIP_3) | instid1(VALU_DEP_1)
	v_fmac_f32_e32 v171, v131, v123
	ds_load_2addr_b32 v[122:123], v118 offset0:85 offset1:86
	s_waitcnt lgkmcnt(3)
	v_fmac_f32_e32 v171, v132, v124
	v_fmac_f32_e32 v171, v133, v125
	s_waitcnt lgkmcnt(2)
	s_delay_alu instid0(VALU_DEP_1) | instskip(SKIP_1) | instid1(VALU_DEP_1)
	v_fmac_f32_e32 v171, v134, v126
	s_waitcnt vmcnt(8)
	v_fmac_f32_e32 v171, v135, v127
	ds_load_2addr_b32 v[124:125], v118 offset0:87 offset1:88
	ds_load_2addr_b32 v[126:127], v118 offset0:89 offset1:90
	s_waitcnt lgkmcnt(3)
	v_fmac_f32_e32 v171, v136, v120
	s_delay_alu instid0(VALU_DEP_1) | instskip(SKIP_4) | instid1(VALU_DEP_1)
	v_fmac_f32_e32 v171, v137, v121
	ds_load_2addr_b32 v[120:121], v118 offset0:91 offset1:92
	s_waitcnt lgkmcnt(3)
	v_fmac_f32_e32 v171, v138, v122
	s_waitcnt vmcnt(7)
	v_fmac_f32_e32 v171, v139, v123
	ds_load_2addr_b32 v[122:123], v118 offset0:93 offset1:94
	s_waitcnt lgkmcnt(3)
	v_fmac_f32_e32 v171, v140, v124
	s_delay_alu instid0(VALU_DEP_1) | instskip(SKIP_1) | instid1(VALU_DEP_1)
	v_fmac_f32_e32 v171, v141, v125
	s_waitcnt lgkmcnt(2)
	v_fmac_f32_e32 v171, v142, v126
	s_waitcnt vmcnt(6)
	s_delay_alu instid0(VALU_DEP_1) | instskip(SKIP_4) | instid1(VALU_DEP_1)
	v_fmac_f32_e32 v171, v143, v127
	ds_load_2addr_b32 v[124:125], v118 offset0:95 offset1:96
	ds_load_2addr_b32 v[126:127], v118 offset0:97 offset1:98
	s_waitcnt lgkmcnt(3)
	v_fmac_f32_e32 v171, v144, v120
	v_fmac_f32_e32 v171, v145, v121
	ds_load_2addr_b32 v[120:121], v118 offset0:99 offset1:100
	s_waitcnt lgkmcnt(3)
	v_fmac_f32_e32 v171, v146, v122
	s_waitcnt vmcnt(5)
	s_delay_alu instid0(VALU_DEP_1) | instskip(SKIP_3) | instid1(VALU_DEP_1)
	v_fmac_f32_e32 v171, v147, v123
	ds_load_2addr_b32 v[122:123], v118 offset0:101 offset1:102
	s_waitcnt lgkmcnt(3)
	v_fmac_f32_e32 v171, v148, v124
	v_fmac_f32_e32 v171, v149, v125
	s_waitcnt lgkmcnt(2)
	s_delay_alu instid0(VALU_DEP_1) | instskip(SKIP_1) | instid1(VALU_DEP_1)
	v_fmac_f32_e32 v171, v150, v126
	s_waitcnt vmcnt(4)
	v_fmac_f32_e32 v171, v151, v127
	ds_load_2addr_b32 v[124:125], v118 offset0:103 offset1:104
	ds_load_2addr_b32 v[126:127], v118 offset0:105 offset1:106
	s_waitcnt lgkmcnt(3)
	v_fmac_f32_e32 v171, v152, v120
	s_delay_alu instid0(VALU_DEP_1) | instskip(SKIP_4) | instid1(VALU_DEP_1)
	v_fmac_f32_e32 v171, v153, v121
	ds_load_2addr_b32 v[120:121], v118 offset0:107 offset1:108
	s_waitcnt lgkmcnt(3)
	v_fmac_f32_e32 v171, v154, v122
	s_waitcnt vmcnt(3)
	v_fmac_f32_e32 v171, v155, v123
	ds_load_2addr_b32 v[122:123], v118 offset0:109 offset1:110
	s_waitcnt lgkmcnt(3)
	v_fmac_f32_e32 v171, v156, v124
	s_delay_alu instid0(VALU_DEP_1) | instskip(SKIP_1) | instid1(VALU_DEP_1)
	v_fmac_f32_e32 v171, v157, v125
	s_waitcnt lgkmcnt(2)
	v_fmac_f32_e32 v171, v158, v126
	s_waitcnt vmcnt(2)
	s_delay_alu instid0(VALU_DEP_1) | instskip(SKIP_4) | instid1(VALU_DEP_1)
	v_fmac_f32_e32 v171, v159, v127
	ds_load_2addr_b32 v[124:125], v118 offset0:111 offset1:112
	ds_load_2addr_b32 v[126:127], v118 offset0:113 offset1:114
	s_waitcnt lgkmcnt(3)
	v_fmac_f32_e32 v171, v160, v120
	v_fmac_f32_e32 v171, v161, v121
	ds_load_2addr_b32 v[120:121], v118 offset0:115 offset1:116
	s_waitcnt lgkmcnt(3)
	v_fmac_f32_e32 v171, v162, v122
	ds_load_b32 v122, v118 offset:468
	s_waitcnt vmcnt(1)
	v_fmac_f32_e32 v171, v163, v123
	s_waitcnt lgkmcnt(3)
	s_delay_alu instid0(VALU_DEP_1) | instskip(NEXT) | instid1(VALU_DEP_1)
	v_fmac_f32_e32 v171, v164, v124
	v_fmac_f32_e32 v171, v165, v125
	s_waitcnt lgkmcnt(2)
	s_delay_alu instid0(VALU_DEP_1) | instskip(SKIP_1) | instid1(VALU_DEP_1)
	v_fmac_f32_e32 v171, v166, v126
	s_waitcnt vmcnt(0)
	v_fmac_f32_e32 v171, v167, v127
	s_waitcnt lgkmcnt(1)
	s_delay_alu instid0(VALU_DEP_1) | instskip(NEXT) | instid1(VALU_DEP_1)
	v_fmac_f32_e32 v171, v168, v120
	v_fmac_f32_e32 v171, v169, v121
	s_waitcnt lgkmcnt(0)
	s_delay_alu instid0(VALU_DEP_1) | instskip(NEXT) | instid1(VALU_DEP_1)
	v_fmac_f32_e32 v171, v170, v122
	v_sub_f32_e32 v119, v119, v171
	scratch_store_b32 off, v119, off offset:24
	v_cmpx_lt_u32_e32 5, v0
	s_cbranch_execz .LBB121_345
; %bb.344:
	scratch_load_b32 v119, off, off offset:20
	scratch_store_b32 off, v118, off offset:20
	s_waitcnt vmcnt(0)
	ds_store_b32 v117, v119
.LBB121_345:
	s_or_b32 exec_lo, exec_lo, s0
	s_waitcnt lgkmcnt(0)
	s_waitcnt_vscnt null, 0x0
	s_barrier
	buffer_gl0_inv
	s_clause 0xd
	scratch_load_b128 v[119:122], off, off offset:20
	scratch_load_b128 v[123:126], off, off offset:36
	;; [unrolled: 1-line block ×13, first 2 shown]
	scratch_load_b32 v179, off, off offset:228
	ds_load_2addr_b64 v[171:174], v118 offset0:33 offset1:34
	ds_load_2addr_b64 v[175:178], v118 offset0:35 offset1:36
	s_mov_b32 s0, exec_lo
	s_waitcnt vmcnt(13) lgkmcnt(1)
	v_fma_f32 v171, v120, v171, 0
	s_delay_alu instid0(VALU_DEP_1) | instskip(NEXT) | instid1(VALU_DEP_1)
	v_fmac_f32_e32 v171, v121, v172
	v_fmac_f32_e32 v171, v122, v173
	s_waitcnt vmcnt(12)
	s_delay_alu instid0(VALU_DEP_1) | instskip(SKIP_3) | instid1(VALU_DEP_1)
	v_fmac_f32_e32 v171, v123, v174
	ds_load_2addr_b64 v[120:123], v118 offset0:37 offset1:38
	s_waitcnt lgkmcnt(1)
	v_fmac_f32_e32 v171, v124, v175
	v_fmac_f32_e32 v171, v125, v176
	s_delay_alu instid0(VALU_DEP_1) | instskip(SKIP_1) | instid1(VALU_DEP_1)
	v_fmac_f32_e32 v171, v126, v177
	s_waitcnt vmcnt(11)
	v_fmac_f32_e32 v171, v127, v178
	ds_load_2addr_b64 v[124:127], v118 offset0:39 offset1:40
	s_waitcnt lgkmcnt(1)
	v_fmac_f32_e32 v171, v128, v120
	s_delay_alu instid0(VALU_DEP_1) | instskip(NEXT) | instid1(VALU_DEP_1)
	v_fmac_f32_e32 v171, v129, v121
	v_fmac_f32_e32 v171, v130, v122
	s_waitcnt vmcnt(10)
	s_delay_alu instid0(VALU_DEP_1) | instskip(SKIP_3) | instid1(VALU_DEP_1)
	v_fmac_f32_e32 v171, v131, v123
	ds_load_2addr_b64 v[120:123], v118 offset0:41 offset1:42
	s_waitcnt lgkmcnt(1)
	v_fmac_f32_e32 v171, v132, v124
	v_fmac_f32_e32 v171, v133, v125
	s_delay_alu instid0(VALU_DEP_1) | instskip(SKIP_1) | instid1(VALU_DEP_1)
	v_fmac_f32_e32 v171, v134, v126
	s_waitcnt vmcnt(9)
	v_fmac_f32_e32 v171, v135, v127
	ds_load_2addr_b64 v[124:127], v118 offset0:43 offset1:44
	s_waitcnt lgkmcnt(1)
	v_fmac_f32_e32 v171, v136, v120
	;; [unrolled: 17-line block ×5, first 2 shown]
	s_delay_alu instid0(VALU_DEP_1) | instskip(NEXT) | instid1(VALU_DEP_1)
	v_fmac_f32_e32 v171, v161, v121
	v_fmac_f32_e32 v171, v162, v122
	s_waitcnt vmcnt(2)
	s_delay_alu instid0(VALU_DEP_1) | instskip(SKIP_3) | instid1(VALU_DEP_1)
	v_fmac_f32_e32 v171, v163, v123
	ds_load_2addr_b64 v[120:123], v118 offset0:57 offset1:58
	s_waitcnt lgkmcnt(1)
	v_fmac_f32_e32 v171, v164, v124
	v_fmac_f32_e32 v171, v165, v125
	s_delay_alu instid0(VALU_DEP_1) | instskip(SKIP_1) | instid1(VALU_DEP_1)
	v_fmac_f32_e32 v171, v166, v126
	s_waitcnt vmcnt(1)
	v_fmac_f32_e32 v171, v167, v127
	s_waitcnt lgkmcnt(0)
	s_delay_alu instid0(VALU_DEP_1) | instskip(NEXT) | instid1(VALU_DEP_1)
	v_fmac_f32_e32 v171, v168, v120
	v_fmac_f32_e32 v171, v169, v121
	s_delay_alu instid0(VALU_DEP_1) | instskip(SKIP_1) | instid1(VALU_DEP_1)
	v_fmac_f32_e32 v171, v170, v122
	s_waitcnt vmcnt(0)
	v_fmac_f32_e32 v171, v179, v123
	s_delay_alu instid0(VALU_DEP_1)
	v_sub_f32_e32 v118, v119, v171
	scratch_store_b32 off, v118, off offset:20
	v_cmpx_lt_u32_e32 4, v0
	s_cbranch_execz .LBB121_347
; %bb.346:
	scratch_load_b32 v118, off, off offset:16
	v_mov_b32_e32 v119, 0
	scratch_store_b32 off, v119, off offset:16
	s_waitcnt vmcnt(0)
	ds_store_b32 v117, v118
.LBB121_347:
	s_or_b32 exec_lo, exec_lo, s0
	s_waitcnt lgkmcnt(0)
	s_waitcnt_vscnt null, 0x0
	s_barrier
	buffer_gl0_inv
	s_clause 0xd
	scratch_load_b128 v[119:122], off, off offset:16
	scratch_load_b128 v[123:126], off, off offset:32
	;; [unrolled: 1-line block ×13, first 2 shown]
	scratch_load_b64 v[171:172], off, off offset:224
	v_mov_b32_e32 v118, 0
	ds_load_2addr_b32 v[173:174], v118 offset0:65 offset1:66
	ds_load_2addr_b32 v[175:176], v118 offset0:67 offset1:68
	;; [unrolled: 1-line block ×4, first 2 shown]
	s_mov_b32 s0, exec_lo
	s_waitcnt vmcnt(13) lgkmcnt(3)
	v_fma_f32 v173, v120, v173, 0
	s_delay_alu instid0(VALU_DEP_1) | instskip(SKIP_4) | instid1(VALU_DEP_1)
	v_fmac_f32_e32 v173, v121, v174
	ds_load_2addr_b32 v[120:121], v118 offset0:73 offset1:74
	s_waitcnt lgkmcnt(3)
	v_fmac_f32_e32 v173, v122, v175
	s_waitcnt vmcnt(12)
	v_fmac_f32_e32 v173, v123, v176
	ds_load_2addr_b32 v[122:123], v118 offset0:75 offset1:76
	s_waitcnt lgkmcnt(3)
	v_fmac_f32_e32 v173, v124, v177
	s_delay_alu instid0(VALU_DEP_1) | instskip(SKIP_1) | instid1(VALU_DEP_1)
	v_fmac_f32_e32 v173, v125, v178
	s_waitcnt lgkmcnt(2)
	v_fmac_f32_e32 v173, v126, v179
	s_waitcnt vmcnt(11)
	s_delay_alu instid0(VALU_DEP_1) | instskip(SKIP_4) | instid1(VALU_DEP_1)
	v_fmac_f32_e32 v173, v127, v180
	ds_load_2addr_b32 v[124:125], v118 offset0:77 offset1:78
	ds_load_2addr_b32 v[126:127], v118 offset0:79 offset1:80
	s_waitcnt lgkmcnt(3)
	v_fmac_f32_e32 v173, v128, v120
	v_fmac_f32_e32 v173, v129, v121
	ds_load_2addr_b32 v[120:121], v118 offset0:81 offset1:82
	s_waitcnt lgkmcnt(3)
	v_fmac_f32_e32 v173, v130, v122
	s_waitcnt vmcnt(10)
	s_delay_alu instid0(VALU_DEP_1) | instskip(SKIP_3) | instid1(VALU_DEP_1)
	v_fmac_f32_e32 v173, v131, v123
	ds_load_2addr_b32 v[122:123], v118 offset0:83 offset1:84
	s_waitcnt lgkmcnt(3)
	v_fmac_f32_e32 v173, v132, v124
	v_fmac_f32_e32 v173, v133, v125
	s_waitcnt lgkmcnt(2)
	s_delay_alu instid0(VALU_DEP_1) | instskip(SKIP_1) | instid1(VALU_DEP_1)
	v_fmac_f32_e32 v173, v134, v126
	s_waitcnt vmcnt(9)
	v_fmac_f32_e32 v173, v135, v127
	ds_load_2addr_b32 v[124:125], v118 offset0:85 offset1:86
	ds_load_2addr_b32 v[126:127], v118 offset0:87 offset1:88
	s_waitcnt lgkmcnt(3)
	v_fmac_f32_e32 v173, v136, v120
	s_delay_alu instid0(VALU_DEP_1) | instskip(SKIP_4) | instid1(VALU_DEP_1)
	v_fmac_f32_e32 v173, v137, v121
	ds_load_2addr_b32 v[120:121], v118 offset0:89 offset1:90
	s_waitcnt lgkmcnt(3)
	v_fmac_f32_e32 v173, v138, v122
	s_waitcnt vmcnt(8)
	v_fmac_f32_e32 v173, v139, v123
	ds_load_2addr_b32 v[122:123], v118 offset0:91 offset1:92
	s_waitcnt lgkmcnt(3)
	v_fmac_f32_e32 v173, v140, v124
	s_delay_alu instid0(VALU_DEP_1) | instskip(SKIP_1) | instid1(VALU_DEP_1)
	v_fmac_f32_e32 v173, v141, v125
	s_waitcnt lgkmcnt(2)
	v_fmac_f32_e32 v173, v142, v126
	s_waitcnt vmcnt(7)
	s_delay_alu instid0(VALU_DEP_1) | instskip(SKIP_4) | instid1(VALU_DEP_1)
	v_fmac_f32_e32 v173, v143, v127
	ds_load_2addr_b32 v[124:125], v118 offset0:93 offset1:94
	ds_load_2addr_b32 v[126:127], v118 offset0:95 offset1:96
	s_waitcnt lgkmcnt(3)
	v_fmac_f32_e32 v173, v144, v120
	v_fmac_f32_e32 v173, v145, v121
	ds_load_2addr_b32 v[120:121], v118 offset0:97 offset1:98
	s_waitcnt lgkmcnt(3)
	v_fmac_f32_e32 v173, v146, v122
	s_waitcnt vmcnt(6)
	s_delay_alu instid0(VALU_DEP_1) | instskip(SKIP_3) | instid1(VALU_DEP_1)
	v_fmac_f32_e32 v173, v147, v123
	ds_load_2addr_b32 v[122:123], v118 offset0:99 offset1:100
	s_waitcnt lgkmcnt(3)
	v_fmac_f32_e32 v173, v148, v124
	v_fmac_f32_e32 v173, v149, v125
	s_waitcnt lgkmcnt(2)
	s_delay_alu instid0(VALU_DEP_1) | instskip(SKIP_1) | instid1(VALU_DEP_1)
	v_fmac_f32_e32 v173, v150, v126
	s_waitcnt vmcnt(5)
	v_fmac_f32_e32 v173, v151, v127
	ds_load_2addr_b32 v[124:125], v118 offset0:101 offset1:102
	ds_load_2addr_b32 v[126:127], v118 offset0:103 offset1:104
	s_waitcnt lgkmcnt(3)
	v_fmac_f32_e32 v173, v152, v120
	s_delay_alu instid0(VALU_DEP_1) | instskip(SKIP_4) | instid1(VALU_DEP_1)
	v_fmac_f32_e32 v173, v153, v121
	ds_load_2addr_b32 v[120:121], v118 offset0:105 offset1:106
	s_waitcnt lgkmcnt(3)
	v_fmac_f32_e32 v173, v154, v122
	s_waitcnt vmcnt(4)
	v_fmac_f32_e32 v173, v155, v123
	ds_load_2addr_b32 v[122:123], v118 offset0:107 offset1:108
	s_waitcnt lgkmcnt(3)
	v_fmac_f32_e32 v173, v156, v124
	s_delay_alu instid0(VALU_DEP_1) | instskip(SKIP_1) | instid1(VALU_DEP_1)
	v_fmac_f32_e32 v173, v157, v125
	s_waitcnt lgkmcnt(2)
	v_fmac_f32_e32 v173, v158, v126
	s_waitcnt vmcnt(3)
	s_delay_alu instid0(VALU_DEP_1) | instskip(SKIP_4) | instid1(VALU_DEP_1)
	v_fmac_f32_e32 v173, v159, v127
	ds_load_2addr_b32 v[124:125], v118 offset0:109 offset1:110
	ds_load_2addr_b32 v[126:127], v118 offset0:111 offset1:112
	s_waitcnt lgkmcnt(3)
	v_fmac_f32_e32 v173, v160, v120
	v_fmac_f32_e32 v173, v161, v121
	ds_load_2addr_b32 v[120:121], v118 offset0:113 offset1:114
	s_waitcnt lgkmcnt(3)
	v_fmac_f32_e32 v173, v162, v122
	s_waitcnt vmcnt(2)
	s_delay_alu instid0(VALU_DEP_1)
	v_fmac_f32_e32 v173, v163, v123
	ds_load_2addr_b32 v[122:123], v118 offset0:115 offset1:116
	s_waitcnt lgkmcnt(3)
	v_fmac_f32_e32 v173, v164, v124
	ds_load_b32 v124, v118 offset:468
	v_fmac_f32_e32 v173, v165, v125
	s_waitcnt lgkmcnt(3)
	s_delay_alu instid0(VALU_DEP_1) | instskip(SKIP_1) | instid1(VALU_DEP_1)
	v_fmac_f32_e32 v173, v166, v126
	s_waitcnt vmcnt(1)
	v_fmac_f32_e32 v173, v167, v127
	s_waitcnt lgkmcnt(2)
	s_delay_alu instid0(VALU_DEP_1) | instskip(NEXT) | instid1(VALU_DEP_1)
	v_fmac_f32_e32 v173, v168, v120
	v_fmac_f32_e32 v173, v169, v121
	s_waitcnt lgkmcnt(1)
	s_delay_alu instid0(VALU_DEP_1) | instskip(SKIP_1) | instid1(VALU_DEP_1)
	v_fmac_f32_e32 v173, v170, v122
	s_waitcnt vmcnt(0)
	v_fmac_f32_e32 v173, v171, v123
	s_waitcnt lgkmcnt(0)
	s_delay_alu instid0(VALU_DEP_1) | instskip(NEXT) | instid1(VALU_DEP_1)
	v_fmac_f32_e32 v173, v172, v124
	v_sub_f32_e32 v119, v119, v173
	scratch_store_b32 off, v119, off offset:16
	v_cmpx_lt_u32_e32 3, v0
	s_cbranch_execz .LBB121_349
; %bb.348:
	scratch_load_b32 v119, off, off offset:12
	scratch_store_b32 off, v118, off offset:12
	s_waitcnt vmcnt(0)
	ds_store_b32 v117, v119
.LBB121_349:
	s_or_b32 exec_lo, exec_lo, s0
	s_waitcnt lgkmcnt(0)
	s_waitcnt_vscnt null, 0x0
	s_barrier
	buffer_gl0_inv
	s_clause 0xd
	scratch_load_b128 v[119:122], off, off offset:12
	scratch_load_b128 v[123:126], off, off offset:28
	scratch_load_b128 v[127:130], off, off offset:44
	scratch_load_b128 v[131:134], off, off offset:60
	scratch_load_b128 v[135:138], off, off offset:76
	scratch_load_b128 v[139:142], off, off offset:92
	scratch_load_b128 v[143:146], off, off offset:108
	scratch_load_b128 v[147:150], off, off offset:124
	scratch_load_b128 v[151:154], off, off offset:140
	scratch_load_b128 v[155:158], off, off offset:156
	scratch_load_b128 v[159:162], off, off offset:172
	scratch_load_b128 v[163:166], off, off offset:188
	scratch_load_b128 v[167:170], off, off offset:204
	scratch_load_b96 v[179:181], off, off offset:220
	ds_load_b128 v[171:174], v118 offset:256
	ds_load_b128 v[175:178], v118 offset:272
	s_mov_b32 s0, exec_lo
	s_waitcnt vmcnt(13) lgkmcnt(1)
	v_fma_f32 v171, v120, v171, 0
	s_delay_alu instid0(VALU_DEP_1) | instskip(NEXT) | instid1(VALU_DEP_1)
	v_fmac_f32_e32 v171, v121, v172
	v_fmac_f32_e32 v171, v122, v173
	s_waitcnt vmcnt(12)
	s_delay_alu instid0(VALU_DEP_1) | instskip(SKIP_3) | instid1(VALU_DEP_1)
	v_fmac_f32_e32 v171, v123, v174
	ds_load_b128 v[120:123], v118 offset:288
	s_waitcnt lgkmcnt(1)
	v_fmac_f32_e32 v171, v124, v175
	v_fmac_f32_e32 v171, v125, v176
	s_delay_alu instid0(VALU_DEP_1) | instskip(SKIP_1) | instid1(VALU_DEP_1)
	v_fmac_f32_e32 v171, v126, v177
	s_waitcnt vmcnt(11)
	v_fmac_f32_e32 v171, v127, v178
	ds_load_b128 v[124:127], v118 offset:304
	s_waitcnt lgkmcnt(1)
	v_fmac_f32_e32 v171, v128, v120
	s_delay_alu instid0(VALU_DEP_1) | instskip(NEXT) | instid1(VALU_DEP_1)
	v_fmac_f32_e32 v171, v129, v121
	v_fmac_f32_e32 v171, v130, v122
	s_waitcnt vmcnt(10)
	s_delay_alu instid0(VALU_DEP_1) | instskip(SKIP_3) | instid1(VALU_DEP_1)
	v_fmac_f32_e32 v171, v131, v123
	ds_load_b128 v[120:123], v118 offset:320
	s_waitcnt lgkmcnt(1)
	v_fmac_f32_e32 v171, v132, v124
	v_fmac_f32_e32 v171, v133, v125
	s_delay_alu instid0(VALU_DEP_1) | instskip(SKIP_1) | instid1(VALU_DEP_1)
	v_fmac_f32_e32 v171, v134, v126
	s_waitcnt vmcnt(9)
	v_fmac_f32_e32 v171, v135, v127
	ds_load_b128 v[124:127], v118 offset:336
	s_waitcnt lgkmcnt(1)
	v_fmac_f32_e32 v171, v136, v120
	;; [unrolled: 17-line block ×5, first 2 shown]
	s_delay_alu instid0(VALU_DEP_1) | instskip(NEXT) | instid1(VALU_DEP_1)
	v_fmac_f32_e32 v171, v161, v121
	v_fmac_f32_e32 v171, v162, v122
	s_waitcnt vmcnt(2)
	s_delay_alu instid0(VALU_DEP_1) | instskip(SKIP_3) | instid1(VALU_DEP_1)
	v_fmac_f32_e32 v171, v163, v123
	ds_load_b128 v[120:123], v118 offset:448
	s_waitcnt lgkmcnt(1)
	v_fmac_f32_e32 v171, v164, v124
	v_fmac_f32_e32 v171, v165, v125
	ds_load_b64 v[124:125], v118 offset:464
	v_fmac_f32_e32 v171, v166, v126
	s_waitcnt vmcnt(1)
	s_delay_alu instid0(VALU_DEP_1) | instskip(SKIP_1) | instid1(VALU_DEP_1)
	v_fmac_f32_e32 v171, v167, v127
	s_waitcnt lgkmcnt(1)
	v_fmac_f32_e32 v171, v168, v120
	s_delay_alu instid0(VALU_DEP_1) | instskip(NEXT) | instid1(VALU_DEP_1)
	v_fmac_f32_e32 v171, v169, v121
	v_fmac_f32_e32 v171, v170, v122
	s_waitcnt vmcnt(0)
	s_delay_alu instid0(VALU_DEP_1) | instskip(SKIP_1) | instid1(VALU_DEP_1)
	v_fmac_f32_e32 v171, v179, v123
	s_waitcnt lgkmcnt(0)
	v_fmac_f32_e32 v171, v180, v124
	s_delay_alu instid0(VALU_DEP_1) | instskip(NEXT) | instid1(VALU_DEP_1)
	v_fmac_f32_e32 v171, v181, v125
	v_sub_f32_e32 v118, v119, v171
	scratch_store_b32 off, v118, off offset:12
	v_cmpx_lt_u32_e32 2, v0
	s_cbranch_execz .LBB121_351
; %bb.350:
	scratch_load_b32 v118, off, off offset:8
	v_mov_b32_e32 v119, 0
	scratch_store_b32 off, v119, off offset:8
	s_waitcnt vmcnt(0)
	ds_store_b32 v117, v118
.LBB121_351:
	s_or_b32 exec_lo, exec_lo, s0
	s_waitcnt lgkmcnt(0)
	s_waitcnt_vscnt null, 0x0
	s_barrier
	buffer_gl0_inv
	s_clause 0xd
	scratch_load_b128 v[119:122], off, off offset:8
	scratch_load_b128 v[123:126], off, off offset:24
	;; [unrolled: 1-line block ×14, first 2 shown]
	v_mov_b32_e32 v118, 0
	ds_load_2addr_b32 v[175:176], v118 offset0:63 offset1:64
	ds_load_2addr_b32 v[177:178], v118 offset0:65 offset1:66
	;; [unrolled: 1-line block ×4, first 2 shown]
	s_mov_b32 s0, exec_lo
	s_waitcnt vmcnt(13) lgkmcnt(3)
	v_fma_f32 v175, v120, v175, 0
	s_delay_alu instid0(VALU_DEP_1) | instskip(SKIP_4) | instid1(VALU_DEP_1)
	v_fmac_f32_e32 v175, v121, v176
	ds_load_2addr_b32 v[120:121], v118 offset0:71 offset1:72
	s_waitcnt lgkmcnt(3)
	v_fmac_f32_e32 v175, v122, v177
	s_waitcnt vmcnt(12)
	v_fmac_f32_e32 v175, v123, v178
	ds_load_2addr_b32 v[122:123], v118 offset0:73 offset1:74
	s_waitcnt lgkmcnt(3)
	v_fmac_f32_e32 v175, v124, v179
	s_delay_alu instid0(VALU_DEP_1) | instskip(SKIP_1) | instid1(VALU_DEP_1)
	v_fmac_f32_e32 v175, v125, v180
	s_waitcnt lgkmcnt(2)
	v_fmac_f32_e32 v175, v126, v181
	s_waitcnt vmcnt(11)
	s_delay_alu instid0(VALU_DEP_1) | instskip(SKIP_4) | instid1(VALU_DEP_1)
	v_fmac_f32_e32 v175, v127, v182
	ds_load_2addr_b32 v[124:125], v118 offset0:75 offset1:76
	ds_load_2addr_b32 v[126:127], v118 offset0:77 offset1:78
	s_waitcnt lgkmcnt(3)
	v_fmac_f32_e32 v175, v128, v120
	v_fmac_f32_e32 v175, v129, v121
	ds_load_2addr_b32 v[120:121], v118 offset0:79 offset1:80
	s_waitcnt lgkmcnt(3)
	v_fmac_f32_e32 v175, v130, v122
	s_waitcnt vmcnt(10)
	s_delay_alu instid0(VALU_DEP_1) | instskip(SKIP_3) | instid1(VALU_DEP_1)
	v_fmac_f32_e32 v175, v131, v123
	ds_load_2addr_b32 v[122:123], v118 offset0:81 offset1:82
	s_waitcnt lgkmcnt(3)
	v_fmac_f32_e32 v175, v132, v124
	v_fmac_f32_e32 v175, v133, v125
	s_waitcnt lgkmcnt(2)
	s_delay_alu instid0(VALU_DEP_1) | instskip(SKIP_1) | instid1(VALU_DEP_1)
	v_fmac_f32_e32 v175, v134, v126
	s_waitcnt vmcnt(9)
	v_fmac_f32_e32 v175, v135, v127
	ds_load_2addr_b32 v[124:125], v118 offset0:83 offset1:84
	ds_load_2addr_b32 v[126:127], v118 offset0:85 offset1:86
	s_waitcnt lgkmcnt(3)
	v_fmac_f32_e32 v175, v136, v120
	s_delay_alu instid0(VALU_DEP_1) | instskip(SKIP_4) | instid1(VALU_DEP_1)
	v_fmac_f32_e32 v175, v137, v121
	ds_load_2addr_b32 v[120:121], v118 offset0:87 offset1:88
	s_waitcnt lgkmcnt(3)
	v_fmac_f32_e32 v175, v138, v122
	s_waitcnt vmcnt(8)
	v_fmac_f32_e32 v175, v139, v123
	ds_load_2addr_b32 v[122:123], v118 offset0:89 offset1:90
	s_waitcnt lgkmcnt(3)
	v_fmac_f32_e32 v175, v140, v124
	s_delay_alu instid0(VALU_DEP_1) | instskip(SKIP_1) | instid1(VALU_DEP_1)
	v_fmac_f32_e32 v175, v141, v125
	s_waitcnt lgkmcnt(2)
	v_fmac_f32_e32 v175, v142, v126
	s_waitcnt vmcnt(7)
	s_delay_alu instid0(VALU_DEP_1) | instskip(SKIP_4) | instid1(VALU_DEP_1)
	v_fmac_f32_e32 v175, v143, v127
	ds_load_2addr_b32 v[124:125], v118 offset0:91 offset1:92
	ds_load_2addr_b32 v[126:127], v118 offset0:93 offset1:94
	s_waitcnt lgkmcnt(3)
	v_fmac_f32_e32 v175, v144, v120
	v_fmac_f32_e32 v175, v145, v121
	ds_load_2addr_b32 v[120:121], v118 offset0:95 offset1:96
	s_waitcnt lgkmcnt(3)
	v_fmac_f32_e32 v175, v146, v122
	s_waitcnt vmcnt(6)
	s_delay_alu instid0(VALU_DEP_1) | instskip(SKIP_3) | instid1(VALU_DEP_1)
	v_fmac_f32_e32 v175, v147, v123
	ds_load_2addr_b32 v[122:123], v118 offset0:97 offset1:98
	s_waitcnt lgkmcnt(3)
	v_fmac_f32_e32 v175, v148, v124
	v_fmac_f32_e32 v175, v149, v125
	s_waitcnt lgkmcnt(2)
	s_delay_alu instid0(VALU_DEP_1) | instskip(SKIP_1) | instid1(VALU_DEP_1)
	v_fmac_f32_e32 v175, v150, v126
	s_waitcnt vmcnt(5)
	v_fmac_f32_e32 v175, v151, v127
	ds_load_2addr_b32 v[124:125], v118 offset0:99 offset1:100
	ds_load_2addr_b32 v[126:127], v118 offset0:101 offset1:102
	s_waitcnt lgkmcnt(3)
	v_fmac_f32_e32 v175, v152, v120
	s_delay_alu instid0(VALU_DEP_1) | instskip(SKIP_4) | instid1(VALU_DEP_1)
	v_fmac_f32_e32 v175, v153, v121
	ds_load_2addr_b32 v[120:121], v118 offset0:103 offset1:104
	s_waitcnt lgkmcnt(3)
	v_fmac_f32_e32 v175, v154, v122
	s_waitcnt vmcnt(4)
	v_fmac_f32_e32 v175, v155, v123
	ds_load_2addr_b32 v[122:123], v118 offset0:105 offset1:106
	s_waitcnt lgkmcnt(3)
	v_fmac_f32_e32 v175, v156, v124
	s_delay_alu instid0(VALU_DEP_1) | instskip(SKIP_1) | instid1(VALU_DEP_1)
	v_fmac_f32_e32 v175, v157, v125
	s_waitcnt lgkmcnt(2)
	v_fmac_f32_e32 v175, v158, v126
	s_waitcnt vmcnt(3)
	s_delay_alu instid0(VALU_DEP_1) | instskip(SKIP_4) | instid1(VALU_DEP_1)
	v_fmac_f32_e32 v175, v159, v127
	ds_load_2addr_b32 v[124:125], v118 offset0:107 offset1:108
	ds_load_2addr_b32 v[126:127], v118 offset0:109 offset1:110
	s_waitcnt lgkmcnt(3)
	v_fmac_f32_e32 v175, v160, v120
	v_fmac_f32_e32 v175, v161, v121
	ds_load_2addr_b32 v[120:121], v118 offset0:111 offset1:112
	s_waitcnt lgkmcnt(3)
	v_fmac_f32_e32 v175, v162, v122
	s_waitcnt vmcnt(2)
	s_delay_alu instid0(VALU_DEP_1) | instskip(SKIP_3) | instid1(VALU_DEP_1)
	v_fmac_f32_e32 v175, v163, v123
	ds_load_2addr_b32 v[122:123], v118 offset0:113 offset1:114
	s_waitcnt lgkmcnt(3)
	v_fmac_f32_e32 v175, v164, v124
	v_fmac_f32_e32 v175, v165, v125
	s_waitcnt lgkmcnt(2)
	s_delay_alu instid0(VALU_DEP_1)
	v_fmac_f32_e32 v175, v166, v126
	ds_load_2addr_b32 v[124:125], v118 offset0:115 offset1:116
	ds_load_b32 v126, v118 offset:468
	s_waitcnt vmcnt(1)
	v_fmac_f32_e32 v175, v167, v127
	s_waitcnt lgkmcnt(3)
	s_delay_alu instid0(VALU_DEP_1) | instskip(NEXT) | instid1(VALU_DEP_1)
	v_fmac_f32_e32 v175, v168, v120
	v_fmac_f32_e32 v175, v169, v121
	s_waitcnt lgkmcnt(2)
	s_delay_alu instid0(VALU_DEP_1) | instskip(SKIP_1) | instid1(VALU_DEP_1)
	v_fmac_f32_e32 v175, v170, v122
	s_waitcnt vmcnt(0)
	v_fmac_f32_e32 v175, v171, v123
	s_waitcnt lgkmcnt(1)
	s_delay_alu instid0(VALU_DEP_1) | instskip(NEXT) | instid1(VALU_DEP_1)
	v_fmac_f32_e32 v175, v172, v124
	v_fmac_f32_e32 v175, v173, v125
	s_waitcnt lgkmcnt(0)
	s_delay_alu instid0(VALU_DEP_1) | instskip(NEXT) | instid1(VALU_DEP_1)
	v_fmac_f32_e32 v175, v174, v126
	v_sub_f32_e32 v119, v119, v175
	scratch_store_b32 off, v119, off offset:8
	v_cmpx_lt_u32_e32 1, v0
	s_cbranch_execz .LBB121_353
; %bb.352:
	scratch_load_b32 v119, off, off offset:4
	scratch_store_b32 off, v118, off offset:4
	s_waitcnt vmcnt(0)
	ds_store_b32 v117, v119
.LBB121_353:
	s_or_b32 exec_lo, exec_lo, s0
	s_waitcnt lgkmcnt(0)
	s_waitcnt_vscnt null, 0x0
	s_barrier
	buffer_gl0_inv
	s_clause 0xe
	scratch_load_b128 v[119:122], off, off offset:4
	scratch_load_b128 v[123:126], off, off offset:20
	scratch_load_b128 v[127:130], off, off offset:36
	scratch_load_b128 v[131:134], off, off offset:52
	scratch_load_b128 v[135:138], off, off offset:68
	scratch_load_b128 v[139:142], off, off offset:84
	scratch_load_b128 v[143:146], off, off offset:100
	scratch_load_b128 v[147:150], off, off offset:116
	scratch_load_b128 v[151:154], off, off offset:132
	scratch_load_b128 v[155:158], off, off offset:148
	scratch_load_b128 v[159:162], off, off offset:164
	scratch_load_b128 v[163:166], off, off offset:180
	scratch_load_b128 v[167:170], off, off offset:196
	scratch_load_b128 v[171:174], off, off offset:212
	scratch_load_b32 v183, off, off offset:228
	ds_load_2addr_b64 v[175:178], v118 offset0:31 offset1:32
	ds_load_2addr_b64 v[179:182], v118 offset0:33 offset1:34
	s_mov_b32 s0, exec_lo
	s_waitcnt vmcnt(14) lgkmcnt(1)
	v_fma_f32 v175, v120, v175, 0
	s_delay_alu instid0(VALU_DEP_1) | instskip(NEXT) | instid1(VALU_DEP_1)
	v_fmac_f32_e32 v175, v121, v176
	v_fmac_f32_e32 v175, v122, v177
	s_waitcnt vmcnt(13)
	s_delay_alu instid0(VALU_DEP_1) | instskip(SKIP_3) | instid1(VALU_DEP_1)
	v_fmac_f32_e32 v175, v123, v178
	ds_load_2addr_b64 v[120:123], v118 offset0:35 offset1:36
	s_waitcnt lgkmcnt(1)
	v_fmac_f32_e32 v175, v124, v179
	v_fmac_f32_e32 v175, v125, v180
	s_delay_alu instid0(VALU_DEP_1) | instskip(SKIP_1) | instid1(VALU_DEP_1)
	v_fmac_f32_e32 v175, v126, v181
	s_waitcnt vmcnt(12)
	v_fmac_f32_e32 v175, v127, v182
	ds_load_2addr_b64 v[124:127], v118 offset0:37 offset1:38
	s_waitcnt lgkmcnt(1)
	v_fmac_f32_e32 v175, v128, v120
	s_delay_alu instid0(VALU_DEP_1) | instskip(NEXT) | instid1(VALU_DEP_1)
	v_fmac_f32_e32 v175, v129, v121
	v_fmac_f32_e32 v175, v130, v122
	s_waitcnt vmcnt(11)
	s_delay_alu instid0(VALU_DEP_1) | instskip(SKIP_3) | instid1(VALU_DEP_1)
	v_fmac_f32_e32 v175, v131, v123
	ds_load_2addr_b64 v[120:123], v118 offset0:39 offset1:40
	s_waitcnt lgkmcnt(1)
	v_fmac_f32_e32 v175, v132, v124
	v_fmac_f32_e32 v175, v133, v125
	s_delay_alu instid0(VALU_DEP_1) | instskip(SKIP_1) | instid1(VALU_DEP_1)
	v_fmac_f32_e32 v175, v134, v126
	s_waitcnt vmcnt(10)
	v_fmac_f32_e32 v175, v135, v127
	ds_load_2addr_b64 v[124:127], v118 offset0:41 offset1:42
	s_waitcnt lgkmcnt(1)
	v_fmac_f32_e32 v175, v136, v120
	;; [unrolled: 17-line block ×6, first 2 shown]
	s_delay_alu instid0(VALU_DEP_1) | instskip(NEXT) | instid1(VALU_DEP_1)
	v_fmac_f32_e32 v175, v169, v121
	v_fmac_f32_e32 v175, v170, v122
	s_waitcnt vmcnt(1)
	s_delay_alu instid0(VALU_DEP_1) | instskip(SKIP_1) | instid1(VALU_DEP_1)
	v_fmac_f32_e32 v175, v171, v123
	s_waitcnt lgkmcnt(0)
	v_fmac_f32_e32 v175, v172, v124
	s_delay_alu instid0(VALU_DEP_1) | instskip(NEXT) | instid1(VALU_DEP_1)
	v_fmac_f32_e32 v175, v173, v125
	v_fmac_f32_e32 v175, v174, v126
	s_waitcnt vmcnt(0)
	s_delay_alu instid0(VALU_DEP_1) | instskip(NEXT) | instid1(VALU_DEP_1)
	v_fmac_f32_e32 v175, v183, v127
	v_sub_f32_e32 v118, v119, v175
	scratch_store_b32 off, v118, off offset:4
	v_cmpx_ne_u32_e32 0, v0
	s_cbranch_execz .LBB121_355
; %bb.354:
	scratch_load_b32 v0, off, off
	v_mov_b32_e32 v118, 0
	scratch_store_b32 off, v118, off
	s_waitcnt vmcnt(0)
	ds_store_b32 v117, v0
.LBB121_355:
	s_or_b32 exec_lo, exec_lo, s0
	s_waitcnt lgkmcnt(0)
	s_waitcnt_vscnt null, 0x0
	s_barrier
	buffer_gl0_inv
	s_clause 0xe
	scratch_load_b128 v[119:122], off, off
	scratch_load_b128 v[123:126], off, off offset:16
	scratch_load_b128 v[127:130], off, off offset:32
	;; [unrolled: 1-line block ×13, first 2 shown]
	scratch_load_b64 v[117:118], off, off offset:224
	v_mov_b32_e32 v0, 0
	ds_load_2addr_b32 v[175:176], v0 offset0:61 offset1:62
	ds_load_2addr_b32 v[177:178], v0 offset0:63 offset1:64
	ds_load_2addr_b32 v[179:180], v0 offset0:65 offset1:66
	ds_load_2addr_b32 v[181:182], v0 offset0:67 offset1:68
	s_and_b32 vcc_lo, exec_lo, s12
	s_waitcnt vmcnt(14) lgkmcnt(3)
	v_fma_f32 v175, v120, v175, 0
	s_delay_alu instid0(VALU_DEP_1) | instskip(SKIP_4) | instid1(VALU_DEP_1)
	v_fmac_f32_e32 v175, v121, v176
	ds_load_2addr_b32 v[120:121], v0 offset0:69 offset1:70
	s_waitcnt lgkmcnt(3)
	v_fmac_f32_e32 v175, v122, v177
	s_waitcnt vmcnt(13)
	v_fmac_f32_e32 v175, v123, v178
	ds_load_2addr_b32 v[122:123], v0 offset0:71 offset1:72
	s_waitcnt lgkmcnt(3)
	v_fmac_f32_e32 v175, v124, v179
	s_delay_alu instid0(VALU_DEP_1) | instskip(SKIP_1) | instid1(VALU_DEP_1)
	v_fmac_f32_e32 v175, v125, v180
	s_waitcnt lgkmcnt(2)
	v_fmac_f32_e32 v175, v126, v181
	s_waitcnt vmcnt(12)
	s_delay_alu instid0(VALU_DEP_1) | instskip(SKIP_4) | instid1(VALU_DEP_1)
	v_fmac_f32_e32 v175, v127, v182
	ds_load_2addr_b32 v[124:125], v0 offset0:73 offset1:74
	ds_load_2addr_b32 v[126:127], v0 offset0:75 offset1:76
	s_waitcnt lgkmcnt(3)
	v_fmac_f32_e32 v175, v128, v120
	v_fmac_f32_e32 v175, v129, v121
	ds_load_2addr_b32 v[120:121], v0 offset0:77 offset1:78
	s_waitcnt lgkmcnt(3)
	v_fmac_f32_e32 v175, v130, v122
	s_waitcnt vmcnt(11)
	s_delay_alu instid0(VALU_DEP_1) | instskip(SKIP_3) | instid1(VALU_DEP_1)
	v_fmac_f32_e32 v175, v131, v123
	ds_load_2addr_b32 v[122:123], v0 offset0:79 offset1:80
	s_waitcnt lgkmcnt(3)
	v_fmac_f32_e32 v175, v132, v124
	v_fmac_f32_e32 v175, v133, v125
	s_waitcnt lgkmcnt(2)
	s_delay_alu instid0(VALU_DEP_1) | instskip(SKIP_1) | instid1(VALU_DEP_1)
	v_fmac_f32_e32 v175, v134, v126
	s_waitcnt vmcnt(10)
	v_fmac_f32_e32 v175, v135, v127
	ds_load_2addr_b32 v[124:125], v0 offset0:81 offset1:82
	ds_load_2addr_b32 v[126:127], v0 offset0:83 offset1:84
	s_waitcnt lgkmcnt(3)
	v_fmac_f32_e32 v175, v136, v120
	s_delay_alu instid0(VALU_DEP_1) | instskip(SKIP_4) | instid1(VALU_DEP_1)
	v_fmac_f32_e32 v175, v137, v121
	ds_load_2addr_b32 v[120:121], v0 offset0:85 offset1:86
	s_waitcnt lgkmcnt(3)
	v_fmac_f32_e32 v175, v138, v122
	s_waitcnt vmcnt(9)
	v_fmac_f32_e32 v175, v139, v123
	ds_load_2addr_b32 v[122:123], v0 offset0:87 offset1:88
	s_waitcnt lgkmcnt(3)
	v_fmac_f32_e32 v175, v140, v124
	s_delay_alu instid0(VALU_DEP_1) | instskip(SKIP_1) | instid1(VALU_DEP_1)
	v_fmac_f32_e32 v175, v141, v125
	s_waitcnt lgkmcnt(2)
	v_fmac_f32_e32 v175, v142, v126
	s_waitcnt vmcnt(8)
	s_delay_alu instid0(VALU_DEP_1) | instskip(SKIP_4) | instid1(VALU_DEP_1)
	v_fmac_f32_e32 v175, v143, v127
	ds_load_2addr_b32 v[124:125], v0 offset0:89 offset1:90
	ds_load_2addr_b32 v[126:127], v0 offset0:91 offset1:92
	s_waitcnt lgkmcnt(3)
	v_fmac_f32_e32 v175, v144, v120
	v_fmac_f32_e32 v175, v145, v121
	ds_load_2addr_b32 v[120:121], v0 offset0:93 offset1:94
	s_waitcnt lgkmcnt(3)
	v_fmac_f32_e32 v175, v146, v122
	s_waitcnt vmcnt(7)
	s_delay_alu instid0(VALU_DEP_1) | instskip(SKIP_3) | instid1(VALU_DEP_1)
	v_fmac_f32_e32 v175, v147, v123
	ds_load_2addr_b32 v[122:123], v0 offset0:95 offset1:96
	s_waitcnt lgkmcnt(3)
	v_fmac_f32_e32 v175, v148, v124
	v_fmac_f32_e32 v175, v149, v125
	s_waitcnt lgkmcnt(2)
	s_delay_alu instid0(VALU_DEP_1) | instskip(SKIP_1) | instid1(VALU_DEP_1)
	v_fmac_f32_e32 v175, v150, v126
	s_waitcnt vmcnt(6)
	v_fmac_f32_e32 v175, v151, v127
	ds_load_2addr_b32 v[124:125], v0 offset0:97 offset1:98
	ds_load_2addr_b32 v[126:127], v0 offset0:99 offset1:100
	s_waitcnt lgkmcnt(3)
	v_fmac_f32_e32 v175, v152, v120
	s_delay_alu instid0(VALU_DEP_1) | instskip(SKIP_4) | instid1(VALU_DEP_1)
	v_fmac_f32_e32 v175, v153, v121
	ds_load_2addr_b32 v[120:121], v0 offset0:101 offset1:102
	s_waitcnt lgkmcnt(3)
	v_fmac_f32_e32 v175, v154, v122
	s_waitcnt vmcnt(5)
	v_fmac_f32_e32 v175, v155, v123
	ds_load_2addr_b32 v[122:123], v0 offset0:103 offset1:104
	s_waitcnt lgkmcnt(3)
	v_fmac_f32_e32 v175, v156, v124
	s_delay_alu instid0(VALU_DEP_1) | instskip(SKIP_1) | instid1(VALU_DEP_1)
	v_fmac_f32_e32 v175, v157, v125
	s_waitcnt lgkmcnt(2)
	v_fmac_f32_e32 v175, v158, v126
	s_waitcnt vmcnt(4)
	s_delay_alu instid0(VALU_DEP_1) | instskip(SKIP_4) | instid1(VALU_DEP_1)
	v_fmac_f32_e32 v175, v159, v127
	ds_load_2addr_b32 v[124:125], v0 offset0:105 offset1:106
	ds_load_2addr_b32 v[126:127], v0 offset0:107 offset1:108
	s_waitcnt lgkmcnt(3)
	v_fmac_f32_e32 v175, v160, v120
	v_fmac_f32_e32 v175, v161, v121
	ds_load_2addr_b32 v[120:121], v0 offset0:109 offset1:110
	s_waitcnt lgkmcnt(3)
	v_fmac_f32_e32 v175, v162, v122
	s_waitcnt vmcnt(3)
	s_delay_alu instid0(VALU_DEP_1) | instskip(SKIP_3) | instid1(VALU_DEP_1)
	v_fmac_f32_e32 v175, v163, v123
	ds_load_2addr_b32 v[122:123], v0 offset0:111 offset1:112
	s_waitcnt lgkmcnt(3)
	v_fmac_f32_e32 v175, v164, v124
	v_fmac_f32_e32 v175, v165, v125
	s_waitcnt lgkmcnt(2)
	s_delay_alu instid0(VALU_DEP_1) | instskip(SKIP_1) | instid1(VALU_DEP_1)
	v_fmac_f32_e32 v175, v166, v126
	s_waitcnt vmcnt(2)
	v_fmac_f32_e32 v175, v167, v127
	ds_load_2addr_b32 v[124:125], v0 offset0:113 offset1:114
	ds_load_2addr_b32 v[126:127], v0 offset0:115 offset1:116
	ds_load_b32 v0, v0 offset:468
	s_waitcnt lgkmcnt(4)
	v_fmac_f32_e32 v175, v168, v120
	s_delay_alu instid0(VALU_DEP_1) | instskip(SKIP_1) | instid1(VALU_DEP_1)
	v_fmac_f32_e32 v175, v169, v121
	s_waitcnt lgkmcnt(3)
	v_fmac_f32_e32 v175, v170, v122
	s_waitcnt vmcnt(1)
	s_delay_alu instid0(VALU_DEP_1) | instskip(SKIP_1) | instid1(VALU_DEP_1)
	v_fmac_f32_e32 v175, v171, v123
	s_waitcnt lgkmcnt(2)
	v_fmac_f32_e32 v175, v172, v124
	s_delay_alu instid0(VALU_DEP_1) | instskip(SKIP_1) | instid1(VALU_DEP_1)
	v_fmac_f32_e32 v175, v173, v125
	s_waitcnt lgkmcnt(1)
	v_fmac_f32_e32 v175, v174, v126
	s_waitcnt vmcnt(0)
	s_delay_alu instid0(VALU_DEP_1) | instskip(SKIP_1) | instid1(VALU_DEP_1)
	v_fmac_f32_e32 v175, v117, v127
	s_waitcnt lgkmcnt(0)
	v_fmac_f32_e32 v175, v118, v0
	s_delay_alu instid0(VALU_DEP_1)
	v_sub_f32_e32 v0, v119, v175
	scratch_store_b32 off, v0, off
	s_cbranch_vccz .LBB121_471
; %bb.356:
	v_dual_mov_b32 v119, s3 :: v_dual_mov_b32 v118, s2
	s_mov_b32 s0, exec_lo
	flat_load_b32 v0, v[118:119] offset:224
	s_waitcnt vmcnt(0) lgkmcnt(0)
	v_cmpx_ne_u32_e32 57, v0
	s_cbranch_execz .LBB121_358
; %bb.357:
	v_lshl_add_u32 v0, v0, 2, 0
	scratch_load_b32 v118, v0, off offset:-4
	s_waitcnt vmcnt(0)
	scratch_store_b32 off, v118, off offset:224
	scratch_store_b32 v0, v117, off offset:-4
.LBB121_358:
	s_or_b32 exec_lo, exec_lo, s0
	v_dual_mov_b32 v118, s3 :: v_dual_mov_b32 v117, s2
	s_mov_b32 s0, exec_lo
	flat_load_b32 v0, v[117:118] offset:220
	s_waitcnt vmcnt(0) lgkmcnt(0)
	v_cmpx_ne_u32_e32 56, v0
	s_cbranch_execz .LBB121_360
; %bb.359:
	v_lshl_add_u32 v0, v0, 2, 0
	scratch_load_b32 v117, v0, off offset:-4
	scratch_load_b32 v118, off, off offset:220
	s_waitcnt vmcnt(1)
	scratch_store_b32 off, v117, off offset:220
	s_waitcnt vmcnt(0)
	scratch_store_b32 v0, v118, off offset:-4
.LBB121_360:
	s_or_b32 exec_lo, exec_lo, s0
	v_dual_mov_b32 v118, s3 :: v_dual_mov_b32 v117, s2
	s_mov_b32 s0, exec_lo
	flat_load_b32 v0, v[117:118] offset:216
	s_waitcnt vmcnt(0) lgkmcnt(0)
	v_cmpx_ne_u32_e32 55, v0
	s_cbranch_execz .LBB121_362
; %bb.361:
	v_lshl_add_u32 v0, v0, 2, 0
	scratch_load_b32 v117, v0, off offset:-4
	scratch_load_b32 v118, off, off offset:216
	s_waitcnt vmcnt(1)
	scratch_store_b32 off, v117, off offset:216
	s_waitcnt vmcnt(0)
	scratch_store_b32 v0, v118, off offset:-4
.LBB121_362:
	;; [unrolled: 16-line block ×55, first 2 shown]
	s_or_b32 exec_lo, exec_lo, s0
	v_dual_mov_b32 v118, s3 :: v_dual_mov_b32 v117, s2
	s_mov_b32 s0, exec_lo
	flat_load_b32 v117, v[117:118]
	scratch_load_b32 v0, off, off
	s_waitcnt vmcnt(1) lgkmcnt(0)
	v_cmpx_ne_u32_e32 1, v117
	s_cbranch_execz .LBB121_470
; %bb.469:
	v_lshl_add_u32 v117, v117, 2, 0
	scratch_load_b32 v118, v117, off offset:-4
	s_waitcnt vmcnt(0)
	scratch_store_b32 off, v118, off
	scratch_store_b32 v117, v0, off offset:-4
	scratch_load_b32 v0, off, off
.LBB121_470:
	s_or_b32 exec_lo, exec_lo, s0
.LBB121_471:
	s_clause 0xe
	scratch_load_b128 v[117:120], off, off offset:4
	scratch_load_b128 v[121:124], off, off offset:20
	;; [unrolled: 1-line block ×14, first 2 shown]
	scratch_load_b32 v173, off, off offset:228
	s_waitcnt vmcnt(15)
	global_store_b32 v[1:2], v0, off
	s_waitcnt vmcnt(14)
	s_clause 0x3
	global_store_b32 v[3:4], v117, off
	global_store_b32 v[5:6], v118, off
	global_store_b32 v[7:8], v119, off
	global_store_b32 v[9:10], v120, off
	s_waitcnt vmcnt(13)
	s_clause 0x3
	global_store_b32 v[11:12], v121, off
	global_store_b32 v[13:14], v122, off
	global_store_b32 v[15:16], v123, off
	;; [unrolled: 6-line block ×14, first 2 shown]
	global_store_b32 v[115:116], v172, off
	s_waitcnt vmcnt(0)
	global_store_b32 v[65:66], v173, off
	s_endpgm
	.section	.rodata,"a",@progbits
	.p2align	6, 0x0
	.amdhsa_kernel _ZN9rocsolver6v33100L18getri_kernel_smallILi58EfPKPfEEvT1_iilPiilS6_bb
		.amdhsa_group_segment_fixed_size 472
		.amdhsa_private_segment_fixed_size 240
		.amdhsa_kernarg_size 60
		.amdhsa_user_sgpr_count 15
		.amdhsa_user_sgpr_dispatch_ptr 0
		.amdhsa_user_sgpr_queue_ptr 0
		.amdhsa_user_sgpr_kernarg_segment_ptr 1
		.amdhsa_user_sgpr_dispatch_id 0
		.amdhsa_user_sgpr_private_segment_size 0
		.amdhsa_wavefront_size32 1
		.amdhsa_uses_dynamic_stack 0
		.amdhsa_enable_private_segment 1
		.amdhsa_system_sgpr_workgroup_id_x 1
		.amdhsa_system_sgpr_workgroup_id_y 0
		.amdhsa_system_sgpr_workgroup_id_z 0
		.amdhsa_system_sgpr_workgroup_info 0
		.amdhsa_system_vgpr_workitem_id 0
		.amdhsa_next_free_vgpr 184
		.amdhsa_next_free_sgpr 17
		.amdhsa_reserve_vcc 1
		.amdhsa_float_round_mode_32 0
		.amdhsa_float_round_mode_16_64 0
		.amdhsa_float_denorm_mode_32 3
		.amdhsa_float_denorm_mode_16_64 3
		.amdhsa_dx10_clamp 1
		.amdhsa_ieee_mode 1
		.amdhsa_fp16_overflow 0
		.amdhsa_workgroup_processor_mode 1
		.amdhsa_memory_ordered 1
		.amdhsa_forward_progress 0
		.amdhsa_shared_vgpr_count 0
		.amdhsa_exception_fp_ieee_invalid_op 0
		.amdhsa_exception_fp_denorm_src 0
		.amdhsa_exception_fp_ieee_div_zero 0
		.amdhsa_exception_fp_ieee_overflow 0
		.amdhsa_exception_fp_ieee_underflow 0
		.amdhsa_exception_fp_ieee_inexact 0
		.amdhsa_exception_int_div_zero 0
	.end_amdhsa_kernel
	.section	.text._ZN9rocsolver6v33100L18getri_kernel_smallILi58EfPKPfEEvT1_iilPiilS6_bb,"axG",@progbits,_ZN9rocsolver6v33100L18getri_kernel_smallILi58EfPKPfEEvT1_iilPiilS6_bb,comdat
.Lfunc_end121:
	.size	_ZN9rocsolver6v33100L18getri_kernel_smallILi58EfPKPfEEvT1_iilPiilS6_bb, .Lfunc_end121-_ZN9rocsolver6v33100L18getri_kernel_smallILi58EfPKPfEEvT1_iilPiilS6_bb
                                        ; -- End function
	.section	.AMDGPU.csdata,"",@progbits
; Kernel info:
; codeLenInByte = 45840
; NumSgprs: 19
; NumVgprs: 184
; ScratchSize: 240
; MemoryBound: 0
; FloatMode: 240
; IeeeMode: 1
; LDSByteSize: 472 bytes/workgroup (compile time only)
; SGPRBlocks: 2
; VGPRBlocks: 22
; NumSGPRsForWavesPerEU: 19
; NumVGPRsForWavesPerEU: 184
; Occupancy: 8
; WaveLimiterHint : 1
; COMPUTE_PGM_RSRC2:SCRATCH_EN: 1
; COMPUTE_PGM_RSRC2:USER_SGPR: 15
; COMPUTE_PGM_RSRC2:TRAP_HANDLER: 0
; COMPUTE_PGM_RSRC2:TGID_X_EN: 1
; COMPUTE_PGM_RSRC2:TGID_Y_EN: 0
; COMPUTE_PGM_RSRC2:TGID_Z_EN: 0
; COMPUTE_PGM_RSRC2:TIDIG_COMP_CNT: 0
	.section	.text._ZN9rocsolver6v33100L18getri_kernel_smallILi59EfPKPfEEvT1_iilPiilS6_bb,"axG",@progbits,_ZN9rocsolver6v33100L18getri_kernel_smallILi59EfPKPfEEvT1_iilPiilS6_bb,comdat
	.globl	_ZN9rocsolver6v33100L18getri_kernel_smallILi59EfPKPfEEvT1_iilPiilS6_bb ; -- Begin function _ZN9rocsolver6v33100L18getri_kernel_smallILi59EfPKPfEEvT1_iilPiilS6_bb
	.p2align	8
	.type	_ZN9rocsolver6v33100L18getri_kernel_smallILi59EfPKPfEEvT1_iilPiilS6_bb,@function
_ZN9rocsolver6v33100L18getri_kernel_smallILi59EfPKPfEEvT1_iilPiilS6_bb: ; @_ZN9rocsolver6v33100L18getri_kernel_smallILi59EfPKPfEEvT1_iilPiilS6_bb
; %bb.0:
	s_mov_b32 s2, exec_lo
	v_cmpx_gt_u32_e32 59, v0
	s_cbranch_execz .LBB122_244
; %bb.1:
	s_clause 0x1
	s_load_b32 s13, s[0:1], 0x38
	s_load_b64 s[2:3], s[0:1], 0x0
	s_mov_b32 s8, s15
	s_load_b128 s[4:7], s[0:1], 0x28
	s_waitcnt lgkmcnt(0)
	s_bitcmp1_b32 s13, 8
	s_cselect_b32 s12, -1, 0
	s_ashr_i32 s9, s15, 31
	s_delay_alu instid0(SALU_CYCLE_1) | instskip(NEXT) | instid1(SALU_CYCLE_1)
	s_lshl_b64 s[10:11], s[8:9], 3
	s_add_u32 s2, s2, s10
	s_addc_u32 s3, s3, s11
	s_load_b64 s[10:11], s[2:3], 0x0
	s_bfe_u32 s2, s13, 0x10008
	s_delay_alu instid0(SALU_CYCLE_1)
	s_cmp_eq_u32 s2, 0
                                        ; implicit-def: $sgpr2_sgpr3
	s_cbranch_scc1 .LBB122_3
; %bb.2:
	s_clause 0x1
	s_load_b32 s2, s[0:1], 0x20
	s_load_b64 s[14:15], s[0:1], 0x18
	s_mul_i32 s3, s8, s5
	s_mul_hi_u32 s5, s8, s4
	s_mul_i32 s16, s9, s4
	s_add_i32 s3, s5, s3
	s_mul_i32 s4, s8, s4
	s_add_i32 s5, s3, s16
	s_delay_alu instid0(SALU_CYCLE_1)
	s_lshl_b64 s[4:5], s[4:5], 2
	s_waitcnt lgkmcnt(0)
	s_ashr_i32 s3, s2, 31
	s_add_u32 s4, s14, s4
	s_addc_u32 s5, s15, s5
	s_lshl_b64 s[2:3], s[2:3], 2
	s_delay_alu instid0(SALU_CYCLE_1)
	s_add_u32 s2, s4, s2
	s_addc_u32 s3, s5, s3
.LBB122_3:
	s_load_b64 s[0:1], s[0:1], 0x8
	v_lshlrev_b32_e32 v121, 2, v0
	s_waitcnt lgkmcnt(0)
	v_add3_u32 v1, s1, s1, v0
	s_ashr_i32 s5, s0, 31
	s_mov_b32 s4, s0
	s_mov_b32 s14, s1
	s_lshl_b64 s[4:5], s[4:5], 2
	v_add_nc_u32_e32 v7, s1, v1
	v_ashrrev_i32_e32 v2, 31, v1
	s_add_u32 s4, s10, s4
	s_addc_u32 s5, s11, s5
	v_add_co_u32 v3, s0, s4, v121
	v_add_nc_u32_e32 v9, s1, v7
	s_ashr_i32 s15, s1, 31
	v_add_co_ci_u32_e64 v4, null, s5, 0, s0
	v_ashrrev_i32_e32 v8, 31, v7
	s_delay_alu instid0(VALU_DEP_3)
	v_add_nc_u32_e32 v11, s1, v9
	v_lshlrev_b64 v[1:2], 2, v[1:2]
	s_lshl_b64 s[10:11], s[14:15], 2
	v_ashrrev_i32_e32 v10, 31, v9
	v_add_co_u32 v5, vcc_lo, v3, s10
	v_add_nc_u32_e32 v13, s1, v11
	v_add_co_ci_u32_e32 v6, vcc_lo, s11, v4, vcc_lo
	v_lshlrev_b64 v[48:49], 2, v[7:8]
	v_add_co_u32 v7, vcc_lo, s4, v1
	s_delay_alu instid0(VALU_DEP_4) | instskip(SKIP_3) | instid1(VALU_DEP_4)
	v_add_nc_u32_e32 v15, s1, v13
	v_add_co_ci_u32_e32 v8, vcc_lo, s5, v2, vcc_lo
	v_lshlrev_b64 v[1:2], 2, v[9:10]
	v_ashrrev_i32_e32 v12, 31, v11
	v_add_nc_u32_e32 v17, s1, v15
	v_add_co_u32 v9, vcc_lo, s4, v48
	v_ashrrev_i32_e32 v14, 31, v13
	v_add_co_ci_u32_e32 v10, vcc_lo, s5, v49, vcc_lo
	s_delay_alu instid0(VALU_DEP_4) | instskip(SKIP_3) | instid1(VALU_DEP_4)
	v_add_nc_u32_e32 v19, s1, v17
	v_lshlrev_b64 v[48:49], 2, v[11:12]
	v_add_co_u32 v11, vcc_lo, s4, v1
	v_add_co_ci_u32_e32 v12, vcc_lo, s5, v2, vcc_lo
	v_add_nc_u32_e32 v21, s1, v19
	v_lshlrev_b64 v[1:2], 2, v[13:14]
	v_ashrrev_i32_e32 v16, 31, v15
	v_add_co_u32 v13, vcc_lo, s4, v48
	s_delay_alu instid0(VALU_DEP_4) | instskip(SKIP_3) | instid1(VALU_DEP_4)
	v_add_nc_u32_e32 v23, s1, v21
	v_ashrrev_i32_e32 v18, 31, v17
	v_add_co_ci_u32_e32 v14, vcc_lo, s5, v49, vcc_lo
	v_lshlrev_b64 v[48:49], 2, v[15:16]
	v_add_nc_u32_e32 v25, s1, v23
	v_add_co_u32 v15, vcc_lo, s4, v1
	v_add_co_ci_u32_e32 v16, vcc_lo, s5, v2, vcc_lo
	s_delay_alu instid0(VALU_DEP_3) | instskip(SKIP_3) | instid1(VALU_DEP_4)
	v_add_nc_u32_e32 v27, s1, v25
	v_lshlrev_b64 v[1:2], 2, v[17:18]
	v_ashrrev_i32_e32 v20, 31, v19
	v_add_co_u32 v17, vcc_lo, s4, v48
	v_add_nc_u32_e32 v29, s1, v27
	v_ashrrev_i32_e32 v22, 31, v21
	v_add_co_ci_u32_e32 v18, vcc_lo, s5, v49, vcc_lo
	v_lshlrev_b64 v[48:49], 2, v[19:20]
	s_delay_alu instid0(VALU_DEP_4) | instskip(SKIP_2) | instid1(VALU_DEP_3)
	v_add_nc_u32_e32 v31, s1, v29
	v_add_co_u32 v19, vcc_lo, s4, v1
	v_add_co_ci_u32_e32 v20, vcc_lo, s5, v2, vcc_lo
	v_add_nc_u32_e32 v33, s1, v31
	v_lshlrev_b64 v[1:2], 2, v[21:22]
	v_ashrrev_i32_e32 v24, 31, v23
	v_add_co_u32 v21, vcc_lo, s4, v48
	s_delay_alu instid0(VALU_DEP_4) | instskip(SKIP_3) | instid1(VALU_DEP_4)
	v_add_nc_u32_e32 v35, s1, v33
	v_ashrrev_i32_e32 v26, 31, v25
	v_add_co_ci_u32_e32 v22, vcc_lo, s5, v49, vcc_lo
	v_lshlrev_b64 v[48:49], 2, v[23:24]
	v_add_nc_u32_e32 v37, s1, v35
	v_add_co_u32 v23, vcc_lo, s4, v1
	v_add_co_ci_u32_e32 v24, vcc_lo, s5, v2, vcc_lo
	s_delay_alu instid0(VALU_DEP_3) | instskip(SKIP_3) | instid1(VALU_DEP_4)
	v_add_nc_u32_e32 v39, s1, v37
	v_lshlrev_b64 v[1:2], 2, v[25:26]
	v_ashrrev_i32_e32 v28, 31, v27
	v_add_co_u32 v25, vcc_lo, s4, v48
	v_add_nc_u32_e32 v41, s1, v39
	v_ashrrev_i32_e32 v30, 31, v29
	v_add_co_ci_u32_e32 v26, vcc_lo, s5, v49, vcc_lo
	v_lshlrev_b64 v[48:49], 2, v[27:28]
	s_delay_alu instid0(VALU_DEP_4) | instskip(SKIP_2) | instid1(VALU_DEP_3)
	v_add_nc_u32_e32 v43, s1, v41
	;; [unrolled: 25-line block ×6, first 2 shown]
	v_add_co_u32 v59, vcc_lo, s4, v1
	v_add_co_ci_u32_e32 v60, vcc_lo, s5, v2, vcc_lo
	v_add_nc_u32_e32 v97, s1, v95
	v_lshlrev_b64 v[1:2], 2, v[62:63]
	v_ashrrev_i32_e32 v65, 31, v64
	v_add_co_u32 v61, vcc_lo, s4, v71
	s_delay_alu instid0(VALU_DEP_4) | instskip(SKIP_3) | instid1(VALU_DEP_4)
	v_add_nc_u32_e32 v99, s1, v97
	v_ashrrev_i32_e32 v67, 31, v66
	v_add_co_ci_u32_e32 v62, vcc_lo, s5, v72, vcc_lo
	v_lshlrev_b64 v[71:72], 2, v[64:65]
	v_add_nc_u32_e32 v101, s1, v99
	v_add_co_u32 v63, vcc_lo, s4, v1
	v_ashrrev_i32_e32 v69, 31, v68
	v_add_co_ci_u32_e32 v64, vcc_lo, s5, v2, vcc_lo
	s_delay_alu instid0(VALU_DEP_4) | instskip(SKIP_3) | instid1(VALU_DEP_4)
	v_add_nc_u32_e32 v103, s1, v101
	v_lshlrev_b64 v[1:2], 2, v[66:67]
	v_add_co_u32 v65, vcc_lo, s4, v71
	v_lshlrev_b64 v[84:85], 2, v[68:69]
	v_add_nc_u32_e32 v105, s1, v103
	v_ashrrev_i32_e32 v71, 31, v70
	v_add_co_ci_u32_e32 v66, vcc_lo, s5, v72, vcc_lo
	v_add_co_u32 v67, vcc_lo, s4, v1
	s_delay_alu instid0(VALU_DEP_4) | instskip(SKIP_3) | instid1(VALU_DEP_4)
	v_add_nc_u32_e32 v107, s1, v105
	v_add_co_ci_u32_e32 v68, vcc_lo, s5, v2, vcc_lo
	v_lshlrev_b64 v[1:2], 2, v[70:71]
	v_ashrrev_i32_e32 v74, 31, v73
	v_add_nc_u32_e32 v109, s1, v107
	v_add_co_u32 v71, vcc_lo, s4, v84
	v_ashrrev_i32_e32 v76, 31, v75
	v_add_co_ci_u32_e32 v72, vcc_lo, s5, v85, vcc_lo
	s_delay_alu instid0(VALU_DEP_4) | instskip(SKIP_3) | instid1(VALU_DEP_4)
	v_add_nc_u32_e32 v111, s1, v109
	v_lshlrev_b64 v[84:85], 2, v[73:74]
	v_add_co_u32 v73, vcc_lo, s4, v1
	v_add_co_ci_u32_e32 v74, vcc_lo, s5, v2, vcc_lo
	v_add_nc_u32_e32 v113, s1, v111
	v_lshlrev_b64 v[1:2], 2, v[75:76]
	v_ashrrev_i32_e32 v78, 31, v77
	v_ashrrev_i32_e32 v80, 31, v79
	;; [unrolled: 1-line block ×3, first 2 shown]
	v_add_nc_u32_e32 v115, s1, v113
	v_ashrrev_i32_e32 v88, 31, v87
	v_ashrrev_i32_e32 v90, 31, v89
	;; [unrolled: 1-line block ×4, first 2 shown]
	v_add_nc_u32_e32 v117, s1, v115
	v_ashrrev_i32_e32 v96, 31, v95
	v_lshlrev_b64 v[89:90], 2, v[89:90]
	v_ashrrev_i32_e32 v98, 31, v97
	v_lshlrev_b64 v[93:94], 2, v[93:94]
	v_add_nc_u32_e32 v119, s1, v117
	v_ashrrev_i32_e32 v100, 31, v99
	v_ashrrev_i32_e32 v102, 31, v101
	v_lshlrev_b64 v[97:98], 2, v[97:98]
	v_ashrrev_i32_e32 v104, 31, v103
	v_add_nc_u32_e32 v69, s1, v119
	v_ashrrev_i32_e32 v106, 31, v105
	v_lshlrev_b64 v[101:102], 2, v[101:102]
	v_ashrrev_i32_e32 v108, 31, v107
	v_ashrrev_i32_e32 v110, 31, v109
	;; [unrolled: 1-line block ×3, first 2 shown]
	v_lshlrev_b64 v[105:106], 2, v[105:106]
	v_ashrrev_i32_e32 v112, 31, v111
	v_ashrrev_i32_e32 v114, 31, v113
	v_lshlrev_b64 v[109:110], 2, v[109:110]
	v_lshlrev_b64 v[69:70], 2, v[69:70]
	v_ashrrev_i32_e32 v116, 31, v115
	v_ashrrev_i32_e32 v118, 31, v117
	v_lshlrev_b64 v[113:114], 2, v[113:114]
	v_ashrrev_i32_e32 v120, 31, v119
	global_load_b32 v122, v121, s[4:5]
	v_add_co_u32 v69, vcc_lo, s4, v69
	v_add_co_ci_u32_e32 v70, vcc_lo, s5, v70, vcc_lo
	v_add_co_u32 v75, vcc_lo, s4, v84
	v_add_co_ci_u32_e32 v76, vcc_lo, s5, v85, vcc_lo
	v_lshlrev_b64 v[84:85], 2, v[77:78]
	v_add_co_u32 v77, vcc_lo, s4, v1
	v_add_co_ci_u32_e32 v78, vcc_lo, s5, v2, vcc_lo
	v_lshlrev_b64 v[1:2], 2, v[79:80]
	s_delay_alu instid0(VALU_DEP_4)
	v_add_co_u32 v79, vcc_lo, s4, v84
	v_ashrrev_i32_e32 v84, 31, v83
	v_add_co_ci_u32_e32 v80, vcc_lo, s5, v85, vcc_lo
	v_lshlrev_b64 v[85:86], 2, v[81:82]
	v_add_co_u32 v81, vcc_lo, s4, v1
	v_add_co_ci_u32_e32 v82, vcc_lo, s5, v2, vcc_lo
	v_lshlrev_b64 v[1:2], 2, v[83:84]
	s_delay_alu instid0(VALU_DEP_4) | instskip(SKIP_2) | instid1(VALU_DEP_4)
	v_add_co_u32 v83, vcc_lo, s4, v85
	v_add_co_ci_u32_e32 v84, vcc_lo, s5, v86, vcc_lo
	v_lshlrev_b64 v[117:118], 2, v[117:118]
	v_add_co_u32 v85, vcc_lo, s4, v1
	v_add_co_ci_u32_e32 v86, vcc_lo, s5, v2, vcc_lo
	v_lshlrev_b64 v[1:2], 2, v[87:88]
	s_clause 0x1f
	global_load_b32 v123, v[5:6], off
	global_load_b32 v124, v[7:8], off
	;; [unrolled: 1-line block ×32, first 2 shown]
	s_clause 0x7
	global_load_b32 v155, v[71:72], off
	global_load_b32 v156, v[73:74], off
	global_load_b32 v157, v[75:76], off
	global_load_b32 v158, v[77:78], off
	global_load_b32 v159, v[79:80], off
	global_load_b32 v160, v[81:82], off
	global_load_b32 v161, v[83:84], off
	global_load_b32 v162, v[85:86], off
	v_add_co_u32 v87, vcc_lo, s4, v1
	v_add_co_ci_u32_e32 v88, vcc_lo, s5, v2, vcc_lo
	v_lshlrev_b64 v[1:2], 2, v[91:92]
	v_add_co_u32 v89, vcc_lo, s4, v89
	v_add_co_ci_u32_e32 v90, vcc_lo, s5, v90, vcc_lo
	s_bitcmp0_b32 s13, 0
	s_delay_alu instid0(VALU_DEP_3) | instskip(NEXT) | instid1(VALU_DEP_4)
	v_add_co_u32 v91, vcc_lo, s4, v1
	v_add_co_ci_u32_e32 v92, vcc_lo, s5, v2, vcc_lo
	v_lshlrev_b64 v[1:2], 2, v[95:96]
	v_add_co_u32 v93, vcc_lo, s4, v93
	v_add_co_ci_u32_e32 v94, vcc_lo, s5, v94, vcc_lo
	s_mov_b32 s1, -1
	s_delay_alu instid0(VALU_DEP_3) | instskip(NEXT) | instid1(VALU_DEP_4)
	v_add_co_u32 v95, vcc_lo, s4, v1
	v_add_co_ci_u32_e32 v96, vcc_lo, s5, v2, vcc_lo
	v_lshlrev_b64 v[1:2], 2, v[99:100]
	v_add_co_u32 v97, vcc_lo, s4, v97
	v_add_co_ci_u32_e32 v98, vcc_lo, s5, v98, vcc_lo
	s_delay_alu instid0(VALU_DEP_3) | instskip(NEXT) | instid1(VALU_DEP_4)
	v_add_co_u32 v99, vcc_lo, s4, v1
	v_add_co_ci_u32_e32 v100, vcc_lo, s5, v2, vcc_lo
	v_lshlrev_b64 v[1:2], 2, v[103:104]
	v_add_co_u32 v101, vcc_lo, s4, v101
	v_add_co_ci_u32_e32 v102, vcc_lo, s5, v102, vcc_lo
	s_clause 0x7
	global_load_b32 v163, v[87:88], off
	global_load_b32 v164, v[89:90], off
	;; [unrolled: 1-line block ×8, first 2 shown]
	v_add_co_u32 v103, vcc_lo, s4, v1
	v_add_co_ci_u32_e32 v104, vcc_lo, s5, v2, vcc_lo
	v_lshlrev_b64 v[1:2], 2, v[107:108]
	v_add_co_u32 v105, vcc_lo, s4, v105
	v_add_co_ci_u32_e32 v106, vcc_lo, s5, v106, vcc_lo
	s_delay_alu instid0(VALU_DEP_3) | instskip(NEXT) | instid1(VALU_DEP_4)
	v_add_co_u32 v107, vcc_lo, s4, v1
	v_add_co_ci_u32_e32 v108, vcc_lo, s5, v2, vcc_lo
	v_lshlrev_b64 v[1:2], 2, v[111:112]
	v_add_co_u32 v109, vcc_lo, s4, v109
	v_add_co_ci_u32_e32 v110, vcc_lo, s5, v110, vcc_lo
	s_delay_alu instid0(VALU_DEP_3) | instskip(NEXT) | instid1(VALU_DEP_4)
	;; [unrolled: 6-line block ×4, first 2 shown]
	v_add_co_u32 v119, vcc_lo, s4, v1
	v_add_co_ci_u32_e32 v120, vcc_lo, s5, v2, vcc_lo
	s_clause 0x9
	global_load_b32 v171, v[103:104], off
	global_load_b32 v172, v[105:106], off
	;; [unrolled: 1-line block ×10, first 2 shown]
	s_waitcnt vmcnt(55)
	scratch_store_b128 off, v[122:125], off
	s_waitcnt vmcnt(51)
	scratch_store_b128 off, v[126:129], off offset:16
	s_waitcnt vmcnt(47)
	scratch_store_b128 off, v[130:133], off offset:32
	;; [unrolled: 2-line block ×13, first 2 shown]
	s_waitcnt vmcnt(0)
	scratch_store_b96 off, v[178:180], off offset:224
	s_cbranch_scc1 .LBB122_242
; %bb.4:
	v_cmp_eq_u32_e64 s0, 0, v0
	s_delay_alu instid0(VALU_DEP_1)
	s_and_saveexec_b32 s1, s0
	s_cbranch_execz .LBB122_6
; %bb.5:
	v_mov_b32_e32 v1, 0
	ds_store_b32 v1, v1 offset:236
.LBB122_6:
	s_or_b32 exec_lo, exec_lo, s1
	s_waitcnt lgkmcnt(0)
	s_waitcnt_vscnt null, 0x0
	s_barrier
	buffer_gl0_inv
	scratch_load_b32 v1, v121, off
	s_mov_b32 s4, exec_lo
	s_waitcnt vmcnt(0)
	v_cmpx_eq_f32_e32 0, v1
	s_cbranch_execz .LBB122_10
; %bb.7:
	v_mov_b32_e32 v1, 0
	s_mov_b32 s5, 0
	ds_load_b32 v2, v1 offset:236
	s_waitcnt lgkmcnt(0)
	v_readfirstlane_b32 s1, v2
	v_add_nc_u32_e32 v2, 1, v0
	s_delay_alu instid0(VALU_DEP_2) | instskip(NEXT) | instid1(VALU_DEP_1)
	s_cmp_eq_u32 s1, 0
	v_cmp_gt_i32_e32 vcc_lo, s1, v2
	s_cselect_b32 s10, -1, 0
	s_delay_alu instid0(SALU_CYCLE_1) | instskip(NEXT) | instid1(SALU_CYCLE_1)
	s_or_b32 s10, s10, vcc_lo
	s_and_b32 exec_lo, exec_lo, s10
	s_cbranch_execz .LBB122_10
; %bb.8:
	v_mov_b32_e32 v122, s1
.LBB122_9:                              ; =>This Inner Loop Header: Depth=1
	ds_cmpstore_rtn_b32 v122, v1, v2, v122 offset:236
	s_waitcnt lgkmcnt(0)
	v_cmp_ne_u32_e32 vcc_lo, 0, v122
	v_cmp_le_i32_e64 s1, v122, v2
	s_delay_alu instid0(VALU_DEP_1) | instskip(NEXT) | instid1(SALU_CYCLE_1)
	s_and_b32 s1, vcc_lo, s1
	s_and_b32 s1, exec_lo, s1
	s_delay_alu instid0(SALU_CYCLE_1) | instskip(NEXT) | instid1(SALU_CYCLE_1)
	s_or_b32 s5, s1, s5
	s_and_not1_b32 exec_lo, exec_lo, s5
	s_cbranch_execnz .LBB122_9
.LBB122_10:
	s_or_b32 exec_lo, exec_lo, s4
	v_mov_b32_e32 v1, 0
	s_barrier
	buffer_gl0_inv
	ds_load_b32 v2, v1 offset:236
	s_and_saveexec_b32 s1, s0
	s_cbranch_execz .LBB122_12
; %bb.11:
	s_lshl_b64 s[4:5], s[8:9], 2
	s_delay_alu instid0(SALU_CYCLE_1)
	s_add_u32 s4, s6, s4
	s_addc_u32 s5, s7, s5
	s_waitcnt lgkmcnt(0)
	global_store_b32 v1, v2, s[4:5]
.LBB122_12:
	s_or_b32 exec_lo, exec_lo, s1
	s_waitcnt lgkmcnt(0)
	v_cmp_ne_u32_e32 vcc_lo, 0, v2
	s_mov_b32 s1, 0
	s_cbranch_vccnz .LBB122_242
; %bb.13:
	v_add_nc_u32_e32 v1, 0, v121
	scratch_load_b32 v2, v1, off
	s_waitcnt vmcnt(0)
	v_div_scale_f32 v122, null, v2, v2, 1.0
	v_div_scale_f32 v125, vcc_lo, 1.0, v2, 1.0
	s_delay_alu instid0(VALU_DEP_2) | instskip(SKIP_2) | instid1(VALU_DEP_1)
	v_rcp_f32_e32 v123, v122
	s_waitcnt_depctr 0xfff
	v_fma_f32 v124, -v122, v123, 1.0
	v_fmac_f32_e32 v123, v124, v123
	s_delay_alu instid0(VALU_DEP_1) | instskip(NEXT) | instid1(VALU_DEP_1)
	v_mul_f32_e32 v124, v125, v123
	v_fma_f32 v126, -v122, v124, v125
	s_delay_alu instid0(VALU_DEP_1) | instskip(NEXT) | instid1(VALU_DEP_1)
	v_fmac_f32_e32 v124, v126, v123
	v_fma_f32 v122, -v122, v124, v125
	s_delay_alu instid0(VALU_DEP_1) | instskip(NEXT) | instid1(VALU_DEP_1)
	v_div_fmas_f32 v122, v122, v123, v124
	v_div_fixup_f32 v2, v122, v2, 1.0
	scratch_store_b32 v1, v2, off
	scratch_load_b32 v122, off, off offset:4
	v_xor_b32_e32 v123, 0x80000000, v2
	v_add_nc_u32_e32 v2, 0xf0, v121
	s_waitcnt vmcnt(0)
	ds_store_2addr_b32 v121, v123, v122 offset1:60
	s_waitcnt lgkmcnt(0)
	s_waitcnt_vscnt null, 0x0
	s_barrier
	buffer_gl0_inv
	s_and_saveexec_b32 s1, s0
	s_cbranch_execz .LBB122_15
; %bb.14:
	scratch_load_b32 v122, v1, off
	ds_load_b32 v123, v2
	v_mov_b32_e32 v124, 0
	ds_load_b32 v124, v124 offset:4
	s_waitcnt vmcnt(0) lgkmcnt(1)
	v_fma_f32 v122, v122, v123, 0
	s_waitcnt lgkmcnt(0)
	s_delay_alu instid0(VALU_DEP_1)
	v_mul_f32_e32 v122, v122, v124
	scratch_store_b32 off, v122, off offset:4
.LBB122_15:
	s_or_b32 exec_lo, exec_lo, s1
	s_waitcnt_vscnt null, 0x0
	s_barrier
	buffer_gl0_inv
	scratch_load_b32 v122, off, off offset:8
	s_mov_b32 s1, exec_lo
	s_waitcnt vmcnt(0)
	ds_store_b32 v2, v122
	s_waitcnt lgkmcnt(0)
	s_barrier
	buffer_gl0_inv
	v_cmpx_gt_u32_e32 2, v0
	s_cbranch_execz .LBB122_17
; %bb.16:
	scratch_load_b32 v124, v1, off
	scratch_load_b32 v125, off, off offset:4
	ds_load_b32 v126, v2
	v_mov_b32_e32 v122, 0
	ds_load_2addr_b32 v[122:123], v122 offset0:2 offset1:61
	s_waitcnt vmcnt(1) lgkmcnt(1)
	v_fma_f32 v124, v124, v126, 0
	s_waitcnt vmcnt(0) lgkmcnt(0)
	s_delay_alu instid0(VALU_DEP_1) | instskip(NEXT) | instid1(VALU_DEP_1)
	v_fma_f32 v123, v125, v123, v124
	v_cndmask_b32_e64 v123, v124, v123, s0
	s_delay_alu instid0(VALU_DEP_1)
	v_mul_f32_e32 v122, v123, v122
	scratch_store_b32 off, v122, off offset:8
.LBB122_17:
	s_or_b32 exec_lo, exec_lo, s1
	s_waitcnt_vscnt null, 0x0
	s_barrier
	buffer_gl0_inv
	scratch_load_b32 v123, off, off offset:12
	v_add_nc_u32_e32 v122, -1, v0
	s_mov_b32 s0, exec_lo
	s_waitcnt vmcnt(0)
	ds_store_b32 v2, v123
	s_waitcnt lgkmcnt(0)
	s_barrier
	buffer_gl0_inv
	v_cmpx_gt_u32_e32 3, v0
	s_cbranch_execz .LBB122_21
; %bb.18:
	v_dual_mov_b32 v123, 0 :: v_dual_add_nc_u32 v124, -1, v0
	v_add_nc_u32_e32 v125, 0xf0, v121
	v_add_nc_u32_e32 v126, 0, v121
	s_mov_b32 s1, 0
.LBB122_19:                             ; =>This Inner Loop Header: Depth=1
	scratch_load_b32 v127, v126, off
	ds_load_b32 v128, v125
	v_add_nc_u32_e32 v124, 1, v124
	v_add_nc_u32_e32 v125, 4, v125
	v_add_nc_u32_e32 v126, 4, v126
	s_delay_alu instid0(VALU_DEP_3)
	v_cmp_lt_u32_e32 vcc_lo, 1, v124
	s_or_b32 s1, vcc_lo, s1
	s_waitcnt vmcnt(0) lgkmcnt(0)
	v_fmac_f32_e32 v123, v127, v128
	s_and_not1_b32 exec_lo, exec_lo, s1
	s_cbranch_execnz .LBB122_19
; %bb.20:
	s_or_b32 exec_lo, exec_lo, s1
	v_mov_b32_e32 v124, 0
	ds_load_b32 v124, v124 offset:12
	s_waitcnt lgkmcnt(0)
	v_mul_f32_e32 v123, v123, v124
	scratch_store_b32 off, v123, off offset:12
.LBB122_21:
	s_or_b32 exec_lo, exec_lo, s0
	s_waitcnt_vscnt null, 0x0
	s_barrier
	buffer_gl0_inv
	scratch_load_b32 v123, off, off offset:16
	s_mov_b32 s0, exec_lo
	s_waitcnt vmcnt(0)
	ds_store_b32 v2, v123
	s_waitcnt lgkmcnt(0)
	s_barrier
	buffer_gl0_inv
	v_cmpx_gt_u32_e32 4, v0
	s_cbranch_execz .LBB122_25
; %bb.22:
	v_dual_mov_b32 v123, 0 :: v_dual_add_nc_u32 v124, -1, v0
	v_add_nc_u32_e32 v125, 0xf0, v121
	v_add_nc_u32_e32 v126, 0, v121
	s_mov_b32 s1, 0
.LBB122_23:                             ; =>This Inner Loop Header: Depth=1
	scratch_load_b32 v127, v126, off
	ds_load_b32 v128, v125
	v_add_nc_u32_e32 v124, 1, v124
	v_add_nc_u32_e32 v125, 4, v125
	v_add_nc_u32_e32 v126, 4, v126
	s_delay_alu instid0(VALU_DEP_3)
	v_cmp_lt_u32_e32 vcc_lo, 2, v124
	s_or_b32 s1, vcc_lo, s1
	s_waitcnt vmcnt(0) lgkmcnt(0)
	v_fmac_f32_e32 v123, v127, v128
	s_and_not1_b32 exec_lo, exec_lo, s1
	s_cbranch_execnz .LBB122_23
; %bb.24:
	s_or_b32 exec_lo, exec_lo, s1
	v_mov_b32_e32 v124, 0
	ds_load_b32 v124, v124 offset:16
	s_waitcnt lgkmcnt(0)
	v_mul_f32_e32 v123, v123, v124
	scratch_store_b32 off, v123, off offset:16
.LBB122_25:
	s_or_b32 exec_lo, exec_lo, s0
	s_waitcnt_vscnt null, 0x0
	s_barrier
	buffer_gl0_inv
	scratch_load_b32 v123, off, off offset:20
	;; [unrolled: 39-line block ×21, first 2 shown]
	s_mov_b32 s0, exec_lo
	s_waitcnt vmcnt(0)
	ds_store_b32 v2, v123
	s_waitcnt lgkmcnt(0)
	s_barrier
	buffer_gl0_inv
	v_cmpx_gt_u32_e32 24, v0
	s_cbranch_execz .LBB122_105
; %bb.102:
	v_dual_mov_b32 v123, 0 :: v_dual_add_nc_u32 v124, -1, v0
	v_add_nc_u32_e32 v125, 0xf0, v121
	v_add_nc_u32_e32 v126, 0, v121
	s_mov_b32 s1, 0
.LBB122_103:                            ; =>This Inner Loop Header: Depth=1
	scratch_load_b32 v127, v126, off
	ds_load_b32 v128, v125
	v_add_nc_u32_e32 v124, 1, v124
	v_add_nc_u32_e32 v125, 4, v125
	v_add_nc_u32_e32 v126, 4, v126
	s_delay_alu instid0(VALU_DEP_3)
	v_cmp_lt_u32_e32 vcc_lo, 22, v124
	s_or_b32 s1, vcc_lo, s1
	s_waitcnt vmcnt(0) lgkmcnt(0)
	v_fmac_f32_e32 v123, v127, v128
	s_and_not1_b32 exec_lo, exec_lo, s1
	s_cbranch_execnz .LBB122_103
; %bb.104:
	s_or_b32 exec_lo, exec_lo, s1
	v_mov_b32_e32 v124, 0
	ds_load_b32 v124, v124 offset:96
	s_waitcnt lgkmcnt(0)
	v_mul_f32_e32 v123, v123, v124
	scratch_store_b32 off, v123, off offset:96
.LBB122_105:
	s_or_b32 exec_lo, exec_lo, s0
	s_waitcnt_vscnt null, 0x0
	s_barrier
	buffer_gl0_inv
	scratch_load_b32 v123, off, off offset:100
	s_mov_b32 s0, exec_lo
	s_waitcnt vmcnt(0)
	ds_store_b32 v2, v123
	s_waitcnt lgkmcnt(0)
	s_barrier
	buffer_gl0_inv
	v_cmpx_gt_u32_e32 25, v0
	s_cbranch_execz .LBB122_109
; %bb.106:
	v_dual_mov_b32 v123, 0 :: v_dual_add_nc_u32 v124, -1, v0
	v_add_nc_u32_e32 v125, 0xf0, v121
	v_add_nc_u32_e32 v126, 0, v121
	s_mov_b32 s1, 0
.LBB122_107:                            ; =>This Inner Loop Header: Depth=1
	scratch_load_b32 v127, v126, off
	ds_load_b32 v128, v125
	v_add_nc_u32_e32 v124, 1, v124
	v_add_nc_u32_e32 v125, 4, v125
	v_add_nc_u32_e32 v126, 4, v126
	s_delay_alu instid0(VALU_DEP_3)
	v_cmp_lt_u32_e32 vcc_lo, 23, v124
	s_or_b32 s1, vcc_lo, s1
	s_waitcnt vmcnt(0) lgkmcnt(0)
	v_fmac_f32_e32 v123, v127, v128
	s_and_not1_b32 exec_lo, exec_lo, s1
	s_cbranch_execnz .LBB122_107
; %bb.108:
	s_or_b32 exec_lo, exec_lo, s1
	v_mov_b32_e32 v124, 0
	ds_load_b32 v124, v124 offset:100
	s_waitcnt lgkmcnt(0)
	v_mul_f32_e32 v123, v123, v124
	scratch_store_b32 off, v123, off offset:100
.LBB122_109:
	s_or_b32 exec_lo, exec_lo, s0
	s_waitcnt_vscnt null, 0x0
	s_barrier
	buffer_gl0_inv
	scratch_load_b32 v123, off, off offset:104
	;; [unrolled: 39-line block ×33, first 2 shown]
	s_mov_b32 s0, exec_lo
	s_waitcnt vmcnt(0)
	ds_store_b32 v2, v123
	s_waitcnt lgkmcnt(0)
	s_barrier
	buffer_gl0_inv
	v_cmpx_gt_u32_e32 57, v0
	s_cbranch_execz .LBB122_237
; %bb.234:
	v_add_nc_u32_e32 v123, -1, v0
	v_add_nc_u32_e32 v124, 0xf0, v121
	v_add_nc_u32_e32 v125, 0, v121
	v_mov_b32_e32 v121, 0
	s_mov_b32 s1, 0
.LBB122_235:                            ; =>This Inner Loop Header: Depth=1
	scratch_load_b32 v126, v125, off
	ds_load_b32 v127, v124
	v_add_nc_u32_e32 v123, 1, v123
	v_add_nc_u32_e32 v124, 4, v124
	;; [unrolled: 1-line block ×3, first 2 shown]
	s_delay_alu instid0(VALU_DEP_3)
	v_cmp_lt_u32_e32 vcc_lo, 55, v123
	s_or_b32 s1, vcc_lo, s1
	s_waitcnt vmcnt(0) lgkmcnt(0)
	v_fmac_f32_e32 v121, v126, v127
	s_and_not1_b32 exec_lo, exec_lo, s1
	s_cbranch_execnz .LBB122_235
; %bb.236:
	s_or_b32 exec_lo, exec_lo, s1
	v_mov_b32_e32 v123, 0
	ds_load_b32 v123, v123 offset:228
	s_waitcnt lgkmcnt(0)
	v_mul_f32_e32 v121, v121, v123
	scratch_store_b32 off, v121, off offset:228
.LBB122_237:
	s_or_b32 exec_lo, exec_lo, s0
	s_waitcnt_vscnt null, 0x0
	s_barrier
	buffer_gl0_inv
	scratch_load_b32 v121, off, off offset:232
	s_mov_b32 s0, exec_lo
	s_waitcnt vmcnt(0)
	ds_store_b32 v2, v121
	s_waitcnt lgkmcnt(0)
	s_barrier
	buffer_gl0_inv
	v_cmpx_ne_u32_e32 58, v0
	s_cbranch_execz .LBB122_241
; %bb.238:
	v_mov_b32_e32 v121, 0
	s_mov_b32 s1, 0
.LBB122_239:                            ; =>This Inner Loop Header: Depth=1
	scratch_load_b32 v123, v1, off
	ds_load_b32 v124, v2
	v_add_nc_u32_e32 v122, 1, v122
	v_add_nc_u32_e32 v2, 4, v2
	v_add_nc_u32_e32 v1, 4, v1
	s_waitcnt vmcnt(0) lgkmcnt(0)
	v_fmac_f32_e32 v121, v123, v124
	v_cmp_lt_u32_e32 vcc_lo, 56, v122
	s_or_b32 s1, vcc_lo, s1
	s_delay_alu instid0(SALU_CYCLE_1)
	s_and_not1_b32 exec_lo, exec_lo, s1
	s_cbranch_execnz .LBB122_239
; %bb.240:
	s_or_b32 exec_lo, exec_lo, s1
	v_mov_b32_e32 v1, 0
	ds_load_b32 v1, v1 offset:232
	s_waitcnt lgkmcnt(0)
	v_mul_f32_e32 v1, v121, v1
	scratch_store_b32 off, v1, off offset:232
.LBB122_241:
	s_or_b32 exec_lo, exec_lo, s0
	s_mov_b32 s1, -1
	s_waitcnt_vscnt null, 0x0
	s_barrier
	buffer_gl0_inv
.LBB122_242:
	s_and_b32 vcc_lo, exec_lo, s1
	s_cbranch_vccz .LBB122_244
; %bb.243:
	s_lshl_b64 s[0:1], s[8:9], 2
	v_mov_b32_e32 v1, 0
	s_add_u32 s0, s6, s0
	s_addc_u32 s1, s7, s1
	global_load_b32 v1, v1, s[0:1]
	s_waitcnt vmcnt(0)
	v_cmp_ne_u32_e32 vcc_lo, 0, v1
	s_cbranch_vccz .LBB122_245
.LBB122_244:
	s_endpgm
.LBB122_245:
	v_lshl_add_u32 v1, v0, 2, 0xf0
	s_mov_b32 s0, exec_lo
	v_cmpx_eq_u32_e32 58, v0
	s_cbranch_execz .LBB122_247
; %bb.246:
	scratch_load_b32 v2, off, off offset:228
	v_mov_b32_e32 v121, 0
	scratch_store_b32 off, v121, off offset:228
	s_waitcnt vmcnt(0)
	ds_store_b32 v1, v2
.LBB122_247:
	s_or_b32 exec_lo, exec_lo, s0
	s_waitcnt lgkmcnt(0)
	s_waitcnt_vscnt null, 0x0
	s_barrier
	buffer_gl0_inv
	scratch_load_b64 v[121:122], off, off offset:228
	v_mov_b32_e32 v2, 0
	s_mov_b32 s0, exec_lo
	ds_load_b32 v123, v2 offset:472
	s_waitcnt vmcnt(0) lgkmcnt(0)
	v_fma_f32 v122, v122, v123, 0
	s_delay_alu instid0(VALU_DEP_1)
	v_sub_f32_e32 v121, v121, v122
	scratch_store_b32 off, v121, off offset:228
	v_cmpx_lt_u32_e32 56, v0
	s_cbranch_execz .LBB122_249
; %bb.248:
	scratch_load_b32 v121, off, off offset:224
	scratch_store_b32 off, v2, off offset:224
	s_waitcnt vmcnt(0)
	ds_store_b32 v1, v121
.LBB122_249:
	s_or_b32 exec_lo, exec_lo, s0
	s_waitcnt lgkmcnt(0)
	s_waitcnt_vscnt null, 0x0
	s_barrier
	buffer_gl0_inv
	scratch_load_b96 v[121:123], off, off offset:224
	ds_load_2addr_b32 v[124:125], v2 offset0:117 offset1:118
	s_mov_b32 s0, exec_lo
	s_waitcnt vmcnt(0) lgkmcnt(0)
	v_fma_f32 v2, v122, v124, 0
	s_delay_alu instid0(VALU_DEP_1) | instskip(NEXT) | instid1(VALU_DEP_1)
	v_fmac_f32_e32 v2, v123, v125
	v_sub_f32_e32 v2, v121, v2
	scratch_store_b32 off, v2, off offset:224
	v_cmpx_lt_u32_e32 55, v0
	s_cbranch_execz .LBB122_251
; %bb.250:
	scratch_load_b32 v2, off, off offset:220
	v_mov_b32_e32 v121, 0
	scratch_store_b32 off, v121, off offset:220
	s_waitcnt vmcnt(0)
	ds_store_b32 v1, v2
.LBB122_251:
	s_or_b32 exec_lo, exec_lo, s0
	s_waitcnt lgkmcnt(0)
	s_waitcnt_vscnt null, 0x0
	s_barrier
	buffer_gl0_inv
	scratch_load_b128 v[121:124], off, off offset:220
	v_mov_b32_e32 v2, 0
	s_mov_b32 s0, exec_lo
	ds_load_b96 v[125:127], v2 offset:464
	s_waitcnt vmcnt(0) lgkmcnt(0)
	v_fma_f32 v122, v122, v125, 0
	s_delay_alu instid0(VALU_DEP_1) | instskip(NEXT) | instid1(VALU_DEP_1)
	v_fmac_f32_e32 v122, v123, v126
	v_fmac_f32_e32 v122, v124, v127
	s_delay_alu instid0(VALU_DEP_1)
	v_sub_f32_e32 v121, v121, v122
	scratch_store_b32 off, v121, off offset:220
	v_cmpx_lt_u32_e32 54, v0
	s_cbranch_execz .LBB122_253
; %bb.252:
	scratch_load_b32 v121, off, off offset:216
	scratch_store_b32 off, v2, off offset:216
	s_waitcnt vmcnt(0)
	ds_store_b32 v1, v121
.LBB122_253:
	s_or_b32 exec_lo, exec_lo, s0
	s_waitcnt lgkmcnt(0)
	s_waitcnt_vscnt null, 0x0
	s_barrier
	buffer_gl0_inv
	s_clause 0x1
	scratch_load_b128 v[121:124], off, off offset:216
	scratch_load_b32 v129, off, off offset:232
	ds_load_2addr_b32 v[125:126], v2 offset0:115 offset1:116
	ds_load_2addr_b32 v[127:128], v2 offset0:117 offset1:118
	s_mov_b32 s0, exec_lo
	s_waitcnt vmcnt(1) lgkmcnt(1)
	v_fma_f32 v2, v122, v125, 0
	s_delay_alu instid0(VALU_DEP_1) | instskip(SKIP_1) | instid1(VALU_DEP_1)
	v_fmac_f32_e32 v2, v123, v126
	s_waitcnt lgkmcnt(0)
	v_fmac_f32_e32 v2, v124, v127
	s_waitcnt vmcnt(0)
	s_delay_alu instid0(VALU_DEP_1) | instskip(NEXT) | instid1(VALU_DEP_1)
	v_fmac_f32_e32 v2, v129, v128
	v_sub_f32_e32 v2, v121, v2
	scratch_store_b32 off, v2, off offset:216
	v_cmpx_lt_u32_e32 53, v0
	s_cbranch_execz .LBB122_255
; %bb.254:
	scratch_load_b32 v2, off, off offset:212
	v_mov_b32_e32 v121, 0
	scratch_store_b32 off, v121, off offset:212
	s_waitcnt vmcnt(0)
	ds_store_b32 v1, v2
.LBB122_255:
	s_or_b32 exec_lo, exec_lo, s0
	s_waitcnt lgkmcnt(0)
	s_waitcnt_vscnt null, 0x0
	s_barrier
	buffer_gl0_inv
	s_clause 0x1
	scratch_load_b128 v[121:124], off, off offset:212
	scratch_load_b64 v[129:130], off, off offset:228
	v_mov_b32_e32 v2, 0
	ds_load_2addr_b64 v[125:128], v2 offset0:57 offset1:58
	ds_load_b32 v131, v2 offset:472
	s_mov_b32 s0, exec_lo
	s_waitcnt vmcnt(1) lgkmcnt(1)
	v_fma_f32 v122, v122, v125, 0
	s_delay_alu instid0(VALU_DEP_1) | instskip(NEXT) | instid1(VALU_DEP_1)
	v_fmac_f32_e32 v122, v123, v126
	v_fmac_f32_e32 v122, v124, v127
	s_waitcnt vmcnt(0)
	s_delay_alu instid0(VALU_DEP_1) | instskip(SKIP_1) | instid1(VALU_DEP_1)
	v_fmac_f32_e32 v122, v129, v128
	s_waitcnt lgkmcnt(0)
	v_fmac_f32_e32 v122, v130, v131
	s_delay_alu instid0(VALU_DEP_1)
	v_sub_f32_e32 v121, v121, v122
	scratch_store_b32 off, v121, off offset:212
	v_cmpx_lt_u32_e32 52, v0
	s_cbranch_execz .LBB122_257
; %bb.256:
	scratch_load_b32 v121, off, off offset:208
	scratch_store_b32 off, v2, off offset:208
	s_waitcnt vmcnt(0)
	ds_store_b32 v1, v121
.LBB122_257:
	s_or_b32 exec_lo, exec_lo, s0
	s_waitcnt lgkmcnt(0)
	s_waitcnt_vscnt null, 0x0
	s_barrier
	buffer_gl0_inv
	s_clause 0x1
	scratch_load_b128 v[121:124], off, off offset:208
	scratch_load_b96 v[125:127], off, off offset:224
	ds_load_2addr_b32 v[128:129], v2 offset0:113 offset1:114
	ds_load_2addr_b32 v[130:131], v2 offset0:115 offset1:116
	;; [unrolled: 1-line block ×3, first 2 shown]
	s_mov_b32 s0, exec_lo
	s_waitcnt vmcnt(1) lgkmcnt(2)
	v_fma_f32 v2, v122, v128, 0
	s_delay_alu instid0(VALU_DEP_1) | instskip(SKIP_1) | instid1(VALU_DEP_1)
	v_fmac_f32_e32 v2, v123, v129
	s_waitcnt lgkmcnt(1)
	v_fmac_f32_e32 v2, v124, v130
	s_waitcnt vmcnt(0)
	s_delay_alu instid0(VALU_DEP_1) | instskip(SKIP_1) | instid1(VALU_DEP_1)
	v_fmac_f32_e32 v2, v125, v131
	s_waitcnt lgkmcnt(0)
	v_fmac_f32_e32 v2, v126, v132
	s_delay_alu instid0(VALU_DEP_1) | instskip(NEXT) | instid1(VALU_DEP_1)
	v_fmac_f32_e32 v2, v127, v133
	v_sub_f32_e32 v2, v121, v2
	scratch_store_b32 off, v2, off offset:208
	v_cmpx_lt_u32_e32 51, v0
	s_cbranch_execz .LBB122_259
; %bb.258:
	scratch_load_b32 v2, off, off offset:204
	v_mov_b32_e32 v121, 0
	scratch_store_b32 off, v121, off offset:204
	s_waitcnt vmcnt(0)
	ds_store_b32 v1, v2
.LBB122_259:
	s_or_b32 exec_lo, exec_lo, s0
	s_waitcnt lgkmcnt(0)
	s_waitcnt_vscnt null, 0x0
	s_barrier
	buffer_gl0_inv
	s_clause 0x1
	scratch_load_b128 v[121:124], off, off offset:204
	scratch_load_b128 v[125:128], off, off offset:220
	v_mov_b32_e32 v2, 0
	ds_load_b128 v[129:132], v2 offset:448
	ds_load_b96 v[133:135], v2 offset:464
	s_mov_b32 s0, exec_lo
	s_waitcnt vmcnt(1) lgkmcnt(1)
	v_fma_f32 v122, v122, v129, 0
	s_delay_alu instid0(VALU_DEP_1) | instskip(NEXT) | instid1(VALU_DEP_1)
	v_fmac_f32_e32 v122, v123, v130
	v_fmac_f32_e32 v122, v124, v131
	s_waitcnt vmcnt(0)
	s_delay_alu instid0(VALU_DEP_1) | instskip(SKIP_1) | instid1(VALU_DEP_1)
	v_fmac_f32_e32 v122, v125, v132
	s_waitcnt lgkmcnt(0)
	v_fmac_f32_e32 v122, v126, v133
	s_delay_alu instid0(VALU_DEP_1) | instskip(NEXT) | instid1(VALU_DEP_1)
	v_fmac_f32_e32 v122, v127, v134
	v_fmac_f32_e32 v122, v128, v135
	s_delay_alu instid0(VALU_DEP_1)
	v_sub_f32_e32 v121, v121, v122
	scratch_store_b32 off, v121, off offset:204
	v_cmpx_lt_u32_e32 50, v0
	s_cbranch_execz .LBB122_261
; %bb.260:
	scratch_load_b32 v121, off, off offset:200
	scratch_store_b32 off, v2, off offset:200
	s_waitcnt vmcnt(0)
	ds_store_b32 v1, v121
.LBB122_261:
	s_or_b32 exec_lo, exec_lo, s0
	s_waitcnt lgkmcnt(0)
	s_waitcnt_vscnt null, 0x0
	s_barrier
	buffer_gl0_inv
	s_clause 0x2
	scratch_load_b128 v[121:124], off, off offset:200
	scratch_load_b128 v[125:128], off, off offset:216
	scratch_load_b32 v137, off, off offset:232
	ds_load_2addr_b32 v[129:130], v2 offset0:111 offset1:112
	ds_load_2addr_b32 v[131:132], v2 offset0:113 offset1:114
	;; [unrolled: 1-line block ×4, first 2 shown]
	s_mov_b32 s0, exec_lo
	s_waitcnt vmcnt(2) lgkmcnt(3)
	v_fma_f32 v2, v122, v129, 0
	s_delay_alu instid0(VALU_DEP_1) | instskip(SKIP_1) | instid1(VALU_DEP_1)
	v_fmac_f32_e32 v2, v123, v130
	s_waitcnt lgkmcnt(2)
	v_fmac_f32_e32 v2, v124, v131
	s_waitcnt vmcnt(1)
	s_delay_alu instid0(VALU_DEP_1) | instskip(SKIP_1) | instid1(VALU_DEP_1)
	v_fmac_f32_e32 v2, v125, v132
	s_waitcnt lgkmcnt(1)
	v_fmac_f32_e32 v2, v126, v133
	s_delay_alu instid0(VALU_DEP_1) | instskip(SKIP_1) | instid1(VALU_DEP_1)
	v_fmac_f32_e32 v2, v127, v134
	s_waitcnt lgkmcnt(0)
	v_fmac_f32_e32 v2, v128, v135
	s_waitcnt vmcnt(0)
	s_delay_alu instid0(VALU_DEP_1) | instskip(NEXT) | instid1(VALU_DEP_1)
	v_fmac_f32_e32 v2, v137, v136
	v_sub_f32_e32 v2, v121, v2
	scratch_store_b32 off, v2, off offset:200
	v_cmpx_lt_u32_e32 49, v0
	s_cbranch_execz .LBB122_263
; %bb.262:
	scratch_load_b32 v2, off, off offset:196
	v_mov_b32_e32 v121, 0
	scratch_store_b32 off, v121, off offset:196
	s_waitcnt vmcnt(0)
	ds_store_b32 v1, v2
.LBB122_263:
	s_or_b32 exec_lo, exec_lo, s0
	s_waitcnt lgkmcnt(0)
	s_waitcnt_vscnt null, 0x0
	s_barrier
	buffer_gl0_inv
	s_clause 0x2
	scratch_load_b128 v[121:124], off, off offset:196
	scratch_load_b128 v[125:128], off, off offset:212
	scratch_load_b64 v[137:138], off, off offset:228
	v_mov_b32_e32 v2, 0
	ds_load_2addr_b64 v[129:132], v2 offset0:55 offset1:56
	ds_load_2addr_b64 v[133:136], v2 offset0:57 offset1:58
	s_mov_b32 s0, exec_lo
	s_waitcnt vmcnt(2) lgkmcnt(1)
	v_fma_f32 v122, v122, v129, 0
	s_delay_alu instid0(VALU_DEP_1) | instskip(SKIP_3) | instid1(VALU_DEP_1)
	v_fmac_f32_e32 v122, v123, v130
	ds_load_b32 v123, v2 offset:472
	v_fmac_f32_e32 v122, v124, v131
	s_waitcnt vmcnt(1)
	v_fmac_f32_e32 v122, v125, v132
	s_waitcnt lgkmcnt(1)
	s_delay_alu instid0(VALU_DEP_1) | instskip(NEXT) | instid1(VALU_DEP_1)
	v_fmac_f32_e32 v122, v126, v133
	v_fmac_f32_e32 v122, v127, v134
	s_delay_alu instid0(VALU_DEP_1) | instskip(SKIP_1) | instid1(VALU_DEP_1)
	v_fmac_f32_e32 v122, v128, v135
	s_waitcnt vmcnt(0)
	v_fmac_f32_e32 v122, v137, v136
	s_waitcnt lgkmcnt(0)
	s_delay_alu instid0(VALU_DEP_1) | instskip(NEXT) | instid1(VALU_DEP_1)
	v_fmac_f32_e32 v122, v138, v123
	v_sub_f32_e32 v121, v121, v122
	scratch_store_b32 off, v121, off offset:196
	v_cmpx_lt_u32_e32 48, v0
	s_cbranch_execz .LBB122_265
; %bb.264:
	scratch_load_b32 v121, off, off offset:192
	scratch_store_b32 off, v2, off offset:192
	s_waitcnt vmcnt(0)
	ds_store_b32 v1, v121
.LBB122_265:
	s_or_b32 exec_lo, exec_lo, s0
	s_waitcnt lgkmcnt(0)
	s_waitcnt_vscnt null, 0x0
	s_barrier
	buffer_gl0_inv
	s_clause 0x2
	scratch_load_b128 v[121:124], off, off offset:192
	scratch_load_b128 v[125:128], off, off offset:208
	scratch_load_b96 v[129:131], off, off offset:224
	ds_load_2addr_b32 v[132:133], v2 offset0:109 offset1:110
	ds_load_2addr_b32 v[134:135], v2 offset0:111 offset1:112
	ds_load_2addr_b32 v[136:137], v2 offset0:113 offset1:114
	ds_load_2addr_b32 v[138:139], v2 offset0:115 offset1:116
	s_mov_b32 s0, exec_lo
	s_waitcnt vmcnt(2) lgkmcnt(3)
	v_fma_f32 v132, v122, v132, 0
	s_delay_alu instid0(VALU_DEP_1) | instskip(SKIP_4) | instid1(VALU_DEP_1)
	v_fmac_f32_e32 v132, v123, v133
	ds_load_2addr_b32 v[122:123], v2 offset0:117 offset1:118
	s_waitcnt lgkmcnt(3)
	v_fmac_f32_e32 v132, v124, v134
	s_waitcnt vmcnt(1)
	v_fmac_f32_e32 v132, v125, v135
	s_waitcnt lgkmcnt(2)
	s_delay_alu instid0(VALU_DEP_1) | instskip(NEXT) | instid1(VALU_DEP_1)
	v_fmac_f32_e32 v132, v126, v136
	v_fmac_f32_e32 v132, v127, v137
	s_waitcnt lgkmcnt(1)
	s_delay_alu instid0(VALU_DEP_1) | instskip(SKIP_1) | instid1(VALU_DEP_1)
	v_fmac_f32_e32 v132, v128, v138
	s_waitcnt vmcnt(0)
	v_fmac_f32_e32 v132, v129, v139
	s_waitcnt lgkmcnt(0)
	s_delay_alu instid0(VALU_DEP_1) | instskip(NEXT) | instid1(VALU_DEP_1)
	v_fmac_f32_e32 v132, v130, v122
	v_fmac_f32_e32 v132, v131, v123
	s_delay_alu instid0(VALU_DEP_1)
	v_sub_f32_e32 v2, v121, v132
	scratch_store_b32 off, v2, off offset:192
	v_cmpx_lt_u32_e32 47, v0
	s_cbranch_execz .LBB122_267
; %bb.266:
	scratch_load_b32 v2, off, off offset:188
	v_mov_b32_e32 v121, 0
	scratch_store_b32 off, v121, off offset:188
	s_waitcnt vmcnt(0)
	ds_store_b32 v1, v2
.LBB122_267:
	s_or_b32 exec_lo, exec_lo, s0
	s_waitcnt lgkmcnt(0)
	s_waitcnt_vscnt null, 0x0
	s_barrier
	buffer_gl0_inv
	s_clause 0x2
	scratch_load_b128 v[121:124], off, off offset:188
	scratch_load_b128 v[125:128], off, off offset:204
	;; [unrolled: 1-line block ×3, first 2 shown]
	v_mov_b32_e32 v2, 0
	ds_load_b128 v[133:136], v2 offset:432
	ds_load_b128 v[137:140], v2 offset:448
	s_mov_b32 s0, exec_lo
	s_waitcnt vmcnt(2) lgkmcnt(1)
	v_fma_f32 v133, v122, v133, 0
	s_delay_alu instid0(VALU_DEP_1) | instskip(NEXT) | instid1(VALU_DEP_1)
	v_fmac_f32_e32 v133, v123, v134
	v_fmac_f32_e32 v133, v124, v135
	ds_load_b96 v[122:124], v2 offset:464
	s_waitcnt vmcnt(1)
	v_fmac_f32_e32 v133, v125, v136
	s_waitcnt lgkmcnt(1)
	s_delay_alu instid0(VALU_DEP_1) | instskip(NEXT) | instid1(VALU_DEP_1)
	v_fmac_f32_e32 v133, v126, v137
	v_fmac_f32_e32 v133, v127, v138
	s_delay_alu instid0(VALU_DEP_1) | instskip(SKIP_1) | instid1(VALU_DEP_1)
	v_fmac_f32_e32 v133, v128, v139
	s_waitcnt vmcnt(0)
	v_fmac_f32_e32 v133, v129, v140
	s_waitcnt lgkmcnt(0)
	s_delay_alu instid0(VALU_DEP_1) | instskip(NEXT) | instid1(VALU_DEP_1)
	v_fmac_f32_e32 v133, v130, v122
	v_fmac_f32_e32 v133, v131, v123
	s_delay_alu instid0(VALU_DEP_1) | instskip(NEXT) | instid1(VALU_DEP_1)
	v_fmac_f32_e32 v133, v132, v124
	v_sub_f32_e32 v121, v121, v133
	scratch_store_b32 off, v121, off offset:188
	v_cmpx_lt_u32_e32 46, v0
	s_cbranch_execz .LBB122_269
; %bb.268:
	scratch_load_b32 v121, off, off offset:184
	scratch_store_b32 off, v2, off offset:184
	s_waitcnt vmcnt(0)
	ds_store_b32 v1, v121
.LBB122_269:
	s_or_b32 exec_lo, exec_lo, s0
	s_waitcnt lgkmcnt(0)
	s_waitcnt_vscnt null, 0x0
	s_barrier
	buffer_gl0_inv
	s_clause 0x3
	scratch_load_b128 v[121:124], off, off offset:184
	scratch_load_b128 v[125:128], off, off offset:200
	;; [unrolled: 1-line block ×3, first 2 shown]
	scratch_load_b32 v141, off, off offset:232
	ds_load_2addr_b32 v[133:134], v2 offset0:107 offset1:108
	ds_load_2addr_b32 v[135:136], v2 offset0:109 offset1:110
	;; [unrolled: 1-line block ×4, first 2 shown]
	s_mov_b32 s0, exec_lo
	s_waitcnt vmcnt(3) lgkmcnt(3)
	v_fma_f32 v133, v122, v133, 0
	s_delay_alu instid0(VALU_DEP_1) | instskip(SKIP_4) | instid1(VALU_DEP_1)
	v_fmac_f32_e32 v133, v123, v134
	ds_load_2addr_b32 v[122:123], v2 offset0:115 offset1:116
	s_waitcnt lgkmcnt(3)
	v_fmac_f32_e32 v133, v124, v135
	s_waitcnt vmcnt(2)
	v_fmac_f32_e32 v133, v125, v136
	ds_load_2addr_b32 v[124:125], v2 offset0:117 offset1:118
	s_waitcnt lgkmcnt(3)
	v_fmac_f32_e32 v133, v126, v137
	s_delay_alu instid0(VALU_DEP_1) | instskip(SKIP_1) | instid1(VALU_DEP_1)
	v_fmac_f32_e32 v133, v127, v138
	s_waitcnt lgkmcnt(2)
	v_fmac_f32_e32 v133, v128, v139
	s_waitcnt vmcnt(1)
	s_delay_alu instid0(VALU_DEP_1) | instskip(SKIP_1) | instid1(VALU_DEP_1)
	v_fmac_f32_e32 v133, v129, v140
	s_waitcnt lgkmcnt(1)
	v_fmac_f32_e32 v133, v130, v122
	s_delay_alu instid0(VALU_DEP_1) | instskip(SKIP_1) | instid1(VALU_DEP_1)
	v_fmac_f32_e32 v133, v131, v123
	s_waitcnt lgkmcnt(0)
	v_fmac_f32_e32 v133, v132, v124
	s_waitcnt vmcnt(0)
	s_delay_alu instid0(VALU_DEP_1) | instskip(NEXT) | instid1(VALU_DEP_1)
	v_fmac_f32_e32 v133, v141, v125
	v_sub_f32_e32 v2, v121, v133
	scratch_store_b32 off, v2, off offset:184
	v_cmpx_lt_u32_e32 45, v0
	s_cbranch_execz .LBB122_271
; %bb.270:
	scratch_load_b32 v2, off, off offset:180
	v_mov_b32_e32 v121, 0
	scratch_store_b32 off, v121, off offset:180
	s_waitcnt vmcnt(0)
	ds_store_b32 v1, v2
.LBB122_271:
	s_or_b32 exec_lo, exec_lo, s0
	s_waitcnt lgkmcnt(0)
	s_waitcnt_vscnt null, 0x0
	s_barrier
	buffer_gl0_inv
	s_clause 0x3
	scratch_load_b128 v[121:124], off, off offset:180
	scratch_load_b128 v[125:128], off, off offset:196
	;; [unrolled: 1-line block ×3, first 2 shown]
	scratch_load_b64 v[141:142], off, off offset:228
	v_mov_b32_e32 v2, 0
	ds_load_2addr_b64 v[133:136], v2 offset0:53 offset1:54
	ds_load_2addr_b64 v[137:140], v2 offset0:55 offset1:56
	s_mov_b32 s0, exec_lo
	s_waitcnt vmcnt(3) lgkmcnt(1)
	v_fma_f32 v133, v122, v133, 0
	s_delay_alu instid0(VALU_DEP_1) | instskip(NEXT) | instid1(VALU_DEP_1)
	v_fmac_f32_e32 v133, v123, v134
	v_fmac_f32_e32 v133, v124, v135
	s_waitcnt vmcnt(2)
	s_delay_alu instid0(VALU_DEP_1)
	v_fmac_f32_e32 v133, v125, v136
	ds_load_2addr_b64 v[122:125], v2 offset0:57 offset1:58
	s_waitcnt lgkmcnt(1)
	v_fmac_f32_e32 v133, v126, v137
	ds_load_b32 v126, v2 offset:472
	v_fmac_f32_e32 v133, v127, v138
	s_delay_alu instid0(VALU_DEP_1) | instskip(SKIP_1) | instid1(VALU_DEP_1)
	v_fmac_f32_e32 v133, v128, v139
	s_waitcnt vmcnt(1)
	v_fmac_f32_e32 v133, v129, v140
	s_waitcnt lgkmcnt(1)
	s_delay_alu instid0(VALU_DEP_1) | instskip(NEXT) | instid1(VALU_DEP_1)
	v_fmac_f32_e32 v133, v130, v122
	v_fmac_f32_e32 v133, v131, v123
	s_delay_alu instid0(VALU_DEP_1) | instskip(SKIP_1) | instid1(VALU_DEP_1)
	v_fmac_f32_e32 v133, v132, v124
	s_waitcnt vmcnt(0)
	v_fmac_f32_e32 v133, v141, v125
	s_waitcnt lgkmcnt(0)
	s_delay_alu instid0(VALU_DEP_1) | instskip(NEXT) | instid1(VALU_DEP_1)
	v_fmac_f32_e32 v133, v142, v126
	v_sub_f32_e32 v121, v121, v133
	scratch_store_b32 off, v121, off offset:180
	v_cmpx_lt_u32_e32 44, v0
	s_cbranch_execz .LBB122_273
; %bb.272:
	scratch_load_b32 v121, off, off offset:176
	scratch_store_b32 off, v2, off offset:176
	s_waitcnt vmcnt(0)
	ds_store_b32 v1, v121
.LBB122_273:
	s_or_b32 exec_lo, exec_lo, s0
	s_waitcnt lgkmcnt(0)
	s_waitcnt_vscnt null, 0x0
	s_barrier
	buffer_gl0_inv
	s_clause 0x3
	scratch_load_b128 v[121:124], off, off offset:176
	scratch_load_b128 v[125:128], off, off offset:192
	;; [unrolled: 1-line block ×3, first 2 shown]
	scratch_load_b96 v[133:135], off, off offset:224
	ds_load_2addr_b32 v[136:137], v2 offset0:105 offset1:106
	ds_load_2addr_b32 v[138:139], v2 offset0:107 offset1:108
	;; [unrolled: 1-line block ×4, first 2 shown]
	s_mov_b32 s0, exec_lo
	s_waitcnt vmcnt(3) lgkmcnt(3)
	v_fma_f32 v136, v122, v136, 0
	s_delay_alu instid0(VALU_DEP_1) | instskip(SKIP_4) | instid1(VALU_DEP_1)
	v_fmac_f32_e32 v136, v123, v137
	ds_load_2addr_b32 v[122:123], v2 offset0:113 offset1:114
	s_waitcnt lgkmcnt(3)
	v_fmac_f32_e32 v136, v124, v138
	s_waitcnt vmcnt(2)
	v_fmac_f32_e32 v136, v125, v139
	ds_load_2addr_b32 v[124:125], v2 offset0:115 offset1:116
	s_waitcnt lgkmcnt(3)
	v_fmac_f32_e32 v136, v126, v140
	s_delay_alu instid0(VALU_DEP_1) | instskip(SKIP_4) | instid1(VALU_DEP_1)
	v_fmac_f32_e32 v136, v127, v141
	ds_load_2addr_b32 v[126:127], v2 offset0:117 offset1:118
	s_waitcnt lgkmcnt(3)
	v_fmac_f32_e32 v136, v128, v142
	s_waitcnt vmcnt(1)
	v_fmac_f32_e32 v136, v129, v143
	s_waitcnt lgkmcnt(2)
	s_delay_alu instid0(VALU_DEP_1) | instskip(NEXT) | instid1(VALU_DEP_1)
	v_fmac_f32_e32 v136, v130, v122
	v_fmac_f32_e32 v136, v131, v123
	s_waitcnt lgkmcnt(1)
	s_delay_alu instid0(VALU_DEP_1) | instskip(SKIP_1) | instid1(VALU_DEP_1)
	v_fmac_f32_e32 v136, v132, v124
	s_waitcnt vmcnt(0)
	v_fmac_f32_e32 v136, v133, v125
	s_waitcnt lgkmcnt(0)
	s_delay_alu instid0(VALU_DEP_1) | instskip(NEXT) | instid1(VALU_DEP_1)
	v_fmac_f32_e32 v136, v134, v126
	v_fmac_f32_e32 v136, v135, v127
	s_delay_alu instid0(VALU_DEP_1)
	v_sub_f32_e32 v2, v121, v136
	scratch_store_b32 off, v2, off offset:176
	v_cmpx_lt_u32_e32 43, v0
	s_cbranch_execz .LBB122_275
; %bb.274:
	scratch_load_b32 v2, off, off offset:172
	v_mov_b32_e32 v121, 0
	scratch_store_b32 off, v121, off offset:172
	s_waitcnt vmcnt(0)
	ds_store_b32 v1, v2
.LBB122_275:
	s_or_b32 exec_lo, exec_lo, s0
	s_waitcnt lgkmcnt(0)
	s_waitcnt_vscnt null, 0x0
	s_barrier
	buffer_gl0_inv
	s_clause 0x3
	scratch_load_b128 v[121:124], off, off offset:172
	scratch_load_b128 v[125:128], off, off offset:188
	scratch_load_b128 v[129:132], off, off offset:204
	scratch_load_b128 v[133:136], off, off offset:220
	v_mov_b32_e32 v2, 0
	ds_load_b128 v[137:140], v2 offset:416
	ds_load_b128 v[141:144], v2 offset:432
	s_mov_b32 s0, exec_lo
	s_waitcnt vmcnt(3) lgkmcnt(1)
	v_fma_f32 v137, v122, v137, 0
	s_delay_alu instid0(VALU_DEP_1) | instskip(NEXT) | instid1(VALU_DEP_1)
	v_fmac_f32_e32 v137, v123, v138
	v_fmac_f32_e32 v137, v124, v139
	s_waitcnt vmcnt(2)
	s_delay_alu instid0(VALU_DEP_1) | instskip(SKIP_3) | instid1(VALU_DEP_1)
	v_fmac_f32_e32 v137, v125, v140
	ds_load_b128 v[122:125], v2 offset:448
	s_waitcnt lgkmcnt(1)
	v_fmac_f32_e32 v137, v126, v141
	v_fmac_f32_e32 v137, v127, v142
	s_delay_alu instid0(VALU_DEP_1) | instskip(SKIP_4) | instid1(VALU_DEP_1)
	v_fmac_f32_e32 v137, v128, v143
	ds_load_b96 v[126:128], v2 offset:464
	s_waitcnt vmcnt(1)
	v_fmac_f32_e32 v137, v129, v144
	s_waitcnt lgkmcnt(1)
	v_fmac_f32_e32 v137, v130, v122
	s_delay_alu instid0(VALU_DEP_1) | instskip(NEXT) | instid1(VALU_DEP_1)
	v_fmac_f32_e32 v137, v131, v123
	v_fmac_f32_e32 v137, v132, v124
	s_waitcnt vmcnt(0)
	s_delay_alu instid0(VALU_DEP_1) | instskip(SKIP_1) | instid1(VALU_DEP_1)
	v_fmac_f32_e32 v137, v133, v125
	s_waitcnt lgkmcnt(0)
	v_fmac_f32_e32 v137, v134, v126
	s_delay_alu instid0(VALU_DEP_1) | instskip(NEXT) | instid1(VALU_DEP_1)
	v_fmac_f32_e32 v137, v135, v127
	v_fmac_f32_e32 v137, v136, v128
	s_delay_alu instid0(VALU_DEP_1)
	v_sub_f32_e32 v121, v121, v137
	scratch_store_b32 off, v121, off offset:172
	v_cmpx_lt_u32_e32 42, v0
	s_cbranch_execz .LBB122_277
; %bb.276:
	scratch_load_b32 v121, off, off offset:168
	scratch_store_b32 off, v2, off offset:168
	s_waitcnt vmcnt(0)
	ds_store_b32 v1, v121
.LBB122_277:
	s_or_b32 exec_lo, exec_lo, s0
	s_waitcnt lgkmcnt(0)
	s_waitcnt_vscnt null, 0x0
	s_barrier
	buffer_gl0_inv
	s_clause 0x4
	scratch_load_b128 v[121:124], off, off offset:168
	scratch_load_b128 v[125:128], off, off offset:184
	;; [unrolled: 1-line block ×4, first 2 shown]
	scratch_load_b32 v145, off, off offset:232
	ds_load_2addr_b32 v[137:138], v2 offset0:103 offset1:104
	ds_load_2addr_b32 v[139:140], v2 offset0:105 offset1:106
	;; [unrolled: 1-line block ×4, first 2 shown]
	s_mov_b32 s0, exec_lo
	s_waitcnt vmcnt(4) lgkmcnt(3)
	v_fma_f32 v137, v122, v137, 0
	s_delay_alu instid0(VALU_DEP_1) | instskip(SKIP_4) | instid1(VALU_DEP_1)
	v_fmac_f32_e32 v137, v123, v138
	ds_load_2addr_b32 v[122:123], v2 offset0:111 offset1:112
	s_waitcnt lgkmcnt(3)
	v_fmac_f32_e32 v137, v124, v139
	s_waitcnt vmcnt(3)
	v_fmac_f32_e32 v137, v125, v140
	ds_load_2addr_b32 v[124:125], v2 offset0:113 offset1:114
	s_waitcnt lgkmcnt(3)
	v_fmac_f32_e32 v137, v126, v141
	s_delay_alu instid0(VALU_DEP_1) | instskip(SKIP_1) | instid1(VALU_DEP_1)
	v_fmac_f32_e32 v137, v127, v142
	s_waitcnt lgkmcnt(2)
	v_fmac_f32_e32 v137, v128, v143
	s_waitcnt vmcnt(2)
	s_delay_alu instid0(VALU_DEP_1) | instskip(SKIP_4) | instid1(VALU_DEP_1)
	v_fmac_f32_e32 v137, v129, v144
	ds_load_2addr_b32 v[126:127], v2 offset0:115 offset1:116
	ds_load_2addr_b32 v[128:129], v2 offset0:117 offset1:118
	s_waitcnt lgkmcnt(3)
	v_fmac_f32_e32 v137, v130, v122
	v_fmac_f32_e32 v137, v131, v123
	s_waitcnt lgkmcnt(2)
	s_delay_alu instid0(VALU_DEP_1) | instskip(SKIP_1) | instid1(VALU_DEP_1)
	v_fmac_f32_e32 v137, v132, v124
	s_waitcnt vmcnt(1)
	v_fmac_f32_e32 v137, v133, v125
	s_waitcnt lgkmcnt(1)
	s_delay_alu instid0(VALU_DEP_1) | instskip(NEXT) | instid1(VALU_DEP_1)
	v_fmac_f32_e32 v137, v134, v126
	v_fmac_f32_e32 v137, v135, v127
	s_waitcnt lgkmcnt(0)
	s_delay_alu instid0(VALU_DEP_1) | instskip(SKIP_1) | instid1(VALU_DEP_1)
	v_fmac_f32_e32 v137, v136, v128
	s_waitcnt vmcnt(0)
	v_fmac_f32_e32 v137, v145, v129
	s_delay_alu instid0(VALU_DEP_1)
	v_sub_f32_e32 v2, v121, v137
	scratch_store_b32 off, v2, off offset:168
	v_cmpx_lt_u32_e32 41, v0
	s_cbranch_execz .LBB122_279
; %bb.278:
	scratch_load_b32 v2, off, off offset:164
	v_mov_b32_e32 v121, 0
	scratch_store_b32 off, v121, off offset:164
	s_waitcnt vmcnt(0)
	ds_store_b32 v1, v2
.LBB122_279:
	s_or_b32 exec_lo, exec_lo, s0
	s_waitcnt lgkmcnt(0)
	s_waitcnt_vscnt null, 0x0
	s_barrier
	buffer_gl0_inv
	s_clause 0x4
	scratch_load_b128 v[121:124], off, off offset:164
	scratch_load_b128 v[125:128], off, off offset:180
	;; [unrolled: 1-line block ×4, first 2 shown]
	scratch_load_b64 v[145:146], off, off offset:228
	v_mov_b32_e32 v2, 0
	ds_load_2addr_b64 v[137:140], v2 offset0:51 offset1:52
	ds_load_2addr_b64 v[141:144], v2 offset0:53 offset1:54
	s_mov_b32 s0, exec_lo
	s_waitcnt vmcnt(4) lgkmcnt(1)
	v_fma_f32 v137, v122, v137, 0
	s_delay_alu instid0(VALU_DEP_1) | instskip(NEXT) | instid1(VALU_DEP_1)
	v_fmac_f32_e32 v137, v123, v138
	v_fmac_f32_e32 v137, v124, v139
	s_waitcnt vmcnt(3)
	s_delay_alu instid0(VALU_DEP_1) | instskip(SKIP_3) | instid1(VALU_DEP_1)
	v_fmac_f32_e32 v137, v125, v140
	ds_load_2addr_b64 v[122:125], v2 offset0:55 offset1:56
	s_waitcnt lgkmcnt(1)
	v_fmac_f32_e32 v137, v126, v141
	v_fmac_f32_e32 v137, v127, v142
	s_delay_alu instid0(VALU_DEP_1) | instskip(SKIP_1) | instid1(VALU_DEP_1)
	v_fmac_f32_e32 v137, v128, v143
	s_waitcnt vmcnt(2)
	v_fmac_f32_e32 v137, v129, v144
	ds_load_2addr_b64 v[126:129], v2 offset0:57 offset1:58
	s_waitcnt lgkmcnt(1)
	v_fmac_f32_e32 v137, v130, v122
	ds_load_b32 v122, v2 offset:472
	v_fmac_f32_e32 v137, v131, v123
	s_delay_alu instid0(VALU_DEP_1) | instskip(SKIP_1) | instid1(VALU_DEP_1)
	v_fmac_f32_e32 v137, v132, v124
	s_waitcnt vmcnt(1)
	v_fmac_f32_e32 v137, v133, v125
	s_waitcnt lgkmcnt(1)
	s_delay_alu instid0(VALU_DEP_1) | instskip(NEXT) | instid1(VALU_DEP_1)
	v_fmac_f32_e32 v137, v134, v126
	v_fmac_f32_e32 v137, v135, v127
	s_delay_alu instid0(VALU_DEP_1) | instskip(SKIP_1) | instid1(VALU_DEP_1)
	v_fmac_f32_e32 v137, v136, v128
	s_waitcnt vmcnt(0)
	v_fmac_f32_e32 v137, v145, v129
	s_waitcnt lgkmcnt(0)
	s_delay_alu instid0(VALU_DEP_1) | instskip(NEXT) | instid1(VALU_DEP_1)
	v_fmac_f32_e32 v137, v146, v122
	v_sub_f32_e32 v121, v121, v137
	scratch_store_b32 off, v121, off offset:164
	v_cmpx_lt_u32_e32 40, v0
	s_cbranch_execz .LBB122_281
; %bb.280:
	scratch_load_b32 v121, off, off offset:160
	scratch_store_b32 off, v2, off offset:160
	s_waitcnt vmcnt(0)
	ds_store_b32 v1, v121
.LBB122_281:
	s_or_b32 exec_lo, exec_lo, s0
	s_waitcnt lgkmcnt(0)
	s_waitcnt_vscnt null, 0x0
	s_barrier
	buffer_gl0_inv
	s_clause 0x4
	scratch_load_b128 v[121:124], off, off offset:160
	scratch_load_b128 v[125:128], off, off offset:176
	;; [unrolled: 1-line block ×4, first 2 shown]
	scratch_load_b96 v[137:139], off, off offset:224
	ds_load_2addr_b32 v[140:141], v2 offset0:101 offset1:102
	ds_load_2addr_b32 v[142:143], v2 offset0:103 offset1:104
	ds_load_2addr_b32 v[144:145], v2 offset0:105 offset1:106
	ds_load_2addr_b32 v[146:147], v2 offset0:107 offset1:108
	s_mov_b32 s0, exec_lo
	s_waitcnt vmcnt(4) lgkmcnt(3)
	v_fma_f32 v140, v122, v140, 0
	s_delay_alu instid0(VALU_DEP_1) | instskip(SKIP_4) | instid1(VALU_DEP_1)
	v_fmac_f32_e32 v140, v123, v141
	ds_load_2addr_b32 v[122:123], v2 offset0:109 offset1:110
	s_waitcnt lgkmcnt(3)
	v_fmac_f32_e32 v140, v124, v142
	s_waitcnt vmcnt(3)
	v_fmac_f32_e32 v140, v125, v143
	ds_load_2addr_b32 v[124:125], v2 offset0:111 offset1:112
	s_waitcnt lgkmcnt(3)
	v_fmac_f32_e32 v140, v126, v144
	s_delay_alu instid0(VALU_DEP_1) | instskip(SKIP_1) | instid1(VALU_DEP_1)
	v_fmac_f32_e32 v140, v127, v145
	s_waitcnt lgkmcnt(2)
	v_fmac_f32_e32 v140, v128, v146
	s_waitcnt vmcnt(2)
	s_delay_alu instid0(VALU_DEP_1) | instskip(SKIP_4) | instid1(VALU_DEP_1)
	v_fmac_f32_e32 v140, v129, v147
	ds_load_2addr_b32 v[126:127], v2 offset0:113 offset1:114
	ds_load_2addr_b32 v[128:129], v2 offset0:115 offset1:116
	s_waitcnt lgkmcnt(3)
	v_fmac_f32_e32 v140, v130, v122
	v_fmac_f32_e32 v140, v131, v123
	ds_load_2addr_b32 v[122:123], v2 offset0:117 offset1:118
	s_waitcnt lgkmcnt(3)
	v_fmac_f32_e32 v140, v132, v124
	s_waitcnt vmcnt(1)
	s_delay_alu instid0(VALU_DEP_1) | instskip(SKIP_1) | instid1(VALU_DEP_1)
	v_fmac_f32_e32 v140, v133, v125
	s_waitcnt lgkmcnt(2)
	v_fmac_f32_e32 v140, v134, v126
	s_delay_alu instid0(VALU_DEP_1) | instskip(SKIP_1) | instid1(VALU_DEP_1)
	v_fmac_f32_e32 v140, v135, v127
	s_waitcnt lgkmcnt(1)
	v_fmac_f32_e32 v140, v136, v128
	s_waitcnt vmcnt(0)
	s_delay_alu instid0(VALU_DEP_1) | instskip(SKIP_1) | instid1(VALU_DEP_1)
	v_fmac_f32_e32 v140, v137, v129
	s_waitcnt lgkmcnt(0)
	v_fmac_f32_e32 v140, v138, v122
	s_delay_alu instid0(VALU_DEP_1) | instskip(NEXT) | instid1(VALU_DEP_1)
	v_fmac_f32_e32 v140, v139, v123
	v_sub_f32_e32 v2, v121, v140
	scratch_store_b32 off, v2, off offset:160
	v_cmpx_lt_u32_e32 39, v0
	s_cbranch_execz .LBB122_283
; %bb.282:
	scratch_load_b32 v2, off, off offset:156
	v_mov_b32_e32 v121, 0
	scratch_store_b32 off, v121, off offset:156
	s_waitcnt vmcnt(0)
	ds_store_b32 v1, v2
.LBB122_283:
	s_or_b32 exec_lo, exec_lo, s0
	s_waitcnt lgkmcnt(0)
	s_waitcnt_vscnt null, 0x0
	s_barrier
	buffer_gl0_inv
	s_clause 0x4
	scratch_load_b128 v[121:124], off, off offset:156
	scratch_load_b128 v[125:128], off, off offset:172
	;; [unrolled: 1-line block ×5, first 2 shown]
	v_mov_b32_e32 v2, 0
	ds_load_b128 v[141:144], v2 offset:400
	ds_load_b128 v[145:148], v2 offset:416
	s_mov_b32 s0, exec_lo
	s_waitcnt vmcnt(4) lgkmcnt(1)
	v_fma_f32 v141, v122, v141, 0
	s_delay_alu instid0(VALU_DEP_1) | instskip(NEXT) | instid1(VALU_DEP_1)
	v_fmac_f32_e32 v141, v123, v142
	v_fmac_f32_e32 v141, v124, v143
	s_waitcnt vmcnt(3)
	s_delay_alu instid0(VALU_DEP_1) | instskip(SKIP_3) | instid1(VALU_DEP_1)
	v_fmac_f32_e32 v141, v125, v144
	ds_load_b128 v[122:125], v2 offset:432
	s_waitcnt lgkmcnt(1)
	v_fmac_f32_e32 v141, v126, v145
	v_fmac_f32_e32 v141, v127, v146
	s_delay_alu instid0(VALU_DEP_1) | instskip(SKIP_1) | instid1(VALU_DEP_1)
	v_fmac_f32_e32 v141, v128, v147
	s_waitcnt vmcnt(2)
	v_fmac_f32_e32 v141, v129, v148
	ds_load_b128 v[126:129], v2 offset:448
	s_waitcnt lgkmcnt(1)
	v_fmac_f32_e32 v141, v130, v122
	s_delay_alu instid0(VALU_DEP_1) | instskip(NEXT) | instid1(VALU_DEP_1)
	v_fmac_f32_e32 v141, v131, v123
	v_fmac_f32_e32 v141, v132, v124
	ds_load_b96 v[122:124], v2 offset:464
	s_waitcnt vmcnt(1)
	v_fmac_f32_e32 v141, v133, v125
	s_waitcnt lgkmcnt(1)
	s_delay_alu instid0(VALU_DEP_1) | instskip(NEXT) | instid1(VALU_DEP_1)
	v_fmac_f32_e32 v141, v134, v126
	v_fmac_f32_e32 v141, v135, v127
	s_delay_alu instid0(VALU_DEP_1) | instskip(SKIP_1) | instid1(VALU_DEP_1)
	v_fmac_f32_e32 v141, v136, v128
	s_waitcnt vmcnt(0)
	v_fmac_f32_e32 v141, v137, v129
	s_waitcnt lgkmcnt(0)
	s_delay_alu instid0(VALU_DEP_1) | instskip(NEXT) | instid1(VALU_DEP_1)
	v_fmac_f32_e32 v141, v138, v122
	v_fmac_f32_e32 v141, v139, v123
	s_delay_alu instid0(VALU_DEP_1) | instskip(NEXT) | instid1(VALU_DEP_1)
	v_fmac_f32_e32 v141, v140, v124
	v_sub_f32_e32 v121, v121, v141
	scratch_store_b32 off, v121, off offset:156
	v_cmpx_lt_u32_e32 38, v0
	s_cbranch_execz .LBB122_285
; %bb.284:
	scratch_load_b32 v121, off, off offset:152
	scratch_store_b32 off, v2, off offset:152
	s_waitcnt vmcnt(0)
	ds_store_b32 v1, v121
.LBB122_285:
	s_or_b32 exec_lo, exec_lo, s0
	s_waitcnt lgkmcnt(0)
	s_waitcnt_vscnt null, 0x0
	s_barrier
	buffer_gl0_inv
	s_clause 0x5
	scratch_load_b128 v[121:124], off, off offset:152
	scratch_load_b128 v[125:128], off, off offset:168
	;; [unrolled: 1-line block ×5, first 2 shown]
	scratch_load_b32 v149, off, off offset:232
	ds_load_2addr_b32 v[141:142], v2 offset0:99 offset1:100
	ds_load_2addr_b32 v[143:144], v2 offset0:101 offset1:102
	;; [unrolled: 1-line block ×4, first 2 shown]
	s_mov_b32 s0, exec_lo
	s_waitcnt vmcnt(5) lgkmcnt(3)
	v_fma_f32 v141, v122, v141, 0
	s_delay_alu instid0(VALU_DEP_1) | instskip(SKIP_4) | instid1(VALU_DEP_1)
	v_fmac_f32_e32 v141, v123, v142
	ds_load_2addr_b32 v[122:123], v2 offset0:107 offset1:108
	s_waitcnt lgkmcnt(3)
	v_fmac_f32_e32 v141, v124, v143
	s_waitcnt vmcnt(4)
	v_fmac_f32_e32 v141, v125, v144
	ds_load_2addr_b32 v[124:125], v2 offset0:109 offset1:110
	s_waitcnt lgkmcnt(3)
	v_fmac_f32_e32 v141, v126, v145
	s_delay_alu instid0(VALU_DEP_1) | instskip(SKIP_1) | instid1(VALU_DEP_1)
	v_fmac_f32_e32 v141, v127, v146
	s_waitcnt lgkmcnt(2)
	v_fmac_f32_e32 v141, v128, v147
	s_waitcnt vmcnt(3)
	s_delay_alu instid0(VALU_DEP_1) | instskip(SKIP_4) | instid1(VALU_DEP_1)
	v_fmac_f32_e32 v141, v129, v148
	ds_load_2addr_b32 v[126:127], v2 offset0:111 offset1:112
	ds_load_2addr_b32 v[128:129], v2 offset0:113 offset1:114
	s_waitcnt lgkmcnt(3)
	v_fmac_f32_e32 v141, v130, v122
	v_fmac_f32_e32 v141, v131, v123
	ds_load_2addr_b32 v[122:123], v2 offset0:115 offset1:116
	s_waitcnt lgkmcnt(3)
	v_fmac_f32_e32 v141, v132, v124
	s_waitcnt vmcnt(2)
	s_delay_alu instid0(VALU_DEP_1) | instskip(SKIP_3) | instid1(VALU_DEP_1)
	v_fmac_f32_e32 v141, v133, v125
	ds_load_2addr_b32 v[124:125], v2 offset0:117 offset1:118
	s_waitcnt lgkmcnt(3)
	v_fmac_f32_e32 v141, v134, v126
	v_fmac_f32_e32 v141, v135, v127
	s_waitcnt lgkmcnt(2)
	s_delay_alu instid0(VALU_DEP_1) | instskip(SKIP_1) | instid1(VALU_DEP_1)
	v_fmac_f32_e32 v141, v136, v128
	s_waitcnt vmcnt(1)
	v_fmac_f32_e32 v141, v137, v129
	s_waitcnt lgkmcnt(1)
	s_delay_alu instid0(VALU_DEP_1) | instskip(NEXT) | instid1(VALU_DEP_1)
	v_fmac_f32_e32 v141, v138, v122
	v_fmac_f32_e32 v141, v139, v123
	s_waitcnt lgkmcnt(0)
	s_delay_alu instid0(VALU_DEP_1) | instskip(SKIP_1) | instid1(VALU_DEP_1)
	v_fmac_f32_e32 v141, v140, v124
	s_waitcnt vmcnt(0)
	v_fmac_f32_e32 v141, v149, v125
	s_delay_alu instid0(VALU_DEP_1)
	v_sub_f32_e32 v2, v121, v141
	scratch_store_b32 off, v2, off offset:152
	v_cmpx_lt_u32_e32 37, v0
	s_cbranch_execz .LBB122_287
; %bb.286:
	scratch_load_b32 v2, off, off offset:148
	v_mov_b32_e32 v121, 0
	scratch_store_b32 off, v121, off offset:148
	s_waitcnt vmcnt(0)
	ds_store_b32 v1, v2
.LBB122_287:
	s_or_b32 exec_lo, exec_lo, s0
	s_waitcnt lgkmcnt(0)
	s_waitcnt_vscnt null, 0x0
	s_barrier
	buffer_gl0_inv
	s_clause 0x5
	scratch_load_b128 v[121:124], off, off offset:148
	scratch_load_b128 v[125:128], off, off offset:164
	;; [unrolled: 1-line block ×5, first 2 shown]
	scratch_load_b64 v[149:150], off, off offset:228
	v_mov_b32_e32 v2, 0
	ds_load_2addr_b64 v[141:144], v2 offset0:49 offset1:50
	ds_load_2addr_b64 v[145:148], v2 offset0:51 offset1:52
	s_mov_b32 s0, exec_lo
	s_waitcnt vmcnt(5) lgkmcnt(1)
	v_fma_f32 v141, v122, v141, 0
	s_delay_alu instid0(VALU_DEP_1) | instskip(NEXT) | instid1(VALU_DEP_1)
	v_fmac_f32_e32 v141, v123, v142
	v_fmac_f32_e32 v141, v124, v143
	s_waitcnt vmcnt(4)
	s_delay_alu instid0(VALU_DEP_1) | instskip(SKIP_3) | instid1(VALU_DEP_1)
	v_fmac_f32_e32 v141, v125, v144
	ds_load_2addr_b64 v[122:125], v2 offset0:53 offset1:54
	s_waitcnt lgkmcnt(1)
	v_fmac_f32_e32 v141, v126, v145
	v_fmac_f32_e32 v141, v127, v146
	s_delay_alu instid0(VALU_DEP_1) | instskip(SKIP_1) | instid1(VALU_DEP_1)
	v_fmac_f32_e32 v141, v128, v147
	s_waitcnt vmcnt(3)
	v_fmac_f32_e32 v141, v129, v148
	ds_load_2addr_b64 v[126:129], v2 offset0:55 offset1:56
	s_waitcnt lgkmcnt(1)
	v_fmac_f32_e32 v141, v130, v122
	s_delay_alu instid0(VALU_DEP_1) | instskip(NEXT) | instid1(VALU_DEP_1)
	v_fmac_f32_e32 v141, v131, v123
	v_fmac_f32_e32 v141, v132, v124
	s_waitcnt vmcnt(2)
	s_delay_alu instid0(VALU_DEP_1)
	v_fmac_f32_e32 v141, v133, v125
	ds_load_2addr_b64 v[122:125], v2 offset0:57 offset1:58
	s_waitcnt lgkmcnt(1)
	v_fmac_f32_e32 v141, v134, v126
	ds_load_b32 v126, v2 offset:472
	v_fmac_f32_e32 v141, v135, v127
	s_delay_alu instid0(VALU_DEP_1) | instskip(SKIP_1) | instid1(VALU_DEP_1)
	v_fmac_f32_e32 v141, v136, v128
	s_waitcnt vmcnt(1)
	v_fmac_f32_e32 v141, v137, v129
	s_waitcnt lgkmcnt(1)
	s_delay_alu instid0(VALU_DEP_1) | instskip(NEXT) | instid1(VALU_DEP_1)
	v_fmac_f32_e32 v141, v138, v122
	v_fmac_f32_e32 v141, v139, v123
	s_delay_alu instid0(VALU_DEP_1) | instskip(SKIP_1) | instid1(VALU_DEP_1)
	v_fmac_f32_e32 v141, v140, v124
	s_waitcnt vmcnt(0)
	v_fmac_f32_e32 v141, v149, v125
	s_waitcnt lgkmcnt(0)
	s_delay_alu instid0(VALU_DEP_1) | instskip(NEXT) | instid1(VALU_DEP_1)
	v_fmac_f32_e32 v141, v150, v126
	v_sub_f32_e32 v121, v121, v141
	scratch_store_b32 off, v121, off offset:148
	v_cmpx_lt_u32_e32 36, v0
	s_cbranch_execz .LBB122_289
; %bb.288:
	scratch_load_b32 v121, off, off offset:144
	scratch_store_b32 off, v2, off offset:144
	s_waitcnt vmcnt(0)
	ds_store_b32 v1, v121
.LBB122_289:
	s_or_b32 exec_lo, exec_lo, s0
	s_waitcnt lgkmcnt(0)
	s_waitcnt_vscnt null, 0x0
	s_barrier
	buffer_gl0_inv
	s_clause 0x5
	scratch_load_b128 v[121:124], off, off offset:144
	scratch_load_b128 v[125:128], off, off offset:160
	;; [unrolled: 1-line block ×5, first 2 shown]
	scratch_load_b96 v[141:143], off, off offset:224
	ds_load_2addr_b32 v[144:145], v2 offset0:97 offset1:98
	ds_load_2addr_b32 v[146:147], v2 offset0:99 offset1:100
	ds_load_2addr_b32 v[148:149], v2 offset0:101 offset1:102
	ds_load_2addr_b32 v[150:151], v2 offset0:103 offset1:104
	s_mov_b32 s0, exec_lo
	s_waitcnt vmcnt(5) lgkmcnt(3)
	v_fma_f32 v144, v122, v144, 0
	s_delay_alu instid0(VALU_DEP_1) | instskip(SKIP_4) | instid1(VALU_DEP_1)
	v_fmac_f32_e32 v144, v123, v145
	ds_load_2addr_b32 v[122:123], v2 offset0:105 offset1:106
	s_waitcnt lgkmcnt(3)
	v_fmac_f32_e32 v144, v124, v146
	s_waitcnt vmcnt(4)
	v_fmac_f32_e32 v144, v125, v147
	ds_load_2addr_b32 v[124:125], v2 offset0:107 offset1:108
	s_waitcnt lgkmcnt(3)
	v_fmac_f32_e32 v144, v126, v148
	s_delay_alu instid0(VALU_DEP_1) | instskip(SKIP_1) | instid1(VALU_DEP_1)
	v_fmac_f32_e32 v144, v127, v149
	s_waitcnt lgkmcnt(2)
	v_fmac_f32_e32 v144, v128, v150
	s_waitcnt vmcnt(3)
	s_delay_alu instid0(VALU_DEP_1) | instskip(SKIP_4) | instid1(VALU_DEP_1)
	v_fmac_f32_e32 v144, v129, v151
	ds_load_2addr_b32 v[126:127], v2 offset0:109 offset1:110
	ds_load_2addr_b32 v[128:129], v2 offset0:111 offset1:112
	s_waitcnt lgkmcnt(3)
	v_fmac_f32_e32 v144, v130, v122
	v_fmac_f32_e32 v144, v131, v123
	ds_load_2addr_b32 v[122:123], v2 offset0:113 offset1:114
	s_waitcnt lgkmcnt(3)
	v_fmac_f32_e32 v144, v132, v124
	s_waitcnt vmcnt(2)
	s_delay_alu instid0(VALU_DEP_1) | instskip(SKIP_3) | instid1(VALU_DEP_1)
	v_fmac_f32_e32 v144, v133, v125
	ds_load_2addr_b32 v[124:125], v2 offset0:115 offset1:116
	s_waitcnt lgkmcnt(3)
	v_fmac_f32_e32 v144, v134, v126
	v_fmac_f32_e32 v144, v135, v127
	ds_load_2addr_b32 v[126:127], v2 offset0:117 offset1:118
	s_waitcnt lgkmcnt(3)
	v_fmac_f32_e32 v144, v136, v128
	s_waitcnt vmcnt(1)
	s_delay_alu instid0(VALU_DEP_1) | instskip(SKIP_1) | instid1(VALU_DEP_1)
	v_fmac_f32_e32 v144, v137, v129
	s_waitcnt lgkmcnt(2)
	v_fmac_f32_e32 v144, v138, v122
	s_delay_alu instid0(VALU_DEP_1) | instskip(SKIP_1) | instid1(VALU_DEP_1)
	v_fmac_f32_e32 v144, v139, v123
	s_waitcnt lgkmcnt(1)
	v_fmac_f32_e32 v144, v140, v124
	s_waitcnt vmcnt(0)
	s_delay_alu instid0(VALU_DEP_1) | instskip(SKIP_1) | instid1(VALU_DEP_1)
	v_fmac_f32_e32 v144, v141, v125
	s_waitcnt lgkmcnt(0)
	v_fmac_f32_e32 v144, v142, v126
	s_delay_alu instid0(VALU_DEP_1) | instskip(NEXT) | instid1(VALU_DEP_1)
	v_fmac_f32_e32 v144, v143, v127
	v_sub_f32_e32 v2, v121, v144
	scratch_store_b32 off, v2, off offset:144
	v_cmpx_lt_u32_e32 35, v0
	s_cbranch_execz .LBB122_291
; %bb.290:
	scratch_load_b32 v2, off, off offset:140
	v_mov_b32_e32 v121, 0
	scratch_store_b32 off, v121, off offset:140
	s_waitcnt vmcnt(0)
	ds_store_b32 v1, v2
.LBB122_291:
	s_or_b32 exec_lo, exec_lo, s0
	s_waitcnt lgkmcnt(0)
	s_waitcnt_vscnt null, 0x0
	s_barrier
	buffer_gl0_inv
	s_clause 0x5
	scratch_load_b128 v[121:124], off, off offset:140
	scratch_load_b128 v[125:128], off, off offset:156
	;; [unrolled: 1-line block ×6, first 2 shown]
	v_mov_b32_e32 v2, 0
	ds_load_b128 v[145:148], v2 offset:384
	ds_load_b128 v[149:152], v2 offset:400
	s_mov_b32 s0, exec_lo
	s_waitcnt vmcnt(5) lgkmcnt(1)
	v_fma_f32 v145, v122, v145, 0
	s_delay_alu instid0(VALU_DEP_1) | instskip(NEXT) | instid1(VALU_DEP_1)
	v_fmac_f32_e32 v145, v123, v146
	v_fmac_f32_e32 v145, v124, v147
	s_waitcnt vmcnt(4)
	s_delay_alu instid0(VALU_DEP_1) | instskip(SKIP_3) | instid1(VALU_DEP_1)
	v_fmac_f32_e32 v145, v125, v148
	ds_load_b128 v[122:125], v2 offset:416
	s_waitcnt lgkmcnt(1)
	v_fmac_f32_e32 v145, v126, v149
	v_fmac_f32_e32 v145, v127, v150
	s_delay_alu instid0(VALU_DEP_1) | instskip(SKIP_1) | instid1(VALU_DEP_1)
	v_fmac_f32_e32 v145, v128, v151
	s_waitcnt vmcnt(3)
	v_fmac_f32_e32 v145, v129, v152
	ds_load_b128 v[126:129], v2 offset:432
	s_waitcnt lgkmcnt(1)
	v_fmac_f32_e32 v145, v130, v122
	s_delay_alu instid0(VALU_DEP_1) | instskip(NEXT) | instid1(VALU_DEP_1)
	v_fmac_f32_e32 v145, v131, v123
	v_fmac_f32_e32 v145, v132, v124
	s_waitcnt vmcnt(2)
	s_delay_alu instid0(VALU_DEP_1) | instskip(SKIP_3) | instid1(VALU_DEP_1)
	v_fmac_f32_e32 v145, v133, v125
	ds_load_b128 v[122:125], v2 offset:448
	s_waitcnt lgkmcnt(1)
	v_fmac_f32_e32 v145, v134, v126
	v_fmac_f32_e32 v145, v135, v127
	s_delay_alu instid0(VALU_DEP_1) | instskip(SKIP_4) | instid1(VALU_DEP_1)
	v_fmac_f32_e32 v145, v136, v128
	ds_load_b96 v[126:128], v2 offset:464
	s_waitcnt vmcnt(1)
	v_fmac_f32_e32 v145, v137, v129
	s_waitcnt lgkmcnt(1)
	v_fmac_f32_e32 v145, v138, v122
	s_delay_alu instid0(VALU_DEP_1) | instskip(NEXT) | instid1(VALU_DEP_1)
	v_fmac_f32_e32 v145, v139, v123
	v_fmac_f32_e32 v145, v140, v124
	s_waitcnt vmcnt(0)
	s_delay_alu instid0(VALU_DEP_1) | instskip(SKIP_1) | instid1(VALU_DEP_1)
	v_fmac_f32_e32 v145, v141, v125
	s_waitcnt lgkmcnt(0)
	v_fmac_f32_e32 v145, v142, v126
	s_delay_alu instid0(VALU_DEP_1) | instskip(NEXT) | instid1(VALU_DEP_1)
	v_fmac_f32_e32 v145, v143, v127
	v_fmac_f32_e32 v145, v144, v128
	s_delay_alu instid0(VALU_DEP_1)
	v_sub_f32_e32 v121, v121, v145
	scratch_store_b32 off, v121, off offset:140
	v_cmpx_lt_u32_e32 34, v0
	s_cbranch_execz .LBB122_293
; %bb.292:
	scratch_load_b32 v121, off, off offset:136
	scratch_store_b32 off, v2, off offset:136
	s_waitcnt vmcnt(0)
	ds_store_b32 v1, v121
.LBB122_293:
	s_or_b32 exec_lo, exec_lo, s0
	s_waitcnt lgkmcnt(0)
	s_waitcnt_vscnt null, 0x0
	s_barrier
	buffer_gl0_inv
	s_clause 0x6
	scratch_load_b128 v[121:124], off, off offset:136
	scratch_load_b128 v[125:128], off, off offset:152
	;; [unrolled: 1-line block ×6, first 2 shown]
	scratch_load_b32 v153, off, off offset:232
	ds_load_2addr_b32 v[145:146], v2 offset0:95 offset1:96
	ds_load_2addr_b32 v[147:148], v2 offset0:97 offset1:98
	;; [unrolled: 1-line block ×4, first 2 shown]
	s_mov_b32 s0, exec_lo
	s_waitcnt vmcnt(6) lgkmcnt(3)
	v_fma_f32 v145, v122, v145, 0
	s_delay_alu instid0(VALU_DEP_1) | instskip(SKIP_4) | instid1(VALU_DEP_1)
	v_fmac_f32_e32 v145, v123, v146
	ds_load_2addr_b32 v[122:123], v2 offset0:103 offset1:104
	s_waitcnt lgkmcnt(3)
	v_fmac_f32_e32 v145, v124, v147
	s_waitcnt vmcnt(5)
	v_fmac_f32_e32 v145, v125, v148
	ds_load_2addr_b32 v[124:125], v2 offset0:105 offset1:106
	s_waitcnt lgkmcnt(3)
	v_fmac_f32_e32 v145, v126, v149
	s_delay_alu instid0(VALU_DEP_1) | instskip(SKIP_1) | instid1(VALU_DEP_1)
	v_fmac_f32_e32 v145, v127, v150
	s_waitcnt lgkmcnt(2)
	v_fmac_f32_e32 v145, v128, v151
	s_waitcnt vmcnt(4)
	s_delay_alu instid0(VALU_DEP_1) | instskip(SKIP_4) | instid1(VALU_DEP_1)
	v_fmac_f32_e32 v145, v129, v152
	ds_load_2addr_b32 v[126:127], v2 offset0:107 offset1:108
	ds_load_2addr_b32 v[128:129], v2 offset0:109 offset1:110
	s_waitcnt lgkmcnt(3)
	v_fmac_f32_e32 v145, v130, v122
	v_fmac_f32_e32 v145, v131, v123
	ds_load_2addr_b32 v[122:123], v2 offset0:111 offset1:112
	s_waitcnt lgkmcnt(3)
	v_fmac_f32_e32 v145, v132, v124
	s_waitcnt vmcnt(3)
	s_delay_alu instid0(VALU_DEP_1) | instskip(SKIP_3) | instid1(VALU_DEP_1)
	v_fmac_f32_e32 v145, v133, v125
	ds_load_2addr_b32 v[124:125], v2 offset0:113 offset1:114
	s_waitcnt lgkmcnt(3)
	v_fmac_f32_e32 v145, v134, v126
	v_fmac_f32_e32 v145, v135, v127
	s_waitcnt lgkmcnt(2)
	s_delay_alu instid0(VALU_DEP_1) | instskip(SKIP_1) | instid1(VALU_DEP_1)
	v_fmac_f32_e32 v145, v136, v128
	s_waitcnt vmcnt(2)
	v_fmac_f32_e32 v145, v137, v129
	ds_load_2addr_b32 v[126:127], v2 offset0:115 offset1:116
	ds_load_2addr_b32 v[128:129], v2 offset0:117 offset1:118
	s_waitcnt lgkmcnt(3)
	v_fmac_f32_e32 v145, v138, v122
	s_delay_alu instid0(VALU_DEP_1) | instskip(SKIP_1) | instid1(VALU_DEP_1)
	v_fmac_f32_e32 v145, v139, v123
	s_waitcnt lgkmcnt(2)
	v_fmac_f32_e32 v145, v140, v124
	s_waitcnt vmcnt(1)
	s_delay_alu instid0(VALU_DEP_1) | instskip(SKIP_1) | instid1(VALU_DEP_1)
	v_fmac_f32_e32 v145, v141, v125
	s_waitcnt lgkmcnt(1)
	v_fmac_f32_e32 v145, v142, v126
	s_delay_alu instid0(VALU_DEP_1) | instskip(SKIP_1) | instid1(VALU_DEP_1)
	v_fmac_f32_e32 v145, v143, v127
	s_waitcnt lgkmcnt(0)
	v_fmac_f32_e32 v145, v144, v128
	s_waitcnt vmcnt(0)
	s_delay_alu instid0(VALU_DEP_1) | instskip(NEXT) | instid1(VALU_DEP_1)
	v_fmac_f32_e32 v145, v153, v129
	v_sub_f32_e32 v2, v121, v145
	scratch_store_b32 off, v2, off offset:136
	v_cmpx_lt_u32_e32 33, v0
	s_cbranch_execz .LBB122_295
; %bb.294:
	scratch_load_b32 v2, off, off offset:132
	v_mov_b32_e32 v121, 0
	scratch_store_b32 off, v121, off offset:132
	s_waitcnt vmcnt(0)
	ds_store_b32 v1, v2
.LBB122_295:
	s_or_b32 exec_lo, exec_lo, s0
	s_waitcnt lgkmcnt(0)
	s_waitcnt_vscnt null, 0x0
	s_barrier
	buffer_gl0_inv
	s_clause 0x6
	scratch_load_b128 v[121:124], off, off offset:132
	scratch_load_b128 v[125:128], off, off offset:148
	;; [unrolled: 1-line block ×6, first 2 shown]
	scratch_load_b64 v[153:154], off, off offset:228
	v_mov_b32_e32 v2, 0
	ds_load_2addr_b64 v[145:148], v2 offset0:47 offset1:48
	ds_load_2addr_b64 v[149:152], v2 offset0:49 offset1:50
	s_mov_b32 s0, exec_lo
	s_waitcnt vmcnt(6) lgkmcnt(1)
	v_fma_f32 v145, v122, v145, 0
	s_delay_alu instid0(VALU_DEP_1) | instskip(NEXT) | instid1(VALU_DEP_1)
	v_fmac_f32_e32 v145, v123, v146
	v_fmac_f32_e32 v145, v124, v147
	s_waitcnt vmcnt(5)
	s_delay_alu instid0(VALU_DEP_1) | instskip(SKIP_3) | instid1(VALU_DEP_1)
	v_fmac_f32_e32 v145, v125, v148
	ds_load_2addr_b64 v[122:125], v2 offset0:51 offset1:52
	s_waitcnt lgkmcnt(1)
	v_fmac_f32_e32 v145, v126, v149
	v_fmac_f32_e32 v145, v127, v150
	s_delay_alu instid0(VALU_DEP_1) | instskip(SKIP_1) | instid1(VALU_DEP_1)
	v_fmac_f32_e32 v145, v128, v151
	s_waitcnt vmcnt(4)
	v_fmac_f32_e32 v145, v129, v152
	ds_load_2addr_b64 v[126:129], v2 offset0:53 offset1:54
	s_waitcnt lgkmcnt(1)
	v_fmac_f32_e32 v145, v130, v122
	s_delay_alu instid0(VALU_DEP_1) | instskip(NEXT) | instid1(VALU_DEP_1)
	v_fmac_f32_e32 v145, v131, v123
	v_fmac_f32_e32 v145, v132, v124
	s_waitcnt vmcnt(3)
	s_delay_alu instid0(VALU_DEP_1) | instskip(SKIP_3) | instid1(VALU_DEP_1)
	v_fmac_f32_e32 v145, v133, v125
	ds_load_2addr_b64 v[122:125], v2 offset0:55 offset1:56
	s_waitcnt lgkmcnt(1)
	v_fmac_f32_e32 v145, v134, v126
	v_fmac_f32_e32 v145, v135, v127
	s_delay_alu instid0(VALU_DEP_1) | instskip(SKIP_1) | instid1(VALU_DEP_1)
	v_fmac_f32_e32 v145, v136, v128
	s_waitcnt vmcnt(2)
	v_fmac_f32_e32 v145, v137, v129
	ds_load_2addr_b64 v[126:129], v2 offset0:57 offset1:58
	s_waitcnt lgkmcnt(1)
	v_fmac_f32_e32 v145, v138, v122
	ds_load_b32 v122, v2 offset:472
	v_fmac_f32_e32 v145, v139, v123
	s_delay_alu instid0(VALU_DEP_1) | instskip(SKIP_1) | instid1(VALU_DEP_1)
	v_fmac_f32_e32 v145, v140, v124
	s_waitcnt vmcnt(1)
	v_fmac_f32_e32 v145, v141, v125
	s_waitcnt lgkmcnt(1)
	s_delay_alu instid0(VALU_DEP_1) | instskip(NEXT) | instid1(VALU_DEP_1)
	v_fmac_f32_e32 v145, v142, v126
	v_fmac_f32_e32 v145, v143, v127
	s_delay_alu instid0(VALU_DEP_1) | instskip(SKIP_1) | instid1(VALU_DEP_1)
	v_fmac_f32_e32 v145, v144, v128
	s_waitcnt vmcnt(0)
	v_fmac_f32_e32 v145, v153, v129
	s_waitcnt lgkmcnt(0)
	s_delay_alu instid0(VALU_DEP_1) | instskip(NEXT) | instid1(VALU_DEP_1)
	v_fmac_f32_e32 v145, v154, v122
	v_sub_f32_e32 v121, v121, v145
	scratch_store_b32 off, v121, off offset:132
	v_cmpx_lt_u32_e32 32, v0
	s_cbranch_execz .LBB122_297
; %bb.296:
	scratch_load_b32 v121, off, off offset:128
	scratch_store_b32 off, v2, off offset:128
	s_waitcnt vmcnt(0)
	ds_store_b32 v1, v121
.LBB122_297:
	s_or_b32 exec_lo, exec_lo, s0
	s_waitcnt lgkmcnt(0)
	s_waitcnt_vscnt null, 0x0
	s_barrier
	buffer_gl0_inv
	s_clause 0x6
	scratch_load_b128 v[121:124], off, off offset:128
	scratch_load_b128 v[125:128], off, off offset:144
	;; [unrolled: 1-line block ×6, first 2 shown]
	scratch_load_b96 v[145:147], off, off offset:224
	ds_load_2addr_b32 v[148:149], v2 offset0:93 offset1:94
	ds_load_2addr_b32 v[150:151], v2 offset0:95 offset1:96
	;; [unrolled: 1-line block ×4, first 2 shown]
	s_mov_b32 s0, exec_lo
	s_waitcnt vmcnt(6) lgkmcnt(3)
	v_fma_f32 v148, v122, v148, 0
	s_delay_alu instid0(VALU_DEP_1) | instskip(SKIP_4) | instid1(VALU_DEP_1)
	v_fmac_f32_e32 v148, v123, v149
	ds_load_2addr_b32 v[122:123], v2 offset0:101 offset1:102
	s_waitcnt lgkmcnt(3)
	v_fmac_f32_e32 v148, v124, v150
	s_waitcnt vmcnt(5)
	v_fmac_f32_e32 v148, v125, v151
	ds_load_2addr_b32 v[124:125], v2 offset0:103 offset1:104
	s_waitcnt lgkmcnt(3)
	v_fmac_f32_e32 v148, v126, v152
	s_delay_alu instid0(VALU_DEP_1) | instskip(SKIP_1) | instid1(VALU_DEP_1)
	v_fmac_f32_e32 v148, v127, v153
	s_waitcnt lgkmcnt(2)
	v_fmac_f32_e32 v148, v128, v154
	s_waitcnt vmcnt(4)
	s_delay_alu instid0(VALU_DEP_1) | instskip(SKIP_4) | instid1(VALU_DEP_1)
	v_fmac_f32_e32 v148, v129, v155
	ds_load_2addr_b32 v[126:127], v2 offset0:105 offset1:106
	ds_load_2addr_b32 v[128:129], v2 offset0:107 offset1:108
	s_waitcnt lgkmcnt(3)
	v_fmac_f32_e32 v148, v130, v122
	v_fmac_f32_e32 v148, v131, v123
	ds_load_2addr_b32 v[122:123], v2 offset0:109 offset1:110
	s_waitcnt lgkmcnt(3)
	v_fmac_f32_e32 v148, v132, v124
	s_waitcnt vmcnt(3)
	s_delay_alu instid0(VALU_DEP_1) | instskip(SKIP_3) | instid1(VALU_DEP_1)
	v_fmac_f32_e32 v148, v133, v125
	ds_load_2addr_b32 v[124:125], v2 offset0:111 offset1:112
	s_waitcnt lgkmcnt(3)
	v_fmac_f32_e32 v148, v134, v126
	v_fmac_f32_e32 v148, v135, v127
	s_waitcnt lgkmcnt(2)
	s_delay_alu instid0(VALU_DEP_1) | instskip(SKIP_1) | instid1(VALU_DEP_1)
	v_fmac_f32_e32 v148, v136, v128
	s_waitcnt vmcnt(2)
	v_fmac_f32_e32 v148, v137, v129
	ds_load_2addr_b32 v[126:127], v2 offset0:113 offset1:114
	ds_load_2addr_b32 v[128:129], v2 offset0:115 offset1:116
	s_waitcnt lgkmcnt(3)
	v_fmac_f32_e32 v148, v138, v122
	s_delay_alu instid0(VALU_DEP_1) | instskip(SKIP_4) | instid1(VALU_DEP_1)
	v_fmac_f32_e32 v148, v139, v123
	ds_load_2addr_b32 v[122:123], v2 offset0:117 offset1:118
	s_waitcnt lgkmcnt(3)
	v_fmac_f32_e32 v148, v140, v124
	s_waitcnt vmcnt(1)
	v_fmac_f32_e32 v148, v141, v125
	s_waitcnt lgkmcnt(2)
	s_delay_alu instid0(VALU_DEP_1) | instskip(NEXT) | instid1(VALU_DEP_1)
	v_fmac_f32_e32 v148, v142, v126
	v_fmac_f32_e32 v148, v143, v127
	s_waitcnt lgkmcnt(1)
	s_delay_alu instid0(VALU_DEP_1) | instskip(SKIP_1) | instid1(VALU_DEP_1)
	v_fmac_f32_e32 v148, v144, v128
	s_waitcnt vmcnt(0)
	v_fmac_f32_e32 v148, v145, v129
	s_waitcnt lgkmcnt(0)
	s_delay_alu instid0(VALU_DEP_1) | instskip(NEXT) | instid1(VALU_DEP_1)
	v_fmac_f32_e32 v148, v146, v122
	v_fmac_f32_e32 v148, v147, v123
	s_delay_alu instid0(VALU_DEP_1)
	v_sub_f32_e32 v2, v121, v148
	scratch_store_b32 off, v2, off offset:128
	v_cmpx_lt_u32_e32 31, v0
	s_cbranch_execz .LBB122_299
; %bb.298:
	scratch_load_b32 v2, off, off offset:124
	v_mov_b32_e32 v121, 0
	scratch_store_b32 off, v121, off offset:124
	s_waitcnt vmcnt(0)
	ds_store_b32 v1, v2
.LBB122_299:
	s_or_b32 exec_lo, exec_lo, s0
	s_waitcnt lgkmcnt(0)
	s_waitcnt_vscnt null, 0x0
	s_barrier
	buffer_gl0_inv
	s_clause 0x6
	scratch_load_b128 v[121:124], off, off offset:124
	scratch_load_b128 v[125:128], off, off offset:140
	;; [unrolled: 1-line block ×7, first 2 shown]
	v_mov_b32_e32 v2, 0
	ds_load_b128 v[149:152], v2 offset:368
	ds_load_b128 v[153:156], v2 offset:384
	s_mov_b32 s0, exec_lo
	s_waitcnt vmcnt(6) lgkmcnt(1)
	v_fma_f32 v149, v122, v149, 0
	s_delay_alu instid0(VALU_DEP_1) | instskip(NEXT) | instid1(VALU_DEP_1)
	v_fmac_f32_e32 v149, v123, v150
	v_fmac_f32_e32 v149, v124, v151
	s_waitcnt vmcnt(5)
	s_delay_alu instid0(VALU_DEP_1) | instskip(SKIP_3) | instid1(VALU_DEP_1)
	v_fmac_f32_e32 v149, v125, v152
	ds_load_b128 v[122:125], v2 offset:400
	s_waitcnt lgkmcnt(1)
	v_fmac_f32_e32 v149, v126, v153
	v_fmac_f32_e32 v149, v127, v154
	s_delay_alu instid0(VALU_DEP_1) | instskip(SKIP_1) | instid1(VALU_DEP_1)
	v_fmac_f32_e32 v149, v128, v155
	s_waitcnt vmcnt(4)
	v_fmac_f32_e32 v149, v129, v156
	ds_load_b128 v[126:129], v2 offset:416
	s_waitcnt lgkmcnt(1)
	v_fmac_f32_e32 v149, v130, v122
	s_delay_alu instid0(VALU_DEP_1) | instskip(NEXT) | instid1(VALU_DEP_1)
	v_fmac_f32_e32 v149, v131, v123
	v_fmac_f32_e32 v149, v132, v124
	s_waitcnt vmcnt(3)
	s_delay_alu instid0(VALU_DEP_1) | instskip(SKIP_3) | instid1(VALU_DEP_1)
	v_fmac_f32_e32 v149, v133, v125
	ds_load_b128 v[122:125], v2 offset:432
	s_waitcnt lgkmcnt(1)
	v_fmac_f32_e32 v149, v134, v126
	v_fmac_f32_e32 v149, v135, v127
	s_delay_alu instid0(VALU_DEP_1) | instskip(SKIP_1) | instid1(VALU_DEP_1)
	v_fmac_f32_e32 v149, v136, v128
	s_waitcnt vmcnt(2)
	v_fmac_f32_e32 v149, v137, v129
	ds_load_b128 v[126:129], v2 offset:448
	s_waitcnt lgkmcnt(1)
	v_fmac_f32_e32 v149, v138, v122
	s_delay_alu instid0(VALU_DEP_1) | instskip(NEXT) | instid1(VALU_DEP_1)
	v_fmac_f32_e32 v149, v139, v123
	v_fmac_f32_e32 v149, v140, v124
	ds_load_b96 v[122:124], v2 offset:464
	s_waitcnt vmcnt(1)
	v_fmac_f32_e32 v149, v141, v125
	s_waitcnt lgkmcnt(1)
	s_delay_alu instid0(VALU_DEP_1) | instskip(NEXT) | instid1(VALU_DEP_1)
	v_fmac_f32_e32 v149, v142, v126
	v_fmac_f32_e32 v149, v143, v127
	s_delay_alu instid0(VALU_DEP_1) | instskip(SKIP_1) | instid1(VALU_DEP_1)
	v_fmac_f32_e32 v149, v144, v128
	s_waitcnt vmcnt(0)
	v_fmac_f32_e32 v149, v145, v129
	s_waitcnt lgkmcnt(0)
	s_delay_alu instid0(VALU_DEP_1) | instskip(NEXT) | instid1(VALU_DEP_1)
	v_fmac_f32_e32 v149, v146, v122
	v_fmac_f32_e32 v149, v147, v123
	s_delay_alu instid0(VALU_DEP_1) | instskip(NEXT) | instid1(VALU_DEP_1)
	v_fmac_f32_e32 v149, v148, v124
	v_sub_f32_e32 v121, v121, v149
	scratch_store_b32 off, v121, off offset:124
	v_cmpx_lt_u32_e32 30, v0
	s_cbranch_execz .LBB122_301
; %bb.300:
	scratch_load_b32 v121, off, off offset:120
	scratch_store_b32 off, v2, off offset:120
	s_waitcnt vmcnt(0)
	ds_store_b32 v1, v121
.LBB122_301:
	s_or_b32 exec_lo, exec_lo, s0
	s_waitcnt lgkmcnt(0)
	s_waitcnt_vscnt null, 0x0
	s_barrier
	buffer_gl0_inv
	s_clause 0x7
	scratch_load_b128 v[121:124], off, off offset:120
	scratch_load_b128 v[125:128], off, off offset:136
	;; [unrolled: 1-line block ×7, first 2 shown]
	scratch_load_b32 v157, off, off offset:232
	ds_load_2addr_b32 v[149:150], v2 offset0:91 offset1:92
	ds_load_2addr_b32 v[151:152], v2 offset0:93 offset1:94
	;; [unrolled: 1-line block ×4, first 2 shown]
	s_mov_b32 s0, exec_lo
	s_waitcnt vmcnt(7) lgkmcnt(3)
	v_fma_f32 v149, v122, v149, 0
	s_delay_alu instid0(VALU_DEP_1) | instskip(SKIP_4) | instid1(VALU_DEP_1)
	v_fmac_f32_e32 v149, v123, v150
	ds_load_2addr_b32 v[122:123], v2 offset0:99 offset1:100
	s_waitcnt lgkmcnt(3)
	v_fmac_f32_e32 v149, v124, v151
	s_waitcnt vmcnt(6)
	v_fmac_f32_e32 v149, v125, v152
	ds_load_2addr_b32 v[124:125], v2 offset0:101 offset1:102
	s_waitcnt lgkmcnt(3)
	v_fmac_f32_e32 v149, v126, v153
	s_delay_alu instid0(VALU_DEP_1) | instskip(SKIP_1) | instid1(VALU_DEP_1)
	v_fmac_f32_e32 v149, v127, v154
	s_waitcnt lgkmcnt(2)
	v_fmac_f32_e32 v149, v128, v155
	s_waitcnt vmcnt(5)
	s_delay_alu instid0(VALU_DEP_1) | instskip(SKIP_4) | instid1(VALU_DEP_1)
	v_fmac_f32_e32 v149, v129, v156
	ds_load_2addr_b32 v[126:127], v2 offset0:103 offset1:104
	ds_load_2addr_b32 v[128:129], v2 offset0:105 offset1:106
	s_waitcnt lgkmcnt(3)
	v_fmac_f32_e32 v149, v130, v122
	v_fmac_f32_e32 v149, v131, v123
	ds_load_2addr_b32 v[122:123], v2 offset0:107 offset1:108
	s_waitcnt lgkmcnt(3)
	v_fmac_f32_e32 v149, v132, v124
	s_waitcnt vmcnt(4)
	s_delay_alu instid0(VALU_DEP_1) | instskip(SKIP_3) | instid1(VALU_DEP_1)
	v_fmac_f32_e32 v149, v133, v125
	ds_load_2addr_b32 v[124:125], v2 offset0:109 offset1:110
	s_waitcnt lgkmcnt(3)
	v_fmac_f32_e32 v149, v134, v126
	v_fmac_f32_e32 v149, v135, v127
	s_waitcnt lgkmcnt(2)
	s_delay_alu instid0(VALU_DEP_1) | instskip(SKIP_1) | instid1(VALU_DEP_1)
	v_fmac_f32_e32 v149, v136, v128
	s_waitcnt vmcnt(3)
	v_fmac_f32_e32 v149, v137, v129
	ds_load_2addr_b32 v[126:127], v2 offset0:111 offset1:112
	ds_load_2addr_b32 v[128:129], v2 offset0:113 offset1:114
	s_waitcnt lgkmcnt(3)
	v_fmac_f32_e32 v149, v138, v122
	s_delay_alu instid0(VALU_DEP_1) | instskip(SKIP_4) | instid1(VALU_DEP_1)
	v_fmac_f32_e32 v149, v139, v123
	ds_load_2addr_b32 v[122:123], v2 offset0:115 offset1:116
	s_waitcnt lgkmcnt(3)
	v_fmac_f32_e32 v149, v140, v124
	s_waitcnt vmcnt(2)
	v_fmac_f32_e32 v149, v141, v125
	ds_load_2addr_b32 v[124:125], v2 offset0:117 offset1:118
	s_waitcnt lgkmcnt(3)
	v_fmac_f32_e32 v149, v142, v126
	s_delay_alu instid0(VALU_DEP_1) | instskip(SKIP_1) | instid1(VALU_DEP_1)
	v_fmac_f32_e32 v149, v143, v127
	s_waitcnt lgkmcnt(2)
	v_fmac_f32_e32 v149, v144, v128
	s_waitcnt vmcnt(1)
	s_delay_alu instid0(VALU_DEP_1) | instskip(SKIP_1) | instid1(VALU_DEP_1)
	v_fmac_f32_e32 v149, v145, v129
	s_waitcnt lgkmcnt(1)
	v_fmac_f32_e32 v149, v146, v122
	s_delay_alu instid0(VALU_DEP_1) | instskip(SKIP_1) | instid1(VALU_DEP_1)
	v_fmac_f32_e32 v149, v147, v123
	s_waitcnt lgkmcnt(0)
	v_fmac_f32_e32 v149, v148, v124
	s_waitcnt vmcnt(0)
	s_delay_alu instid0(VALU_DEP_1) | instskip(NEXT) | instid1(VALU_DEP_1)
	v_fmac_f32_e32 v149, v157, v125
	v_sub_f32_e32 v2, v121, v149
	scratch_store_b32 off, v2, off offset:120
	v_cmpx_lt_u32_e32 29, v0
	s_cbranch_execz .LBB122_303
; %bb.302:
	scratch_load_b32 v2, off, off offset:116
	v_mov_b32_e32 v121, 0
	scratch_store_b32 off, v121, off offset:116
	s_waitcnt vmcnt(0)
	ds_store_b32 v1, v2
.LBB122_303:
	s_or_b32 exec_lo, exec_lo, s0
	s_waitcnt lgkmcnt(0)
	s_waitcnt_vscnt null, 0x0
	s_barrier
	buffer_gl0_inv
	s_clause 0x7
	scratch_load_b128 v[121:124], off, off offset:116
	scratch_load_b128 v[125:128], off, off offset:132
	;; [unrolled: 1-line block ×7, first 2 shown]
	scratch_load_b64 v[157:158], off, off offset:228
	v_mov_b32_e32 v2, 0
	ds_load_2addr_b64 v[149:152], v2 offset0:45 offset1:46
	ds_load_2addr_b64 v[153:156], v2 offset0:47 offset1:48
	s_mov_b32 s0, exec_lo
	s_waitcnt vmcnt(7) lgkmcnt(1)
	v_fma_f32 v149, v122, v149, 0
	s_delay_alu instid0(VALU_DEP_1) | instskip(NEXT) | instid1(VALU_DEP_1)
	v_fmac_f32_e32 v149, v123, v150
	v_fmac_f32_e32 v149, v124, v151
	s_waitcnt vmcnt(6)
	s_delay_alu instid0(VALU_DEP_1) | instskip(SKIP_3) | instid1(VALU_DEP_1)
	v_fmac_f32_e32 v149, v125, v152
	ds_load_2addr_b64 v[122:125], v2 offset0:49 offset1:50
	s_waitcnt lgkmcnt(1)
	v_fmac_f32_e32 v149, v126, v153
	v_fmac_f32_e32 v149, v127, v154
	s_delay_alu instid0(VALU_DEP_1) | instskip(SKIP_1) | instid1(VALU_DEP_1)
	v_fmac_f32_e32 v149, v128, v155
	s_waitcnt vmcnt(5)
	v_fmac_f32_e32 v149, v129, v156
	ds_load_2addr_b64 v[126:129], v2 offset0:51 offset1:52
	s_waitcnt lgkmcnt(1)
	v_fmac_f32_e32 v149, v130, v122
	s_delay_alu instid0(VALU_DEP_1) | instskip(NEXT) | instid1(VALU_DEP_1)
	v_fmac_f32_e32 v149, v131, v123
	v_fmac_f32_e32 v149, v132, v124
	s_waitcnt vmcnt(4)
	s_delay_alu instid0(VALU_DEP_1) | instskip(SKIP_3) | instid1(VALU_DEP_1)
	v_fmac_f32_e32 v149, v133, v125
	ds_load_2addr_b64 v[122:125], v2 offset0:53 offset1:54
	s_waitcnt lgkmcnt(1)
	v_fmac_f32_e32 v149, v134, v126
	v_fmac_f32_e32 v149, v135, v127
	s_delay_alu instid0(VALU_DEP_1) | instskip(SKIP_1) | instid1(VALU_DEP_1)
	v_fmac_f32_e32 v149, v136, v128
	s_waitcnt vmcnt(3)
	v_fmac_f32_e32 v149, v137, v129
	ds_load_2addr_b64 v[126:129], v2 offset0:55 offset1:56
	s_waitcnt lgkmcnt(1)
	v_fmac_f32_e32 v149, v138, v122
	s_delay_alu instid0(VALU_DEP_1) | instskip(NEXT) | instid1(VALU_DEP_1)
	v_fmac_f32_e32 v149, v139, v123
	v_fmac_f32_e32 v149, v140, v124
	s_waitcnt vmcnt(2)
	s_delay_alu instid0(VALU_DEP_1)
	v_fmac_f32_e32 v149, v141, v125
	ds_load_2addr_b64 v[122:125], v2 offset0:57 offset1:58
	s_waitcnt lgkmcnt(1)
	v_fmac_f32_e32 v149, v142, v126
	ds_load_b32 v126, v2 offset:472
	v_fmac_f32_e32 v149, v143, v127
	s_delay_alu instid0(VALU_DEP_1) | instskip(SKIP_1) | instid1(VALU_DEP_1)
	v_fmac_f32_e32 v149, v144, v128
	s_waitcnt vmcnt(1)
	v_fmac_f32_e32 v149, v145, v129
	s_waitcnt lgkmcnt(1)
	s_delay_alu instid0(VALU_DEP_1) | instskip(NEXT) | instid1(VALU_DEP_1)
	v_fmac_f32_e32 v149, v146, v122
	v_fmac_f32_e32 v149, v147, v123
	s_delay_alu instid0(VALU_DEP_1) | instskip(SKIP_1) | instid1(VALU_DEP_1)
	v_fmac_f32_e32 v149, v148, v124
	s_waitcnt vmcnt(0)
	v_fmac_f32_e32 v149, v157, v125
	s_waitcnt lgkmcnt(0)
	s_delay_alu instid0(VALU_DEP_1) | instskip(NEXT) | instid1(VALU_DEP_1)
	v_fmac_f32_e32 v149, v158, v126
	v_sub_f32_e32 v121, v121, v149
	scratch_store_b32 off, v121, off offset:116
	v_cmpx_lt_u32_e32 28, v0
	s_cbranch_execz .LBB122_305
; %bb.304:
	scratch_load_b32 v121, off, off offset:112
	scratch_store_b32 off, v2, off offset:112
	s_waitcnt vmcnt(0)
	ds_store_b32 v1, v121
.LBB122_305:
	s_or_b32 exec_lo, exec_lo, s0
	s_waitcnt lgkmcnt(0)
	s_waitcnt_vscnt null, 0x0
	s_barrier
	buffer_gl0_inv
	s_clause 0x7
	scratch_load_b128 v[121:124], off, off offset:112
	scratch_load_b128 v[125:128], off, off offset:128
	;; [unrolled: 1-line block ×7, first 2 shown]
	scratch_load_b96 v[149:151], off, off offset:224
	ds_load_2addr_b32 v[152:153], v2 offset0:89 offset1:90
	ds_load_2addr_b32 v[154:155], v2 offset0:91 offset1:92
	;; [unrolled: 1-line block ×4, first 2 shown]
	s_mov_b32 s0, exec_lo
	s_waitcnt vmcnt(7) lgkmcnt(3)
	v_fma_f32 v152, v122, v152, 0
	s_delay_alu instid0(VALU_DEP_1) | instskip(SKIP_4) | instid1(VALU_DEP_1)
	v_fmac_f32_e32 v152, v123, v153
	ds_load_2addr_b32 v[122:123], v2 offset0:97 offset1:98
	s_waitcnt lgkmcnt(3)
	v_fmac_f32_e32 v152, v124, v154
	s_waitcnt vmcnt(6)
	v_fmac_f32_e32 v152, v125, v155
	ds_load_2addr_b32 v[124:125], v2 offset0:99 offset1:100
	s_waitcnt lgkmcnt(3)
	v_fmac_f32_e32 v152, v126, v156
	s_delay_alu instid0(VALU_DEP_1) | instskip(SKIP_1) | instid1(VALU_DEP_1)
	v_fmac_f32_e32 v152, v127, v157
	s_waitcnt lgkmcnt(2)
	v_fmac_f32_e32 v152, v128, v158
	s_waitcnt vmcnt(5)
	s_delay_alu instid0(VALU_DEP_1) | instskip(SKIP_4) | instid1(VALU_DEP_1)
	v_fmac_f32_e32 v152, v129, v159
	ds_load_2addr_b32 v[126:127], v2 offset0:101 offset1:102
	ds_load_2addr_b32 v[128:129], v2 offset0:103 offset1:104
	s_waitcnt lgkmcnt(3)
	v_fmac_f32_e32 v152, v130, v122
	v_fmac_f32_e32 v152, v131, v123
	ds_load_2addr_b32 v[122:123], v2 offset0:105 offset1:106
	s_waitcnt lgkmcnt(3)
	v_fmac_f32_e32 v152, v132, v124
	s_waitcnt vmcnt(4)
	s_delay_alu instid0(VALU_DEP_1) | instskip(SKIP_3) | instid1(VALU_DEP_1)
	v_fmac_f32_e32 v152, v133, v125
	ds_load_2addr_b32 v[124:125], v2 offset0:107 offset1:108
	s_waitcnt lgkmcnt(3)
	v_fmac_f32_e32 v152, v134, v126
	v_fmac_f32_e32 v152, v135, v127
	s_waitcnt lgkmcnt(2)
	s_delay_alu instid0(VALU_DEP_1) | instskip(SKIP_1) | instid1(VALU_DEP_1)
	v_fmac_f32_e32 v152, v136, v128
	s_waitcnt vmcnt(3)
	v_fmac_f32_e32 v152, v137, v129
	ds_load_2addr_b32 v[126:127], v2 offset0:109 offset1:110
	ds_load_2addr_b32 v[128:129], v2 offset0:111 offset1:112
	s_waitcnt lgkmcnt(3)
	v_fmac_f32_e32 v152, v138, v122
	s_delay_alu instid0(VALU_DEP_1) | instskip(SKIP_4) | instid1(VALU_DEP_1)
	v_fmac_f32_e32 v152, v139, v123
	ds_load_2addr_b32 v[122:123], v2 offset0:113 offset1:114
	s_waitcnt lgkmcnt(3)
	v_fmac_f32_e32 v152, v140, v124
	s_waitcnt vmcnt(2)
	v_fmac_f32_e32 v152, v141, v125
	ds_load_2addr_b32 v[124:125], v2 offset0:115 offset1:116
	s_waitcnt lgkmcnt(3)
	v_fmac_f32_e32 v152, v142, v126
	s_delay_alu instid0(VALU_DEP_1) | instskip(SKIP_4) | instid1(VALU_DEP_1)
	v_fmac_f32_e32 v152, v143, v127
	ds_load_2addr_b32 v[126:127], v2 offset0:117 offset1:118
	s_waitcnt lgkmcnt(3)
	v_fmac_f32_e32 v152, v144, v128
	s_waitcnt vmcnt(1)
	v_fmac_f32_e32 v152, v145, v129
	s_waitcnt lgkmcnt(2)
	s_delay_alu instid0(VALU_DEP_1) | instskip(NEXT) | instid1(VALU_DEP_1)
	v_fmac_f32_e32 v152, v146, v122
	v_fmac_f32_e32 v152, v147, v123
	s_waitcnt lgkmcnt(1)
	s_delay_alu instid0(VALU_DEP_1) | instskip(SKIP_1) | instid1(VALU_DEP_1)
	v_fmac_f32_e32 v152, v148, v124
	s_waitcnt vmcnt(0)
	v_fmac_f32_e32 v152, v149, v125
	s_waitcnt lgkmcnt(0)
	s_delay_alu instid0(VALU_DEP_1) | instskip(NEXT) | instid1(VALU_DEP_1)
	v_fmac_f32_e32 v152, v150, v126
	v_fmac_f32_e32 v152, v151, v127
	s_delay_alu instid0(VALU_DEP_1)
	v_sub_f32_e32 v2, v121, v152
	scratch_store_b32 off, v2, off offset:112
	v_cmpx_lt_u32_e32 27, v0
	s_cbranch_execz .LBB122_307
; %bb.306:
	scratch_load_b32 v2, off, off offset:108
	v_mov_b32_e32 v121, 0
	scratch_store_b32 off, v121, off offset:108
	s_waitcnt vmcnt(0)
	ds_store_b32 v1, v2
.LBB122_307:
	s_or_b32 exec_lo, exec_lo, s0
	s_waitcnt lgkmcnt(0)
	s_waitcnt_vscnt null, 0x0
	s_barrier
	buffer_gl0_inv
	s_clause 0x7
	scratch_load_b128 v[121:124], off, off offset:108
	scratch_load_b128 v[125:128], off, off offset:124
	;; [unrolled: 1-line block ×8, first 2 shown]
	v_mov_b32_e32 v2, 0
	ds_load_b128 v[153:156], v2 offset:352
	ds_load_b128 v[157:160], v2 offset:368
	s_mov_b32 s0, exec_lo
	s_waitcnt vmcnt(7) lgkmcnt(1)
	v_fma_f32 v153, v122, v153, 0
	s_delay_alu instid0(VALU_DEP_1) | instskip(NEXT) | instid1(VALU_DEP_1)
	v_fmac_f32_e32 v153, v123, v154
	v_fmac_f32_e32 v153, v124, v155
	s_waitcnt vmcnt(6)
	s_delay_alu instid0(VALU_DEP_1) | instskip(SKIP_3) | instid1(VALU_DEP_1)
	v_fmac_f32_e32 v153, v125, v156
	ds_load_b128 v[122:125], v2 offset:384
	s_waitcnt lgkmcnt(1)
	v_fmac_f32_e32 v153, v126, v157
	v_fmac_f32_e32 v153, v127, v158
	s_delay_alu instid0(VALU_DEP_1) | instskip(SKIP_1) | instid1(VALU_DEP_1)
	v_fmac_f32_e32 v153, v128, v159
	s_waitcnt vmcnt(5)
	v_fmac_f32_e32 v153, v129, v160
	ds_load_b128 v[126:129], v2 offset:400
	s_waitcnt lgkmcnt(1)
	v_fmac_f32_e32 v153, v130, v122
	s_delay_alu instid0(VALU_DEP_1) | instskip(NEXT) | instid1(VALU_DEP_1)
	v_fmac_f32_e32 v153, v131, v123
	v_fmac_f32_e32 v153, v132, v124
	s_waitcnt vmcnt(4)
	s_delay_alu instid0(VALU_DEP_1) | instskip(SKIP_3) | instid1(VALU_DEP_1)
	v_fmac_f32_e32 v153, v133, v125
	ds_load_b128 v[122:125], v2 offset:416
	s_waitcnt lgkmcnt(1)
	v_fmac_f32_e32 v153, v134, v126
	v_fmac_f32_e32 v153, v135, v127
	s_delay_alu instid0(VALU_DEP_1) | instskip(SKIP_1) | instid1(VALU_DEP_1)
	v_fmac_f32_e32 v153, v136, v128
	s_waitcnt vmcnt(3)
	v_fmac_f32_e32 v153, v137, v129
	ds_load_b128 v[126:129], v2 offset:432
	s_waitcnt lgkmcnt(1)
	v_fmac_f32_e32 v153, v138, v122
	s_delay_alu instid0(VALU_DEP_1) | instskip(NEXT) | instid1(VALU_DEP_1)
	v_fmac_f32_e32 v153, v139, v123
	v_fmac_f32_e32 v153, v140, v124
	s_waitcnt vmcnt(2)
	s_delay_alu instid0(VALU_DEP_1) | instskip(SKIP_3) | instid1(VALU_DEP_1)
	v_fmac_f32_e32 v153, v141, v125
	ds_load_b128 v[122:125], v2 offset:448
	s_waitcnt lgkmcnt(1)
	v_fmac_f32_e32 v153, v142, v126
	v_fmac_f32_e32 v153, v143, v127
	s_delay_alu instid0(VALU_DEP_1) | instskip(SKIP_4) | instid1(VALU_DEP_1)
	v_fmac_f32_e32 v153, v144, v128
	ds_load_b96 v[126:128], v2 offset:464
	s_waitcnt vmcnt(1)
	v_fmac_f32_e32 v153, v145, v129
	s_waitcnt lgkmcnt(1)
	v_fmac_f32_e32 v153, v146, v122
	s_delay_alu instid0(VALU_DEP_1) | instskip(NEXT) | instid1(VALU_DEP_1)
	v_fmac_f32_e32 v153, v147, v123
	v_fmac_f32_e32 v153, v148, v124
	s_waitcnt vmcnt(0)
	s_delay_alu instid0(VALU_DEP_1) | instskip(SKIP_1) | instid1(VALU_DEP_1)
	v_fmac_f32_e32 v153, v149, v125
	s_waitcnt lgkmcnt(0)
	v_fmac_f32_e32 v153, v150, v126
	s_delay_alu instid0(VALU_DEP_1) | instskip(NEXT) | instid1(VALU_DEP_1)
	v_fmac_f32_e32 v153, v151, v127
	v_fmac_f32_e32 v153, v152, v128
	s_delay_alu instid0(VALU_DEP_1)
	v_sub_f32_e32 v121, v121, v153
	scratch_store_b32 off, v121, off offset:108
	v_cmpx_lt_u32_e32 26, v0
	s_cbranch_execz .LBB122_309
; %bb.308:
	scratch_load_b32 v121, off, off offset:104
	scratch_store_b32 off, v2, off offset:104
	s_waitcnt vmcnt(0)
	ds_store_b32 v1, v121
.LBB122_309:
	s_or_b32 exec_lo, exec_lo, s0
	s_waitcnt lgkmcnt(0)
	s_waitcnt_vscnt null, 0x0
	s_barrier
	buffer_gl0_inv
	s_clause 0x8
	scratch_load_b128 v[121:124], off, off offset:104
	scratch_load_b128 v[125:128], off, off offset:120
	;; [unrolled: 1-line block ×8, first 2 shown]
	scratch_load_b32 v161, off, off offset:232
	ds_load_2addr_b32 v[153:154], v2 offset0:87 offset1:88
	ds_load_2addr_b32 v[155:156], v2 offset0:89 offset1:90
	;; [unrolled: 1-line block ×4, first 2 shown]
	s_mov_b32 s0, exec_lo
	s_waitcnt vmcnt(8) lgkmcnt(3)
	v_fma_f32 v153, v122, v153, 0
	s_delay_alu instid0(VALU_DEP_1) | instskip(SKIP_4) | instid1(VALU_DEP_1)
	v_fmac_f32_e32 v153, v123, v154
	ds_load_2addr_b32 v[122:123], v2 offset0:95 offset1:96
	s_waitcnt lgkmcnt(3)
	v_fmac_f32_e32 v153, v124, v155
	s_waitcnt vmcnt(7)
	v_fmac_f32_e32 v153, v125, v156
	ds_load_2addr_b32 v[124:125], v2 offset0:97 offset1:98
	s_waitcnt lgkmcnt(3)
	v_fmac_f32_e32 v153, v126, v157
	s_delay_alu instid0(VALU_DEP_1) | instskip(SKIP_1) | instid1(VALU_DEP_1)
	v_fmac_f32_e32 v153, v127, v158
	s_waitcnt lgkmcnt(2)
	v_fmac_f32_e32 v153, v128, v159
	s_waitcnt vmcnt(6)
	s_delay_alu instid0(VALU_DEP_1) | instskip(SKIP_4) | instid1(VALU_DEP_1)
	v_fmac_f32_e32 v153, v129, v160
	ds_load_2addr_b32 v[126:127], v2 offset0:99 offset1:100
	ds_load_2addr_b32 v[128:129], v2 offset0:101 offset1:102
	s_waitcnt lgkmcnt(3)
	v_fmac_f32_e32 v153, v130, v122
	v_fmac_f32_e32 v153, v131, v123
	ds_load_2addr_b32 v[122:123], v2 offset0:103 offset1:104
	s_waitcnt lgkmcnt(3)
	v_fmac_f32_e32 v153, v132, v124
	s_waitcnt vmcnt(5)
	s_delay_alu instid0(VALU_DEP_1) | instskip(SKIP_3) | instid1(VALU_DEP_1)
	v_fmac_f32_e32 v153, v133, v125
	ds_load_2addr_b32 v[124:125], v2 offset0:105 offset1:106
	s_waitcnt lgkmcnt(3)
	v_fmac_f32_e32 v153, v134, v126
	v_fmac_f32_e32 v153, v135, v127
	s_waitcnt lgkmcnt(2)
	s_delay_alu instid0(VALU_DEP_1) | instskip(SKIP_1) | instid1(VALU_DEP_1)
	v_fmac_f32_e32 v153, v136, v128
	s_waitcnt vmcnt(4)
	v_fmac_f32_e32 v153, v137, v129
	ds_load_2addr_b32 v[126:127], v2 offset0:107 offset1:108
	ds_load_2addr_b32 v[128:129], v2 offset0:109 offset1:110
	s_waitcnt lgkmcnt(3)
	v_fmac_f32_e32 v153, v138, v122
	s_delay_alu instid0(VALU_DEP_1) | instskip(SKIP_4) | instid1(VALU_DEP_1)
	v_fmac_f32_e32 v153, v139, v123
	ds_load_2addr_b32 v[122:123], v2 offset0:111 offset1:112
	s_waitcnt lgkmcnt(3)
	v_fmac_f32_e32 v153, v140, v124
	s_waitcnt vmcnt(3)
	v_fmac_f32_e32 v153, v141, v125
	ds_load_2addr_b32 v[124:125], v2 offset0:113 offset1:114
	s_waitcnt lgkmcnt(3)
	v_fmac_f32_e32 v153, v142, v126
	s_delay_alu instid0(VALU_DEP_1) | instskip(SKIP_1) | instid1(VALU_DEP_1)
	v_fmac_f32_e32 v153, v143, v127
	s_waitcnt lgkmcnt(2)
	v_fmac_f32_e32 v153, v144, v128
	s_waitcnt vmcnt(2)
	s_delay_alu instid0(VALU_DEP_1) | instskip(SKIP_4) | instid1(VALU_DEP_1)
	v_fmac_f32_e32 v153, v145, v129
	ds_load_2addr_b32 v[126:127], v2 offset0:115 offset1:116
	ds_load_2addr_b32 v[128:129], v2 offset0:117 offset1:118
	s_waitcnt lgkmcnt(3)
	v_fmac_f32_e32 v153, v146, v122
	v_fmac_f32_e32 v153, v147, v123
	s_waitcnt lgkmcnt(2)
	s_delay_alu instid0(VALU_DEP_1) | instskip(SKIP_1) | instid1(VALU_DEP_1)
	v_fmac_f32_e32 v153, v148, v124
	s_waitcnt vmcnt(1)
	v_fmac_f32_e32 v153, v149, v125
	s_waitcnt lgkmcnt(1)
	s_delay_alu instid0(VALU_DEP_1) | instskip(NEXT) | instid1(VALU_DEP_1)
	v_fmac_f32_e32 v153, v150, v126
	v_fmac_f32_e32 v153, v151, v127
	s_waitcnt lgkmcnt(0)
	s_delay_alu instid0(VALU_DEP_1) | instskip(SKIP_1) | instid1(VALU_DEP_1)
	v_fmac_f32_e32 v153, v152, v128
	s_waitcnt vmcnt(0)
	v_fmac_f32_e32 v153, v161, v129
	s_delay_alu instid0(VALU_DEP_1)
	v_sub_f32_e32 v2, v121, v153
	scratch_store_b32 off, v2, off offset:104
	v_cmpx_lt_u32_e32 25, v0
	s_cbranch_execz .LBB122_311
; %bb.310:
	scratch_load_b32 v2, off, off offset:100
	v_mov_b32_e32 v121, 0
	scratch_store_b32 off, v121, off offset:100
	s_waitcnt vmcnt(0)
	ds_store_b32 v1, v2
.LBB122_311:
	s_or_b32 exec_lo, exec_lo, s0
	s_waitcnt lgkmcnt(0)
	s_waitcnt_vscnt null, 0x0
	s_barrier
	buffer_gl0_inv
	s_clause 0x8
	scratch_load_b128 v[121:124], off, off offset:100
	scratch_load_b128 v[125:128], off, off offset:116
	;; [unrolled: 1-line block ×8, first 2 shown]
	scratch_load_b64 v[161:162], off, off offset:228
	v_mov_b32_e32 v2, 0
	ds_load_2addr_b64 v[153:156], v2 offset0:43 offset1:44
	ds_load_2addr_b64 v[157:160], v2 offset0:45 offset1:46
	s_mov_b32 s0, exec_lo
	s_waitcnt vmcnt(8) lgkmcnt(1)
	v_fma_f32 v153, v122, v153, 0
	s_delay_alu instid0(VALU_DEP_1) | instskip(NEXT) | instid1(VALU_DEP_1)
	v_fmac_f32_e32 v153, v123, v154
	v_fmac_f32_e32 v153, v124, v155
	s_waitcnt vmcnt(7)
	s_delay_alu instid0(VALU_DEP_1) | instskip(SKIP_3) | instid1(VALU_DEP_1)
	v_fmac_f32_e32 v153, v125, v156
	ds_load_2addr_b64 v[122:125], v2 offset0:47 offset1:48
	s_waitcnt lgkmcnt(1)
	v_fmac_f32_e32 v153, v126, v157
	v_fmac_f32_e32 v153, v127, v158
	s_delay_alu instid0(VALU_DEP_1) | instskip(SKIP_1) | instid1(VALU_DEP_1)
	v_fmac_f32_e32 v153, v128, v159
	s_waitcnt vmcnt(6)
	v_fmac_f32_e32 v153, v129, v160
	ds_load_2addr_b64 v[126:129], v2 offset0:49 offset1:50
	s_waitcnt lgkmcnt(1)
	v_fmac_f32_e32 v153, v130, v122
	s_delay_alu instid0(VALU_DEP_1) | instskip(NEXT) | instid1(VALU_DEP_1)
	v_fmac_f32_e32 v153, v131, v123
	v_fmac_f32_e32 v153, v132, v124
	s_waitcnt vmcnt(5)
	s_delay_alu instid0(VALU_DEP_1) | instskip(SKIP_3) | instid1(VALU_DEP_1)
	v_fmac_f32_e32 v153, v133, v125
	ds_load_2addr_b64 v[122:125], v2 offset0:51 offset1:52
	s_waitcnt lgkmcnt(1)
	v_fmac_f32_e32 v153, v134, v126
	v_fmac_f32_e32 v153, v135, v127
	s_delay_alu instid0(VALU_DEP_1) | instskip(SKIP_1) | instid1(VALU_DEP_1)
	v_fmac_f32_e32 v153, v136, v128
	s_waitcnt vmcnt(4)
	v_fmac_f32_e32 v153, v137, v129
	ds_load_2addr_b64 v[126:129], v2 offset0:53 offset1:54
	s_waitcnt lgkmcnt(1)
	v_fmac_f32_e32 v153, v138, v122
	;; [unrolled: 17-line block ×3, first 2 shown]
	ds_load_b32 v122, v2 offset:472
	v_fmac_f32_e32 v153, v147, v123
	s_delay_alu instid0(VALU_DEP_1) | instskip(SKIP_1) | instid1(VALU_DEP_1)
	v_fmac_f32_e32 v153, v148, v124
	s_waitcnt vmcnt(1)
	v_fmac_f32_e32 v153, v149, v125
	s_waitcnt lgkmcnt(1)
	s_delay_alu instid0(VALU_DEP_1) | instskip(NEXT) | instid1(VALU_DEP_1)
	v_fmac_f32_e32 v153, v150, v126
	v_fmac_f32_e32 v153, v151, v127
	s_delay_alu instid0(VALU_DEP_1) | instskip(SKIP_1) | instid1(VALU_DEP_1)
	v_fmac_f32_e32 v153, v152, v128
	s_waitcnt vmcnt(0)
	v_fmac_f32_e32 v153, v161, v129
	s_waitcnt lgkmcnt(0)
	s_delay_alu instid0(VALU_DEP_1) | instskip(NEXT) | instid1(VALU_DEP_1)
	v_fmac_f32_e32 v153, v162, v122
	v_sub_f32_e32 v121, v121, v153
	scratch_store_b32 off, v121, off offset:100
	v_cmpx_lt_u32_e32 24, v0
	s_cbranch_execz .LBB122_313
; %bb.312:
	scratch_load_b32 v121, off, off offset:96
	scratch_store_b32 off, v2, off offset:96
	s_waitcnt vmcnt(0)
	ds_store_b32 v1, v121
.LBB122_313:
	s_or_b32 exec_lo, exec_lo, s0
	s_waitcnt lgkmcnt(0)
	s_waitcnt_vscnt null, 0x0
	s_barrier
	buffer_gl0_inv
	s_clause 0x8
	scratch_load_b128 v[121:124], off, off offset:96
	scratch_load_b128 v[125:128], off, off offset:112
	;; [unrolled: 1-line block ×8, first 2 shown]
	scratch_load_b96 v[153:155], off, off offset:224
	ds_load_2addr_b32 v[156:157], v2 offset0:85 offset1:86
	ds_load_2addr_b32 v[158:159], v2 offset0:87 offset1:88
	;; [unrolled: 1-line block ×4, first 2 shown]
	s_mov_b32 s0, exec_lo
	s_waitcnt vmcnt(8) lgkmcnt(3)
	v_fma_f32 v156, v122, v156, 0
	s_delay_alu instid0(VALU_DEP_1) | instskip(SKIP_4) | instid1(VALU_DEP_1)
	v_fmac_f32_e32 v156, v123, v157
	ds_load_2addr_b32 v[122:123], v2 offset0:93 offset1:94
	s_waitcnt lgkmcnt(3)
	v_fmac_f32_e32 v156, v124, v158
	s_waitcnt vmcnt(7)
	v_fmac_f32_e32 v156, v125, v159
	ds_load_2addr_b32 v[124:125], v2 offset0:95 offset1:96
	s_waitcnt lgkmcnt(3)
	v_fmac_f32_e32 v156, v126, v160
	s_delay_alu instid0(VALU_DEP_1) | instskip(SKIP_1) | instid1(VALU_DEP_1)
	v_fmac_f32_e32 v156, v127, v161
	s_waitcnt lgkmcnt(2)
	v_fmac_f32_e32 v156, v128, v162
	s_waitcnt vmcnt(6)
	s_delay_alu instid0(VALU_DEP_1) | instskip(SKIP_4) | instid1(VALU_DEP_1)
	v_fmac_f32_e32 v156, v129, v163
	ds_load_2addr_b32 v[126:127], v2 offset0:97 offset1:98
	ds_load_2addr_b32 v[128:129], v2 offset0:99 offset1:100
	s_waitcnt lgkmcnt(3)
	v_fmac_f32_e32 v156, v130, v122
	v_fmac_f32_e32 v156, v131, v123
	ds_load_2addr_b32 v[122:123], v2 offset0:101 offset1:102
	s_waitcnt lgkmcnt(3)
	v_fmac_f32_e32 v156, v132, v124
	s_waitcnt vmcnt(5)
	s_delay_alu instid0(VALU_DEP_1) | instskip(SKIP_3) | instid1(VALU_DEP_1)
	v_fmac_f32_e32 v156, v133, v125
	ds_load_2addr_b32 v[124:125], v2 offset0:103 offset1:104
	s_waitcnt lgkmcnt(3)
	v_fmac_f32_e32 v156, v134, v126
	v_fmac_f32_e32 v156, v135, v127
	s_waitcnt lgkmcnt(2)
	s_delay_alu instid0(VALU_DEP_1) | instskip(SKIP_1) | instid1(VALU_DEP_1)
	v_fmac_f32_e32 v156, v136, v128
	s_waitcnt vmcnt(4)
	v_fmac_f32_e32 v156, v137, v129
	ds_load_2addr_b32 v[126:127], v2 offset0:105 offset1:106
	ds_load_2addr_b32 v[128:129], v2 offset0:107 offset1:108
	s_waitcnt lgkmcnt(3)
	v_fmac_f32_e32 v156, v138, v122
	s_delay_alu instid0(VALU_DEP_1) | instskip(SKIP_4) | instid1(VALU_DEP_1)
	v_fmac_f32_e32 v156, v139, v123
	ds_load_2addr_b32 v[122:123], v2 offset0:109 offset1:110
	s_waitcnt lgkmcnt(3)
	v_fmac_f32_e32 v156, v140, v124
	s_waitcnt vmcnt(3)
	v_fmac_f32_e32 v156, v141, v125
	ds_load_2addr_b32 v[124:125], v2 offset0:111 offset1:112
	s_waitcnt lgkmcnt(3)
	v_fmac_f32_e32 v156, v142, v126
	s_delay_alu instid0(VALU_DEP_1) | instskip(SKIP_1) | instid1(VALU_DEP_1)
	v_fmac_f32_e32 v156, v143, v127
	s_waitcnt lgkmcnt(2)
	v_fmac_f32_e32 v156, v144, v128
	s_waitcnt vmcnt(2)
	s_delay_alu instid0(VALU_DEP_1) | instskip(SKIP_4) | instid1(VALU_DEP_1)
	v_fmac_f32_e32 v156, v145, v129
	ds_load_2addr_b32 v[126:127], v2 offset0:113 offset1:114
	ds_load_2addr_b32 v[128:129], v2 offset0:115 offset1:116
	s_waitcnt lgkmcnt(3)
	v_fmac_f32_e32 v156, v146, v122
	v_fmac_f32_e32 v156, v147, v123
	ds_load_2addr_b32 v[122:123], v2 offset0:117 offset1:118
	s_waitcnt lgkmcnt(3)
	v_fmac_f32_e32 v156, v148, v124
	s_waitcnt vmcnt(1)
	s_delay_alu instid0(VALU_DEP_1) | instskip(SKIP_1) | instid1(VALU_DEP_1)
	v_fmac_f32_e32 v156, v149, v125
	s_waitcnt lgkmcnt(2)
	v_fmac_f32_e32 v156, v150, v126
	s_delay_alu instid0(VALU_DEP_1) | instskip(SKIP_1) | instid1(VALU_DEP_1)
	v_fmac_f32_e32 v156, v151, v127
	s_waitcnt lgkmcnt(1)
	v_fmac_f32_e32 v156, v152, v128
	s_waitcnt vmcnt(0)
	s_delay_alu instid0(VALU_DEP_1) | instskip(SKIP_1) | instid1(VALU_DEP_1)
	v_fmac_f32_e32 v156, v153, v129
	s_waitcnt lgkmcnt(0)
	v_fmac_f32_e32 v156, v154, v122
	s_delay_alu instid0(VALU_DEP_1) | instskip(NEXT) | instid1(VALU_DEP_1)
	v_fmac_f32_e32 v156, v155, v123
	v_sub_f32_e32 v2, v121, v156
	scratch_store_b32 off, v2, off offset:96
	v_cmpx_lt_u32_e32 23, v0
	s_cbranch_execz .LBB122_315
; %bb.314:
	scratch_load_b32 v2, off, off offset:92
	v_mov_b32_e32 v121, 0
	scratch_store_b32 off, v121, off offset:92
	s_waitcnt vmcnt(0)
	ds_store_b32 v1, v2
.LBB122_315:
	s_or_b32 exec_lo, exec_lo, s0
	s_waitcnt lgkmcnt(0)
	s_waitcnt_vscnt null, 0x0
	s_barrier
	buffer_gl0_inv
	s_clause 0x8
	scratch_load_b128 v[121:124], off, off offset:92
	scratch_load_b128 v[125:128], off, off offset:108
	;; [unrolled: 1-line block ×9, first 2 shown]
	v_mov_b32_e32 v2, 0
	ds_load_b128 v[157:160], v2 offset:336
	ds_load_b128 v[161:164], v2 offset:352
	s_mov_b32 s0, exec_lo
	s_waitcnt vmcnt(8) lgkmcnt(1)
	v_fma_f32 v157, v122, v157, 0
	s_delay_alu instid0(VALU_DEP_1) | instskip(NEXT) | instid1(VALU_DEP_1)
	v_fmac_f32_e32 v157, v123, v158
	v_fmac_f32_e32 v157, v124, v159
	s_waitcnt vmcnt(7)
	s_delay_alu instid0(VALU_DEP_1) | instskip(SKIP_3) | instid1(VALU_DEP_1)
	v_fmac_f32_e32 v157, v125, v160
	ds_load_b128 v[122:125], v2 offset:368
	s_waitcnt lgkmcnt(1)
	v_fmac_f32_e32 v157, v126, v161
	v_fmac_f32_e32 v157, v127, v162
	s_delay_alu instid0(VALU_DEP_1) | instskip(SKIP_1) | instid1(VALU_DEP_1)
	v_fmac_f32_e32 v157, v128, v163
	s_waitcnt vmcnt(6)
	v_fmac_f32_e32 v157, v129, v164
	ds_load_b128 v[126:129], v2 offset:384
	s_waitcnt lgkmcnt(1)
	v_fmac_f32_e32 v157, v130, v122
	s_delay_alu instid0(VALU_DEP_1) | instskip(NEXT) | instid1(VALU_DEP_1)
	v_fmac_f32_e32 v157, v131, v123
	v_fmac_f32_e32 v157, v132, v124
	s_waitcnt vmcnt(5)
	s_delay_alu instid0(VALU_DEP_1) | instskip(SKIP_3) | instid1(VALU_DEP_1)
	v_fmac_f32_e32 v157, v133, v125
	ds_load_b128 v[122:125], v2 offset:400
	s_waitcnt lgkmcnt(1)
	v_fmac_f32_e32 v157, v134, v126
	v_fmac_f32_e32 v157, v135, v127
	s_delay_alu instid0(VALU_DEP_1) | instskip(SKIP_1) | instid1(VALU_DEP_1)
	v_fmac_f32_e32 v157, v136, v128
	s_waitcnt vmcnt(4)
	v_fmac_f32_e32 v157, v137, v129
	ds_load_b128 v[126:129], v2 offset:416
	s_waitcnt lgkmcnt(1)
	v_fmac_f32_e32 v157, v138, v122
	;; [unrolled: 17-line block ×3, first 2 shown]
	s_delay_alu instid0(VALU_DEP_1) | instskip(NEXT) | instid1(VALU_DEP_1)
	v_fmac_f32_e32 v157, v147, v123
	v_fmac_f32_e32 v157, v148, v124
	ds_load_b96 v[122:124], v2 offset:464
	s_waitcnt vmcnt(1)
	v_fmac_f32_e32 v157, v149, v125
	s_waitcnt lgkmcnt(1)
	s_delay_alu instid0(VALU_DEP_1) | instskip(NEXT) | instid1(VALU_DEP_1)
	v_fmac_f32_e32 v157, v150, v126
	v_fmac_f32_e32 v157, v151, v127
	s_delay_alu instid0(VALU_DEP_1) | instskip(SKIP_1) | instid1(VALU_DEP_1)
	v_fmac_f32_e32 v157, v152, v128
	s_waitcnt vmcnt(0)
	v_fmac_f32_e32 v157, v153, v129
	s_waitcnt lgkmcnt(0)
	s_delay_alu instid0(VALU_DEP_1) | instskip(NEXT) | instid1(VALU_DEP_1)
	v_fmac_f32_e32 v157, v154, v122
	v_fmac_f32_e32 v157, v155, v123
	s_delay_alu instid0(VALU_DEP_1) | instskip(NEXT) | instid1(VALU_DEP_1)
	v_fmac_f32_e32 v157, v156, v124
	v_sub_f32_e32 v121, v121, v157
	scratch_store_b32 off, v121, off offset:92
	v_cmpx_lt_u32_e32 22, v0
	s_cbranch_execz .LBB122_317
; %bb.316:
	scratch_load_b32 v121, off, off offset:88
	scratch_store_b32 off, v2, off offset:88
	s_waitcnt vmcnt(0)
	ds_store_b32 v1, v121
.LBB122_317:
	s_or_b32 exec_lo, exec_lo, s0
	s_waitcnt lgkmcnt(0)
	s_waitcnt_vscnt null, 0x0
	s_barrier
	buffer_gl0_inv
	s_clause 0x9
	scratch_load_b128 v[121:124], off, off offset:88
	scratch_load_b128 v[125:128], off, off offset:104
	;; [unrolled: 1-line block ×9, first 2 shown]
	scratch_load_b32 v165, off, off offset:232
	ds_load_2addr_b32 v[157:158], v2 offset0:83 offset1:84
	ds_load_2addr_b32 v[159:160], v2 offset0:85 offset1:86
	;; [unrolled: 1-line block ×4, first 2 shown]
	s_mov_b32 s0, exec_lo
	s_waitcnt vmcnt(9) lgkmcnt(3)
	v_fma_f32 v157, v122, v157, 0
	s_delay_alu instid0(VALU_DEP_1) | instskip(SKIP_4) | instid1(VALU_DEP_1)
	v_fmac_f32_e32 v157, v123, v158
	ds_load_2addr_b32 v[122:123], v2 offset0:91 offset1:92
	s_waitcnt lgkmcnt(3)
	v_fmac_f32_e32 v157, v124, v159
	s_waitcnt vmcnt(8)
	v_fmac_f32_e32 v157, v125, v160
	ds_load_2addr_b32 v[124:125], v2 offset0:93 offset1:94
	s_waitcnt lgkmcnt(3)
	v_fmac_f32_e32 v157, v126, v161
	s_delay_alu instid0(VALU_DEP_1) | instskip(SKIP_1) | instid1(VALU_DEP_1)
	v_fmac_f32_e32 v157, v127, v162
	s_waitcnt lgkmcnt(2)
	v_fmac_f32_e32 v157, v128, v163
	s_waitcnt vmcnt(7)
	s_delay_alu instid0(VALU_DEP_1) | instskip(SKIP_4) | instid1(VALU_DEP_1)
	v_fmac_f32_e32 v157, v129, v164
	ds_load_2addr_b32 v[126:127], v2 offset0:95 offset1:96
	ds_load_2addr_b32 v[128:129], v2 offset0:97 offset1:98
	s_waitcnt lgkmcnt(3)
	v_fmac_f32_e32 v157, v130, v122
	v_fmac_f32_e32 v157, v131, v123
	ds_load_2addr_b32 v[122:123], v2 offset0:99 offset1:100
	s_waitcnt lgkmcnt(3)
	v_fmac_f32_e32 v157, v132, v124
	s_waitcnt vmcnt(6)
	s_delay_alu instid0(VALU_DEP_1) | instskip(SKIP_3) | instid1(VALU_DEP_1)
	v_fmac_f32_e32 v157, v133, v125
	ds_load_2addr_b32 v[124:125], v2 offset0:101 offset1:102
	s_waitcnt lgkmcnt(3)
	v_fmac_f32_e32 v157, v134, v126
	v_fmac_f32_e32 v157, v135, v127
	s_waitcnt lgkmcnt(2)
	s_delay_alu instid0(VALU_DEP_1) | instskip(SKIP_1) | instid1(VALU_DEP_1)
	v_fmac_f32_e32 v157, v136, v128
	s_waitcnt vmcnt(5)
	v_fmac_f32_e32 v157, v137, v129
	ds_load_2addr_b32 v[126:127], v2 offset0:103 offset1:104
	ds_load_2addr_b32 v[128:129], v2 offset0:105 offset1:106
	s_waitcnt lgkmcnt(3)
	v_fmac_f32_e32 v157, v138, v122
	s_delay_alu instid0(VALU_DEP_1) | instskip(SKIP_4) | instid1(VALU_DEP_1)
	v_fmac_f32_e32 v157, v139, v123
	ds_load_2addr_b32 v[122:123], v2 offset0:107 offset1:108
	s_waitcnt lgkmcnt(3)
	v_fmac_f32_e32 v157, v140, v124
	s_waitcnt vmcnt(4)
	v_fmac_f32_e32 v157, v141, v125
	ds_load_2addr_b32 v[124:125], v2 offset0:109 offset1:110
	s_waitcnt lgkmcnt(3)
	v_fmac_f32_e32 v157, v142, v126
	s_delay_alu instid0(VALU_DEP_1) | instskip(SKIP_1) | instid1(VALU_DEP_1)
	v_fmac_f32_e32 v157, v143, v127
	s_waitcnt lgkmcnt(2)
	v_fmac_f32_e32 v157, v144, v128
	s_waitcnt vmcnt(3)
	s_delay_alu instid0(VALU_DEP_1) | instskip(SKIP_4) | instid1(VALU_DEP_1)
	v_fmac_f32_e32 v157, v145, v129
	ds_load_2addr_b32 v[126:127], v2 offset0:111 offset1:112
	ds_load_2addr_b32 v[128:129], v2 offset0:113 offset1:114
	s_waitcnt lgkmcnt(3)
	v_fmac_f32_e32 v157, v146, v122
	v_fmac_f32_e32 v157, v147, v123
	ds_load_2addr_b32 v[122:123], v2 offset0:115 offset1:116
	s_waitcnt lgkmcnt(3)
	v_fmac_f32_e32 v157, v148, v124
	s_waitcnt vmcnt(2)
	s_delay_alu instid0(VALU_DEP_1) | instskip(SKIP_3) | instid1(VALU_DEP_1)
	v_fmac_f32_e32 v157, v149, v125
	ds_load_2addr_b32 v[124:125], v2 offset0:117 offset1:118
	s_waitcnt lgkmcnt(3)
	v_fmac_f32_e32 v157, v150, v126
	v_fmac_f32_e32 v157, v151, v127
	s_waitcnt lgkmcnt(2)
	s_delay_alu instid0(VALU_DEP_1) | instskip(SKIP_1) | instid1(VALU_DEP_1)
	v_fmac_f32_e32 v157, v152, v128
	s_waitcnt vmcnt(1)
	v_fmac_f32_e32 v157, v153, v129
	s_waitcnt lgkmcnt(1)
	s_delay_alu instid0(VALU_DEP_1) | instskip(NEXT) | instid1(VALU_DEP_1)
	v_fmac_f32_e32 v157, v154, v122
	v_fmac_f32_e32 v157, v155, v123
	s_waitcnt lgkmcnt(0)
	s_delay_alu instid0(VALU_DEP_1) | instskip(SKIP_1) | instid1(VALU_DEP_1)
	v_fmac_f32_e32 v157, v156, v124
	s_waitcnt vmcnt(0)
	v_fmac_f32_e32 v157, v165, v125
	s_delay_alu instid0(VALU_DEP_1)
	v_sub_f32_e32 v2, v121, v157
	scratch_store_b32 off, v2, off offset:88
	v_cmpx_lt_u32_e32 21, v0
	s_cbranch_execz .LBB122_319
; %bb.318:
	scratch_load_b32 v2, off, off offset:84
	v_mov_b32_e32 v121, 0
	scratch_store_b32 off, v121, off offset:84
	s_waitcnt vmcnt(0)
	ds_store_b32 v1, v2
.LBB122_319:
	s_or_b32 exec_lo, exec_lo, s0
	s_waitcnt lgkmcnt(0)
	s_waitcnt_vscnt null, 0x0
	s_barrier
	buffer_gl0_inv
	s_clause 0x9
	scratch_load_b128 v[121:124], off, off offset:84
	scratch_load_b128 v[125:128], off, off offset:100
	;; [unrolled: 1-line block ×9, first 2 shown]
	scratch_load_b64 v[165:166], off, off offset:228
	v_mov_b32_e32 v2, 0
	ds_load_2addr_b64 v[157:160], v2 offset0:41 offset1:42
	ds_load_2addr_b64 v[161:164], v2 offset0:43 offset1:44
	s_mov_b32 s0, exec_lo
	s_waitcnt vmcnt(9) lgkmcnt(1)
	v_fma_f32 v157, v122, v157, 0
	s_delay_alu instid0(VALU_DEP_1) | instskip(NEXT) | instid1(VALU_DEP_1)
	v_fmac_f32_e32 v157, v123, v158
	v_fmac_f32_e32 v157, v124, v159
	s_waitcnt vmcnt(8)
	s_delay_alu instid0(VALU_DEP_1) | instskip(SKIP_3) | instid1(VALU_DEP_1)
	v_fmac_f32_e32 v157, v125, v160
	ds_load_2addr_b64 v[122:125], v2 offset0:45 offset1:46
	s_waitcnt lgkmcnt(1)
	v_fmac_f32_e32 v157, v126, v161
	v_fmac_f32_e32 v157, v127, v162
	s_delay_alu instid0(VALU_DEP_1) | instskip(SKIP_1) | instid1(VALU_DEP_1)
	v_fmac_f32_e32 v157, v128, v163
	s_waitcnt vmcnt(7)
	v_fmac_f32_e32 v157, v129, v164
	ds_load_2addr_b64 v[126:129], v2 offset0:47 offset1:48
	s_waitcnt lgkmcnt(1)
	v_fmac_f32_e32 v157, v130, v122
	s_delay_alu instid0(VALU_DEP_1) | instskip(NEXT) | instid1(VALU_DEP_1)
	v_fmac_f32_e32 v157, v131, v123
	v_fmac_f32_e32 v157, v132, v124
	s_waitcnt vmcnt(6)
	s_delay_alu instid0(VALU_DEP_1) | instskip(SKIP_3) | instid1(VALU_DEP_1)
	v_fmac_f32_e32 v157, v133, v125
	ds_load_2addr_b64 v[122:125], v2 offset0:49 offset1:50
	s_waitcnt lgkmcnt(1)
	v_fmac_f32_e32 v157, v134, v126
	v_fmac_f32_e32 v157, v135, v127
	s_delay_alu instid0(VALU_DEP_1) | instskip(SKIP_1) | instid1(VALU_DEP_1)
	v_fmac_f32_e32 v157, v136, v128
	s_waitcnt vmcnt(5)
	v_fmac_f32_e32 v157, v137, v129
	ds_load_2addr_b64 v[126:129], v2 offset0:51 offset1:52
	s_waitcnt lgkmcnt(1)
	v_fmac_f32_e32 v157, v138, v122
	;; [unrolled: 17-line block ×3, first 2 shown]
	s_delay_alu instid0(VALU_DEP_1) | instskip(NEXT) | instid1(VALU_DEP_1)
	v_fmac_f32_e32 v157, v147, v123
	v_fmac_f32_e32 v157, v148, v124
	s_waitcnt vmcnt(2)
	s_delay_alu instid0(VALU_DEP_1)
	v_fmac_f32_e32 v157, v149, v125
	ds_load_2addr_b64 v[122:125], v2 offset0:57 offset1:58
	s_waitcnt lgkmcnt(1)
	v_fmac_f32_e32 v157, v150, v126
	ds_load_b32 v126, v2 offset:472
	v_fmac_f32_e32 v157, v151, v127
	s_delay_alu instid0(VALU_DEP_1) | instskip(SKIP_1) | instid1(VALU_DEP_1)
	v_fmac_f32_e32 v157, v152, v128
	s_waitcnt vmcnt(1)
	v_fmac_f32_e32 v157, v153, v129
	s_waitcnt lgkmcnt(1)
	s_delay_alu instid0(VALU_DEP_1) | instskip(NEXT) | instid1(VALU_DEP_1)
	v_fmac_f32_e32 v157, v154, v122
	v_fmac_f32_e32 v157, v155, v123
	s_delay_alu instid0(VALU_DEP_1) | instskip(SKIP_1) | instid1(VALU_DEP_1)
	v_fmac_f32_e32 v157, v156, v124
	s_waitcnt vmcnt(0)
	v_fmac_f32_e32 v157, v165, v125
	s_waitcnt lgkmcnt(0)
	s_delay_alu instid0(VALU_DEP_1) | instskip(NEXT) | instid1(VALU_DEP_1)
	v_fmac_f32_e32 v157, v166, v126
	v_sub_f32_e32 v121, v121, v157
	scratch_store_b32 off, v121, off offset:84
	v_cmpx_lt_u32_e32 20, v0
	s_cbranch_execz .LBB122_321
; %bb.320:
	scratch_load_b32 v121, off, off offset:80
	scratch_store_b32 off, v2, off offset:80
	s_waitcnt vmcnt(0)
	ds_store_b32 v1, v121
.LBB122_321:
	s_or_b32 exec_lo, exec_lo, s0
	s_waitcnt lgkmcnt(0)
	s_waitcnt_vscnt null, 0x0
	s_barrier
	buffer_gl0_inv
	s_clause 0x9
	scratch_load_b128 v[121:124], off, off offset:80
	scratch_load_b128 v[125:128], off, off offset:96
	;; [unrolled: 1-line block ×9, first 2 shown]
	scratch_load_b96 v[157:159], off, off offset:224
	ds_load_2addr_b32 v[160:161], v2 offset0:81 offset1:82
	ds_load_2addr_b32 v[162:163], v2 offset0:83 offset1:84
	;; [unrolled: 1-line block ×3, first 2 shown]
	s_mov_b32 s0, exec_lo
	s_waitcnt vmcnt(9) lgkmcnt(2)
	v_fma_f32 v160, v122, v160, 0
	s_delay_alu instid0(VALU_DEP_1) | instskip(SKIP_4) | instid1(VALU_DEP_1)
	v_fmac_f32_e32 v160, v123, v161
	ds_load_2addr_b32 v[122:123], v2 offset0:87 offset1:88
	s_waitcnt lgkmcnt(2)
	v_fmac_f32_e32 v160, v124, v162
	s_waitcnt vmcnt(8)
	v_fmac_f32_e32 v160, v125, v163
	ds_load_2addr_b32 v[124:125], v2 offset0:89 offset1:90
	s_waitcnt lgkmcnt(2)
	v_fmac_f32_e32 v160, v126, v164
	s_delay_alu instid0(VALU_DEP_1) | instskip(SKIP_4) | instid1(VALU_DEP_1)
	v_fmac_f32_e32 v160, v127, v165
	ds_load_2addr_b32 v[126:127], v2 offset0:91 offset1:92
	s_waitcnt lgkmcnt(2)
	v_fmac_f32_e32 v160, v128, v122
	s_waitcnt vmcnt(7)
	v_fmac_f32_e32 v160, v129, v123
	ds_load_2addr_b32 v[122:123], v2 offset0:93 offset1:94
	s_waitcnt lgkmcnt(2)
	v_fmac_f32_e32 v160, v130, v124
	;; [unrolled: 10-line block ×8, first 2 shown]
	s_delay_alu instid0(VALU_DEP_1) | instskip(SKIP_1) | instid1(VALU_DEP_1)
	v_fmac_f32_e32 v160, v155, v125
	s_waitcnt lgkmcnt(1)
	v_fmac_f32_e32 v160, v156, v126
	s_waitcnt vmcnt(0)
	s_delay_alu instid0(VALU_DEP_1) | instskip(SKIP_1) | instid1(VALU_DEP_1)
	v_fmac_f32_e32 v160, v157, v127
	s_waitcnt lgkmcnt(0)
	v_fmac_f32_e32 v160, v158, v122
	s_delay_alu instid0(VALU_DEP_1) | instskip(NEXT) | instid1(VALU_DEP_1)
	v_fmac_f32_e32 v160, v159, v123
	v_sub_f32_e32 v2, v121, v160
	scratch_store_b32 off, v2, off offset:80
	v_cmpx_lt_u32_e32 19, v0
	s_cbranch_execz .LBB122_323
; %bb.322:
	scratch_load_b32 v2, off, off offset:76
	v_mov_b32_e32 v121, 0
	scratch_store_b32 off, v121, off offset:76
	s_waitcnt vmcnt(0)
	ds_store_b32 v1, v2
.LBB122_323:
	s_or_b32 exec_lo, exec_lo, s0
	s_waitcnt lgkmcnt(0)
	s_waitcnt_vscnt null, 0x0
	s_barrier
	buffer_gl0_inv
	s_clause 0x9
	scratch_load_b128 v[121:124], off, off offset:76
	scratch_load_b128 v[125:128], off, off offset:92
	;; [unrolled: 1-line block ×10, first 2 shown]
	v_mov_b32_e32 v2, 0
	ds_load_b128 v[161:164], v2 offset:320
	ds_load_b128 v[165:168], v2 offset:336
	s_mov_b32 s0, exec_lo
	s_waitcnt vmcnt(9) lgkmcnt(1)
	v_fma_f32 v161, v122, v161, 0
	s_delay_alu instid0(VALU_DEP_1) | instskip(NEXT) | instid1(VALU_DEP_1)
	v_fmac_f32_e32 v161, v123, v162
	v_fmac_f32_e32 v161, v124, v163
	s_waitcnt vmcnt(8)
	s_delay_alu instid0(VALU_DEP_1) | instskip(SKIP_3) | instid1(VALU_DEP_1)
	v_fmac_f32_e32 v161, v125, v164
	ds_load_b128 v[122:125], v2 offset:352
	s_waitcnt lgkmcnt(1)
	v_fmac_f32_e32 v161, v126, v165
	v_fmac_f32_e32 v161, v127, v166
	s_delay_alu instid0(VALU_DEP_1) | instskip(SKIP_1) | instid1(VALU_DEP_1)
	v_fmac_f32_e32 v161, v128, v167
	s_waitcnt vmcnt(7)
	v_fmac_f32_e32 v161, v129, v168
	ds_load_b128 v[126:129], v2 offset:368
	s_waitcnt lgkmcnt(1)
	v_fmac_f32_e32 v161, v130, v122
	s_delay_alu instid0(VALU_DEP_1) | instskip(NEXT) | instid1(VALU_DEP_1)
	v_fmac_f32_e32 v161, v131, v123
	v_fmac_f32_e32 v161, v132, v124
	s_waitcnt vmcnt(6)
	s_delay_alu instid0(VALU_DEP_1) | instskip(SKIP_3) | instid1(VALU_DEP_1)
	v_fmac_f32_e32 v161, v133, v125
	ds_load_b128 v[122:125], v2 offset:384
	s_waitcnt lgkmcnt(1)
	v_fmac_f32_e32 v161, v134, v126
	v_fmac_f32_e32 v161, v135, v127
	s_delay_alu instid0(VALU_DEP_1) | instskip(SKIP_1) | instid1(VALU_DEP_1)
	v_fmac_f32_e32 v161, v136, v128
	s_waitcnt vmcnt(5)
	v_fmac_f32_e32 v161, v137, v129
	ds_load_b128 v[126:129], v2 offset:400
	s_waitcnt lgkmcnt(1)
	v_fmac_f32_e32 v161, v138, v122
	;; [unrolled: 17-line block ×3, first 2 shown]
	s_delay_alu instid0(VALU_DEP_1) | instskip(NEXT) | instid1(VALU_DEP_1)
	v_fmac_f32_e32 v161, v147, v123
	v_fmac_f32_e32 v161, v148, v124
	s_waitcnt vmcnt(2)
	s_delay_alu instid0(VALU_DEP_1) | instskip(SKIP_3) | instid1(VALU_DEP_1)
	v_fmac_f32_e32 v161, v149, v125
	ds_load_b128 v[122:125], v2 offset:448
	s_waitcnt lgkmcnt(1)
	v_fmac_f32_e32 v161, v150, v126
	v_fmac_f32_e32 v161, v151, v127
	s_delay_alu instid0(VALU_DEP_1) | instskip(SKIP_4) | instid1(VALU_DEP_1)
	v_fmac_f32_e32 v161, v152, v128
	ds_load_b96 v[126:128], v2 offset:464
	s_waitcnt vmcnt(1)
	v_fmac_f32_e32 v161, v153, v129
	s_waitcnt lgkmcnt(1)
	v_fmac_f32_e32 v161, v154, v122
	s_delay_alu instid0(VALU_DEP_1) | instskip(NEXT) | instid1(VALU_DEP_1)
	v_fmac_f32_e32 v161, v155, v123
	v_fmac_f32_e32 v161, v156, v124
	s_waitcnt vmcnt(0)
	s_delay_alu instid0(VALU_DEP_1) | instskip(SKIP_1) | instid1(VALU_DEP_1)
	v_fmac_f32_e32 v161, v157, v125
	s_waitcnt lgkmcnt(0)
	v_fmac_f32_e32 v161, v158, v126
	s_delay_alu instid0(VALU_DEP_1) | instskip(NEXT) | instid1(VALU_DEP_1)
	v_fmac_f32_e32 v161, v159, v127
	v_fmac_f32_e32 v161, v160, v128
	s_delay_alu instid0(VALU_DEP_1)
	v_sub_f32_e32 v121, v121, v161
	scratch_store_b32 off, v121, off offset:76
	v_cmpx_lt_u32_e32 18, v0
	s_cbranch_execz .LBB122_325
; %bb.324:
	scratch_load_b32 v121, off, off offset:72
	scratch_store_b32 off, v2, off offset:72
	s_waitcnt vmcnt(0)
	ds_store_b32 v1, v121
.LBB122_325:
	s_or_b32 exec_lo, exec_lo, s0
	s_waitcnt lgkmcnt(0)
	s_waitcnt_vscnt null, 0x0
	s_barrier
	buffer_gl0_inv
	s_clause 0xa
	scratch_load_b128 v[121:124], off, off offset:72
	scratch_load_b128 v[125:128], off, off offset:88
	;; [unrolled: 1-line block ×10, first 2 shown]
	scratch_load_b32 v169, off, off offset:232
	ds_load_2addr_b32 v[161:162], v2 offset0:79 offset1:80
	ds_load_2addr_b32 v[163:164], v2 offset0:81 offset1:82
	;; [unrolled: 1-line block ×4, first 2 shown]
	s_mov_b32 s0, exec_lo
	s_waitcnt vmcnt(10) lgkmcnt(3)
	v_fma_f32 v161, v122, v161, 0
	s_delay_alu instid0(VALU_DEP_1) | instskip(SKIP_4) | instid1(VALU_DEP_1)
	v_fmac_f32_e32 v161, v123, v162
	ds_load_2addr_b32 v[122:123], v2 offset0:87 offset1:88
	s_waitcnt lgkmcnt(3)
	v_fmac_f32_e32 v161, v124, v163
	s_waitcnt vmcnt(9)
	v_fmac_f32_e32 v161, v125, v164
	ds_load_2addr_b32 v[124:125], v2 offset0:89 offset1:90
	s_waitcnt lgkmcnt(3)
	v_fmac_f32_e32 v161, v126, v165
	s_delay_alu instid0(VALU_DEP_1) | instskip(SKIP_1) | instid1(VALU_DEP_1)
	v_fmac_f32_e32 v161, v127, v166
	s_waitcnt lgkmcnt(2)
	v_fmac_f32_e32 v161, v128, v167
	s_waitcnt vmcnt(8)
	s_delay_alu instid0(VALU_DEP_1) | instskip(SKIP_4) | instid1(VALU_DEP_1)
	v_fmac_f32_e32 v161, v129, v168
	ds_load_2addr_b32 v[126:127], v2 offset0:91 offset1:92
	ds_load_2addr_b32 v[128:129], v2 offset0:93 offset1:94
	s_waitcnt lgkmcnt(3)
	v_fmac_f32_e32 v161, v130, v122
	v_fmac_f32_e32 v161, v131, v123
	ds_load_2addr_b32 v[122:123], v2 offset0:95 offset1:96
	s_waitcnt lgkmcnt(3)
	v_fmac_f32_e32 v161, v132, v124
	s_waitcnt vmcnt(7)
	s_delay_alu instid0(VALU_DEP_1) | instskip(SKIP_3) | instid1(VALU_DEP_1)
	v_fmac_f32_e32 v161, v133, v125
	ds_load_2addr_b32 v[124:125], v2 offset0:97 offset1:98
	s_waitcnt lgkmcnt(3)
	v_fmac_f32_e32 v161, v134, v126
	v_fmac_f32_e32 v161, v135, v127
	s_waitcnt lgkmcnt(2)
	s_delay_alu instid0(VALU_DEP_1) | instskip(SKIP_1) | instid1(VALU_DEP_1)
	v_fmac_f32_e32 v161, v136, v128
	s_waitcnt vmcnt(6)
	v_fmac_f32_e32 v161, v137, v129
	ds_load_2addr_b32 v[126:127], v2 offset0:99 offset1:100
	ds_load_2addr_b32 v[128:129], v2 offset0:101 offset1:102
	s_waitcnt lgkmcnt(3)
	v_fmac_f32_e32 v161, v138, v122
	s_delay_alu instid0(VALU_DEP_1) | instskip(SKIP_4) | instid1(VALU_DEP_1)
	v_fmac_f32_e32 v161, v139, v123
	ds_load_2addr_b32 v[122:123], v2 offset0:103 offset1:104
	s_waitcnt lgkmcnt(3)
	v_fmac_f32_e32 v161, v140, v124
	s_waitcnt vmcnt(5)
	v_fmac_f32_e32 v161, v141, v125
	ds_load_2addr_b32 v[124:125], v2 offset0:105 offset1:106
	s_waitcnt lgkmcnt(3)
	v_fmac_f32_e32 v161, v142, v126
	s_delay_alu instid0(VALU_DEP_1) | instskip(SKIP_1) | instid1(VALU_DEP_1)
	v_fmac_f32_e32 v161, v143, v127
	s_waitcnt lgkmcnt(2)
	v_fmac_f32_e32 v161, v144, v128
	s_waitcnt vmcnt(4)
	s_delay_alu instid0(VALU_DEP_1) | instskip(SKIP_4) | instid1(VALU_DEP_1)
	v_fmac_f32_e32 v161, v145, v129
	ds_load_2addr_b32 v[126:127], v2 offset0:107 offset1:108
	ds_load_2addr_b32 v[128:129], v2 offset0:109 offset1:110
	s_waitcnt lgkmcnt(3)
	v_fmac_f32_e32 v161, v146, v122
	v_fmac_f32_e32 v161, v147, v123
	ds_load_2addr_b32 v[122:123], v2 offset0:111 offset1:112
	s_waitcnt lgkmcnt(3)
	v_fmac_f32_e32 v161, v148, v124
	s_waitcnt vmcnt(3)
	s_delay_alu instid0(VALU_DEP_1) | instskip(SKIP_3) | instid1(VALU_DEP_1)
	v_fmac_f32_e32 v161, v149, v125
	ds_load_2addr_b32 v[124:125], v2 offset0:113 offset1:114
	s_waitcnt lgkmcnt(3)
	v_fmac_f32_e32 v161, v150, v126
	v_fmac_f32_e32 v161, v151, v127
	s_waitcnt lgkmcnt(2)
	s_delay_alu instid0(VALU_DEP_1) | instskip(SKIP_1) | instid1(VALU_DEP_1)
	v_fmac_f32_e32 v161, v152, v128
	s_waitcnt vmcnt(2)
	v_fmac_f32_e32 v161, v153, v129
	ds_load_2addr_b32 v[126:127], v2 offset0:115 offset1:116
	ds_load_2addr_b32 v[128:129], v2 offset0:117 offset1:118
	s_waitcnt lgkmcnt(3)
	v_fmac_f32_e32 v161, v154, v122
	s_delay_alu instid0(VALU_DEP_1) | instskip(SKIP_1) | instid1(VALU_DEP_1)
	v_fmac_f32_e32 v161, v155, v123
	s_waitcnt lgkmcnt(2)
	v_fmac_f32_e32 v161, v156, v124
	s_waitcnt vmcnt(1)
	s_delay_alu instid0(VALU_DEP_1) | instskip(SKIP_1) | instid1(VALU_DEP_1)
	v_fmac_f32_e32 v161, v157, v125
	s_waitcnt lgkmcnt(1)
	v_fmac_f32_e32 v161, v158, v126
	s_delay_alu instid0(VALU_DEP_1) | instskip(SKIP_1) | instid1(VALU_DEP_1)
	v_fmac_f32_e32 v161, v159, v127
	s_waitcnt lgkmcnt(0)
	v_fmac_f32_e32 v161, v160, v128
	s_waitcnt vmcnt(0)
	s_delay_alu instid0(VALU_DEP_1) | instskip(NEXT) | instid1(VALU_DEP_1)
	v_fmac_f32_e32 v161, v169, v129
	v_sub_f32_e32 v2, v121, v161
	scratch_store_b32 off, v2, off offset:72
	v_cmpx_lt_u32_e32 17, v0
	s_cbranch_execz .LBB122_327
; %bb.326:
	scratch_load_b32 v2, off, off offset:68
	v_mov_b32_e32 v121, 0
	scratch_store_b32 off, v121, off offset:68
	s_waitcnt vmcnt(0)
	ds_store_b32 v1, v2
.LBB122_327:
	s_or_b32 exec_lo, exec_lo, s0
	s_waitcnt lgkmcnt(0)
	s_waitcnt_vscnt null, 0x0
	s_barrier
	buffer_gl0_inv
	s_clause 0xa
	scratch_load_b128 v[121:124], off, off offset:68
	scratch_load_b128 v[125:128], off, off offset:84
	;; [unrolled: 1-line block ×10, first 2 shown]
	scratch_load_b64 v[169:170], off, off offset:228
	v_mov_b32_e32 v2, 0
	ds_load_2addr_b64 v[161:164], v2 offset0:39 offset1:40
	ds_load_2addr_b64 v[165:168], v2 offset0:41 offset1:42
	s_mov_b32 s0, exec_lo
	s_waitcnt vmcnt(10) lgkmcnt(1)
	v_fma_f32 v161, v122, v161, 0
	s_delay_alu instid0(VALU_DEP_1) | instskip(NEXT) | instid1(VALU_DEP_1)
	v_fmac_f32_e32 v161, v123, v162
	v_fmac_f32_e32 v161, v124, v163
	s_waitcnt vmcnt(9)
	s_delay_alu instid0(VALU_DEP_1) | instskip(SKIP_3) | instid1(VALU_DEP_1)
	v_fmac_f32_e32 v161, v125, v164
	ds_load_2addr_b64 v[122:125], v2 offset0:43 offset1:44
	s_waitcnt lgkmcnt(1)
	v_fmac_f32_e32 v161, v126, v165
	v_fmac_f32_e32 v161, v127, v166
	s_delay_alu instid0(VALU_DEP_1) | instskip(SKIP_1) | instid1(VALU_DEP_1)
	v_fmac_f32_e32 v161, v128, v167
	s_waitcnt vmcnt(8)
	v_fmac_f32_e32 v161, v129, v168
	ds_load_2addr_b64 v[126:129], v2 offset0:45 offset1:46
	s_waitcnt lgkmcnt(1)
	v_fmac_f32_e32 v161, v130, v122
	s_delay_alu instid0(VALU_DEP_1) | instskip(NEXT) | instid1(VALU_DEP_1)
	v_fmac_f32_e32 v161, v131, v123
	v_fmac_f32_e32 v161, v132, v124
	s_waitcnt vmcnt(7)
	s_delay_alu instid0(VALU_DEP_1) | instskip(SKIP_3) | instid1(VALU_DEP_1)
	v_fmac_f32_e32 v161, v133, v125
	ds_load_2addr_b64 v[122:125], v2 offset0:47 offset1:48
	s_waitcnt lgkmcnt(1)
	v_fmac_f32_e32 v161, v134, v126
	v_fmac_f32_e32 v161, v135, v127
	s_delay_alu instid0(VALU_DEP_1) | instskip(SKIP_1) | instid1(VALU_DEP_1)
	v_fmac_f32_e32 v161, v136, v128
	s_waitcnt vmcnt(6)
	v_fmac_f32_e32 v161, v137, v129
	ds_load_2addr_b64 v[126:129], v2 offset0:49 offset1:50
	s_waitcnt lgkmcnt(1)
	v_fmac_f32_e32 v161, v138, v122
	;; [unrolled: 17-line block ×4, first 2 shown]
	ds_load_b32 v122, v2 offset:472
	v_fmac_f32_e32 v161, v155, v123
	s_delay_alu instid0(VALU_DEP_1) | instskip(SKIP_1) | instid1(VALU_DEP_1)
	v_fmac_f32_e32 v161, v156, v124
	s_waitcnt vmcnt(1)
	v_fmac_f32_e32 v161, v157, v125
	s_waitcnt lgkmcnt(1)
	s_delay_alu instid0(VALU_DEP_1) | instskip(NEXT) | instid1(VALU_DEP_1)
	v_fmac_f32_e32 v161, v158, v126
	v_fmac_f32_e32 v161, v159, v127
	s_delay_alu instid0(VALU_DEP_1) | instskip(SKIP_1) | instid1(VALU_DEP_1)
	v_fmac_f32_e32 v161, v160, v128
	s_waitcnt vmcnt(0)
	v_fmac_f32_e32 v161, v169, v129
	s_waitcnt lgkmcnt(0)
	s_delay_alu instid0(VALU_DEP_1) | instskip(NEXT) | instid1(VALU_DEP_1)
	v_fmac_f32_e32 v161, v170, v122
	v_sub_f32_e32 v121, v121, v161
	scratch_store_b32 off, v121, off offset:68
	v_cmpx_lt_u32_e32 16, v0
	s_cbranch_execz .LBB122_329
; %bb.328:
	scratch_load_b32 v121, off, off offset:64
	scratch_store_b32 off, v2, off offset:64
	s_waitcnt vmcnt(0)
	ds_store_b32 v1, v121
.LBB122_329:
	s_or_b32 exec_lo, exec_lo, s0
	s_waitcnt lgkmcnt(0)
	s_waitcnt_vscnt null, 0x0
	s_barrier
	buffer_gl0_inv
	s_clause 0xa
	scratch_load_b128 v[121:124], off, off offset:64
	scratch_load_b128 v[125:128], off, off offset:80
	;; [unrolled: 1-line block ×10, first 2 shown]
	scratch_load_b96 v[161:163], off, off offset:224
	ds_load_2addr_b32 v[164:165], v2 offset0:77 offset1:78
	ds_load_2addr_b32 v[166:167], v2 offset0:79 offset1:80
	;; [unrolled: 1-line block ×4, first 2 shown]
	s_mov_b32 s0, exec_lo
	s_waitcnt vmcnt(10) lgkmcnt(3)
	v_fma_f32 v164, v122, v164, 0
	s_delay_alu instid0(VALU_DEP_1) | instskip(SKIP_4) | instid1(VALU_DEP_1)
	v_fmac_f32_e32 v164, v123, v165
	ds_load_2addr_b32 v[122:123], v2 offset0:85 offset1:86
	s_waitcnt lgkmcnt(3)
	v_fmac_f32_e32 v164, v124, v166
	s_waitcnt vmcnt(9)
	v_fmac_f32_e32 v164, v125, v167
	ds_load_2addr_b32 v[124:125], v2 offset0:87 offset1:88
	s_waitcnt lgkmcnt(3)
	v_fmac_f32_e32 v164, v126, v168
	s_delay_alu instid0(VALU_DEP_1) | instskip(SKIP_1) | instid1(VALU_DEP_1)
	v_fmac_f32_e32 v164, v127, v169
	s_waitcnt lgkmcnt(2)
	v_fmac_f32_e32 v164, v128, v170
	s_waitcnt vmcnt(8)
	s_delay_alu instid0(VALU_DEP_1) | instskip(SKIP_4) | instid1(VALU_DEP_1)
	v_fmac_f32_e32 v164, v129, v171
	ds_load_2addr_b32 v[126:127], v2 offset0:89 offset1:90
	ds_load_2addr_b32 v[128:129], v2 offset0:91 offset1:92
	s_waitcnt lgkmcnt(3)
	v_fmac_f32_e32 v164, v130, v122
	v_fmac_f32_e32 v164, v131, v123
	ds_load_2addr_b32 v[122:123], v2 offset0:93 offset1:94
	s_waitcnt lgkmcnt(3)
	v_fmac_f32_e32 v164, v132, v124
	s_waitcnt vmcnt(7)
	s_delay_alu instid0(VALU_DEP_1) | instskip(SKIP_3) | instid1(VALU_DEP_1)
	v_fmac_f32_e32 v164, v133, v125
	ds_load_2addr_b32 v[124:125], v2 offset0:95 offset1:96
	s_waitcnt lgkmcnt(3)
	v_fmac_f32_e32 v164, v134, v126
	v_fmac_f32_e32 v164, v135, v127
	s_waitcnt lgkmcnt(2)
	s_delay_alu instid0(VALU_DEP_1) | instskip(SKIP_1) | instid1(VALU_DEP_1)
	v_fmac_f32_e32 v164, v136, v128
	s_waitcnt vmcnt(6)
	v_fmac_f32_e32 v164, v137, v129
	ds_load_2addr_b32 v[126:127], v2 offset0:97 offset1:98
	ds_load_2addr_b32 v[128:129], v2 offset0:99 offset1:100
	s_waitcnt lgkmcnt(3)
	v_fmac_f32_e32 v164, v138, v122
	s_delay_alu instid0(VALU_DEP_1) | instskip(SKIP_4) | instid1(VALU_DEP_1)
	v_fmac_f32_e32 v164, v139, v123
	ds_load_2addr_b32 v[122:123], v2 offset0:101 offset1:102
	s_waitcnt lgkmcnt(3)
	v_fmac_f32_e32 v164, v140, v124
	s_waitcnt vmcnt(5)
	v_fmac_f32_e32 v164, v141, v125
	ds_load_2addr_b32 v[124:125], v2 offset0:103 offset1:104
	s_waitcnt lgkmcnt(3)
	v_fmac_f32_e32 v164, v142, v126
	s_delay_alu instid0(VALU_DEP_1) | instskip(SKIP_1) | instid1(VALU_DEP_1)
	v_fmac_f32_e32 v164, v143, v127
	s_waitcnt lgkmcnt(2)
	v_fmac_f32_e32 v164, v144, v128
	s_waitcnt vmcnt(4)
	s_delay_alu instid0(VALU_DEP_1) | instskip(SKIP_4) | instid1(VALU_DEP_1)
	v_fmac_f32_e32 v164, v145, v129
	ds_load_2addr_b32 v[126:127], v2 offset0:105 offset1:106
	ds_load_2addr_b32 v[128:129], v2 offset0:107 offset1:108
	s_waitcnt lgkmcnt(3)
	v_fmac_f32_e32 v164, v146, v122
	v_fmac_f32_e32 v164, v147, v123
	ds_load_2addr_b32 v[122:123], v2 offset0:109 offset1:110
	s_waitcnt lgkmcnt(3)
	v_fmac_f32_e32 v164, v148, v124
	s_waitcnt vmcnt(3)
	s_delay_alu instid0(VALU_DEP_1) | instskip(SKIP_3) | instid1(VALU_DEP_1)
	v_fmac_f32_e32 v164, v149, v125
	ds_load_2addr_b32 v[124:125], v2 offset0:111 offset1:112
	s_waitcnt lgkmcnt(3)
	v_fmac_f32_e32 v164, v150, v126
	v_fmac_f32_e32 v164, v151, v127
	s_waitcnt lgkmcnt(2)
	s_delay_alu instid0(VALU_DEP_1) | instskip(SKIP_1) | instid1(VALU_DEP_1)
	v_fmac_f32_e32 v164, v152, v128
	s_waitcnt vmcnt(2)
	v_fmac_f32_e32 v164, v153, v129
	ds_load_2addr_b32 v[126:127], v2 offset0:113 offset1:114
	ds_load_2addr_b32 v[128:129], v2 offset0:115 offset1:116
	s_waitcnt lgkmcnt(3)
	v_fmac_f32_e32 v164, v154, v122
	s_delay_alu instid0(VALU_DEP_1) | instskip(SKIP_4) | instid1(VALU_DEP_1)
	v_fmac_f32_e32 v164, v155, v123
	ds_load_2addr_b32 v[122:123], v2 offset0:117 offset1:118
	s_waitcnt lgkmcnt(3)
	v_fmac_f32_e32 v164, v156, v124
	s_waitcnt vmcnt(1)
	v_fmac_f32_e32 v164, v157, v125
	s_waitcnt lgkmcnt(2)
	s_delay_alu instid0(VALU_DEP_1) | instskip(NEXT) | instid1(VALU_DEP_1)
	v_fmac_f32_e32 v164, v158, v126
	v_fmac_f32_e32 v164, v159, v127
	s_waitcnt lgkmcnt(1)
	s_delay_alu instid0(VALU_DEP_1) | instskip(SKIP_1) | instid1(VALU_DEP_1)
	v_fmac_f32_e32 v164, v160, v128
	s_waitcnt vmcnt(0)
	v_fmac_f32_e32 v164, v161, v129
	s_waitcnt lgkmcnt(0)
	s_delay_alu instid0(VALU_DEP_1) | instskip(NEXT) | instid1(VALU_DEP_1)
	v_fmac_f32_e32 v164, v162, v122
	v_fmac_f32_e32 v164, v163, v123
	s_delay_alu instid0(VALU_DEP_1)
	v_sub_f32_e32 v2, v121, v164
	scratch_store_b32 off, v2, off offset:64
	v_cmpx_lt_u32_e32 15, v0
	s_cbranch_execz .LBB122_331
; %bb.330:
	scratch_load_b32 v2, off, off offset:60
	v_mov_b32_e32 v121, 0
	scratch_store_b32 off, v121, off offset:60
	s_waitcnt vmcnt(0)
	ds_store_b32 v1, v2
.LBB122_331:
	s_or_b32 exec_lo, exec_lo, s0
	s_waitcnt lgkmcnt(0)
	s_waitcnt_vscnt null, 0x0
	s_barrier
	buffer_gl0_inv
	s_clause 0xa
	scratch_load_b128 v[121:124], off, off offset:60
	scratch_load_b128 v[125:128], off, off offset:76
	;; [unrolled: 1-line block ×11, first 2 shown]
	v_mov_b32_e32 v2, 0
	ds_load_b128 v[165:168], v2 offset:304
	ds_load_b128 v[169:172], v2 offset:320
	s_mov_b32 s0, exec_lo
	s_waitcnt vmcnt(10) lgkmcnt(1)
	v_fma_f32 v165, v122, v165, 0
	s_delay_alu instid0(VALU_DEP_1) | instskip(NEXT) | instid1(VALU_DEP_1)
	v_fmac_f32_e32 v165, v123, v166
	v_fmac_f32_e32 v165, v124, v167
	s_waitcnt vmcnt(9)
	s_delay_alu instid0(VALU_DEP_1) | instskip(SKIP_3) | instid1(VALU_DEP_1)
	v_fmac_f32_e32 v165, v125, v168
	ds_load_b128 v[122:125], v2 offset:336
	s_waitcnt lgkmcnt(1)
	v_fmac_f32_e32 v165, v126, v169
	v_fmac_f32_e32 v165, v127, v170
	s_delay_alu instid0(VALU_DEP_1) | instskip(SKIP_1) | instid1(VALU_DEP_1)
	v_fmac_f32_e32 v165, v128, v171
	s_waitcnt vmcnt(8)
	v_fmac_f32_e32 v165, v129, v172
	ds_load_b128 v[126:129], v2 offset:352
	s_waitcnt lgkmcnt(1)
	v_fmac_f32_e32 v165, v130, v122
	s_delay_alu instid0(VALU_DEP_1) | instskip(NEXT) | instid1(VALU_DEP_1)
	v_fmac_f32_e32 v165, v131, v123
	v_fmac_f32_e32 v165, v132, v124
	s_waitcnt vmcnt(7)
	s_delay_alu instid0(VALU_DEP_1) | instskip(SKIP_3) | instid1(VALU_DEP_1)
	v_fmac_f32_e32 v165, v133, v125
	ds_load_b128 v[122:125], v2 offset:368
	s_waitcnt lgkmcnt(1)
	v_fmac_f32_e32 v165, v134, v126
	v_fmac_f32_e32 v165, v135, v127
	s_delay_alu instid0(VALU_DEP_1) | instskip(SKIP_1) | instid1(VALU_DEP_1)
	v_fmac_f32_e32 v165, v136, v128
	s_waitcnt vmcnt(6)
	v_fmac_f32_e32 v165, v137, v129
	ds_load_b128 v[126:129], v2 offset:384
	s_waitcnt lgkmcnt(1)
	v_fmac_f32_e32 v165, v138, v122
	;; [unrolled: 17-line block ×4, first 2 shown]
	s_delay_alu instid0(VALU_DEP_1) | instskip(NEXT) | instid1(VALU_DEP_1)
	v_fmac_f32_e32 v165, v155, v123
	v_fmac_f32_e32 v165, v156, v124
	ds_load_b96 v[122:124], v2 offset:464
	s_waitcnt vmcnt(1)
	v_fmac_f32_e32 v165, v157, v125
	s_waitcnt lgkmcnt(1)
	s_delay_alu instid0(VALU_DEP_1) | instskip(NEXT) | instid1(VALU_DEP_1)
	v_fmac_f32_e32 v165, v158, v126
	v_fmac_f32_e32 v165, v159, v127
	s_delay_alu instid0(VALU_DEP_1) | instskip(SKIP_1) | instid1(VALU_DEP_1)
	v_fmac_f32_e32 v165, v160, v128
	s_waitcnt vmcnt(0)
	v_fmac_f32_e32 v165, v161, v129
	s_waitcnt lgkmcnt(0)
	s_delay_alu instid0(VALU_DEP_1) | instskip(NEXT) | instid1(VALU_DEP_1)
	v_fmac_f32_e32 v165, v162, v122
	v_fmac_f32_e32 v165, v163, v123
	s_delay_alu instid0(VALU_DEP_1) | instskip(NEXT) | instid1(VALU_DEP_1)
	v_fmac_f32_e32 v165, v164, v124
	v_sub_f32_e32 v121, v121, v165
	scratch_store_b32 off, v121, off offset:60
	v_cmpx_lt_u32_e32 14, v0
	s_cbranch_execz .LBB122_333
; %bb.332:
	scratch_load_b32 v121, off, off offset:56
	scratch_store_b32 off, v2, off offset:56
	s_waitcnt vmcnt(0)
	ds_store_b32 v1, v121
.LBB122_333:
	s_or_b32 exec_lo, exec_lo, s0
	s_waitcnt lgkmcnt(0)
	s_waitcnt_vscnt null, 0x0
	s_barrier
	buffer_gl0_inv
	s_clause 0xb
	scratch_load_b128 v[121:124], off, off offset:56
	scratch_load_b128 v[125:128], off, off offset:72
	;; [unrolled: 1-line block ×11, first 2 shown]
	scratch_load_b32 v173, off, off offset:232
	ds_load_2addr_b32 v[165:166], v2 offset0:75 offset1:76
	ds_load_2addr_b32 v[167:168], v2 offset0:77 offset1:78
	;; [unrolled: 1-line block ×4, first 2 shown]
	s_mov_b32 s0, exec_lo
	s_waitcnt vmcnt(11) lgkmcnt(3)
	v_fma_f32 v165, v122, v165, 0
	s_delay_alu instid0(VALU_DEP_1) | instskip(SKIP_4) | instid1(VALU_DEP_1)
	v_fmac_f32_e32 v165, v123, v166
	ds_load_2addr_b32 v[122:123], v2 offset0:83 offset1:84
	s_waitcnt lgkmcnt(3)
	v_fmac_f32_e32 v165, v124, v167
	s_waitcnt vmcnt(10)
	v_fmac_f32_e32 v165, v125, v168
	ds_load_2addr_b32 v[124:125], v2 offset0:85 offset1:86
	s_waitcnt lgkmcnt(3)
	v_fmac_f32_e32 v165, v126, v169
	s_delay_alu instid0(VALU_DEP_1) | instskip(SKIP_1) | instid1(VALU_DEP_1)
	v_fmac_f32_e32 v165, v127, v170
	s_waitcnt lgkmcnt(2)
	v_fmac_f32_e32 v165, v128, v171
	s_waitcnt vmcnt(9)
	s_delay_alu instid0(VALU_DEP_1) | instskip(SKIP_4) | instid1(VALU_DEP_1)
	v_fmac_f32_e32 v165, v129, v172
	ds_load_2addr_b32 v[126:127], v2 offset0:87 offset1:88
	ds_load_2addr_b32 v[128:129], v2 offset0:89 offset1:90
	s_waitcnt lgkmcnt(3)
	v_fmac_f32_e32 v165, v130, v122
	v_fmac_f32_e32 v165, v131, v123
	ds_load_2addr_b32 v[122:123], v2 offset0:91 offset1:92
	s_waitcnt lgkmcnt(3)
	v_fmac_f32_e32 v165, v132, v124
	s_waitcnt vmcnt(8)
	s_delay_alu instid0(VALU_DEP_1) | instskip(SKIP_3) | instid1(VALU_DEP_1)
	v_fmac_f32_e32 v165, v133, v125
	ds_load_2addr_b32 v[124:125], v2 offset0:93 offset1:94
	s_waitcnt lgkmcnt(3)
	v_fmac_f32_e32 v165, v134, v126
	v_fmac_f32_e32 v165, v135, v127
	s_waitcnt lgkmcnt(2)
	s_delay_alu instid0(VALU_DEP_1) | instskip(SKIP_1) | instid1(VALU_DEP_1)
	v_fmac_f32_e32 v165, v136, v128
	s_waitcnt vmcnt(7)
	v_fmac_f32_e32 v165, v137, v129
	ds_load_2addr_b32 v[126:127], v2 offset0:95 offset1:96
	ds_load_2addr_b32 v[128:129], v2 offset0:97 offset1:98
	s_waitcnt lgkmcnt(3)
	v_fmac_f32_e32 v165, v138, v122
	s_delay_alu instid0(VALU_DEP_1) | instskip(SKIP_4) | instid1(VALU_DEP_1)
	v_fmac_f32_e32 v165, v139, v123
	ds_load_2addr_b32 v[122:123], v2 offset0:99 offset1:100
	s_waitcnt lgkmcnt(3)
	v_fmac_f32_e32 v165, v140, v124
	s_waitcnt vmcnt(6)
	v_fmac_f32_e32 v165, v141, v125
	ds_load_2addr_b32 v[124:125], v2 offset0:101 offset1:102
	s_waitcnt lgkmcnt(3)
	v_fmac_f32_e32 v165, v142, v126
	s_delay_alu instid0(VALU_DEP_1) | instskip(SKIP_1) | instid1(VALU_DEP_1)
	v_fmac_f32_e32 v165, v143, v127
	s_waitcnt lgkmcnt(2)
	v_fmac_f32_e32 v165, v144, v128
	s_waitcnt vmcnt(5)
	s_delay_alu instid0(VALU_DEP_1) | instskip(SKIP_4) | instid1(VALU_DEP_1)
	v_fmac_f32_e32 v165, v145, v129
	ds_load_2addr_b32 v[126:127], v2 offset0:103 offset1:104
	ds_load_2addr_b32 v[128:129], v2 offset0:105 offset1:106
	s_waitcnt lgkmcnt(3)
	v_fmac_f32_e32 v165, v146, v122
	v_fmac_f32_e32 v165, v147, v123
	ds_load_2addr_b32 v[122:123], v2 offset0:107 offset1:108
	s_waitcnt lgkmcnt(3)
	v_fmac_f32_e32 v165, v148, v124
	s_waitcnt vmcnt(4)
	s_delay_alu instid0(VALU_DEP_1) | instskip(SKIP_3) | instid1(VALU_DEP_1)
	v_fmac_f32_e32 v165, v149, v125
	ds_load_2addr_b32 v[124:125], v2 offset0:109 offset1:110
	s_waitcnt lgkmcnt(3)
	v_fmac_f32_e32 v165, v150, v126
	v_fmac_f32_e32 v165, v151, v127
	s_waitcnt lgkmcnt(2)
	s_delay_alu instid0(VALU_DEP_1) | instskip(SKIP_1) | instid1(VALU_DEP_1)
	v_fmac_f32_e32 v165, v152, v128
	s_waitcnt vmcnt(3)
	v_fmac_f32_e32 v165, v153, v129
	ds_load_2addr_b32 v[126:127], v2 offset0:111 offset1:112
	ds_load_2addr_b32 v[128:129], v2 offset0:113 offset1:114
	s_waitcnt lgkmcnt(3)
	v_fmac_f32_e32 v165, v154, v122
	s_delay_alu instid0(VALU_DEP_1) | instskip(SKIP_4) | instid1(VALU_DEP_1)
	v_fmac_f32_e32 v165, v155, v123
	ds_load_2addr_b32 v[122:123], v2 offset0:115 offset1:116
	s_waitcnt lgkmcnt(3)
	v_fmac_f32_e32 v165, v156, v124
	s_waitcnt vmcnt(2)
	v_fmac_f32_e32 v165, v157, v125
	ds_load_2addr_b32 v[124:125], v2 offset0:117 offset1:118
	s_waitcnt lgkmcnt(3)
	v_fmac_f32_e32 v165, v158, v126
	s_delay_alu instid0(VALU_DEP_1) | instskip(SKIP_1) | instid1(VALU_DEP_1)
	v_fmac_f32_e32 v165, v159, v127
	s_waitcnt lgkmcnt(2)
	v_fmac_f32_e32 v165, v160, v128
	s_waitcnt vmcnt(1)
	s_delay_alu instid0(VALU_DEP_1) | instskip(SKIP_1) | instid1(VALU_DEP_1)
	v_fmac_f32_e32 v165, v161, v129
	s_waitcnt lgkmcnt(1)
	v_fmac_f32_e32 v165, v162, v122
	s_delay_alu instid0(VALU_DEP_1) | instskip(SKIP_1) | instid1(VALU_DEP_1)
	v_fmac_f32_e32 v165, v163, v123
	s_waitcnt lgkmcnt(0)
	v_fmac_f32_e32 v165, v164, v124
	s_waitcnt vmcnt(0)
	s_delay_alu instid0(VALU_DEP_1) | instskip(NEXT) | instid1(VALU_DEP_1)
	v_fmac_f32_e32 v165, v173, v125
	v_sub_f32_e32 v2, v121, v165
	scratch_store_b32 off, v2, off offset:56
	v_cmpx_lt_u32_e32 13, v0
	s_cbranch_execz .LBB122_335
; %bb.334:
	scratch_load_b32 v2, off, off offset:52
	v_mov_b32_e32 v121, 0
	scratch_store_b32 off, v121, off offset:52
	s_waitcnt vmcnt(0)
	ds_store_b32 v1, v2
.LBB122_335:
	s_or_b32 exec_lo, exec_lo, s0
	s_waitcnt lgkmcnt(0)
	s_waitcnt_vscnt null, 0x0
	s_barrier
	buffer_gl0_inv
	s_clause 0xb
	scratch_load_b128 v[121:124], off, off offset:52
	scratch_load_b128 v[125:128], off, off offset:68
	;; [unrolled: 1-line block ×11, first 2 shown]
	scratch_load_b64 v[173:174], off, off offset:228
	v_mov_b32_e32 v2, 0
	ds_load_2addr_b64 v[165:168], v2 offset0:37 offset1:38
	ds_load_2addr_b64 v[169:172], v2 offset0:39 offset1:40
	s_mov_b32 s0, exec_lo
	s_waitcnt vmcnt(11) lgkmcnt(1)
	v_fma_f32 v165, v122, v165, 0
	s_delay_alu instid0(VALU_DEP_1) | instskip(NEXT) | instid1(VALU_DEP_1)
	v_fmac_f32_e32 v165, v123, v166
	v_fmac_f32_e32 v165, v124, v167
	s_waitcnt vmcnt(10)
	s_delay_alu instid0(VALU_DEP_1) | instskip(SKIP_3) | instid1(VALU_DEP_1)
	v_fmac_f32_e32 v165, v125, v168
	ds_load_2addr_b64 v[122:125], v2 offset0:41 offset1:42
	s_waitcnt lgkmcnt(1)
	v_fmac_f32_e32 v165, v126, v169
	v_fmac_f32_e32 v165, v127, v170
	s_delay_alu instid0(VALU_DEP_1) | instskip(SKIP_1) | instid1(VALU_DEP_1)
	v_fmac_f32_e32 v165, v128, v171
	s_waitcnt vmcnt(9)
	v_fmac_f32_e32 v165, v129, v172
	ds_load_2addr_b64 v[126:129], v2 offset0:43 offset1:44
	s_waitcnt lgkmcnt(1)
	v_fmac_f32_e32 v165, v130, v122
	s_delay_alu instid0(VALU_DEP_1) | instskip(NEXT) | instid1(VALU_DEP_1)
	v_fmac_f32_e32 v165, v131, v123
	v_fmac_f32_e32 v165, v132, v124
	s_waitcnt vmcnt(8)
	s_delay_alu instid0(VALU_DEP_1) | instskip(SKIP_3) | instid1(VALU_DEP_1)
	v_fmac_f32_e32 v165, v133, v125
	ds_load_2addr_b64 v[122:125], v2 offset0:45 offset1:46
	s_waitcnt lgkmcnt(1)
	v_fmac_f32_e32 v165, v134, v126
	v_fmac_f32_e32 v165, v135, v127
	s_delay_alu instid0(VALU_DEP_1) | instskip(SKIP_1) | instid1(VALU_DEP_1)
	v_fmac_f32_e32 v165, v136, v128
	s_waitcnt vmcnt(7)
	v_fmac_f32_e32 v165, v137, v129
	ds_load_2addr_b64 v[126:129], v2 offset0:47 offset1:48
	s_waitcnt lgkmcnt(1)
	v_fmac_f32_e32 v165, v138, v122
	;; [unrolled: 17-line block ×4, first 2 shown]
	s_delay_alu instid0(VALU_DEP_1) | instskip(NEXT) | instid1(VALU_DEP_1)
	v_fmac_f32_e32 v165, v155, v123
	v_fmac_f32_e32 v165, v156, v124
	s_waitcnt vmcnt(2)
	s_delay_alu instid0(VALU_DEP_1)
	v_fmac_f32_e32 v165, v157, v125
	ds_load_2addr_b64 v[122:125], v2 offset0:57 offset1:58
	s_waitcnt lgkmcnt(1)
	v_fmac_f32_e32 v165, v158, v126
	ds_load_b32 v126, v2 offset:472
	v_fmac_f32_e32 v165, v159, v127
	s_delay_alu instid0(VALU_DEP_1) | instskip(SKIP_1) | instid1(VALU_DEP_1)
	v_fmac_f32_e32 v165, v160, v128
	s_waitcnt vmcnt(1)
	v_fmac_f32_e32 v165, v161, v129
	s_waitcnt lgkmcnt(1)
	s_delay_alu instid0(VALU_DEP_1) | instskip(NEXT) | instid1(VALU_DEP_1)
	v_fmac_f32_e32 v165, v162, v122
	v_fmac_f32_e32 v165, v163, v123
	s_delay_alu instid0(VALU_DEP_1) | instskip(SKIP_1) | instid1(VALU_DEP_1)
	v_fmac_f32_e32 v165, v164, v124
	s_waitcnt vmcnt(0)
	v_fmac_f32_e32 v165, v173, v125
	s_waitcnt lgkmcnt(0)
	s_delay_alu instid0(VALU_DEP_1) | instskip(NEXT) | instid1(VALU_DEP_1)
	v_fmac_f32_e32 v165, v174, v126
	v_sub_f32_e32 v121, v121, v165
	scratch_store_b32 off, v121, off offset:52
	v_cmpx_lt_u32_e32 12, v0
	s_cbranch_execz .LBB122_337
; %bb.336:
	scratch_load_b32 v121, off, off offset:48
	scratch_store_b32 off, v2, off offset:48
	s_waitcnt vmcnt(0)
	ds_store_b32 v1, v121
.LBB122_337:
	s_or_b32 exec_lo, exec_lo, s0
	s_waitcnt lgkmcnt(0)
	s_waitcnt_vscnt null, 0x0
	s_barrier
	buffer_gl0_inv
	s_clause 0xb
	scratch_load_b128 v[121:124], off, off offset:48
	scratch_load_b128 v[125:128], off, off offset:64
	;; [unrolled: 1-line block ×11, first 2 shown]
	scratch_load_b96 v[165:167], off, off offset:224
	ds_load_2addr_b32 v[168:169], v2 offset0:73 offset1:74
	ds_load_2addr_b32 v[170:171], v2 offset0:75 offset1:76
	;; [unrolled: 1-line block ×4, first 2 shown]
	s_mov_b32 s0, exec_lo
	s_waitcnt vmcnt(11) lgkmcnt(3)
	v_fma_f32 v168, v122, v168, 0
	s_delay_alu instid0(VALU_DEP_1) | instskip(SKIP_4) | instid1(VALU_DEP_1)
	v_fmac_f32_e32 v168, v123, v169
	ds_load_2addr_b32 v[122:123], v2 offset0:81 offset1:82
	s_waitcnt lgkmcnt(3)
	v_fmac_f32_e32 v168, v124, v170
	s_waitcnt vmcnt(10)
	v_fmac_f32_e32 v168, v125, v171
	ds_load_2addr_b32 v[124:125], v2 offset0:83 offset1:84
	s_waitcnt lgkmcnt(3)
	v_fmac_f32_e32 v168, v126, v172
	s_delay_alu instid0(VALU_DEP_1) | instskip(SKIP_1) | instid1(VALU_DEP_1)
	v_fmac_f32_e32 v168, v127, v173
	s_waitcnt lgkmcnt(2)
	v_fmac_f32_e32 v168, v128, v174
	s_waitcnt vmcnt(9)
	s_delay_alu instid0(VALU_DEP_1) | instskip(SKIP_4) | instid1(VALU_DEP_1)
	v_fmac_f32_e32 v168, v129, v175
	ds_load_2addr_b32 v[126:127], v2 offset0:85 offset1:86
	ds_load_2addr_b32 v[128:129], v2 offset0:87 offset1:88
	s_waitcnt lgkmcnt(3)
	v_fmac_f32_e32 v168, v130, v122
	v_fmac_f32_e32 v168, v131, v123
	ds_load_2addr_b32 v[122:123], v2 offset0:89 offset1:90
	s_waitcnt lgkmcnt(3)
	v_fmac_f32_e32 v168, v132, v124
	s_waitcnt vmcnt(8)
	s_delay_alu instid0(VALU_DEP_1) | instskip(SKIP_3) | instid1(VALU_DEP_1)
	v_fmac_f32_e32 v168, v133, v125
	ds_load_2addr_b32 v[124:125], v2 offset0:91 offset1:92
	s_waitcnt lgkmcnt(3)
	v_fmac_f32_e32 v168, v134, v126
	v_fmac_f32_e32 v168, v135, v127
	s_waitcnt lgkmcnt(2)
	s_delay_alu instid0(VALU_DEP_1) | instskip(SKIP_1) | instid1(VALU_DEP_1)
	v_fmac_f32_e32 v168, v136, v128
	s_waitcnt vmcnt(7)
	v_fmac_f32_e32 v168, v137, v129
	ds_load_2addr_b32 v[126:127], v2 offset0:93 offset1:94
	ds_load_2addr_b32 v[128:129], v2 offset0:95 offset1:96
	s_waitcnt lgkmcnt(3)
	v_fmac_f32_e32 v168, v138, v122
	s_delay_alu instid0(VALU_DEP_1) | instskip(SKIP_4) | instid1(VALU_DEP_1)
	v_fmac_f32_e32 v168, v139, v123
	ds_load_2addr_b32 v[122:123], v2 offset0:97 offset1:98
	s_waitcnt lgkmcnt(3)
	v_fmac_f32_e32 v168, v140, v124
	s_waitcnt vmcnt(6)
	v_fmac_f32_e32 v168, v141, v125
	ds_load_2addr_b32 v[124:125], v2 offset0:99 offset1:100
	s_waitcnt lgkmcnt(3)
	v_fmac_f32_e32 v168, v142, v126
	s_delay_alu instid0(VALU_DEP_1) | instskip(SKIP_1) | instid1(VALU_DEP_1)
	v_fmac_f32_e32 v168, v143, v127
	s_waitcnt lgkmcnt(2)
	v_fmac_f32_e32 v168, v144, v128
	s_waitcnt vmcnt(5)
	s_delay_alu instid0(VALU_DEP_1) | instskip(SKIP_4) | instid1(VALU_DEP_1)
	v_fmac_f32_e32 v168, v145, v129
	ds_load_2addr_b32 v[126:127], v2 offset0:101 offset1:102
	ds_load_2addr_b32 v[128:129], v2 offset0:103 offset1:104
	s_waitcnt lgkmcnt(3)
	v_fmac_f32_e32 v168, v146, v122
	v_fmac_f32_e32 v168, v147, v123
	ds_load_2addr_b32 v[122:123], v2 offset0:105 offset1:106
	s_waitcnt lgkmcnt(3)
	v_fmac_f32_e32 v168, v148, v124
	s_waitcnt vmcnt(4)
	s_delay_alu instid0(VALU_DEP_1) | instskip(SKIP_3) | instid1(VALU_DEP_1)
	v_fmac_f32_e32 v168, v149, v125
	ds_load_2addr_b32 v[124:125], v2 offset0:107 offset1:108
	s_waitcnt lgkmcnt(3)
	v_fmac_f32_e32 v168, v150, v126
	v_fmac_f32_e32 v168, v151, v127
	s_waitcnt lgkmcnt(2)
	s_delay_alu instid0(VALU_DEP_1) | instskip(SKIP_1) | instid1(VALU_DEP_1)
	v_fmac_f32_e32 v168, v152, v128
	s_waitcnt vmcnt(3)
	v_fmac_f32_e32 v168, v153, v129
	ds_load_2addr_b32 v[126:127], v2 offset0:109 offset1:110
	ds_load_2addr_b32 v[128:129], v2 offset0:111 offset1:112
	s_waitcnt lgkmcnt(3)
	v_fmac_f32_e32 v168, v154, v122
	s_delay_alu instid0(VALU_DEP_1) | instskip(SKIP_4) | instid1(VALU_DEP_1)
	v_fmac_f32_e32 v168, v155, v123
	ds_load_2addr_b32 v[122:123], v2 offset0:113 offset1:114
	s_waitcnt lgkmcnt(3)
	v_fmac_f32_e32 v168, v156, v124
	s_waitcnt vmcnt(2)
	v_fmac_f32_e32 v168, v157, v125
	ds_load_2addr_b32 v[124:125], v2 offset0:115 offset1:116
	s_waitcnt lgkmcnt(3)
	v_fmac_f32_e32 v168, v158, v126
	s_delay_alu instid0(VALU_DEP_1) | instskip(SKIP_4) | instid1(VALU_DEP_1)
	v_fmac_f32_e32 v168, v159, v127
	ds_load_2addr_b32 v[126:127], v2 offset0:117 offset1:118
	s_waitcnt lgkmcnt(3)
	v_fmac_f32_e32 v168, v160, v128
	s_waitcnt vmcnt(1)
	v_fmac_f32_e32 v168, v161, v129
	s_waitcnt lgkmcnt(2)
	s_delay_alu instid0(VALU_DEP_1) | instskip(NEXT) | instid1(VALU_DEP_1)
	v_fmac_f32_e32 v168, v162, v122
	v_fmac_f32_e32 v168, v163, v123
	s_waitcnt lgkmcnt(1)
	s_delay_alu instid0(VALU_DEP_1) | instskip(SKIP_1) | instid1(VALU_DEP_1)
	v_fmac_f32_e32 v168, v164, v124
	s_waitcnt vmcnt(0)
	v_fmac_f32_e32 v168, v165, v125
	s_waitcnt lgkmcnt(0)
	s_delay_alu instid0(VALU_DEP_1) | instskip(NEXT) | instid1(VALU_DEP_1)
	v_fmac_f32_e32 v168, v166, v126
	v_fmac_f32_e32 v168, v167, v127
	s_delay_alu instid0(VALU_DEP_1)
	v_sub_f32_e32 v2, v121, v168
	scratch_store_b32 off, v2, off offset:48
	v_cmpx_lt_u32_e32 11, v0
	s_cbranch_execz .LBB122_339
; %bb.338:
	scratch_load_b32 v2, off, off offset:44
	v_mov_b32_e32 v121, 0
	scratch_store_b32 off, v121, off offset:44
	s_waitcnt vmcnt(0)
	ds_store_b32 v1, v2
.LBB122_339:
	s_or_b32 exec_lo, exec_lo, s0
	s_waitcnt lgkmcnt(0)
	s_waitcnt_vscnt null, 0x0
	s_barrier
	buffer_gl0_inv
	s_clause 0xb
	scratch_load_b128 v[121:124], off, off offset:44
	scratch_load_b128 v[125:128], off, off offset:60
	;; [unrolled: 1-line block ×12, first 2 shown]
	v_mov_b32_e32 v2, 0
	ds_load_b128 v[169:172], v2 offset:288
	ds_load_b128 v[173:176], v2 offset:304
	s_mov_b32 s0, exec_lo
	s_waitcnt vmcnt(11) lgkmcnt(1)
	v_fma_f32 v169, v122, v169, 0
	s_delay_alu instid0(VALU_DEP_1) | instskip(NEXT) | instid1(VALU_DEP_1)
	v_fmac_f32_e32 v169, v123, v170
	v_fmac_f32_e32 v169, v124, v171
	s_waitcnt vmcnt(10)
	s_delay_alu instid0(VALU_DEP_1) | instskip(SKIP_3) | instid1(VALU_DEP_1)
	v_fmac_f32_e32 v169, v125, v172
	ds_load_b128 v[122:125], v2 offset:320
	s_waitcnt lgkmcnt(1)
	v_fmac_f32_e32 v169, v126, v173
	v_fmac_f32_e32 v169, v127, v174
	s_delay_alu instid0(VALU_DEP_1) | instskip(SKIP_1) | instid1(VALU_DEP_1)
	v_fmac_f32_e32 v169, v128, v175
	s_waitcnt vmcnt(9)
	v_fmac_f32_e32 v169, v129, v176
	ds_load_b128 v[126:129], v2 offset:336
	s_waitcnt lgkmcnt(1)
	v_fmac_f32_e32 v169, v130, v122
	s_delay_alu instid0(VALU_DEP_1) | instskip(NEXT) | instid1(VALU_DEP_1)
	v_fmac_f32_e32 v169, v131, v123
	v_fmac_f32_e32 v169, v132, v124
	s_waitcnt vmcnt(8)
	s_delay_alu instid0(VALU_DEP_1) | instskip(SKIP_3) | instid1(VALU_DEP_1)
	v_fmac_f32_e32 v169, v133, v125
	ds_load_b128 v[122:125], v2 offset:352
	s_waitcnt lgkmcnt(1)
	v_fmac_f32_e32 v169, v134, v126
	v_fmac_f32_e32 v169, v135, v127
	s_delay_alu instid0(VALU_DEP_1) | instskip(SKIP_1) | instid1(VALU_DEP_1)
	v_fmac_f32_e32 v169, v136, v128
	s_waitcnt vmcnt(7)
	v_fmac_f32_e32 v169, v137, v129
	ds_load_b128 v[126:129], v2 offset:368
	s_waitcnt lgkmcnt(1)
	v_fmac_f32_e32 v169, v138, v122
	;; [unrolled: 17-line block ×4, first 2 shown]
	s_delay_alu instid0(VALU_DEP_1) | instskip(NEXT) | instid1(VALU_DEP_1)
	v_fmac_f32_e32 v169, v155, v123
	v_fmac_f32_e32 v169, v156, v124
	s_waitcnt vmcnt(2)
	s_delay_alu instid0(VALU_DEP_1) | instskip(SKIP_3) | instid1(VALU_DEP_1)
	v_fmac_f32_e32 v169, v157, v125
	ds_load_b128 v[122:125], v2 offset:448
	s_waitcnt lgkmcnt(1)
	v_fmac_f32_e32 v169, v158, v126
	v_fmac_f32_e32 v169, v159, v127
	s_delay_alu instid0(VALU_DEP_1) | instskip(SKIP_4) | instid1(VALU_DEP_1)
	v_fmac_f32_e32 v169, v160, v128
	ds_load_b96 v[126:128], v2 offset:464
	s_waitcnt vmcnt(1)
	v_fmac_f32_e32 v169, v161, v129
	s_waitcnt lgkmcnt(1)
	v_fmac_f32_e32 v169, v162, v122
	s_delay_alu instid0(VALU_DEP_1) | instskip(NEXT) | instid1(VALU_DEP_1)
	v_fmac_f32_e32 v169, v163, v123
	v_fmac_f32_e32 v169, v164, v124
	s_waitcnt vmcnt(0)
	s_delay_alu instid0(VALU_DEP_1) | instskip(SKIP_1) | instid1(VALU_DEP_1)
	v_fmac_f32_e32 v169, v165, v125
	s_waitcnt lgkmcnt(0)
	v_fmac_f32_e32 v169, v166, v126
	s_delay_alu instid0(VALU_DEP_1) | instskip(NEXT) | instid1(VALU_DEP_1)
	v_fmac_f32_e32 v169, v167, v127
	v_fmac_f32_e32 v169, v168, v128
	s_delay_alu instid0(VALU_DEP_1)
	v_sub_f32_e32 v121, v121, v169
	scratch_store_b32 off, v121, off offset:44
	v_cmpx_lt_u32_e32 10, v0
	s_cbranch_execz .LBB122_341
; %bb.340:
	scratch_load_b32 v121, off, off offset:40
	scratch_store_b32 off, v2, off offset:40
	s_waitcnt vmcnt(0)
	ds_store_b32 v1, v121
.LBB122_341:
	s_or_b32 exec_lo, exec_lo, s0
	s_waitcnt lgkmcnt(0)
	s_waitcnt_vscnt null, 0x0
	s_barrier
	buffer_gl0_inv
	s_clause 0xc
	scratch_load_b128 v[121:124], off, off offset:40
	scratch_load_b128 v[125:128], off, off offset:56
	;; [unrolled: 1-line block ×12, first 2 shown]
	scratch_load_b32 v177, off, off offset:232
	ds_load_2addr_b32 v[169:170], v2 offset0:71 offset1:72
	ds_load_2addr_b32 v[171:172], v2 offset0:73 offset1:74
	;; [unrolled: 1-line block ×4, first 2 shown]
	s_mov_b32 s0, exec_lo
	s_waitcnt vmcnt(12) lgkmcnt(3)
	v_fma_f32 v169, v122, v169, 0
	s_delay_alu instid0(VALU_DEP_1) | instskip(SKIP_4) | instid1(VALU_DEP_1)
	v_fmac_f32_e32 v169, v123, v170
	ds_load_2addr_b32 v[122:123], v2 offset0:79 offset1:80
	s_waitcnt lgkmcnt(3)
	v_fmac_f32_e32 v169, v124, v171
	s_waitcnt vmcnt(11)
	v_fmac_f32_e32 v169, v125, v172
	ds_load_2addr_b32 v[124:125], v2 offset0:81 offset1:82
	s_waitcnt lgkmcnt(3)
	v_fmac_f32_e32 v169, v126, v173
	s_delay_alu instid0(VALU_DEP_1) | instskip(SKIP_1) | instid1(VALU_DEP_1)
	v_fmac_f32_e32 v169, v127, v174
	s_waitcnt lgkmcnt(2)
	v_fmac_f32_e32 v169, v128, v175
	s_waitcnt vmcnt(10)
	s_delay_alu instid0(VALU_DEP_1) | instskip(SKIP_4) | instid1(VALU_DEP_1)
	v_fmac_f32_e32 v169, v129, v176
	ds_load_2addr_b32 v[126:127], v2 offset0:83 offset1:84
	ds_load_2addr_b32 v[128:129], v2 offset0:85 offset1:86
	s_waitcnt lgkmcnt(3)
	v_fmac_f32_e32 v169, v130, v122
	v_fmac_f32_e32 v169, v131, v123
	ds_load_2addr_b32 v[122:123], v2 offset0:87 offset1:88
	s_waitcnt lgkmcnt(3)
	v_fmac_f32_e32 v169, v132, v124
	s_waitcnt vmcnt(9)
	s_delay_alu instid0(VALU_DEP_1) | instskip(SKIP_3) | instid1(VALU_DEP_1)
	v_fmac_f32_e32 v169, v133, v125
	ds_load_2addr_b32 v[124:125], v2 offset0:89 offset1:90
	s_waitcnt lgkmcnt(3)
	v_fmac_f32_e32 v169, v134, v126
	v_fmac_f32_e32 v169, v135, v127
	s_waitcnt lgkmcnt(2)
	s_delay_alu instid0(VALU_DEP_1) | instskip(SKIP_1) | instid1(VALU_DEP_1)
	v_fmac_f32_e32 v169, v136, v128
	s_waitcnt vmcnt(8)
	v_fmac_f32_e32 v169, v137, v129
	ds_load_2addr_b32 v[126:127], v2 offset0:91 offset1:92
	ds_load_2addr_b32 v[128:129], v2 offset0:93 offset1:94
	s_waitcnt lgkmcnt(3)
	v_fmac_f32_e32 v169, v138, v122
	s_delay_alu instid0(VALU_DEP_1) | instskip(SKIP_4) | instid1(VALU_DEP_1)
	v_fmac_f32_e32 v169, v139, v123
	ds_load_2addr_b32 v[122:123], v2 offset0:95 offset1:96
	s_waitcnt lgkmcnt(3)
	v_fmac_f32_e32 v169, v140, v124
	s_waitcnt vmcnt(7)
	v_fmac_f32_e32 v169, v141, v125
	ds_load_2addr_b32 v[124:125], v2 offset0:97 offset1:98
	s_waitcnt lgkmcnt(3)
	v_fmac_f32_e32 v169, v142, v126
	s_delay_alu instid0(VALU_DEP_1) | instskip(SKIP_1) | instid1(VALU_DEP_1)
	v_fmac_f32_e32 v169, v143, v127
	s_waitcnt lgkmcnt(2)
	v_fmac_f32_e32 v169, v144, v128
	s_waitcnt vmcnt(6)
	s_delay_alu instid0(VALU_DEP_1) | instskip(SKIP_4) | instid1(VALU_DEP_1)
	v_fmac_f32_e32 v169, v145, v129
	ds_load_2addr_b32 v[126:127], v2 offset0:99 offset1:100
	ds_load_2addr_b32 v[128:129], v2 offset0:101 offset1:102
	s_waitcnt lgkmcnt(3)
	v_fmac_f32_e32 v169, v146, v122
	v_fmac_f32_e32 v169, v147, v123
	ds_load_2addr_b32 v[122:123], v2 offset0:103 offset1:104
	s_waitcnt lgkmcnt(3)
	v_fmac_f32_e32 v169, v148, v124
	s_waitcnt vmcnt(5)
	s_delay_alu instid0(VALU_DEP_1) | instskip(SKIP_3) | instid1(VALU_DEP_1)
	v_fmac_f32_e32 v169, v149, v125
	ds_load_2addr_b32 v[124:125], v2 offset0:105 offset1:106
	s_waitcnt lgkmcnt(3)
	v_fmac_f32_e32 v169, v150, v126
	v_fmac_f32_e32 v169, v151, v127
	s_waitcnt lgkmcnt(2)
	s_delay_alu instid0(VALU_DEP_1) | instskip(SKIP_1) | instid1(VALU_DEP_1)
	v_fmac_f32_e32 v169, v152, v128
	s_waitcnt vmcnt(4)
	v_fmac_f32_e32 v169, v153, v129
	ds_load_2addr_b32 v[126:127], v2 offset0:107 offset1:108
	ds_load_2addr_b32 v[128:129], v2 offset0:109 offset1:110
	s_waitcnt lgkmcnt(3)
	v_fmac_f32_e32 v169, v154, v122
	s_delay_alu instid0(VALU_DEP_1) | instskip(SKIP_4) | instid1(VALU_DEP_1)
	v_fmac_f32_e32 v169, v155, v123
	ds_load_2addr_b32 v[122:123], v2 offset0:111 offset1:112
	s_waitcnt lgkmcnt(3)
	v_fmac_f32_e32 v169, v156, v124
	s_waitcnt vmcnt(3)
	v_fmac_f32_e32 v169, v157, v125
	ds_load_2addr_b32 v[124:125], v2 offset0:113 offset1:114
	s_waitcnt lgkmcnt(3)
	v_fmac_f32_e32 v169, v158, v126
	s_delay_alu instid0(VALU_DEP_1) | instskip(SKIP_1) | instid1(VALU_DEP_1)
	v_fmac_f32_e32 v169, v159, v127
	s_waitcnt lgkmcnt(2)
	v_fmac_f32_e32 v169, v160, v128
	s_waitcnt vmcnt(2)
	s_delay_alu instid0(VALU_DEP_1) | instskip(SKIP_4) | instid1(VALU_DEP_1)
	v_fmac_f32_e32 v169, v161, v129
	ds_load_2addr_b32 v[126:127], v2 offset0:115 offset1:116
	ds_load_2addr_b32 v[128:129], v2 offset0:117 offset1:118
	s_waitcnt lgkmcnt(3)
	v_fmac_f32_e32 v169, v162, v122
	v_fmac_f32_e32 v169, v163, v123
	s_waitcnt lgkmcnt(2)
	s_delay_alu instid0(VALU_DEP_1) | instskip(SKIP_1) | instid1(VALU_DEP_1)
	v_fmac_f32_e32 v169, v164, v124
	s_waitcnt vmcnt(1)
	v_fmac_f32_e32 v169, v165, v125
	s_waitcnt lgkmcnt(1)
	s_delay_alu instid0(VALU_DEP_1) | instskip(NEXT) | instid1(VALU_DEP_1)
	v_fmac_f32_e32 v169, v166, v126
	v_fmac_f32_e32 v169, v167, v127
	s_waitcnt lgkmcnt(0)
	s_delay_alu instid0(VALU_DEP_1) | instskip(SKIP_1) | instid1(VALU_DEP_1)
	v_fmac_f32_e32 v169, v168, v128
	s_waitcnt vmcnt(0)
	v_fmac_f32_e32 v169, v177, v129
	s_delay_alu instid0(VALU_DEP_1)
	v_sub_f32_e32 v2, v121, v169
	scratch_store_b32 off, v2, off offset:40
	v_cmpx_lt_u32_e32 9, v0
	s_cbranch_execz .LBB122_343
; %bb.342:
	scratch_load_b32 v2, off, off offset:36
	v_mov_b32_e32 v121, 0
	scratch_store_b32 off, v121, off offset:36
	s_waitcnt vmcnt(0)
	ds_store_b32 v1, v2
.LBB122_343:
	s_or_b32 exec_lo, exec_lo, s0
	s_waitcnt lgkmcnt(0)
	s_waitcnt_vscnt null, 0x0
	s_barrier
	buffer_gl0_inv
	s_clause 0xc
	scratch_load_b128 v[121:124], off, off offset:36
	scratch_load_b128 v[125:128], off, off offset:52
	;; [unrolled: 1-line block ×12, first 2 shown]
	scratch_load_b64 v[177:178], off, off offset:228
	v_mov_b32_e32 v2, 0
	ds_load_2addr_b64 v[169:172], v2 offset0:35 offset1:36
	ds_load_2addr_b64 v[173:176], v2 offset0:37 offset1:38
	s_mov_b32 s0, exec_lo
	s_waitcnt vmcnt(12) lgkmcnt(1)
	v_fma_f32 v169, v122, v169, 0
	s_delay_alu instid0(VALU_DEP_1) | instskip(NEXT) | instid1(VALU_DEP_1)
	v_fmac_f32_e32 v169, v123, v170
	v_fmac_f32_e32 v169, v124, v171
	s_waitcnt vmcnt(11)
	s_delay_alu instid0(VALU_DEP_1) | instskip(SKIP_3) | instid1(VALU_DEP_1)
	v_fmac_f32_e32 v169, v125, v172
	ds_load_2addr_b64 v[122:125], v2 offset0:39 offset1:40
	s_waitcnt lgkmcnt(1)
	v_fmac_f32_e32 v169, v126, v173
	v_fmac_f32_e32 v169, v127, v174
	s_delay_alu instid0(VALU_DEP_1) | instskip(SKIP_1) | instid1(VALU_DEP_1)
	v_fmac_f32_e32 v169, v128, v175
	s_waitcnt vmcnt(10)
	v_fmac_f32_e32 v169, v129, v176
	ds_load_2addr_b64 v[126:129], v2 offset0:41 offset1:42
	s_waitcnt lgkmcnt(1)
	v_fmac_f32_e32 v169, v130, v122
	s_delay_alu instid0(VALU_DEP_1) | instskip(NEXT) | instid1(VALU_DEP_1)
	v_fmac_f32_e32 v169, v131, v123
	v_fmac_f32_e32 v169, v132, v124
	s_waitcnt vmcnt(9)
	s_delay_alu instid0(VALU_DEP_1) | instskip(SKIP_3) | instid1(VALU_DEP_1)
	v_fmac_f32_e32 v169, v133, v125
	ds_load_2addr_b64 v[122:125], v2 offset0:43 offset1:44
	s_waitcnt lgkmcnt(1)
	v_fmac_f32_e32 v169, v134, v126
	v_fmac_f32_e32 v169, v135, v127
	s_delay_alu instid0(VALU_DEP_1) | instskip(SKIP_1) | instid1(VALU_DEP_1)
	v_fmac_f32_e32 v169, v136, v128
	s_waitcnt vmcnt(8)
	v_fmac_f32_e32 v169, v137, v129
	ds_load_2addr_b64 v[126:129], v2 offset0:45 offset1:46
	s_waitcnt lgkmcnt(1)
	v_fmac_f32_e32 v169, v138, v122
	;; [unrolled: 17-line block ×5, first 2 shown]
	ds_load_b32 v122, v2 offset:472
	v_fmac_f32_e32 v169, v163, v123
	s_delay_alu instid0(VALU_DEP_1) | instskip(SKIP_1) | instid1(VALU_DEP_1)
	v_fmac_f32_e32 v169, v164, v124
	s_waitcnt vmcnt(1)
	v_fmac_f32_e32 v169, v165, v125
	s_waitcnt lgkmcnt(1)
	s_delay_alu instid0(VALU_DEP_1) | instskip(NEXT) | instid1(VALU_DEP_1)
	v_fmac_f32_e32 v169, v166, v126
	v_fmac_f32_e32 v169, v167, v127
	s_delay_alu instid0(VALU_DEP_1) | instskip(SKIP_1) | instid1(VALU_DEP_1)
	v_fmac_f32_e32 v169, v168, v128
	s_waitcnt vmcnt(0)
	v_fmac_f32_e32 v169, v177, v129
	s_waitcnt lgkmcnt(0)
	s_delay_alu instid0(VALU_DEP_1) | instskip(NEXT) | instid1(VALU_DEP_1)
	v_fmac_f32_e32 v169, v178, v122
	v_sub_f32_e32 v121, v121, v169
	scratch_store_b32 off, v121, off offset:36
	v_cmpx_lt_u32_e32 8, v0
	s_cbranch_execz .LBB122_345
; %bb.344:
	scratch_load_b32 v121, off, off offset:32
	scratch_store_b32 off, v2, off offset:32
	s_waitcnt vmcnt(0)
	ds_store_b32 v1, v121
.LBB122_345:
	s_or_b32 exec_lo, exec_lo, s0
	s_waitcnt lgkmcnt(0)
	s_waitcnt_vscnt null, 0x0
	s_barrier
	buffer_gl0_inv
	s_clause 0xc
	scratch_load_b128 v[121:124], off, off offset:32
	scratch_load_b128 v[125:128], off, off offset:48
	;; [unrolled: 1-line block ×12, first 2 shown]
	scratch_load_b96 v[169:171], off, off offset:224
	ds_load_2addr_b32 v[172:173], v2 offset0:69 offset1:70
	ds_load_2addr_b32 v[174:175], v2 offset0:71 offset1:72
	ds_load_2addr_b32 v[176:177], v2 offset0:73 offset1:74
	ds_load_2addr_b32 v[178:179], v2 offset0:75 offset1:76
	s_mov_b32 s0, exec_lo
	s_waitcnt vmcnt(12) lgkmcnt(3)
	v_fma_f32 v172, v122, v172, 0
	s_delay_alu instid0(VALU_DEP_1) | instskip(SKIP_4) | instid1(VALU_DEP_1)
	v_fmac_f32_e32 v172, v123, v173
	ds_load_2addr_b32 v[122:123], v2 offset0:77 offset1:78
	s_waitcnt lgkmcnt(3)
	v_fmac_f32_e32 v172, v124, v174
	s_waitcnt vmcnt(11)
	v_fmac_f32_e32 v172, v125, v175
	ds_load_2addr_b32 v[124:125], v2 offset0:79 offset1:80
	s_waitcnt lgkmcnt(3)
	v_fmac_f32_e32 v172, v126, v176
	s_delay_alu instid0(VALU_DEP_1) | instskip(SKIP_1) | instid1(VALU_DEP_1)
	v_fmac_f32_e32 v172, v127, v177
	s_waitcnt lgkmcnt(2)
	v_fmac_f32_e32 v172, v128, v178
	s_waitcnt vmcnt(10)
	s_delay_alu instid0(VALU_DEP_1) | instskip(SKIP_4) | instid1(VALU_DEP_1)
	v_fmac_f32_e32 v172, v129, v179
	ds_load_2addr_b32 v[126:127], v2 offset0:81 offset1:82
	ds_load_2addr_b32 v[128:129], v2 offset0:83 offset1:84
	s_waitcnt lgkmcnt(3)
	v_fmac_f32_e32 v172, v130, v122
	v_fmac_f32_e32 v172, v131, v123
	ds_load_2addr_b32 v[122:123], v2 offset0:85 offset1:86
	s_waitcnt lgkmcnt(3)
	v_fmac_f32_e32 v172, v132, v124
	s_waitcnt vmcnt(9)
	s_delay_alu instid0(VALU_DEP_1) | instskip(SKIP_3) | instid1(VALU_DEP_1)
	v_fmac_f32_e32 v172, v133, v125
	ds_load_2addr_b32 v[124:125], v2 offset0:87 offset1:88
	s_waitcnt lgkmcnt(3)
	v_fmac_f32_e32 v172, v134, v126
	v_fmac_f32_e32 v172, v135, v127
	s_waitcnt lgkmcnt(2)
	s_delay_alu instid0(VALU_DEP_1) | instskip(SKIP_1) | instid1(VALU_DEP_1)
	v_fmac_f32_e32 v172, v136, v128
	s_waitcnt vmcnt(8)
	v_fmac_f32_e32 v172, v137, v129
	ds_load_2addr_b32 v[126:127], v2 offset0:89 offset1:90
	ds_load_2addr_b32 v[128:129], v2 offset0:91 offset1:92
	s_waitcnt lgkmcnt(3)
	v_fmac_f32_e32 v172, v138, v122
	s_delay_alu instid0(VALU_DEP_1) | instskip(SKIP_4) | instid1(VALU_DEP_1)
	v_fmac_f32_e32 v172, v139, v123
	ds_load_2addr_b32 v[122:123], v2 offset0:93 offset1:94
	s_waitcnt lgkmcnt(3)
	v_fmac_f32_e32 v172, v140, v124
	s_waitcnt vmcnt(7)
	v_fmac_f32_e32 v172, v141, v125
	ds_load_2addr_b32 v[124:125], v2 offset0:95 offset1:96
	s_waitcnt lgkmcnt(3)
	v_fmac_f32_e32 v172, v142, v126
	s_delay_alu instid0(VALU_DEP_1) | instskip(SKIP_1) | instid1(VALU_DEP_1)
	v_fmac_f32_e32 v172, v143, v127
	s_waitcnt lgkmcnt(2)
	v_fmac_f32_e32 v172, v144, v128
	s_waitcnt vmcnt(6)
	s_delay_alu instid0(VALU_DEP_1) | instskip(SKIP_4) | instid1(VALU_DEP_1)
	v_fmac_f32_e32 v172, v145, v129
	ds_load_2addr_b32 v[126:127], v2 offset0:97 offset1:98
	ds_load_2addr_b32 v[128:129], v2 offset0:99 offset1:100
	s_waitcnt lgkmcnt(3)
	v_fmac_f32_e32 v172, v146, v122
	v_fmac_f32_e32 v172, v147, v123
	ds_load_2addr_b32 v[122:123], v2 offset0:101 offset1:102
	s_waitcnt lgkmcnt(3)
	v_fmac_f32_e32 v172, v148, v124
	s_waitcnt vmcnt(5)
	s_delay_alu instid0(VALU_DEP_1) | instskip(SKIP_3) | instid1(VALU_DEP_1)
	v_fmac_f32_e32 v172, v149, v125
	ds_load_2addr_b32 v[124:125], v2 offset0:103 offset1:104
	s_waitcnt lgkmcnt(3)
	v_fmac_f32_e32 v172, v150, v126
	v_fmac_f32_e32 v172, v151, v127
	s_waitcnt lgkmcnt(2)
	s_delay_alu instid0(VALU_DEP_1) | instskip(SKIP_1) | instid1(VALU_DEP_1)
	v_fmac_f32_e32 v172, v152, v128
	s_waitcnt vmcnt(4)
	v_fmac_f32_e32 v172, v153, v129
	ds_load_2addr_b32 v[126:127], v2 offset0:105 offset1:106
	ds_load_2addr_b32 v[128:129], v2 offset0:107 offset1:108
	s_waitcnt lgkmcnt(3)
	v_fmac_f32_e32 v172, v154, v122
	s_delay_alu instid0(VALU_DEP_1) | instskip(SKIP_4) | instid1(VALU_DEP_1)
	v_fmac_f32_e32 v172, v155, v123
	ds_load_2addr_b32 v[122:123], v2 offset0:109 offset1:110
	s_waitcnt lgkmcnt(3)
	v_fmac_f32_e32 v172, v156, v124
	s_waitcnt vmcnt(3)
	v_fmac_f32_e32 v172, v157, v125
	ds_load_2addr_b32 v[124:125], v2 offset0:111 offset1:112
	s_waitcnt lgkmcnt(3)
	v_fmac_f32_e32 v172, v158, v126
	s_delay_alu instid0(VALU_DEP_1) | instskip(SKIP_1) | instid1(VALU_DEP_1)
	v_fmac_f32_e32 v172, v159, v127
	s_waitcnt lgkmcnt(2)
	v_fmac_f32_e32 v172, v160, v128
	s_waitcnt vmcnt(2)
	s_delay_alu instid0(VALU_DEP_1) | instskip(SKIP_4) | instid1(VALU_DEP_1)
	v_fmac_f32_e32 v172, v161, v129
	ds_load_2addr_b32 v[126:127], v2 offset0:113 offset1:114
	ds_load_2addr_b32 v[128:129], v2 offset0:115 offset1:116
	s_waitcnt lgkmcnt(3)
	v_fmac_f32_e32 v172, v162, v122
	v_fmac_f32_e32 v172, v163, v123
	ds_load_2addr_b32 v[122:123], v2 offset0:117 offset1:118
	s_waitcnt lgkmcnt(3)
	v_fmac_f32_e32 v172, v164, v124
	s_waitcnt vmcnt(1)
	s_delay_alu instid0(VALU_DEP_1) | instskip(SKIP_1) | instid1(VALU_DEP_1)
	v_fmac_f32_e32 v172, v165, v125
	s_waitcnt lgkmcnt(2)
	v_fmac_f32_e32 v172, v166, v126
	s_delay_alu instid0(VALU_DEP_1) | instskip(SKIP_1) | instid1(VALU_DEP_1)
	v_fmac_f32_e32 v172, v167, v127
	s_waitcnt lgkmcnt(1)
	v_fmac_f32_e32 v172, v168, v128
	s_waitcnt vmcnt(0)
	s_delay_alu instid0(VALU_DEP_1) | instskip(SKIP_1) | instid1(VALU_DEP_1)
	v_fmac_f32_e32 v172, v169, v129
	s_waitcnt lgkmcnt(0)
	v_fmac_f32_e32 v172, v170, v122
	s_delay_alu instid0(VALU_DEP_1) | instskip(NEXT) | instid1(VALU_DEP_1)
	v_fmac_f32_e32 v172, v171, v123
	v_sub_f32_e32 v2, v121, v172
	scratch_store_b32 off, v2, off offset:32
	v_cmpx_lt_u32_e32 7, v0
	s_cbranch_execz .LBB122_347
; %bb.346:
	scratch_load_b32 v2, off, off offset:28
	v_mov_b32_e32 v121, 0
	scratch_store_b32 off, v121, off offset:28
	s_waitcnt vmcnt(0)
	ds_store_b32 v1, v2
.LBB122_347:
	s_or_b32 exec_lo, exec_lo, s0
	s_waitcnt lgkmcnt(0)
	s_waitcnt_vscnt null, 0x0
	s_barrier
	buffer_gl0_inv
	s_clause 0xc
	scratch_load_b128 v[121:124], off, off offset:28
	scratch_load_b128 v[125:128], off, off offset:44
	;; [unrolled: 1-line block ×13, first 2 shown]
	v_mov_b32_e32 v2, 0
	ds_load_b128 v[173:176], v2 offset:272
	ds_load_b128 v[177:180], v2 offset:288
	s_mov_b32 s0, exec_lo
	s_waitcnt vmcnt(12) lgkmcnt(1)
	v_fma_f32 v173, v122, v173, 0
	s_delay_alu instid0(VALU_DEP_1) | instskip(NEXT) | instid1(VALU_DEP_1)
	v_fmac_f32_e32 v173, v123, v174
	v_fmac_f32_e32 v173, v124, v175
	s_waitcnt vmcnt(11)
	s_delay_alu instid0(VALU_DEP_1) | instskip(SKIP_3) | instid1(VALU_DEP_1)
	v_fmac_f32_e32 v173, v125, v176
	ds_load_b128 v[122:125], v2 offset:304
	s_waitcnt lgkmcnt(1)
	v_fmac_f32_e32 v173, v126, v177
	v_fmac_f32_e32 v173, v127, v178
	s_delay_alu instid0(VALU_DEP_1) | instskip(SKIP_1) | instid1(VALU_DEP_1)
	v_fmac_f32_e32 v173, v128, v179
	s_waitcnt vmcnt(10)
	v_fmac_f32_e32 v173, v129, v180
	ds_load_b128 v[126:129], v2 offset:320
	s_waitcnt lgkmcnt(1)
	v_fmac_f32_e32 v173, v130, v122
	s_delay_alu instid0(VALU_DEP_1) | instskip(NEXT) | instid1(VALU_DEP_1)
	v_fmac_f32_e32 v173, v131, v123
	v_fmac_f32_e32 v173, v132, v124
	s_waitcnt vmcnt(9)
	s_delay_alu instid0(VALU_DEP_1) | instskip(SKIP_3) | instid1(VALU_DEP_1)
	v_fmac_f32_e32 v173, v133, v125
	ds_load_b128 v[122:125], v2 offset:336
	s_waitcnt lgkmcnt(1)
	v_fmac_f32_e32 v173, v134, v126
	v_fmac_f32_e32 v173, v135, v127
	s_delay_alu instid0(VALU_DEP_1) | instskip(SKIP_1) | instid1(VALU_DEP_1)
	v_fmac_f32_e32 v173, v136, v128
	s_waitcnt vmcnt(8)
	v_fmac_f32_e32 v173, v137, v129
	ds_load_b128 v[126:129], v2 offset:352
	s_waitcnt lgkmcnt(1)
	v_fmac_f32_e32 v173, v138, v122
	;; [unrolled: 17-line block ×5, first 2 shown]
	s_delay_alu instid0(VALU_DEP_1) | instskip(NEXT) | instid1(VALU_DEP_1)
	v_fmac_f32_e32 v173, v163, v123
	v_fmac_f32_e32 v173, v164, v124
	ds_load_b96 v[122:124], v2 offset:464
	s_waitcnt vmcnt(1)
	v_fmac_f32_e32 v173, v165, v125
	s_waitcnt lgkmcnt(1)
	s_delay_alu instid0(VALU_DEP_1) | instskip(NEXT) | instid1(VALU_DEP_1)
	v_fmac_f32_e32 v173, v166, v126
	v_fmac_f32_e32 v173, v167, v127
	s_delay_alu instid0(VALU_DEP_1) | instskip(SKIP_1) | instid1(VALU_DEP_1)
	v_fmac_f32_e32 v173, v168, v128
	s_waitcnt vmcnt(0)
	v_fmac_f32_e32 v173, v169, v129
	s_waitcnt lgkmcnt(0)
	s_delay_alu instid0(VALU_DEP_1) | instskip(NEXT) | instid1(VALU_DEP_1)
	v_fmac_f32_e32 v173, v170, v122
	v_fmac_f32_e32 v173, v171, v123
	s_delay_alu instid0(VALU_DEP_1) | instskip(NEXT) | instid1(VALU_DEP_1)
	v_fmac_f32_e32 v173, v172, v124
	v_sub_f32_e32 v121, v121, v173
	scratch_store_b32 off, v121, off offset:28
	v_cmpx_lt_u32_e32 6, v0
	s_cbranch_execz .LBB122_349
; %bb.348:
	scratch_load_b32 v121, off, off offset:24
	scratch_store_b32 off, v2, off offset:24
	s_waitcnt vmcnt(0)
	ds_store_b32 v1, v121
.LBB122_349:
	s_or_b32 exec_lo, exec_lo, s0
	s_waitcnt lgkmcnt(0)
	s_waitcnt_vscnt null, 0x0
	s_barrier
	buffer_gl0_inv
	s_clause 0xd
	scratch_load_b128 v[121:124], off, off offset:24
	scratch_load_b128 v[125:128], off, off offset:40
	;; [unrolled: 1-line block ×13, first 2 shown]
	scratch_load_b32 v181, off, off offset:232
	ds_load_2addr_b32 v[173:174], v2 offset0:67 offset1:68
	ds_load_2addr_b32 v[175:176], v2 offset0:69 offset1:70
	;; [unrolled: 1-line block ×4, first 2 shown]
	s_mov_b32 s0, exec_lo
	s_waitcnt vmcnt(13) lgkmcnt(3)
	v_fma_f32 v173, v122, v173, 0
	s_delay_alu instid0(VALU_DEP_1) | instskip(SKIP_4) | instid1(VALU_DEP_1)
	v_fmac_f32_e32 v173, v123, v174
	ds_load_2addr_b32 v[122:123], v2 offset0:75 offset1:76
	s_waitcnt lgkmcnt(3)
	v_fmac_f32_e32 v173, v124, v175
	s_waitcnt vmcnt(12)
	v_fmac_f32_e32 v173, v125, v176
	ds_load_2addr_b32 v[124:125], v2 offset0:77 offset1:78
	s_waitcnt lgkmcnt(3)
	v_fmac_f32_e32 v173, v126, v177
	s_delay_alu instid0(VALU_DEP_1) | instskip(SKIP_1) | instid1(VALU_DEP_1)
	v_fmac_f32_e32 v173, v127, v178
	s_waitcnt lgkmcnt(2)
	v_fmac_f32_e32 v173, v128, v179
	s_waitcnt vmcnt(11)
	s_delay_alu instid0(VALU_DEP_1) | instskip(SKIP_4) | instid1(VALU_DEP_1)
	v_fmac_f32_e32 v173, v129, v180
	ds_load_2addr_b32 v[126:127], v2 offset0:79 offset1:80
	ds_load_2addr_b32 v[128:129], v2 offset0:81 offset1:82
	s_waitcnt lgkmcnt(3)
	v_fmac_f32_e32 v173, v130, v122
	v_fmac_f32_e32 v173, v131, v123
	ds_load_2addr_b32 v[122:123], v2 offset0:83 offset1:84
	s_waitcnt lgkmcnt(3)
	v_fmac_f32_e32 v173, v132, v124
	s_waitcnt vmcnt(10)
	s_delay_alu instid0(VALU_DEP_1) | instskip(SKIP_3) | instid1(VALU_DEP_1)
	v_fmac_f32_e32 v173, v133, v125
	ds_load_2addr_b32 v[124:125], v2 offset0:85 offset1:86
	s_waitcnt lgkmcnt(3)
	v_fmac_f32_e32 v173, v134, v126
	v_fmac_f32_e32 v173, v135, v127
	s_waitcnt lgkmcnt(2)
	s_delay_alu instid0(VALU_DEP_1) | instskip(SKIP_1) | instid1(VALU_DEP_1)
	v_fmac_f32_e32 v173, v136, v128
	s_waitcnt vmcnt(9)
	v_fmac_f32_e32 v173, v137, v129
	ds_load_2addr_b32 v[126:127], v2 offset0:87 offset1:88
	ds_load_2addr_b32 v[128:129], v2 offset0:89 offset1:90
	s_waitcnt lgkmcnt(3)
	v_fmac_f32_e32 v173, v138, v122
	s_delay_alu instid0(VALU_DEP_1) | instskip(SKIP_4) | instid1(VALU_DEP_1)
	v_fmac_f32_e32 v173, v139, v123
	ds_load_2addr_b32 v[122:123], v2 offset0:91 offset1:92
	s_waitcnt lgkmcnt(3)
	v_fmac_f32_e32 v173, v140, v124
	s_waitcnt vmcnt(8)
	v_fmac_f32_e32 v173, v141, v125
	ds_load_2addr_b32 v[124:125], v2 offset0:93 offset1:94
	s_waitcnt lgkmcnt(3)
	v_fmac_f32_e32 v173, v142, v126
	s_delay_alu instid0(VALU_DEP_1) | instskip(SKIP_1) | instid1(VALU_DEP_1)
	v_fmac_f32_e32 v173, v143, v127
	s_waitcnt lgkmcnt(2)
	v_fmac_f32_e32 v173, v144, v128
	s_waitcnt vmcnt(7)
	s_delay_alu instid0(VALU_DEP_1) | instskip(SKIP_4) | instid1(VALU_DEP_1)
	v_fmac_f32_e32 v173, v145, v129
	ds_load_2addr_b32 v[126:127], v2 offset0:95 offset1:96
	ds_load_2addr_b32 v[128:129], v2 offset0:97 offset1:98
	s_waitcnt lgkmcnt(3)
	v_fmac_f32_e32 v173, v146, v122
	v_fmac_f32_e32 v173, v147, v123
	ds_load_2addr_b32 v[122:123], v2 offset0:99 offset1:100
	s_waitcnt lgkmcnt(3)
	v_fmac_f32_e32 v173, v148, v124
	s_waitcnt vmcnt(6)
	s_delay_alu instid0(VALU_DEP_1) | instskip(SKIP_3) | instid1(VALU_DEP_1)
	v_fmac_f32_e32 v173, v149, v125
	ds_load_2addr_b32 v[124:125], v2 offset0:101 offset1:102
	s_waitcnt lgkmcnt(3)
	v_fmac_f32_e32 v173, v150, v126
	v_fmac_f32_e32 v173, v151, v127
	s_waitcnt lgkmcnt(2)
	s_delay_alu instid0(VALU_DEP_1) | instskip(SKIP_1) | instid1(VALU_DEP_1)
	v_fmac_f32_e32 v173, v152, v128
	s_waitcnt vmcnt(5)
	v_fmac_f32_e32 v173, v153, v129
	ds_load_2addr_b32 v[126:127], v2 offset0:103 offset1:104
	ds_load_2addr_b32 v[128:129], v2 offset0:105 offset1:106
	s_waitcnt lgkmcnt(3)
	v_fmac_f32_e32 v173, v154, v122
	s_delay_alu instid0(VALU_DEP_1) | instskip(SKIP_4) | instid1(VALU_DEP_1)
	v_fmac_f32_e32 v173, v155, v123
	ds_load_2addr_b32 v[122:123], v2 offset0:107 offset1:108
	s_waitcnt lgkmcnt(3)
	v_fmac_f32_e32 v173, v156, v124
	s_waitcnt vmcnt(4)
	v_fmac_f32_e32 v173, v157, v125
	ds_load_2addr_b32 v[124:125], v2 offset0:109 offset1:110
	s_waitcnt lgkmcnt(3)
	v_fmac_f32_e32 v173, v158, v126
	s_delay_alu instid0(VALU_DEP_1) | instskip(SKIP_1) | instid1(VALU_DEP_1)
	v_fmac_f32_e32 v173, v159, v127
	s_waitcnt lgkmcnt(2)
	v_fmac_f32_e32 v173, v160, v128
	s_waitcnt vmcnt(3)
	s_delay_alu instid0(VALU_DEP_1) | instskip(SKIP_4) | instid1(VALU_DEP_1)
	v_fmac_f32_e32 v173, v161, v129
	ds_load_2addr_b32 v[126:127], v2 offset0:111 offset1:112
	ds_load_2addr_b32 v[128:129], v2 offset0:113 offset1:114
	s_waitcnt lgkmcnt(3)
	v_fmac_f32_e32 v173, v162, v122
	v_fmac_f32_e32 v173, v163, v123
	ds_load_2addr_b32 v[122:123], v2 offset0:115 offset1:116
	s_waitcnt lgkmcnt(3)
	v_fmac_f32_e32 v173, v164, v124
	s_waitcnt vmcnt(2)
	s_delay_alu instid0(VALU_DEP_1) | instskip(SKIP_3) | instid1(VALU_DEP_1)
	v_fmac_f32_e32 v173, v165, v125
	ds_load_2addr_b32 v[124:125], v2 offset0:117 offset1:118
	s_waitcnt lgkmcnt(3)
	v_fmac_f32_e32 v173, v166, v126
	v_fmac_f32_e32 v173, v167, v127
	s_waitcnt lgkmcnt(2)
	s_delay_alu instid0(VALU_DEP_1) | instskip(SKIP_1) | instid1(VALU_DEP_1)
	v_fmac_f32_e32 v173, v168, v128
	s_waitcnt vmcnt(1)
	v_fmac_f32_e32 v173, v169, v129
	s_waitcnt lgkmcnt(1)
	s_delay_alu instid0(VALU_DEP_1) | instskip(NEXT) | instid1(VALU_DEP_1)
	v_fmac_f32_e32 v173, v170, v122
	v_fmac_f32_e32 v173, v171, v123
	s_waitcnt lgkmcnt(0)
	s_delay_alu instid0(VALU_DEP_1) | instskip(SKIP_1) | instid1(VALU_DEP_1)
	v_fmac_f32_e32 v173, v172, v124
	s_waitcnt vmcnt(0)
	v_fmac_f32_e32 v173, v181, v125
	s_delay_alu instid0(VALU_DEP_1)
	v_sub_f32_e32 v2, v121, v173
	scratch_store_b32 off, v2, off offset:24
	v_cmpx_lt_u32_e32 5, v0
	s_cbranch_execz .LBB122_351
; %bb.350:
	scratch_load_b32 v2, off, off offset:20
	v_mov_b32_e32 v121, 0
	scratch_store_b32 off, v121, off offset:20
	s_waitcnt vmcnt(0)
	ds_store_b32 v1, v2
.LBB122_351:
	s_or_b32 exec_lo, exec_lo, s0
	s_waitcnt lgkmcnt(0)
	s_waitcnt_vscnt null, 0x0
	s_barrier
	buffer_gl0_inv
	s_clause 0xd
	scratch_load_b128 v[121:124], off, off offset:20
	scratch_load_b128 v[125:128], off, off offset:36
	;; [unrolled: 1-line block ×13, first 2 shown]
	scratch_load_b64 v[181:182], off, off offset:228
	v_mov_b32_e32 v2, 0
	ds_load_2addr_b64 v[173:176], v2 offset0:33 offset1:34
	ds_load_2addr_b64 v[177:180], v2 offset0:35 offset1:36
	s_mov_b32 s0, exec_lo
	s_waitcnt vmcnt(13) lgkmcnt(1)
	v_fma_f32 v173, v122, v173, 0
	s_delay_alu instid0(VALU_DEP_1) | instskip(NEXT) | instid1(VALU_DEP_1)
	v_fmac_f32_e32 v173, v123, v174
	v_fmac_f32_e32 v173, v124, v175
	s_waitcnt vmcnt(12)
	s_delay_alu instid0(VALU_DEP_1) | instskip(SKIP_3) | instid1(VALU_DEP_1)
	v_fmac_f32_e32 v173, v125, v176
	ds_load_2addr_b64 v[122:125], v2 offset0:37 offset1:38
	s_waitcnt lgkmcnt(1)
	v_fmac_f32_e32 v173, v126, v177
	v_fmac_f32_e32 v173, v127, v178
	s_delay_alu instid0(VALU_DEP_1) | instskip(SKIP_1) | instid1(VALU_DEP_1)
	v_fmac_f32_e32 v173, v128, v179
	s_waitcnt vmcnt(11)
	v_fmac_f32_e32 v173, v129, v180
	ds_load_2addr_b64 v[126:129], v2 offset0:39 offset1:40
	s_waitcnt lgkmcnt(1)
	v_fmac_f32_e32 v173, v130, v122
	s_delay_alu instid0(VALU_DEP_1) | instskip(NEXT) | instid1(VALU_DEP_1)
	v_fmac_f32_e32 v173, v131, v123
	v_fmac_f32_e32 v173, v132, v124
	s_waitcnt vmcnt(10)
	s_delay_alu instid0(VALU_DEP_1) | instskip(SKIP_3) | instid1(VALU_DEP_1)
	v_fmac_f32_e32 v173, v133, v125
	ds_load_2addr_b64 v[122:125], v2 offset0:41 offset1:42
	s_waitcnt lgkmcnt(1)
	v_fmac_f32_e32 v173, v134, v126
	v_fmac_f32_e32 v173, v135, v127
	s_delay_alu instid0(VALU_DEP_1) | instskip(SKIP_1) | instid1(VALU_DEP_1)
	v_fmac_f32_e32 v173, v136, v128
	s_waitcnt vmcnt(9)
	v_fmac_f32_e32 v173, v137, v129
	ds_load_2addr_b64 v[126:129], v2 offset0:43 offset1:44
	s_waitcnt lgkmcnt(1)
	v_fmac_f32_e32 v173, v138, v122
	;; [unrolled: 17-line block ×5, first 2 shown]
	s_delay_alu instid0(VALU_DEP_1) | instskip(NEXT) | instid1(VALU_DEP_1)
	v_fmac_f32_e32 v173, v163, v123
	v_fmac_f32_e32 v173, v164, v124
	s_waitcnt vmcnt(2)
	s_delay_alu instid0(VALU_DEP_1)
	v_fmac_f32_e32 v173, v165, v125
	ds_load_2addr_b64 v[122:125], v2 offset0:57 offset1:58
	s_waitcnt lgkmcnt(1)
	v_fmac_f32_e32 v173, v166, v126
	ds_load_b32 v126, v2 offset:472
	v_fmac_f32_e32 v173, v167, v127
	s_delay_alu instid0(VALU_DEP_1) | instskip(SKIP_1) | instid1(VALU_DEP_1)
	v_fmac_f32_e32 v173, v168, v128
	s_waitcnt vmcnt(1)
	v_fmac_f32_e32 v173, v169, v129
	s_waitcnt lgkmcnt(1)
	s_delay_alu instid0(VALU_DEP_1) | instskip(NEXT) | instid1(VALU_DEP_1)
	v_fmac_f32_e32 v173, v170, v122
	v_fmac_f32_e32 v173, v171, v123
	s_delay_alu instid0(VALU_DEP_1) | instskip(SKIP_1) | instid1(VALU_DEP_1)
	v_fmac_f32_e32 v173, v172, v124
	s_waitcnt vmcnt(0)
	v_fmac_f32_e32 v173, v181, v125
	s_waitcnt lgkmcnt(0)
	s_delay_alu instid0(VALU_DEP_1) | instskip(NEXT) | instid1(VALU_DEP_1)
	v_fmac_f32_e32 v173, v182, v126
	v_sub_f32_e32 v121, v121, v173
	scratch_store_b32 off, v121, off offset:20
	v_cmpx_lt_u32_e32 4, v0
	s_cbranch_execz .LBB122_353
; %bb.352:
	scratch_load_b32 v121, off, off offset:16
	scratch_store_b32 off, v2, off offset:16
	s_waitcnt vmcnt(0)
	ds_store_b32 v1, v121
.LBB122_353:
	s_or_b32 exec_lo, exec_lo, s0
	s_waitcnt lgkmcnt(0)
	s_waitcnt_vscnt null, 0x0
	s_barrier
	buffer_gl0_inv
	s_clause 0xd
	scratch_load_b128 v[121:124], off, off offset:16
	scratch_load_b128 v[125:128], off, off offset:32
	;; [unrolled: 1-line block ×13, first 2 shown]
	scratch_load_b96 v[173:175], off, off offset:224
	ds_load_2addr_b32 v[176:177], v2 offset0:65 offset1:66
	ds_load_2addr_b32 v[178:179], v2 offset0:67 offset1:68
	;; [unrolled: 1-line block ×4, first 2 shown]
	s_mov_b32 s0, exec_lo
	s_waitcnt vmcnt(13) lgkmcnt(3)
	v_fma_f32 v176, v122, v176, 0
	s_delay_alu instid0(VALU_DEP_1) | instskip(SKIP_4) | instid1(VALU_DEP_1)
	v_fmac_f32_e32 v176, v123, v177
	ds_load_2addr_b32 v[122:123], v2 offset0:73 offset1:74
	s_waitcnt lgkmcnt(3)
	v_fmac_f32_e32 v176, v124, v178
	s_waitcnt vmcnt(12)
	v_fmac_f32_e32 v176, v125, v179
	ds_load_2addr_b32 v[124:125], v2 offset0:75 offset1:76
	s_waitcnt lgkmcnt(3)
	v_fmac_f32_e32 v176, v126, v180
	s_delay_alu instid0(VALU_DEP_1) | instskip(SKIP_1) | instid1(VALU_DEP_1)
	v_fmac_f32_e32 v176, v127, v181
	s_waitcnt lgkmcnt(2)
	v_fmac_f32_e32 v176, v128, v182
	s_waitcnt vmcnt(11)
	s_delay_alu instid0(VALU_DEP_1) | instskip(SKIP_4) | instid1(VALU_DEP_1)
	v_fmac_f32_e32 v176, v129, v183
	ds_load_2addr_b32 v[126:127], v2 offset0:77 offset1:78
	ds_load_2addr_b32 v[128:129], v2 offset0:79 offset1:80
	s_waitcnt lgkmcnt(3)
	v_fmac_f32_e32 v176, v130, v122
	v_fmac_f32_e32 v176, v131, v123
	ds_load_2addr_b32 v[122:123], v2 offset0:81 offset1:82
	s_waitcnt lgkmcnt(3)
	v_fmac_f32_e32 v176, v132, v124
	s_waitcnt vmcnt(10)
	s_delay_alu instid0(VALU_DEP_1) | instskip(SKIP_3) | instid1(VALU_DEP_1)
	v_fmac_f32_e32 v176, v133, v125
	ds_load_2addr_b32 v[124:125], v2 offset0:83 offset1:84
	s_waitcnt lgkmcnt(3)
	v_fmac_f32_e32 v176, v134, v126
	v_fmac_f32_e32 v176, v135, v127
	s_waitcnt lgkmcnt(2)
	s_delay_alu instid0(VALU_DEP_1) | instskip(SKIP_1) | instid1(VALU_DEP_1)
	v_fmac_f32_e32 v176, v136, v128
	s_waitcnt vmcnt(9)
	v_fmac_f32_e32 v176, v137, v129
	ds_load_2addr_b32 v[126:127], v2 offset0:85 offset1:86
	ds_load_2addr_b32 v[128:129], v2 offset0:87 offset1:88
	s_waitcnt lgkmcnt(3)
	v_fmac_f32_e32 v176, v138, v122
	s_delay_alu instid0(VALU_DEP_1) | instskip(SKIP_4) | instid1(VALU_DEP_1)
	v_fmac_f32_e32 v176, v139, v123
	ds_load_2addr_b32 v[122:123], v2 offset0:89 offset1:90
	s_waitcnt lgkmcnt(3)
	v_fmac_f32_e32 v176, v140, v124
	s_waitcnt vmcnt(8)
	v_fmac_f32_e32 v176, v141, v125
	ds_load_2addr_b32 v[124:125], v2 offset0:91 offset1:92
	s_waitcnt lgkmcnt(3)
	v_fmac_f32_e32 v176, v142, v126
	s_delay_alu instid0(VALU_DEP_1) | instskip(SKIP_1) | instid1(VALU_DEP_1)
	v_fmac_f32_e32 v176, v143, v127
	s_waitcnt lgkmcnt(2)
	v_fmac_f32_e32 v176, v144, v128
	s_waitcnt vmcnt(7)
	s_delay_alu instid0(VALU_DEP_1) | instskip(SKIP_4) | instid1(VALU_DEP_1)
	v_fmac_f32_e32 v176, v145, v129
	ds_load_2addr_b32 v[126:127], v2 offset0:93 offset1:94
	ds_load_2addr_b32 v[128:129], v2 offset0:95 offset1:96
	s_waitcnt lgkmcnt(3)
	v_fmac_f32_e32 v176, v146, v122
	v_fmac_f32_e32 v176, v147, v123
	ds_load_2addr_b32 v[122:123], v2 offset0:97 offset1:98
	s_waitcnt lgkmcnt(3)
	v_fmac_f32_e32 v176, v148, v124
	s_waitcnt vmcnt(6)
	s_delay_alu instid0(VALU_DEP_1) | instskip(SKIP_3) | instid1(VALU_DEP_1)
	v_fmac_f32_e32 v176, v149, v125
	ds_load_2addr_b32 v[124:125], v2 offset0:99 offset1:100
	s_waitcnt lgkmcnt(3)
	v_fmac_f32_e32 v176, v150, v126
	v_fmac_f32_e32 v176, v151, v127
	s_waitcnt lgkmcnt(2)
	s_delay_alu instid0(VALU_DEP_1) | instskip(SKIP_1) | instid1(VALU_DEP_1)
	v_fmac_f32_e32 v176, v152, v128
	s_waitcnt vmcnt(5)
	v_fmac_f32_e32 v176, v153, v129
	ds_load_2addr_b32 v[126:127], v2 offset0:101 offset1:102
	ds_load_2addr_b32 v[128:129], v2 offset0:103 offset1:104
	s_waitcnt lgkmcnt(3)
	v_fmac_f32_e32 v176, v154, v122
	s_delay_alu instid0(VALU_DEP_1) | instskip(SKIP_4) | instid1(VALU_DEP_1)
	v_fmac_f32_e32 v176, v155, v123
	ds_load_2addr_b32 v[122:123], v2 offset0:105 offset1:106
	s_waitcnt lgkmcnt(3)
	v_fmac_f32_e32 v176, v156, v124
	s_waitcnt vmcnt(4)
	v_fmac_f32_e32 v176, v157, v125
	ds_load_2addr_b32 v[124:125], v2 offset0:107 offset1:108
	s_waitcnt lgkmcnt(3)
	v_fmac_f32_e32 v176, v158, v126
	s_delay_alu instid0(VALU_DEP_1) | instskip(SKIP_1) | instid1(VALU_DEP_1)
	v_fmac_f32_e32 v176, v159, v127
	s_waitcnt lgkmcnt(2)
	v_fmac_f32_e32 v176, v160, v128
	s_waitcnt vmcnt(3)
	s_delay_alu instid0(VALU_DEP_1) | instskip(SKIP_4) | instid1(VALU_DEP_1)
	v_fmac_f32_e32 v176, v161, v129
	ds_load_2addr_b32 v[126:127], v2 offset0:109 offset1:110
	ds_load_2addr_b32 v[128:129], v2 offset0:111 offset1:112
	s_waitcnt lgkmcnt(3)
	v_fmac_f32_e32 v176, v162, v122
	v_fmac_f32_e32 v176, v163, v123
	ds_load_2addr_b32 v[122:123], v2 offset0:113 offset1:114
	s_waitcnt lgkmcnt(3)
	v_fmac_f32_e32 v176, v164, v124
	s_waitcnt vmcnt(2)
	s_delay_alu instid0(VALU_DEP_1) | instskip(SKIP_3) | instid1(VALU_DEP_1)
	v_fmac_f32_e32 v176, v165, v125
	ds_load_2addr_b32 v[124:125], v2 offset0:115 offset1:116
	s_waitcnt lgkmcnt(3)
	v_fmac_f32_e32 v176, v166, v126
	v_fmac_f32_e32 v176, v167, v127
	ds_load_2addr_b32 v[126:127], v2 offset0:117 offset1:118
	s_waitcnt lgkmcnt(3)
	v_fmac_f32_e32 v176, v168, v128
	s_waitcnt vmcnt(1)
	s_delay_alu instid0(VALU_DEP_1) | instskip(SKIP_1) | instid1(VALU_DEP_1)
	v_fmac_f32_e32 v176, v169, v129
	s_waitcnt lgkmcnt(2)
	v_fmac_f32_e32 v176, v170, v122
	s_delay_alu instid0(VALU_DEP_1) | instskip(SKIP_1) | instid1(VALU_DEP_1)
	v_fmac_f32_e32 v176, v171, v123
	s_waitcnt lgkmcnt(1)
	v_fmac_f32_e32 v176, v172, v124
	s_waitcnt vmcnt(0)
	s_delay_alu instid0(VALU_DEP_1) | instskip(SKIP_1) | instid1(VALU_DEP_1)
	v_fmac_f32_e32 v176, v173, v125
	s_waitcnt lgkmcnt(0)
	v_fmac_f32_e32 v176, v174, v126
	s_delay_alu instid0(VALU_DEP_1) | instskip(NEXT) | instid1(VALU_DEP_1)
	v_fmac_f32_e32 v176, v175, v127
	v_sub_f32_e32 v2, v121, v176
	scratch_store_b32 off, v2, off offset:16
	v_cmpx_lt_u32_e32 3, v0
	s_cbranch_execz .LBB122_355
; %bb.354:
	scratch_load_b32 v2, off, off offset:12
	v_mov_b32_e32 v121, 0
	scratch_store_b32 off, v121, off offset:12
	s_waitcnt vmcnt(0)
	ds_store_b32 v1, v2
.LBB122_355:
	s_or_b32 exec_lo, exec_lo, s0
	s_waitcnt lgkmcnt(0)
	s_waitcnt_vscnt null, 0x0
	s_barrier
	buffer_gl0_inv
	s_clause 0xd
	scratch_load_b128 v[121:124], off, off offset:12
	scratch_load_b128 v[125:128], off, off offset:28
	;; [unrolled: 1-line block ×14, first 2 shown]
	v_mov_b32_e32 v2, 0
	ds_load_b128 v[177:180], v2 offset:256
	ds_load_b128 v[181:184], v2 offset:272
	s_mov_b32 s0, exec_lo
	s_waitcnt vmcnt(13) lgkmcnt(1)
	v_fma_f32 v177, v122, v177, 0
	s_delay_alu instid0(VALU_DEP_1) | instskip(NEXT) | instid1(VALU_DEP_1)
	v_fmac_f32_e32 v177, v123, v178
	v_fmac_f32_e32 v177, v124, v179
	s_waitcnt vmcnt(12)
	s_delay_alu instid0(VALU_DEP_1) | instskip(SKIP_3) | instid1(VALU_DEP_1)
	v_fmac_f32_e32 v177, v125, v180
	ds_load_b128 v[122:125], v2 offset:288
	s_waitcnt lgkmcnt(1)
	v_fmac_f32_e32 v177, v126, v181
	v_fmac_f32_e32 v177, v127, v182
	s_delay_alu instid0(VALU_DEP_1) | instskip(SKIP_1) | instid1(VALU_DEP_1)
	v_fmac_f32_e32 v177, v128, v183
	s_waitcnt vmcnt(11)
	v_fmac_f32_e32 v177, v129, v184
	ds_load_b128 v[126:129], v2 offset:304
	s_waitcnt lgkmcnt(1)
	v_fmac_f32_e32 v177, v130, v122
	s_delay_alu instid0(VALU_DEP_1) | instskip(NEXT) | instid1(VALU_DEP_1)
	v_fmac_f32_e32 v177, v131, v123
	v_fmac_f32_e32 v177, v132, v124
	s_waitcnt vmcnt(10)
	s_delay_alu instid0(VALU_DEP_1) | instskip(SKIP_3) | instid1(VALU_DEP_1)
	v_fmac_f32_e32 v177, v133, v125
	ds_load_b128 v[122:125], v2 offset:320
	s_waitcnt lgkmcnt(1)
	v_fmac_f32_e32 v177, v134, v126
	v_fmac_f32_e32 v177, v135, v127
	s_delay_alu instid0(VALU_DEP_1) | instskip(SKIP_1) | instid1(VALU_DEP_1)
	v_fmac_f32_e32 v177, v136, v128
	s_waitcnt vmcnt(9)
	v_fmac_f32_e32 v177, v137, v129
	ds_load_b128 v[126:129], v2 offset:336
	s_waitcnt lgkmcnt(1)
	v_fmac_f32_e32 v177, v138, v122
	;; [unrolled: 17-line block ×5, first 2 shown]
	s_delay_alu instid0(VALU_DEP_1) | instskip(NEXT) | instid1(VALU_DEP_1)
	v_fmac_f32_e32 v177, v163, v123
	v_fmac_f32_e32 v177, v164, v124
	s_waitcnt vmcnt(2)
	s_delay_alu instid0(VALU_DEP_1) | instskip(SKIP_3) | instid1(VALU_DEP_1)
	v_fmac_f32_e32 v177, v165, v125
	ds_load_b128 v[122:125], v2 offset:448
	s_waitcnt lgkmcnt(1)
	v_fmac_f32_e32 v177, v166, v126
	v_fmac_f32_e32 v177, v167, v127
	s_delay_alu instid0(VALU_DEP_1) | instskip(SKIP_4) | instid1(VALU_DEP_1)
	v_fmac_f32_e32 v177, v168, v128
	ds_load_b96 v[126:128], v2 offset:464
	s_waitcnt vmcnt(1)
	v_fmac_f32_e32 v177, v169, v129
	s_waitcnt lgkmcnt(1)
	v_fmac_f32_e32 v177, v170, v122
	s_delay_alu instid0(VALU_DEP_1) | instskip(NEXT) | instid1(VALU_DEP_1)
	v_fmac_f32_e32 v177, v171, v123
	v_fmac_f32_e32 v177, v172, v124
	s_waitcnt vmcnt(0)
	s_delay_alu instid0(VALU_DEP_1) | instskip(SKIP_1) | instid1(VALU_DEP_1)
	v_fmac_f32_e32 v177, v173, v125
	s_waitcnt lgkmcnt(0)
	v_fmac_f32_e32 v177, v174, v126
	s_delay_alu instid0(VALU_DEP_1) | instskip(NEXT) | instid1(VALU_DEP_1)
	v_fmac_f32_e32 v177, v175, v127
	v_fmac_f32_e32 v177, v176, v128
	s_delay_alu instid0(VALU_DEP_1)
	v_sub_f32_e32 v121, v121, v177
	scratch_store_b32 off, v121, off offset:12
	v_cmpx_lt_u32_e32 2, v0
	s_cbranch_execz .LBB122_357
; %bb.356:
	scratch_load_b32 v121, off, off offset:8
	scratch_store_b32 off, v2, off offset:8
	s_waitcnt vmcnt(0)
	ds_store_b32 v1, v121
.LBB122_357:
	s_or_b32 exec_lo, exec_lo, s0
	s_waitcnt lgkmcnt(0)
	s_waitcnt_vscnt null, 0x0
	s_barrier
	buffer_gl0_inv
	s_clause 0xe
	scratch_load_b128 v[121:124], off, off offset:8
	scratch_load_b128 v[125:128], off, off offset:24
	;; [unrolled: 1-line block ×14, first 2 shown]
	scratch_load_b32 v185, off, off offset:232
	ds_load_2addr_b32 v[177:178], v2 offset0:63 offset1:64
	ds_load_2addr_b32 v[179:180], v2 offset0:65 offset1:66
	;; [unrolled: 1-line block ×4, first 2 shown]
	s_mov_b32 s0, exec_lo
	s_waitcnt vmcnt(14) lgkmcnt(3)
	v_fma_f32 v177, v122, v177, 0
	s_delay_alu instid0(VALU_DEP_1) | instskip(SKIP_4) | instid1(VALU_DEP_1)
	v_fmac_f32_e32 v177, v123, v178
	ds_load_2addr_b32 v[122:123], v2 offset0:71 offset1:72
	s_waitcnt lgkmcnt(3)
	v_fmac_f32_e32 v177, v124, v179
	s_waitcnt vmcnt(13)
	v_fmac_f32_e32 v177, v125, v180
	ds_load_2addr_b32 v[124:125], v2 offset0:73 offset1:74
	s_waitcnt lgkmcnt(3)
	v_fmac_f32_e32 v177, v126, v181
	s_delay_alu instid0(VALU_DEP_1) | instskip(SKIP_1) | instid1(VALU_DEP_1)
	v_fmac_f32_e32 v177, v127, v182
	s_waitcnt lgkmcnt(2)
	v_fmac_f32_e32 v177, v128, v183
	s_waitcnt vmcnt(12)
	s_delay_alu instid0(VALU_DEP_1) | instskip(SKIP_4) | instid1(VALU_DEP_1)
	v_fmac_f32_e32 v177, v129, v184
	ds_load_2addr_b32 v[126:127], v2 offset0:75 offset1:76
	ds_load_2addr_b32 v[128:129], v2 offset0:77 offset1:78
	s_waitcnt lgkmcnt(3)
	v_fmac_f32_e32 v177, v130, v122
	v_fmac_f32_e32 v177, v131, v123
	ds_load_2addr_b32 v[122:123], v2 offset0:79 offset1:80
	s_waitcnt lgkmcnt(3)
	v_fmac_f32_e32 v177, v132, v124
	s_waitcnt vmcnt(11)
	s_delay_alu instid0(VALU_DEP_1) | instskip(SKIP_3) | instid1(VALU_DEP_1)
	v_fmac_f32_e32 v177, v133, v125
	ds_load_2addr_b32 v[124:125], v2 offset0:81 offset1:82
	s_waitcnt lgkmcnt(3)
	v_fmac_f32_e32 v177, v134, v126
	v_fmac_f32_e32 v177, v135, v127
	s_waitcnt lgkmcnt(2)
	s_delay_alu instid0(VALU_DEP_1) | instskip(SKIP_1) | instid1(VALU_DEP_1)
	v_fmac_f32_e32 v177, v136, v128
	s_waitcnt vmcnt(10)
	v_fmac_f32_e32 v177, v137, v129
	ds_load_2addr_b32 v[126:127], v2 offset0:83 offset1:84
	ds_load_2addr_b32 v[128:129], v2 offset0:85 offset1:86
	s_waitcnt lgkmcnt(3)
	v_fmac_f32_e32 v177, v138, v122
	s_delay_alu instid0(VALU_DEP_1) | instskip(SKIP_4) | instid1(VALU_DEP_1)
	v_fmac_f32_e32 v177, v139, v123
	ds_load_2addr_b32 v[122:123], v2 offset0:87 offset1:88
	s_waitcnt lgkmcnt(3)
	v_fmac_f32_e32 v177, v140, v124
	s_waitcnt vmcnt(9)
	v_fmac_f32_e32 v177, v141, v125
	ds_load_2addr_b32 v[124:125], v2 offset0:89 offset1:90
	s_waitcnt lgkmcnt(3)
	v_fmac_f32_e32 v177, v142, v126
	s_delay_alu instid0(VALU_DEP_1) | instskip(SKIP_1) | instid1(VALU_DEP_1)
	v_fmac_f32_e32 v177, v143, v127
	s_waitcnt lgkmcnt(2)
	v_fmac_f32_e32 v177, v144, v128
	s_waitcnt vmcnt(8)
	s_delay_alu instid0(VALU_DEP_1) | instskip(SKIP_4) | instid1(VALU_DEP_1)
	v_fmac_f32_e32 v177, v145, v129
	ds_load_2addr_b32 v[126:127], v2 offset0:91 offset1:92
	ds_load_2addr_b32 v[128:129], v2 offset0:93 offset1:94
	s_waitcnt lgkmcnt(3)
	v_fmac_f32_e32 v177, v146, v122
	v_fmac_f32_e32 v177, v147, v123
	ds_load_2addr_b32 v[122:123], v2 offset0:95 offset1:96
	s_waitcnt lgkmcnt(3)
	v_fmac_f32_e32 v177, v148, v124
	s_waitcnt vmcnt(7)
	s_delay_alu instid0(VALU_DEP_1) | instskip(SKIP_3) | instid1(VALU_DEP_1)
	v_fmac_f32_e32 v177, v149, v125
	ds_load_2addr_b32 v[124:125], v2 offset0:97 offset1:98
	s_waitcnt lgkmcnt(3)
	v_fmac_f32_e32 v177, v150, v126
	v_fmac_f32_e32 v177, v151, v127
	s_waitcnt lgkmcnt(2)
	s_delay_alu instid0(VALU_DEP_1) | instskip(SKIP_1) | instid1(VALU_DEP_1)
	v_fmac_f32_e32 v177, v152, v128
	s_waitcnt vmcnt(6)
	v_fmac_f32_e32 v177, v153, v129
	ds_load_2addr_b32 v[126:127], v2 offset0:99 offset1:100
	ds_load_2addr_b32 v[128:129], v2 offset0:101 offset1:102
	s_waitcnt lgkmcnt(3)
	v_fmac_f32_e32 v177, v154, v122
	;; [unrolled: 41-line block ×3, first 2 shown]
	s_delay_alu instid0(VALU_DEP_1) | instskip(SKIP_1) | instid1(VALU_DEP_1)
	v_fmac_f32_e32 v177, v171, v123
	s_waitcnt lgkmcnt(2)
	v_fmac_f32_e32 v177, v172, v124
	s_waitcnt vmcnt(1)
	s_delay_alu instid0(VALU_DEP_1) | instskip(SKIP_1) | instid1(VALU_DEP_1)
	v_fmac_f32_e32 v177, v173, v125
	s_waitcnt lgkmcnt(1)
	v_fmac_f32_e32 v177, v174, v126
	s_delay_alu instid0(VALU_DEP_1) | instskip(SKIP_1) | instid1(VALU_DEP_1)
	v_fmac_f32_e32 v177, v175, v127
	s_waitcnt lgkmcnt(0)
	v_fmac_f32_e32 v177, v176, v128
	s_waitcnt vmcnt(0)
	s_delay_alu instid0(VALU_DEP_1) | instskip(NEXT) | instid1(VALU_DEP_1)
	v_fmac_f32_e32 v177, v185, v129
	v_sub_f32_e32 v2, v121, v177
	scratch_store_b32 off, v2, off offset:8
	v_cmpx_lt_u32_e32 1, v0
	s_cbranch_execz .LBB122_359
; %bb.358:
	scratch_load_b32 v2, off, off offset:4
	v_mov_b32_e32 v121, 0
	scratch_store_b32 off, v121, off offset:4
	s_waitcnt vmcnt(0)
	ds_store_b32 v1, v2
.LBB122_359:
	s_or_b32 exec_lo, exec_lo, s0
	s_waitcnt lgkmcnt(0)
	s_waitcnt_vscnt null, 0x0
	s_barrier
	buffer_gl0_inv
	s_clause 0xe
	scratch_load_b128 v[122:125], off, off offset:4
	scratch_load_b128 v[126:129], off, off offset:20
	;; [unrolled: 1-line block ×14, first 2 shown]
	scratch_load_b64 v[186:187], off, off offset:228
	v_mov_b32_e32 v121, 0
	ds_load_2addr_b64 v[178:181], v121 offset0:31 offset1:32
	ds_load_2addr_b64 v[182:185], v121 offset0:33 offset1:34
	s_mov_b32 s0, exec_lo
	s_waitcnt vmcnt(14) lgkmcnt(1)
	v_fma_f32 v2, v123, v178, 0
	s_delay_alu instid0(VALU_DEP_1) | instskip(NEXT) | instid1(VALU_DEP_1)
	v_fmac_f32_e32 v2, v124, v179
	v_fmac_f32_e32 v2, v125, v180
	s_waitcnt vmcnt(13)
	s_delay_alu instid0(VALU_DEP_1) | instskip(SKIP_3) | instid1(VALU_DEP_1)
	v_fmac_f32_e32 v2, v126, v181
	ds_load_2addr_b64 v[123:126], v121 offset0:35 offset1:36
	s_waitcnt lgkmcnt(1)
	v_fmac_f32_e32 v2, v127, v182
	v_fmac_f32_e32 v2, v128, v183
	s_delay_alu instid0(VALU_DEP_1) | instskip(SKIP_1) | instid1(VALU_DEP_1)
	v_fmac_f32_e32 v2, v129, v184
	s_waitcnt vmcnt(12)
	v_fmac_f32_e32 v2, v130, v185
	ds_load_2addr_b64 v[127:130], v121 offset0:37 offset1:38
	s_waitcnt lgkmcnt(1)
	v_fmac_f32_e32 v2, v131, v123
	s_delay_alu instid0(VALU_DEP_1) | instskip(NEXT) | instid1(VALU_DEP_1)
	v_fmac_f32_e32 v2, v132, v124
	v_fmac_f32_e32 v2, v133, v125
	s_waitcnt vmcnt(11)
	s_delay_alu instid0(VALU_DEP_1) | instskip(SKIP_3) | instid1(VALU_DEP_1)
	v_fmac_f32_e32 v2, v134, v126
	ds_load_2addr_b64 v[123:126], v121 offset0:39 offset1:40
	s_waitcnt lgkmcnt(1)
	v_fmac_f32_e32 v2, v135, v127
	v_fmac_f32_e32 v2, v136, v128
	s_delay_alu instid0(VALU_DEP_1) | instskip(SKIP_1) | instid1(VALU_DEP_1)
	v_fmac_f32_e32 v2, v137, v129
	s_waitcnt vmcnt(10)
	v_fmac_f32_e32 v2, v138, v130
	ds_load_2addr_b64 v[127:130], v121 offset0:41 offset1:42
	s_waitcnt lgkmcnt(1)
	v_fmac_f32_e32 v2, v139, v123
	;; [unrolled: 17-line block ×6, first 2 shown]
	ds_load_b32 v123, v121 offset:472
	v_fmac_f32_e32 v2, v172, v124
	s_delay_alu instid0(VALU_DEP_1) | instskip(SKIP_1) | instid1(VALU_DEP_1)
	v_fmac_f32_e32 v2, v173, v125
	s_waitcnt vmcnt(1)
	v_fmac_f32_e32 v2, v174, v126
	s_waitcnt lgkmcnt(1)
	s_delay_alu instid0(VALU_DEP_1) | instskip(NEXT) | instid1(VALU_DEP_1)
	v_fmac_f32_e32 v2, v175, v127
	v_fmac_f32_e32 v2, v176, v128
	s_delay_alu instid0(VALU_DEP_1) | instskip(SKIP_1) | instid1(VALU_DEP_1)
	v_fmac_f32_e32 v2, v177, v129
	s_waitcnt vmcnt(0)
	v_fmac_f32_e32 v2, v186, v130
	s_waitcnt lgkmcnt(0)
	s_delay_alu instid0(VALU_DEP_1) | instskip(NEXT) | instid1(VALU_DEP_1)
	v_fmac_f32_e32 v2, v187, v123
	v_sub_f32_e32 v2, v122, v2
	scratch_store_b32 off, v2, off offset:4
	v_cmpx_ne_u32_e32 0, v0
	s_cbranch_execz .LBB122_361
; %bb.360:
	scratch_load_b32 v0, off, off
	scratch_store_b32 off, v121, off
	s_waitcnt vmcnt(0)
	ds_store_b32 v1, v0
.LBB122_361:
	s_or_b32 exec_lo, exec_lo, s0
	s_waitcnt lgkmcnt(0)
	s_waitcnt_vscnt null, 0x0
	s_barrier
	buffer_gl0_inv
	s_clause 0xe
	scratch_load_b128 v[122:125], off, off
	scratch_load_b128 v[126:129], off, off offset:16
	scratch_load_b128 v[130:133], off, off offset:32
	;; [unrolled: 1-line block ×13, first 2 shown]
	scratch_load_b96 v[0:2], off, off offset:224
	ds_load_2addr_b32 v[178:179], v121 offset0:61 offset1:62
	ds_load_2addr_b32 v[180:181], v121 offset0:63 offset1:64
	ds_load_2addr_b32 v[182:183], v121 offset0:65 offset1:66
	ds_load_2addr_b32 v[184:185], v121 offset0:67 offset1:68
	s_and_b32 vcc_lo, exec_lo, s12
	s_waitcnt vmcnt(14) lgkmcnt(3)
	v_fma_f32 v178, v123, v178, 0
	s_delay_alu instid0(VALU_DEP_1) | instskip(SKIP_4) | instid1(VALU_DEP_1)
	v_fmac_f32_e32 v178, v124, v179
	ds_load_2addr_b32 v[123:124], v121 offset0:69 offset1:70
	s_waitcnt lgkmcnt(3)
	v_fmac_f32_e32 v178, v125, v180
	s_waitcnt vmcnt(13)
	v_fmac_f32_e32 v178, v126, v181
	ds_load_2addr_b32 v[125:126], v121 offset0:71 offset1:72
	s_waitcnt lgkmcnt(3)
	v_fmac_f32_e32 v178, v127, v182
	s_delay_alu instid0(VALU_DEP_1) | instskip(SKIP_1) | instid1(VALU_DEP_1)
	v_fmac_f32_e32 v178, v128, v183
	s_waitcnt lgkmcnt(2)
	v_fmac_f32_e32 v178, v129, v184
	s_waitcnt vmcnt(12)
	s_delay_alu instid0(VALU_DEP_1) | instskip(SKIP_4) | instid1(VALU_DEP_1)
	v_fmac_f32_e32 v178, v130, v185
	ds_load_2addr_b32 v[127:128], v121 offset0:73 offset1:74
	ds_load_2addr_b32 v[129:130], v121 offset0:75 offset1:76
	s_waitcnt lgkmcnt(3)
	v_fmac_f32_e32 v178, v131, v123
	v_fmac_f32_e32 v178, v132, v124
	ds_load_2addr_b32 v[123:124], v121 offset0:77 offset1:78
	s_waitcnt lgkmcnt(3)
	v_fmac_f32_e32 v178, v133, v125
	s_waitcnt vmcnt(11)
	s_delay_alu instid0(VALU_DEP_1) | instskip(SKIP_3) | instid1(VALU_DEP_1)
	v_fmac_f32_e32 v178, v134, v126
	ds_load_2addr_b32 v[125:126], v121 offset0:79 offset1:80
	s_waitcnt lgkmcnt(3)
	v_fmac_f32_e32 v178, v135, v127
	v_fmac_f32_e32 v178, v136, v128
	s_waitcnt lgkmcnt(2)
	s_delay_alu instid0(VALU_DEP_1) | instskip(SKIP_1) | instid1(VALU_DEP_1)
	v_fmac_f32_e32 v178, v137, v129
	s_waitcnt vmcnt(10)
	v_fmac_f32_e32 v178, v138, v130
	ds_load_2addr_b32 v[127:128], v121 offset0:81 offset1:82
	ds_load_2addr_b32 v[129:130], v121 offset0:83 offset1:84
	s_waitcnt lgkmcnt(3)
	v_fmac_f32_e32 v178, v139, v123
	s_delay_alu instid0(VALU_DEP_1) | instskip(SKIP_4) | instid1(VALU_DEP_1)
	v_fmac_f32_e32 v178, v140, v124
	ds_load_2addr_b32 v[123:124], v121 offset0:85 offset1:86
	s_waitcnt lgkmcnt(3)
	v_fmac_f32_e32 v178, v141, v125
	s_waitcnt vmcnt(9)
	v_fmac_f32_e32 v178, v142, v126
	ds_load_2addr_b32 v[125:126], v121 offset0:87 offset1:88
	s_waitcnt lgkmcnt(3)
	v_fmac_f32_e32 v178, v143, v127
	s_delay_alu instid0(VALU_DEP_1) | instskip(SKIP_1) | instid1(VALU_DEP_1)
	v_fmac_f32_e32 v178, v144, v128
	s_waitcnt lgkmcnt(2)
	v_fmac_f32_e32 v178, v145, v129
	s_waitcnt vmcnt(8)
	s_delay_alu instid0(VALU_DEP_1) | instskip(SKIP_4) | instid1(VALU_DEP_1)
	v_fmac_f32_e32 v178, v146, v130
	ds_load_2addr_b32 v[127:128], v121 offset0:89 offset1:90
	ds_load_2addr_b32 v[129:130], v121 offset0:91 offset1:92
	s_waitcnt lgkmcnt(3)
	v_fmac_f32_e32 v178, v147, v123
	v_fmac_f32_e32 v178, v148, v124
	ds_load_2addr_b32 v[123:124], v121 offset0:93 offset1:94
	s_waitcnt lgkmcnt(3)
	v_fmac_f32_e32 v178, v149, v125
	s_waitcnt vmcnt(7)
	s_delay_alu instid0(VALU_DEP_1) | instskip(SKIP_3) | instid1(VALU_DEP_1)
	v_fmac_f32_e32 v178, v150, v126
	ds_load_2addr_b32 v[125:126], v121 offset0:95 offset1:96
	s_waitcnt lgkmcnt(3)
	v_fmac_f32_e32 v178, v151, v127
	v_fmac_f32_e32 v178, v152, v128
	s_waitcnt lgkmcnt(2)
	s_delay_alu instid0(VALU_DEP_1) | instskip(SKIP_1) | instid1(VALU_DEP_1)
	v_fmac_f32_e32 v178, v153, v129
	s_waitcnt vmcnt(6)
	v_fmac_f32_e32 v178, v154, v130
	ds_load_2addr_b32 v[127:128], v121 offset0:97 offset1:98
	ds_load_2addr_b32 v[129:130], v121 offset0:99 offset1:100
	s_waitcnt lgkmcnt(3)
	v_fmac_f32_e32 v178, v155, v123
	s_delay_alu instid0(VALU_DEP_1) | instskip(SKIP_4) | instid1(VALU_DEP_1)
	v_fmac_f32_e32 v178, v156, v124
	ds_load_2addr_b32 v[123:124], v121 offset0:101 offset1:102
	s_waitcnt lgkmcnt(3)
	v_fmac_f32_e32 v178, v157, v125
	s_waitcnt vmcnt(5)
	v_fmac_f32_e32 v178, v158, v126
	ds_load_2addr_b32 v[125:126], v121 offset0:103 offset1:104
	s_waitcnt lgkmcnt(3)
	v_fmac_f32_e32 v178, v159, v127
	s_delay_alu instid0(VALU_DEP_1) | instskip(SKIP_1) | instid1(VALU_DEP_1)
	v_fmac_f32_e32 v178, v160, v128
	s_waitcnt lgkmcnt(2)
	v_fmac_f32_e32 v178, v161, v129
	s_waitcnt vmcnt(4)
	s_delay_alu instid0(VALU_DEP_1) | instskip(SKIP_4) | instid1(VALU_DEP_1)
	v_fmac_f32_e32 v178, v162, v130
	ds_load_2addr_b32 v[127:128], v121 offset0:105 offset1:106
	ds_load_2addr_b32 v[129:130], v121 offset0:107 offset1:108
	s_waitcnt lgkmcnt(3)
	v_fmac_f32_e32 v178, v163, v123
	v_fmac_f32_e32 v178, v164, v124
	ds_load_2addr_b32 v[123:124], v121 offset0:109 offset1:110
	s_waitcnt lgkmcnt(3)
	v_fmac_f32_e32 v178, v165, v125
	s_waitcnt vmcnt(3)
	s_delay_alu instid0(VALU_DEP_1) | instskip(SKIP_3) | instid1(VALU_DEP_1)
	v_fmac_f32_e32 v178, v166, v126
	ds_load_2addr_b32 v[125:126], v121 offset0:111 offset1:112
	s_waitcnt lgkmcnt(3)
	v_fmac_f32_e32 v178, v167, v127
	v_fmac_f32_e32 v178, v168, v128
	s_waitcnt lgkmcnt(2)
	s_delay_alu instid0(VALU_DEP_1) | instskip(SKIP_1) | instid1(VALU_DEP_1)
	v_fmac_f32_e32 v178, v169, v129
	s_waitcnt vmcnt(2)
	v_fmac_f32_e32 v178, v170, v130
	ds_load_2addr_b32 v[127:128], v121 offset0:113 offset1:114
	ds_load_2addr_b32 v[129:130], v121 offset0:115 offset1:116
	s_waitcnt lgkmcnt(3)
	v_fmac_f32_e32 v178, v171, v123
	s_delay_alu instid0(VALU_DEP_1) | instskip(SKIP_4) | instid1(VALU_DEP_1)
	v_fmac_f32_e32 v178, v172, v124
	ds_load_2addr_b32 v[123:124], v121 offset0:117 offset1:118
	s_waitcnt lgkmcnt(3)
	v_fmac_f32_e32 v178, v173, v125
	s_waitcnt vmcnt(1)
	v_fmac_f32_e32 v178, v174, v126
	s_waitcnt lgkmcnt(2)
	s_delay_alu instid0(VALU_DEP_1) | instskip(NEXT) | instid1(VALU_DEP_1)
	v_fmac_f32_e32 v178, v175, v127
	v_fmac_f32_e32 v178, v176, v128
	s_waitcnt lgkmcnt(1)
	s_delay_alu instid0(VALU_DEP_1) | instskip(SKIP_1) | instid1(VALU_DEP_1)
	v_fmac_f32_e32 v178, v177, v129
	s_waitcnt vmcnt(0)
	v_fmac_f32_e32 v178, v0, v130
	s_waitcnt lgkmcnt(0)
	s_delay_alu instid0(VALU_DEP_1) | instskip(NEXT) | instid1(VALU_DEP_1)
	v_fmac_f32_e32 v178, v1, v123
	v_fmac_f32_e32 v178, v2, v124
	s_delay_alu instid0(VALU_DEP_1)
	v_sub_f32_e32 v0, v122, v178
	scratch_store_b32 off, v0, off
	s_cbranch_vccz .LBB122_479
; %bb.362:
	v_dual_mov_b32 v122, s3 :: v_dual_mov_b32 v121, s2
	s_mov_b32 s0, exec_lo
	flat_load_b32 v0, v[121:122] offset:228
	s_waitcnt vmcnt(0) lgkmcnt(0)
	v_cmpx_ne_u32_e32 58, v0
	s_cbranch_execz .LBB122_364
; %bb.363:
	v_lshl_add_u32 v0, v0, 2, 0
	scratch_load_b32 v2, v0, off offset:-4
	s_waitcnt vmcnt(0)
	scratch_store_b32 off, v2, off offset:228
	scratch_store_b32 v0, v1, off offset:-4
.LBB122_364:
	s_or_b32 exec_lo, exec_lo, s0
	v_dual_mov_b32 v0, s2 :: v_dual_mov_b32 v1, s3
	s_mov_b32 s0, exec_lo
	flat_load_b32 v0, v[0:1] offset:224
	s_waitcnt vmcnt(0) lgkmcnt(0)
	v_cmpx_ne_u32_e32 57, v0
	s_cbranch_execz .LBB122_366
; %bb.365:
	v_lshl_add_u32 v0, v0, 2, 0
	scratch_load_b32 v1, v0, off offset:-4
	scratch_load_b32 v2, off, off offset:224
	s_waitcnt vmcnt(1)
	scratch_store_b32 off, v1, off offset:224
	s_waitcnt vmcnt(0)
	scratch_store_b32 v0, v2, off offset:-4
.LBB122_366:
	s_or_b32 exec_lo, exec_lo, s0
	v_dual_mov_b32 v0, s2 :: v_dual_mov_b32 v1, s3
	s_mov_b32 s0, exec_lo
	flat_load_b32 v0, v[0:1] offset:220
	s_waitcnt vmcnt(0) lgkmcnt(0)
	v_cmpx_ne_u32_e32 56, v0
	s_cbranch_execz .LBB122_368
; %bb.367:
	v_lshl_add_u32 v0, v0, 2, 0
	scratch_load_b32 v1, v0, off offset:-4
	scratch_load_b32 v2, off, off offset:220
	s_waitcnt vmcnt(1)
	scratch_store_b32 off, v1, off offset:220
	s_waitcnt vmcnt(0)
	scratch_store_b32 v0, v2, off offset:-4
.LBB122_368:
	;; [unrolled: 16-line block ×56, first 2 shown]
	s_or_b32 exec_lo, exec_lo, s0
	v_dual_mov_b32 v0, s2 :: v_dual_mov_b32 v1, s3
	s_mov_b32 s0, exec_lo
	flat_load_b32 v1, v[0:1]
	scratch_load_b32 v0, off, off
	s_waitcnt vmcnt(1) lgkmcnt(0)
	v_cmpx_ne_u32_e32 1, v1
	s_cbranch_execz .LBB122_478
; %bb.477:
	v_lshl_add_u32 v1, v1, 2, 0
	scratch_load_b32 v2, v1, off offset:-4
	s_waitcnt vmcnt(0)
	scratch_store_b32 off, v2, off
	scratch_store_b32 v1, v0, off offset:-4
	scratch_load_b32 v0, off, off
.LBB122_478:
	s_or_b32 exec_lo, exec_lo, s0
.LBB122_479:
	s_clause 0xe
	scratch_load_b128 v[121:124], off, off offset:4
	scratch_load_b128 v[125:128], off, off offset:20
	;; [unrolled: 1-line block ×14, first 2 shown]
	scratch_load_b64 v[1:2], off, off offset:228
	s_waitcnt vmcnt(15)
	global_store_b32 v[3:4], v0, off
	s_waitcnt vmcnt(14)
	s_clause 0x3
	global_store_b32 v[5:6], v121, off
	global_store_b32 v[7:8], v122, off
	global_store_b32 v[9:10], v123, off
	global_store_b32 v[11:12], v124, off
	s_waitcnt vmcnt(13)
	s_clause 0x3
	global_store_b32 v[13:14], v125, off
	global_store_b32 v[15:16], v126, off
	global_store_b32 v[17:18], v127, off
	;; [unrolled: 6-line block ×14, first 2 shown]
	global_store_b32 v[117:118], v176, off
	s_waitcnt vmcnt(0)
	s_clause 0x1
	global_store_b32 v[119:120], v1, off
	global_store_b32 v[69:70], v2, off
	s_endpgm
	.section	.rodata,"a",@progbits
	.p2align	6, 0x0
	.amdhsa_kernel _ZN9rocsolver6v33100L18getri_kernel_smallILi59EfPKPfEEvT1_iilPiilS6_bb
		.amdhsa_group_segment_fixed_size 476
		.amdhsa_private_segment_fixed_size 240
		.amdhsa_kernarg_size 60
		.amdhsa_user_sgpr_count 15
		.amdhsa_user_sgpr_dispatch_ptr 0
		.amdhsa_user_sgpr_queue_ptr 0
		.amdhsa_user_sgpr_kernarg_segment_ptr 1
		.amdhsa_user_sgpr_dispatch_id 0
		.amdhsa_user_sgpr_private_segment_size 0
		.amdhsa_wavefront_size32 1
		.amdhsa_uses_dynamic_stack 0
		.amdhsa_enable_private_segment 1
		.amdhsa_system_sgpr_workgroup_id_x 1
		.amdhsa_system_sgpr_workgroup_id_y 0
		.amdhsa_system_sgpr_workgroup_id_z 0
		.amdhsa_system_sgpr_workgroup_info 0
		.amdhsa_system_vgpr_workitem_id 0
		.amdhsa_next_free_vgpr 188
		.amdhsa_next_free_sgpr 17
		.amdhsa_reserve_vcc 1
		.amdhsa_float_round_mode_32 0
		.amdhsa_float_round_mode_16_64 0
		.amdhsa_float_denorm_mode_32 3
		.amdhsa_float_denorm_mode_16_64 3
		.amdhsa_dx10_clamp 1
		.amdhsa_ieee_mode 1
		.amdhsa_fp16_overflow 0
		.amdhsa_workgroup_processor_mode 1
		.amdhsa_memory_ordered 1
		.amdhsa_forward_progress 0
		.amdhsa_shared_vgpr_count 0
		.amdhsa_exception_fp_ieee_invalid_op 0
		.amdhsa_exception_fp_denorm_src 0
		.amdhsa_exception_fp_ieee_div_zero 0
		.amdhsa_exception_fp_ieee_overflow 0
		.amdhsa_exception_fp_ieee_underflow 0
		.amdhsa_exception_fp_ieee_inexact 0
		.amdhsa_exception_int_div_zero 0
	.end_amdhsa_kernel
	.section	.text._ZN9rocsolver6v33100L18getri_kernel_smallILi59EfPKPfEEvT1_iilPiilS6_bb,"axG",@progbits,_ZN9rocsolver6v33100L18getri_kernel_smallILi59EfPKPfEEvT1_iilPiilS6_bb,comdat
.Lfunc_end122:
	.size	_ZN9rocsolver6v33100L18getri_kernel_smallILi59EfPKPfEEvT1_iilPiilS6_bb, .Lfunc_end122-_ZN9rocsolver6v33100L18getri_kernel_smallILi59EfPKPfEEvT1_iilPiilS6_bb
                                        ; -- End function
	.section	.AMDGPU.csdata,"",@progbits
; Kernel info:
; codeLenInByte = 46924
; NumSgprs: 19
; NumVgprs: 188
; ScratchSize: 240
; MemoryBound: 0
; FloatMode: 240
; IeeeMode: 1
; LDSByteSize: 476 bytes/workgroup (compile time only)
; SGPRBlocks: 2
; VGPRBlocks: 23
; NumSGPRsForWavesPerEU: 19
; NumVGPRsForWavesPerEU: 188
; Occupancy: 8
; WaveLimiterHint : 1
; COMPUTE_PGM_RSRC2:SCRATCH_EN: 1
; COMPUTE_PGM_RSRC2:USER_SGPR: 15
; COMPUTE_PGM_RSRC2:TRAP_HANDLER: 0
; COMPUTE_PGM_RSRC2:TGID_X_EN: 1
; COMPUTE_PGM_RSRC2:TGID_Y_EN: 0
; COMPUTE_PGM_RSRC2:TGID_Z_EN: 0
; COMPUTE_PGM_RSRC2:TIDIG_COMP_CNT: 0
	.section	.text._ZN9rocsolver6v33100L18getri_kernel_smallILi60EfPKPfEEvT1_iilPiilS6_bb,"axG",@progbits,_ZN9rocsolver6v33100L18getri_kernel_smallILi60EfPKPfEEvT1_iilPiilS6_bb,comdat
	.globl	_ZN9rocsolver6v33100L18getri_kernel_smallILi60EfPKPfEEvT1_iilPiilS6_bb ; -- Begin function _ZN9rocsolver6v33100L18getri_kernel_smallILi60EfPKPfEEvT1_iilPiilS6_bb
	.p2align	8
	.type	_ZN9rocsolver6v33100L18getri_kernel_smallILi60EfPKPfEEvT1_iilPiilS6_bb,@function
_ZN9rocsolver6v33100L18getri_kernel_smallILi60EfPKPfEEvT1_iilPiilS6_bb: ; @_ZN9rocsolver6v33100L18getri_kernel_smallILi60EfPKPfEEvT1_iilPiilS6_bb
; %bb.0:
	s_mov_b32 s2, exec_lo
	v_cmpx_gt_u32_e32 60, v0
	s_cbranch_execz .LBB123_248
; %bb.1:
	s_clause 0x1
	s_load_b32 s13, s[0:1], 0x38
	s_load_b64 s[2:3], s[0:1], 0x0
	s_mov_b32 s8, s15
	s_load_b128 s[4:7], s[0:1], 0x28
	s_waitcnt lgkmcnt(0)
	s_bitcmp1_b32 s13, 8
	s_cselect_b32 s12, -1, 0
	s_ashr_i32 s9, s15, 31
	s_delay_alu instid0(SALU_CYCLE_1) | instskip(NEXT) | instid1(SALU_CYCLE_1)
	s_lshl_b64 s[10:11], s[8:9], 3
	s_add_u32 s2, s2, s10
	s_addc_u32 s3, s3, s11
	s_load_b64 s[10:11], s[2:3], 0x0
	s_bfe_u32 s2, s13, 0x10008
	s_delay_alu instid0(SALU_CYCLE_1)
	s_cmp_eq_u32 s2, 0
                                        ; implicit-def: $sgpr2_sgpr3
	s_cbranch_scc1 .LBB123_3
; %bb.2:
	s_clause 0x1
	s_load_b32 s2, s[0:1], 0x20
	s_load_b64 s[14:15], s[0:1], 0x18
	s_mul_i32 s3, s8, s5
	s_mul_hi_u32 s5, s8, s4
	s_mul_i32 s16, s9, s4
	s_add_i32 s3, s5, s3
	s_mul_i32 s4, s8, s4
	s_add_i32 s5, s3, s16
	s_delay_alu instid0(SALU_CYCLE_1)
	s_lshl_b64 s[4:5], s[4:5], 2
	s_waitcnt lgkmcnt(0)
	s_ashr_i32 s3, s2, 31
	s_add_u32 s4, s14, s4
	s_addc_u32 s5, s15, s5
	s_lshl_b64 s[2:3], s[2:3], 2
	s_delay_alu instid0(SALU_CYCLE_1)
	s_add_u32 s2, s4, s2
	s_addc_u32 s3, s5, s3
.LBB123_3:
	s_load_b64 s[0:1], s[0:1], 0x8
	v_lshlrev_b32_e32 v3, 2, v0
	s_waitcnt lgkmcnt(0)
	v_add3_u32 v1, s1, s1, v0
	s_ashr_i32 s5, s0, 31
	s_mov_b32 s4, s0
	s_mov_b32 s14, s1
	s_lshl_b64 s[4:5], s[4:5], 2
	v_add_nc_u32_e32 v8, s1, v1
	v_ashrrev_i32_e32 v2, 31, v1
	s_add_u32 s4, s10, s4
	s_addc_u32 s5, s11, s5
	v_add_co_u32 v4, s0, s4, v3
	v_add_nc_u32_e32 v10, s1, v8
	s_ashr_i32 s15, s1, 31
	v_add_co_ci_u32_e64 v5, null, s5, 0, s0
	v_ashrrev_i32_e32 v9, 31, v8
	s_delay_alu instid0(VALU_DEP_3)
	v_add_nc_u32_e32 v12, s1, v10
	v_lshlrev_b64 v[1:2], 2, v[1:2]
	s_lshl_b64 s[10:11], s[14:15], 2
	v_ashrrev_i32_e32 v11, 31, v10
	v_add_co_u32 v6, vcc_lo, v4, s10
	v_add_nc_u32_e32 v14, s1, v12
	v_add_co_ci_u32_e32 v7, vcc_lo, s11, v5, vcc_lo
	v_lshlrev_b64 v[49:50], 2, v[8:9]
	v_add_co_u32 v8, vcc_lo, s4, v1
	s_delay_alu instid0(VALU_DEP_4) | instskip(SKIP_3) | instid1(VALU_DEP_4)
	v_add_nc_u32_e32 v16, s1, v14
	v_add_co_ci_u32_e32 v9, vcc_lo, s5, v2, vcc_lo
	v_lshlrev_b64 v[1:2], 2, v[10:11]
	v_ashrrev_i32_e32 v13, 31, v12
	v_add_nc_u32_e32 v18, s1, v16
	v_add_co_u32 v10, vcc_lo, s4, v49
	v_ashrrev_i32_e32 v15, 31, v14
	v_add_co_ci_u32_e32 v11, vcc_lo, s5, v50, vcc_lo
	s_delay_alu instid0(VALU_DEP_4) | instskip(SKIP_3) | instid1(VALU_DEP_4)
	v_add_nc_u32_e32 v20, s1, v18
	v_lshlrev_b64 v[49:50], 2, v[12:13]
	v_add_co_u32 v12, vcc_lo, s4, v1
	v_add_co_ci_u32_e32 v13, vcc_lo, s5, v2, vcc_lo
	v_add_nc_u32_e32 v22, s1, v20
	v_lshlrev_b64 v[1:2], 2, v[14:15]
	v_ashrrev_i32_e32 v17, 31, v16
	v_add_co_u32 v14, vcc_lo, s4, v49
	s_delay_alu instid0(VALU_DEP_4) | instskip(SKIP_3) | instid1(VALU_DEP_4)
	v_add_nc_u32_e32 v24, s1, v22
	v_ashrrev_i32_e32 v19, 31, v18
	v_add_co_ci_u32_e32 v15, vcc_lo, s5, v50, vcc_lo
	v_lshlrev_b64 v[49:50], 2, v[16:17]
	v_add_nc_u32_e32 v26, s1, v24
	v_add_co_u32 v16, vcc_lo, s4, v1
	v_add_co_ci_u32_e32 v17, vcc_lo, s5, v2, vcc_lo
	s_delay_alu instid0(VALU_DEP_3) | instskip(SKIP_3) | instid1(VALU_DEP_4)
	v_add_nc_u32_e32 v28, s1, v26
	v_lshlrev_b64 v[1:2], 2, v[18:19]
	v_ashrrev_i32_e32 v21, 31, v20
	v_add_co_u32 v18, vcc_lo, s4, v49
	v_add_nc_u32_e32 v30, s1, v28
	v_ashrrev_i32_e32 v23, 31, v22
	v_add_co_ci_u32_e32 v19, vcc_lo, s5, v50, vcc_lo
	v_lshlrev_b64 v[49:50], 2, v[20:21]
	s_delay_alu instid0(VALU_DEP_4) | instskip(SKIP_2) | instid1(VALU_DEP_3)
	v_add_nc_u32_e32 v32, s1, v30
	v_add_co_u32 v20, vcc_lo, s4, v1
	v_add_co_ci_u32_e32 v21, vcc_lo, s5, v2, vcc_lo
	v_add_nc_u32_e32 v34, s1, v32
	v_lshlrev_b64 v[1:2], 2, v[22:23]
	v_ashrrev_i32_e32 v25, 31, v24
	v_add_co_u32 v22, vcc_lo, s4, v49
	s_delay_alu instid0(VALU_DEP_4) | instskip(SKIP_3) | instid1(VALU_DEP_4)
	v_add_nc_u32_e32 v36, s1, v34
	v_ashrrev_i32_e32 v27, 31, v26
	v_add_co_ci_u32_e32 v23, vcc_lo, s5, v50, vcc_lo
	v_lshlrev_b64 v[49:50], 2, v[24:25]
	v_add_nc_u32_e32 v38, s1, v36
	v_add_co_u32 v24, vcc_lo, s4, v1
	v_add_co_ci_u32_e32 v25, vcc_lo, s5, v2, vcc_lo
	s_delay_alu instid0(VALU_DEP_3) | instskip(SKIP_3) | instid1(VALU_DEP_4)
	v_add_nc_u32_e32 v40, s1, v38
	v_lshlrev_b64 v[1:2], 2, v[26:27]
	v_ashrrev_i32_e32 v29, 31, v28
	v_add_co_u32 v26, vcc_lo, s4, v49
	v_add_nc_u32_e32 v42, s1, v40
	v_ashrrev_i32_e32 v31, 31, v30
	v_add_co_ci_u32_e32 v27, vcc_lo, s5, v50, vcc_lo
	v_lshlrev_b64 v[49:50], 2, v[28:29]
	s_delay_alu instid0(VALU_DEP_4) | instskip(SKIP_2) | instid1(VALU_DEP_3)
	v_add_nc_u32_e32 v44, s1, v42
	v_add_co_u32 v28, vcc_lo, s4, v1
	v_add_co_ci_u32_e32 v29, vcc_lo, s5, v2, vcc_lo
	v_add_nc_u32_e32 v46, s1, v44
	v_lshlrev_b64 v[1:2], 2, v[30:31]
	v_ashrrev_i32_e32 v33, 31, v32
	v_add_co_u32 v30, vcc_lo, s4, v49
	s_delay_alu instid0(VALU_DEP_4) | instskip(SKIP_3) | instid1(VALU_DEP_4)
	v_add_nc_u32_e32 v48, s1, v46
	v_ashrrev_i32_e32 v35, 31, v34
	v_add_co_ci_u32_e32 v31, vcc_lo, s5, v50, vcc_lo
	v_lshlrev_b64 v[49:50], 2, v[32:33]
	v_add_nc_u32_e32 v51, s1, v48
	v_add_co_u32 v32, vcc_lo, s4, v1
	v_add_co_ci_u32_e32 v33, vcc_lo, s5, v2, vcc_lo
	s_delay_alu instid0(VALU_DEP_3) | instskip(SKIP_3) | instid1(VALU_DEP_4)
	v_add_nc_u32_e32 v53, s1, v51
	v_lshlrev_b64 v[1:2], 2, v[34:35]
	v_ashrrev_i32_e32 v37, 31, v36
	v_add_co_u32 v34, vcc_lo, s4, v49
	v_add_nc_u32_e32 v55, s1, v53
	v_ashrrev_i32_e32 v39, 31, v38
	v_add_co_ci_u32_e32 v35, vcc_lo, s5, v50, vcc_lo
	v_lshlrev_b64 v[49:50], 2, v[36:37]
	s_delay_alu instid0(VALU_DEP_4) | instskip(SKIP_2) | instid1(VALU_DEP_3)
	v_add_nc_u32_e32 v57, s1, v55
	v_add_co_u32 v36, vcc_lo, s4, v1
	v_add_co_ci_u32_e32 v37, vcc_lo, s5, v2, vcc_lo
	v_add_nc_u32_e32 v59, s1, v57
	v_lshlrev_b64 v[1:2], 2, v[38:39]
	v_ashrrev_i32_e32 v41, 31, v40
	v_add_co_u32 v38, vcc_lo, s4, v49
	s_delay_alu instid0(VALU_DEP_4) | instskip(SKIP_3) | instid1(VALU_DEP_4)
	v_add_nc_u32_e32 v61, s1, v59
	v_ashrrev_i32_e32 v43, 31, v42
	v_add_co_ci_u32_e32 v39, vcc_lo, s5, v50, vcc_lo
	v_lshlrev_b64 v[49:50], 2, v[40:41]
	v_add_nc_u32_e32 v63, s1, v61
	v_add_co_u32 v40, vcc_lo, s4, v1
	v_add_co_ci_u32_e32 v41, vcc_lo, s5, v2, vcc_lo
	s_delay_alu instid0(VALU_DEP_3) | instskip(SKIP_3) | instid1(VALU_DEP_4)
	v_add_nc_u32_e32 v65, s1, v63
	v_lshlrev_b64 v[1:2], 2, v[42:43]
	v_ashrrev_i32_e32 v45, 31, v44
	v_add_co_u32 v42, vcc_lo, s4, v49
	v_add_nc_u32_e32 v67, s1, v65
	v_ashrrev_i32_e32 v47, 31, v46
	v_add_co_ci_u32_e32 v43, vcc_lo, s5, v50, vcc_lo
	v_lshlrev_b64 v[72:73], 2, v[44:45]
	s_delay_alu instid0(VALU_DEP_4) | instskip(SKIP_2) | instid1(VALU_DEP_3)
	v_add_nc_u32_e32 v69, s1, v67
	v_add_co_u32 v44, vcc_lo, s4, v1
	v_add_co_ci_u32_e32 v45, vcc_lo, s5, v2, vcc_lo
	v_add_nc_u32_e32 v71, s1, v69
	v_lshlrev_b64 v[1:2], 2, v[46:47]
	v_ashrrev_i32_e32 v49, 31, v48
	v_add_co_u32 v46, vcc_lo, s4, v72
	s_delay_alu instid0(VALU_DEP_4) | instskip(SKIP_3) | instid1(VALU_DEP_4)
	v_add_nc_u32_e32 v74, s1, v71
	v_ashrrev_i32_e32 v52, 31, v51
	v_add_co_ci_u32_e32 v47, vcc_lo, s5, v73, vcc_lo
	v_lshlrev_b64 v[72:73], 2, v[48:49]
	v_add_nc_u32_e32 v76, s1, v74
	v_add_co_u32 v48, vcc_lo, s4, v1
	v_add_co_ci_u32_e32 v49, vcc_lo, s5, v2, vcc_lo
	s_delay_alu instid0(VALU_DEP_3) | instskip(SKIP_3) | instid1(VALU_DEP_4)
	v_add_nc_u32_e32 v78, s1, v76
	v_lshlrev_b64 v[1:2], 2, v[51:52]
	v_ashrrev_i32_e32 v54, 31, v53
	v_add_co_u32 v50, vcc_lo, s4, v72
	v_add_nc_u32_e32 v80, s1, v78
	v_ashrrev_i32_e32 v56, 31, v55
	v_add_co_ci_u32_e32 v51, vcc_lo, s5, v73, vcc_lo
	v_lshlrev_b64 v[72:73], 2, v[53:54]
	s_delay_alu instid0(VALU_DEP_4) | instskip(SKIP_2) | instid1(VALU_DEP_3)
	v_add_nc_u32_e32 v82, s1, v80
	v_add_co_u32 v52, vcc_lo, s4, v1
	v_add_co_ci_u32_e32 v53, vcc_lo, s5, v2, vcc_lo
	v_add_nc_u32_e32 v84, s1, v82
	v_lshlrev_b64 v[1:2], 2, v[55:56]
	v_ashrrev_i32_e32 v58, 31, v57
	v_add_co_u32 v54, vcc_lo, s4, v72
	s_delay_alu instid0(VALU_DEP_4) | instskip(SKIP_3) | instid1(VALU_DEP_4)
	v_add_nc_u32_e32 v88, s1, v84
	v_ashrrev_i32_e32 v60, 31, v59
	v_add_co_ci_u32_e32 v55, vcc_lo, s5, v73, vcc_lo
	v_lshlrev_b64 v[72:73], 2, v[57:58]
	v_add_nc_u32_e32 v90, s1, v88
	v_add_co_u32 v56, vcc_lo, s4, v1
	v_add_co_ci_u32_e32 v57, vcc_lo, s5, v2, vcc_lo
	s_delay_alu instid0(VALU_DEP_3) | instskip(SKIP_3) | instid1(VALU_DEP_4)
	v_add_nc_u32_e32 v92, s1, v90
	v_lshlrev_b64 v[1:2], 2, v[59:60]
	v_ashrrev_i32_e32 v62, 31, v61
	v_add_co_u32 v58, vcc_lo, s4, v72
	v_add_nc_u32_e32 v94, s1, v92
	v_ashrrev_i32_e32 v64, 31, v63
	v_add_co_ci_u32_e32 v59, vcc_lo, s5, v73, vcc_lo
	v_lshlrev_b64 v[72:73], 2, v[61:62]
	s_delay_alu instid0(VALU_DEP_4) | instskip(SKIP_2) | instid1(VALU_DEP_3)
	v_add_nc_u32_e32 v96, s1, v94
	v_add_co_u32 v60, vcc_lo, s4, v1
	v_add_co_ci_u32_e32 v61, vcc_lo, s5, v2, vcc_lo
	v_add_nc_u32_e32 v98, s1, v96
	v_lshlrev_b64 v[1:2], 2, v[63:64]
	v_ashrrev_i32_e32 v66, 31, v65
	v_add_co_u32 v62, vcc_lo, s4, v72
	s_delay_alu instid0(VALU_DEP_4) | instskip(SKIP_3) | instid1(VALU_DEP_4)
	v_add_nc_u32_e32 v100, s1, v98
	v_ashrrev_i32_e32 v68, 31, v67
	v_add_co_ci_u32_e32 v63, vcc_lo, s5, v73, vcc_lo
	v_lshlrev_b64 v[72:73], 2, v[65:66]
	v_add_nc_u32_e32 v102, s1, v100
	v_add_co_u32 v64, vcc_lo, s4, v1
	v_ashrrev_i32_e32 v70, 31, v69
	v_add_co_ci_u32_e32 v65, vcc_lo, s5, v2, vcc_lo
	s_delay_alu instid0(VALU_DEP_4) | instskip(SKIP_3) | instid1(VALU_DEP_4)
	v_add_nc_u32_e32 v104, s1, v102
	v_lshlrev_b64 v[1:2], 2, v[67:68]
	v_add_co_u32 v66, vcc_lo, s4, v72
	v_lshlrev_b64 v[85:86], 2, v[69:70]
	v_add_nc_u32_e32 v106, s1, v104
	v_ashrrev_i32_e32 v72, 31, v71
	v_add_co_ci_u32_e32 v67, vcc_lo, s5, v73, vcc_lo
	v_add_co_u32 v68, vcc_lo, s4, v1
	s_delay_alu instid0(VALU_DEP_4) | instskip(SKIP_3) | instid1(VALU_DEP_4)
	v_add_nc_u32_e32 v108, s1, v106
	v_ashrrev_i32_e32 v75, 31, v74
	v_add_co_ci_u32_e32 v69, vcc_lo, s5, v2, vcc_lo
	v_lshlrev_b64 v[1:2], 2, v[71:72]
	v_add_nc_u32_e32 v110, s1, v108
	v_add_co_u32 v72, vcc_lo, s4, v85
	v_add_co_ci_u32_e32 v73, vcc_lo, s5, v86, vcc_lo
	s_delay_alu instid0(VALU_DEP_3) | instskip(SKIP_3) | instid1(VALU_DEP_4)
	v_add_nc_u32_e32 v112, s1, v110
	v_lshlrev_b64 v[85:86], 2, v[74:75]
	v_ashrrev_i32_e32 v77, 31, v76
	v_add_co_u32 v74, vcc_lo, s4, v1
	v_add_nc_u32_e32 v114, s1, v112
	v_add_co_ci_u32_e32 v75, vcc_lo, s5, v2, vcc_lo
	s_delay_alu instid0(VALU_DEP_4) | instskip(SKIP_1) | instid1(VALU_DEP_4)
	v_lshlrev_b64 v[1:2], 2, v[76:77]
	v_ashrrev_i32_e32 v79, 31, v78
	v_add_nc_u32_e32 v116, s1, v114
	v_add_co_u32 v76, vcc_lo, s4, v85
	v_add_co_ci_u32_e32 v77, vcc_lo, s5, v86, vcc_lo
	s_delay_alu instid0(VALU_DEP_3)
	v_add_nc_u32_e32 v118, s1, v116
	v_ashrrev_i32_e32 v81, 31, v80
	v_lshlrev_b64 v[85:86], 2, v[78:79]
	v_ashrrev_i32_e32 v83, 31, v82
	v_ashrrev_i32_e32 v89, 31, v88
	v_add_nc_u32_e32 v120, s1, v118
	v_ashrrev_i32_e32 v91, 31, v90
	v_ashrrev_i32_e32 v93, 31, v92
	;; [unrolled: 1-line block ×4, first 2 shown]
	v_add_nc_u32_e32 v122, s1, v120
	v_lshlrev_b64 v[90:91], 2, v[90:91]
	v_ashrrev_i32_e32 v99, 31, v98
	v_lshlrev_b64 v[94:95], 2, v[94:95]
	v_ashrrev_i32_e32 v101, 31, v100
	v_add_nc_u32_e32 v70, s1, v122
	v_ashrrev_i32_e32 v103, 31, v102
	v_lshlrev_b64 v[98:99], 2, v[98:99]
	v_ashrrev_i32_e32 v105, 31, v104
	v_ashrrev_i32_e32 v107, 31, v106
	;; [unrolled: 1-line block ×3, first 2 shown]
	v_lshlrev_b64 v[102:103], 2, v[102:103]
	v_ashrrev_i32_e32 v109, 31, v108
	v_ashrrev_i32_e32 v111, 31, v110
	v_lshlrev_b64 v[106:107], 2, v[106:107]
	v_lshlrev_b64 v[70:71], 2, v[70:71]
	v_ashrrev_i32_e32 v113, 31, v112
	v_ashrrev_i32_e32 v115, 31, v114
	v_lshlrev_b64 v[110:111], 2, v[110:111]
	v_ashrrev_i32_e32 v117, 31, v116
	v_ashrrev_i32_e32 v119, 31, v118
	v_add_co_u32 v70, vcc_lo, s4, v70
	v_add_co_ci_u32_e32 v71, vcc_lo, s5, v71, vcc_lo
	v_add_co_u32 v78, vcc_lo, s4, v1
	v_add_co_ci_u32_e32 v79, vcc_lo, s5, v2, vcc_lo
	v_lshlrev_b64 v[1:2], 2, v[80:81]
	v_add_co_u32 v80, vcc_lo, s4, v85
	v_ashrrev_i32_e32 v85, 31, v84
	v_add_co_ci_u32_e32 v81, vcc_lo, s5, v86, vcc_lo
	v_lshlrev_b64 v[86:87], 2, v[82:83]
	v_add_co_u32 v82, vcc_lo, s4, v1
	v_add_co_ci_u32_e32 v83, vcc_lo, s5, v2, vcc_lo
	v_lshlrev_b64 v[1:2], 2, v[84:85]
	s_delay_alu instid0(VALU_DEP_4) | instskip(SKIP_2) | instid1(VALU_DEP_4)
	v_add_co_u32 v84, vcc_lo, s4, v86
	v_add_co_ci_u32_e32 v85, vcc_lo, s5, v87, vcc_lo
	v_lshlrev_b64 v[114:115], 2, v[114:115]
	v_add_co_u32 v86, vcc_lo, s4, v1
	v_add_co_ci_u32_e32 v87, vcc_lo, s5, v2, vcc_lo
	v_lshlrev_b64 v[1:2], 2, v[88:89]
	v_ashrrev_i32_e32 v121, 31, v120
	v_lshlrev_b64 v[118:119], 2, v[118:119]
	v_ashrrev_i32_e32 v123, 31, v122
	s_clause 0x8
	global_load_b32 v124, v3, s[4:5]
	global_load_b32 v125, v[6:7], off
	global_load_b32 v126, v[8:9], off
	;; [unrolled: 1-line block ×8, first 2 shown]
	v_add_co_u32 v88, vcc_lo, s4, v1
	v_add_co_ci_u32_e32 v89, vcc_lo, s5, v2, vcc_lo
	v_lshlrev_b64 v[1:2], 2, v[92:93]
	v_add_co_u32 v90, vcc_lo, s4, v90
	v_add_co_ci_u32_e32 v91, vcc_lo, s5, v91, vcc_lo
	v_lshlrev_b64 v[122:123], 2, v[122:123]
	s_delay_alu instid0(VALU_DEP_4)
	v_add_co_u32 v92, vcc_lo, s4, v1
	v_add_co_ci_u32_e32 v93, vcc_lo, s5, v2, vcc_lo
	v_lshlrev_b64 v[1:2], 2, v[96:97]
	v_add_co_u32 v94, vcc_lo, s4, v94
	v_add_co_ci_u32_e32 v95, vcc_lo, s5, v95, vcc_lo
	s_clause 0x7
	global_load_b32 v133, v[22:23], off
	global_load_b32 v134, v[24:25], off
	global_load_b32 v135, v[26:27], off
	global_load_b32 v136, v[28:29], off
	global_load_b32 v137, v[30:31], off
	global_load_b32 v138, v[32:33], off
	global_load_b32 v139, v[34:35], off
	global_load_b32 v140, v[36:37], off
	v_add_co_u32 v96, vcc_lo, s4, v1
	v_add_co_ci_u32_e32 v97, vcc_lo, s5, v2, vcc_lo
	v_lshlrev_b64 v[1:2], 2, v[100:101]
	v_add_co_u32 v98, vcc_lo, s4, v98
	v_add_co_ci_u32_e32 v99, vcc_lo, s5, v99, vcc_lo
	s_clause 0x7
	global_load_b32 v141, v[38:39], off
	global_load_b32 v142, v[40:41], off
	global_load_b32 v143, v[42:43], off
	global_load_b32 v144, v[44:45], off
	global_load_b32 v145, v[46:47], off
	global_load_b32 v146, v[48:49], off
	global_load_b32 v147, v[50:51], off
	global_load_b32 v148, v[52:53], off
	;; [unrolled: 14-line block ×5, first 2 shown]
	v_add_co_u32 v112, vcc_lo, s4, v1
	v_add_co_ci_u32_e32 v113, vcc_lo, s5, v2, vcc_lo
	v_lshlrev_b64 v[1:2], 2, v[116:117]
	v_add_co_u32 v114, vcc_lo, s4, v114
	v_add_co_ci_u32_e32 v115, vcc_lo, s5, v115, vcc_lo
	s_bitcmp0_b32 s13, 0
	s_delay_alu instid0(VALU_DEP_3) | instskip(NEXT) | instid1(VALU_DEP_4)
	v_add_co_u32 v116, vcc_lo, s4, v1
	v_add_co_ci_u32_e32 v117, vcc_lo, s5, v2, vcc_lo
	v_lshlrev_b64 v[1:2], 2, v[120:121]
	v_add_co_u32 v118, vcc_lo, s4, v118
	v_add_co_ci_u32_e32 v119, vcc_lo, s5, v119, vcc_lo
	s_mov_b32 s1, -1
	s_delay_alu instid0(VALU_DEP_3) | instskip(NEXT) | instid1(VALU_DEP_4)
	v_add_co_u32 v120, vcc_lo, s4, v1
	v_add_co_ci_u32_e32 v121, vcc_lo, s5, v2, vcc_lo
	v_add_co_u32 v122, vcc_lo, s4, v122
	v_add_co_ci_u32_e32 v123, vcc_lo, s5, v123, vcc_lo
	s_clause 0xa
	global_load_b32 v173, v[104:105], off
	global_load_b32 v174, v[106:107], off
	global_load_b32 v175, v[108:109], off
	global_load_b32 v176, v[110:111], off
	global_load_b32 v177, v[112:113], off
	global_load_b32 v178, v[114:115], off
	global_load_b32 v179, v[116:117], off
	global_load_b32 v180, v[118:119], off
	global_load_b32 v181, v[120:121], off
	global_load_b32 v183, v[70:71], off
	global_load_b32 v182, v[122:123], off
	s_waitcnt vmcnt(56)
	scratch_store_b128 off, v[124:127], off
	s_waitcnt vmcnt(52)
	scratch_store_b128 off, v[128:131], off offset:16
	s_waitcnt vmcnt(48)
	scratch_store_b128 off, v[132:135], off offset:32
	;; [unrolled: 2-line block ×14, first 2 shown]
	s_cbranch_scc1 .LBB123_246
; %bb.4:
	v_cmp_eq_u32_e64 s0, 0, v0
	s_delay_alu instid0(VALU_DEP_1)
	s_and_saveexec_b32 s1, s0
	s_cbranch_execz .LBB123_6
; %bb.5:
	v_mov_b32_e32 v1, 0
	ds_store_b32 v1, v1 offset:480
.LBB123_6:
	s_or_b32 exec_lo, exec_lo, s1
	s_waitcnt lgkmcnt(0)
	s_waitcnt_vscnt null, 0x0
	s_barrier
	buffer_gl0_inv
	scratch_load_b32 v1, v3, off
	s_mov_b32 s4, exec_lo
	s_waitcnt vmcnt(0)
	v_cmpx_eq_f32_e32 0, v1
	s_cbranch_execz .LBB123_10
; %bb.7:
	v_mov_b32_e32 v1, 0
	s_mov_b32 s5, 0
	ds_load_b32 v2, v1 offset:480
	s_waitcnt lgkmcnt(0)
	v_readfirstlane_b32 s1, v2
	v_add_nc_u32_e32 v2, 1, v0
	s_delay_alu instid0(VALU_DEP_2) | instskip(NEXT) | instid1(VALU_DEP_1)
	s_cmp_eq_u32 s1, 0
	v_cmp_gt_i32_e32 vcc_lo, s1, v2
	s_cselect_b32 s10, -1, 0
	s_delay_alu instid0(SALU_CYCLE_1) | instskip(NEXT) | instid1(SALU_CYCLE_1)
	s_or_b32 s10, s10, vcc_lo
	s_and_b32 exec_lo, exec_lo, s10
	s_cbranch_execz .LBB123_10
; %bb.8:
	v_mov_b32_e32 v124, s1
.LBB123_9:                              ; =>This Inner Loop Header: Depth=1
	ds_cmpstore_rtn_b32 v124, v1, v2, v124 offset:480
	s_waitcnt lgkmcnt(0)
	v_cmp_ne_u32_e32 vcc_lo, 0, v124
	v_cmp_le_i32_e64 s1, v124, v2
	s_delay_alu instid0(VALU_DEP_1) | instskip(NEXT) | instid1(SALU_CYCLE_1)
	s_and_b32 s1, vcc_lo, s1
	s_and_b32 s1, exec_lo, s1
	s_delay_alu instid0(SALU_CYCLE_1) | instskip(NEXT) | instid1(SALU_CYCLE_1)
	s_or_b32 s5, s1, s5
	s_and_not1_b32 exec_lo, exec_lo, s5
	s_cbranch_execnz .LBB123_9
.LBB123_10:
	s_or_b32 exec_lo, exec_lo, s4
	v_mov_b32_e32 v1, 0
	s_barrier
	buffer_gl0_inv
	ds_load_b32 v2, v1 offset:480
	s_and_saveexec_b32 s1, s0
	s_cbranch_execz .LBB123_12
; %bb.11:
	s_lshl_b64 s[4:5], s[8:9], 2
	s_delay_alu instid0(SALU_CYCLE_1)
	s_add_u32 s4, s6, s4
	s_addc_u32 s5, s7, s5
	s_waitcnt lgkmcnt(0)
	global_store_b32 v1, v2, s[4:5]
.LBB123_12:
	s_or_b32 exec_lo, exec_lo, s1
	s_waitcnt lgkmcnt(0)
	v_cmp_ne_u32_e32 vcc_lo, 0, v2
	s_mov_b32 s1, 0
	s_cbranch_vccnz .LBB123_246
; %bb.13:
	v_add_nc_u32_e32 v1, 0, v3
	scratch_load_b32 v2, v1, off
	s_waitcnt vmcnt(0)
	v_div_scale_f32 v124, null, v2, v2, 1.0
	v_div_scale_f32 v127, vcc_lo, 1.0, v2, 1.0
	s_delay_alu instid0(VALU_DEP_2) | instskip(SKIP_2) | instid1(VALU_DEP_1)
	v_rcp_f32_e32 v125, v124
	s_waitcnt_depctr 0xfff
	v_fma_f32 v126, -v124, v125, 1.0
	v_fmac_f32_e32 v125, v126, v125
	s_delay_alu instid0(VALU_DEP_1) | instskip(NEXT) | instid1(VALU_DEP_1)
	v_mul_f32_e32 v126, v127, v125
	v_fma_f32 v128, -v124, v126, v127
	s_delay_alu instid0(VALU_DEP_1) | instskip(NEXT) | instid1(VALU_DEP_1)
	v_fmac_f32_e32 v126, v128, v125
	v_fma_f32 v124, -v124, v126, v127
	s_delay_alu instid0(VALU_DEP_1) | instskip(NEXT) | instid1(VALU_DEP_1)
	v_div_fmas_f32 v124, v124, v125, v126
	v_div_fixup_f32 v2, v124, v2, 1.0
	scratch_store_b32 v1, v2, off
	scratch_load_b32 v124, off, off offset:4
	v_xor_b32_e32 v125, 0x80000000, v2
	v_add_nc_u32_e32 v2, 0xf0, v3
	s_waitcnt vmcnt(0)
	ds_store_2addr_b32 v3, v125, v124 offset1:60
	s_waitcnt lgkmcnt(0)
	s_waitcnt_vscnt null, 0x0
	s_barrier
	buffer_gl0_inv
	s_and_saveexec_b32 s1, s0
	s_cbranch_execz .LBB123_15
; %bb.14:
	scratch_load_b32 v124, v1, off
	ds_load_b32 v125, v2
	v_mov_b32_e32 v126, 0
	ds_load_b32 v126, v126 offset:4
	s_waitcnt vmcnt(0) lgkmcnt(1)
	v_fma_f32 v124, v124, v125, 0
	s_waitcnt lgkmcnt(0)
	s_delay_alu instid0(VALU_DEP_1)
	v_mul_f32_e32 v124, v124, v126
	scratch_store_b32 off, v124, off offset:4
.LBB123_15:
	s_or_b32 exec_lo, exec_lo, s1
	s_waitcnt_vscnt null, 0x0
	s_barrier
	buffer_gl0_inv
	scratch_load_b32 v124, off, off offset:8
	s_mov_b32 s1, exec_lo
	s_waitcnt vmcnt(0)
	ds_store_b32 v2, v124
	s_waitcnt lgkmcnt(0)
	s_barrier
	buffer_gl0_inv
	v_cmpx_gt_u32_e32 2, v0
	s_cbranch_execz .LBB123_17
; %bb.16:
	scratch_load_b32 v126, v1, off
	scratch_load_b32 v127, off, off offset:4
	ds_load_b32 v128, v2
	v_mov_b32_e32 v124, 0
	ds_load_2addr_b32 v[124:125], v124 offset0:2 offset1:61
	s_waitcnt vmcnt(1) lgkmcnt(1)
	v_fma_f32 v126, v126, v128, 0
	s_waitcnt vmcnt(0) lgkmcnt(0)
	s_delay_alu instid0(VALU_DEP_1) | instskip(NEXT) | instid1(VALU_DEP_1)
	v_fma_f32 v125, v127, v125, v126
	v_cndmask_b32_e64 v125, v126, v125, s0
	s_delay_alu instid0(VALU_DEP_1)
	v_mul_f32_e32 v124, v125, v124
	scratch_store_b32 off, v124, off offset:8
.LBB123_17:
	s_or_b32 exec_lo, exec_lo, s1
	s_waitcnt_vscnt null, 0x0
	s_barrier
	buffer_gl0_inv
	scratch_load_b32 v125, off, off offset:12
	v_add_nc_u32_e32 v124, -1, v0
	s_mov_b32 s0, exec_lo
	s_waitcnt vmcnt(0)
	ds_store_b32 v2, v125
	s_waitcnt lgkmcnt(0)
	s_barrier
	buffer_gl0_inv
	v_cmpx_gt_u32_e32 3, v0
	s_cbranch_execz .LBB123_21
; %bb.18:
	v_dual_mov_b32 v125, 0 :: v_dual_add_nc_u32 v126, -1, v0
	v_add_nc_u32_e32 v127, 0xf0, v3
	v_add_nc_u32_e32 v128, 0, v3
	s_mov_b32 s1, 0
.LBB123_19:                             ; =>This Inner Loop Header: Depth=1
	scratch_load_b32 v129, v128, off
	ds_load_b32 v130, v127
	v_add_nc_u32_e32 v126, 1, v126
	v_add_nc_u32_e32 v127, 4, v127
	v_add_nc_u32_e32 v128, 4, v128
	s_delay_alu instid0(VALU_DEP_3)
	v_cmp_lt_u32_e32 vcc_lo, 1, v126
	s_or_b32 s1, vcc_lo, s1
	s_waitcnt vmcnt(0) lgkmcnt(0)
	v_fmac_f32_e32 v125, v129, v130
	s_and_not1_b32 exec_lo, exec_lo, s1
	s_cbranch_execnz .LBB123_19
; %bb.20:
	s_or_b32 exec_lo, exec_lo, s1
	v_mov_b32_e32 v126, 0
	ds_load_b32 v126, v126 offset:12
	s_waitcnt lgkmcnt(0)
	v_mul_f32_e32 v125, v125, v126
	scratch_store_b32 off, v125, off offset:12
.LBB123_21:
	s_or_b32 exec_lo, exec_lo, s0
	s_waitcnt_vscnt null, 0x0
	s_barrier
	buffer_gl0_inv
	scratch_load_b32 v125, off, off offset:16
	s_mov_b32 s0, exec_lo
	s_waitcnt vmcnt(0)
	ds_store_b32 v2, v125
	s_waitcnt lgkmcnt(0)
	s_barrier
	buffer_gl0_inv
	v_cmpx_gt_u32_e32 4, v0
	s_cbranch_execz .LBB123_25
; %bb.22:
	v_dual_mov_b32 v125, 0 :: v_dual_add_nc_u32 v126, -1, v0
	v_add_nc_u32_e32 v127, 0xf0, v3
	v_add_nc_u32_e32 v128, 0, v3
	s_mov_b32 s1, 0
.LBB123_23:                             ; =>This Inner Loop Header: Depth=1
	scratch_load_b32 v129, v128, off
	ds_load_b32 v130, v127
	v_add_nc_u32_e32 v126, 1, v126
	v_add_nc_u32_e32 v127, 4, v127
	v_add_nc_u32_e32 v128, 4, v128
	s_delay_alu instid0(VALU_DEP_3)
	v_cmp_lt_u32_e32 vcc_lo, 2, v126
	s_or_b32 s1, vcc_lo, s1
	s_waitcnt vmcnt(0) lgkmcnt(0)
	v_fmac_f32_e32 v125, v129, v130
	s_and_not1_b32 exec_lo, exec_lo, s1
	s_cbranch_execnz .LBB123_23
; %bb.24:
	s_or_b32 exec_lo, exec_lo, s1
	v_mov_b32_e32 v126, 0
	ds_load_b32 v126, v126 offset:16
	s_waitcnt lgkmcnt(0)
	v_mul_f32_e32 v125, v125, v126
	scratch_store_b32 off, v125, off offset:16
.LBB123_25:
	s_or_b32 exec_lo, exec_lo, s0
	s_waitcnt_vscnt null, 0x0
	s_barrier
	buffer_gl0_inv
	scratch_load_b32 v125, off, off offset:20
	;; [unrolled: 39-line block ×21, first 2 shown]
	s_mov_b32 s0, exec_lo
	s_waitcnt vmcnt(0)
	ds_store_b32 v2, v125
	s_waitcnt lgkmcnt(0)
	s_barrier
	buffer_gl0_inv
	v_cmpx_gt_u32_e32 24, v0
	s_cbranch_execz .LBB123_105
; %bb.102:
	v_dual_mov_b32 v125, 0 :: v_dual_add_nc_u32 v126, -1, v0
	v_add_nc_u32_e32 v127, 0xf0, v3
	v_add_nc_u32_e32 v128, 0, v3
	s_mov_b32 s1, 0
.LBB123_103:                            ; =>This Inner Loop Header: Depth=1
	scratch_load_b32 v129, v128, off
	ds_load_b32 v130, v127
	v_add_nc_u32_e32 v126, 1, v126
	v_add_nc_u32_e32 v127, 4, v127
	v_add_nc_u32_e32 v128, 4, v128
	s_delay_alu instid0(VALU_DEP_3)
	v_cmp_lt_u32_e32 vcc_lo, 22, v126
	s_or_b32 s1, vcc_lo, s1
	s_waitcnt vmcnt(0) lgkmcnt(0)
	v_fmac_f32_e32 v125, v129, v130
	s_and_not1_b32 exec_lo, exec_lo, s1
	s_cbranch_execnz .LBB123_103
; %bb.104:
	s_or_b32 exec_lo, exec_lo, s1
	v_mov_b32_e32 v126, 0
	ds_load_b32 v126, v126 offset:96
	s_waitcnt lgkmcnt(0)
	v_mul_f32_e32 v125, v125, v126
	scratch_store_b32 off, v125, off offset:96
.LBB123_105:
	s_or_b32 exec_lo, exec_lo, s0
	s_waitcnt_vscnt null, 0x0
	s_barrier
	buffer_gl0_inv
	scratch_load_b32 v125, off, off offset:100
	s_mov_b32 s0, exec_lo
	s_waitcnt vmcnt(0)
	ds_store_b32 v2, v125
	s_waitcnt lgkmcnt(0)
	s_barrier
	buffer_gl0_inv
	v_cmpx_gt_u32_e32 25, v0
	s_cbranch_execz .LBB123_109
; %bb.106:
	v_dual_mov_b32 v125, 0 :: v_dual_add_nc_u32 v126, -1, v0
	v_add_nc_u32_e32 v127, 0xf0, v3
	v_add_nc_u32_e32 v128, 0, v3
	s_mov_b32 s1, 0
.LBB123_107:                            ; =>This Inner Loop Header: Depth=1
	scratch_load_b32 v129, v128, off
	ds_load_b32 v130, v127
	v_add_nc_u32_e32 v126, 1, v126
	v_add_nc_u32_e32 v127, 4, v127
	v_add_nc_u32_e32 v128, 4, v128
	s_delay_alu instid0(VALU_DEP_3)
	v_cmp_lt_u32_e32 vcc_lo, 23, v126
	s_or_b32 s1, vcc_lo, s1
	s_waitcnt vmcnt(0) lgkmcnt(0)
	v_fmac_f32_e32 v125, v129, v130
	s_and_not1_b32 exec_lo, exec_lo, s1
	s_cbranch_execnz .LBB123_107
; %bb.108:
	s_or_b32 exec_lo, exec_lo, s1
	v_mov_b32_e32 v126, 0
	ds_load_b32 v126, v126 offset:100
	s_waitcnt lgkmcnt(0)
	v_mul_f32_e32 v125, v125, v126
	scratch_store_b32 off, v125, off offset:100
.LBB123_109:
	s_or_b32 exec_lo, exec_lo, s0
	s_waitcnt_vscnt null, 0x0
	s_barrier
	buffer_gl0_inv
	scratch_load_b32 v125, off, off offset:104
	;; [unrolled: 39-line block ×34, first 2 shown]
	s_mov_b32 s0, exec_lo
	s_waitcnt vmcnt(0)
	ds_store_b32 v2, v125
	s_waitcnt lgkmcnt(0)
	s_barrier
	buffer_gl0_inv
	v_cmpx_gt_u32_e32 58, v0
	s_cbranch_execz .LBB123_241
; %bb.238:
	v_add_nc_u32_e32 v125, -1, v0
	v_add_nc_u32_e32 v126, 0xf0, v3
	v_add_nc_u32_e32 v127, 0, v3
	v_mov_b32_e32 v3, 0
	s_mov_b32 s1, 0
.LBB123_239:                            ; =>This Inner Loop Header: Depth=1
	scratch_load_b32 v128, v127, off
	ds_load_b32 v129, v126
	v_add_nc_u32_e32 v125, 1, v125
	v_add_nc_u32_e32 v126, 4, v126
	;; [unrolled: 1-line block ×3, first 2 shown]
	s_delay_alu instid0(VALU_DEP_3)
	v_cmp_lt_u32_e32 vcc_lo, 56, v125
	s_or_b32 s1, vcc_lo, s1
	s_waitcnt vmcnt(0) lgkmcnt(0)
	v_fmac_f32_e32 v3, v128, v129
	s_and_not1_b32 exec_lo, exec_lo, s1
	s_cbranch_execnz .LBB123_239
; %bb.240:
	s_or_b32 exec_lo, exec_lo, s1
	v_mov_b32_e32 v125, 0
	ds_load_b32 v125, v125 offset:232
	s_waitcnt lgkmcnt(0)
	v_mul_f32_e32 v3, v3, v125
	scratch_store_b32 off, v3, off offset:232
.LBB123_241:
	s_or_b32 exec_lo, exec_lo, s0
	s_waitcnt_vscnt null, 0x0
	s_barrier
	buffer_gl0_inv
	scratch_load_b32 v3, off, off offset:236
	s_mov_b32 s0, exec_lo
	s_waitcnt vmcnt(0)
	ds_store_b32 v2, v3
	s_waitcnt lgkmcnt(0)
	s_barrier
	buffer_gl0_inv
	v_cmpx_ne_u32_e32 59, v0
	s_cbranch_execz .LBB123_245
; %bb.242:
	v_mov_b32_e32 v3, 0
	s_mov_b32 s1, 0
.LBB123_243:                            ; =>This Inner Loop Header: Depth=1
	scratch_load_b32 v125, v1, off
	ds_load_b32 v126, v2
	v_add_nc_u32_e32 v124, 1, v124
	v_add_nc_u32_e32 v2, 4, v2
	;; [unrolled: 1-line block ×3, first 2 shown]
	s_waitcnt vmcnt(0) lgkmcnt(0)
	v_fmac_f32_e32 v3, v125, v126
	v_cmp_lt_u32_e32 vcc_lo, 57, v124
	s_or_b32 s1, vcc_lo, s1
	s_delay_alu instid0(SALU_CYCLE_1)
	s_and_not1_b32 exec_lo, exec_lo, s1
	s_cbranch_execnz .LBB123_243
; %bb.244:
	s_or_b32 exec_lo, exec_lo, s1
	v_mov_b32_e32 v1, 0
	ds_load_b32 v1, v1 offset:236
	s_waitcnt lgkmcnt(0)
	v_mul_f32_e32 v1, v3, v1
	scratch_store_b32 off, v1, off offset:236
.LBB123_245:
	s_or_b32 exec_lo, exec_lo, s0
	s_mov_b32 s1, -1
	s_waitcnt_vscnt null, 0x0
	s_barrier
	buffer_gl0_inv
.LBB123_246:
	s_and_b32 vcc_lo, exec_lo, s1
	s_cbranch_vccz .LBB123_248
; %bb.247:
	s_lshl_b64 s[0:1], s[8:9], 2
	v_mov_b32_e32 v1, 0
	s_add_u32 s0, s6, s0
	s_addc_u32 s1, s7, s1
	global_load_b32 v1, v1, s[0:1]
	s_waitcnt vmcnt(0)
	v_cmp_ne_u32_e32 vcc_lo, 0, v1
	s_cbranch_vccz .LBB123_249
.LBB123_248:
	s_endpgm
.LBB123_249:
	v_lshl_add_u32 v1, v0, 2, 0xf0
	s_mov_b32 s0, exec_lo
	v_cmpx_eq_u32_e32 59, v0
	s_cbranch_execz .LBB123_251
; %bb.250:
	scratch_load_b32 v2, off, off offset:232
	v_mov_b32_e32 v3, 0
	scratch_store_b32 off, v3, off offset:232
	s_waitcnt vmcnt(0)
	ds_store_b32 v1, v2
.LBB123_251:
	s_or_b32 exec_lo, exec_lo, s0
	s_waitcnt lgkmcnt(0)
	s_waitcnt_vscnt null, 0x0
	s_barrier
	buffer_gl0_inv
	scratch_load_b64 v[124:125], off, off offset:232
	v_mov_b32_e32 v2, 0
	s_mov_b32 s0, exec_lo
	ds_load_b32 v3, v2 offset:476
	s_waitcnt vmcnt(0) lgkmcnt(0)
	v_fma_f32 v3, v125, v3, 0
	s_delay_alu instid0(VALU_DEP_1)
	v_sub_f32_e32 v3, v124, v3
	scratch_store_b32 off, v3, off offset:232
	v_cmpx_lt_u32_e32 57, v0
	s_cbranch_execz .LBB123_253
; %bb.252:
	scratch_load_b32 v3, off, off offset:228
	scratch_store_b32 off, v2, off offset:228
	s_waitcnt vmcnt(0)
	ds_store_b32 v1, v3
.LBB123_253:
	s_or_b32 exec_lo, exec_lo, s0
	s_waitcnt lgkmcnt(0)
	s_waitcnt_vscnt null, 0x0
	s_barrier
	buffer_gl0_inv
	scratch_load_b96 v[124:126], off, off offset:228
	ds_load_b64 v[2:3], v2 offset:472
	s_mov_b32 s0, exec_lo
	s_waitcnt vmcnt(0) lgkmcnt(0)
	v_fma_f32 v2, v125, v2, 0
	s_delay_alu instid0(VALU_DEP_1) | instskip(NEXT) | instid1(VALU_DEP_1)
	v_fmac_f32_e32 v2, v126, v3
	v_sub_f32_e32 v2, v124, v2
	scratch_store_b32 off, v2, off offset:228
	v_cmpx_lt_u32_e32 56, v0
	s_cbranch_execz .LBB123_255
; %bb.254:
	scratch_load_b32 v2, off, off offset:224
	v_mov_b32_e32 v3, 0
	scratch_store_b32 off, v3, off offset:224
	s_waitcnt vmcnt(0)
	ds_store_b32 v1, v2
.LBB123_255:
	s_or_b32 exec_lo, exec_lo, s0
	s_waitcnt lgkmcnt(0)
	s_waitcnt_vscnt null, 0x0
	s_barrier
	buffer_gl0_inv
	scratch_load_b128 v[124:127], off, off offset:224
	v_mov_b32_e32 v2, 0
	ds_load_2addr_b32 v[128:129], v2 offset0:117 offset1:118
	ds_load_b32 v3, v2 offset:476
	s_mov_b32 s0, exec_lo
	s_waitcnt vmcnt(0) lgkmcnt(1)
	v_fma_f32 v125, v125, v128, 0
	s_delay_alu instid0(VALU_DEP_1) | instskip(SKIP_1) | instid1(VALU_DEP_1)
	v_fmac_f32_e32 v125, v126, v129
	s_waitcnt lgkmcnt(0)
	v_fmac_f32_e32 v125, v127, v3
	s_delay_alu instid0(VALU_DEP_1)
	v_sub_f32_e32 v3, v124, v125
	scratch_store_b32 off, v3, off offset:224
	v_cmpx_lt_u32_e32 55, v0
	s_cbranch_execz .LBB123_257
; %bb.256:
	scratch_load_b32 v3, off, off offset:220
	scratch_store_b32 off, v2, off offset:220
	s_waitcnt vmcnt(0)
	ds_store_b32 v1, v3
.LBB123_257:
	s_or_b32 exec_lo, exec_lo, s0
	s_waitcnt lgkmcnt(0)
	s_waitcnt_vscnt null, 0x0
	s_barrier
	buffer_gl0_inv
	s_clause 0x1
	scratch_load_b128 v[124:127], off, off offset:220
	scratch_load_b32 v3, off, off offset:236
	ds_load_b128 v[128:131], v2 offset:464
	s_mov_b32 s0, exec_lo
	s_waitcnt vmcnt(1) lgkmcnt(0)
	v_fma_f32 v2, v125, v128, 0
	s_delay_alu instid0(VALU_DEP_1) | instskip(NEXT) | instid1(VALU_DEP_1)
	v_fmac_f32_e32 v2, v126, v129
	v_fmac_f32_e32 v2, v127, v130
	s_waitcnt vmcnt(0)
	s_delay_alu instid0(VALU_DEP_1) | instskip(NEXT) | instid1(VALU_DEP_1)
	v_fmac_f32_e32 v2, v3, v131
	v_sub_f32_e32 v2, v124, v2
	scratch_store_b32 off, v2, off offset:220
	v_cmpx_lt_u32_e32 54, v0
	s_cbranch_execz .LBB123_259
; %bb.258:
	scratch_load_b32 v2, off, off offset:216
	v_mov_b32_e32 v3, 0
	scratch_store_b32 off, v3, off offset:216
	s_waitcnt vmcnt(0)
	ds_store_b32 v1, v2
.LBB123_259:
	s_or_b32 exec_lo, exec_lo, s0
	s_waitcnt lgkmcnt(0)
	s_waitcnt_vscnt null, 0x0
	s_barrier
	buffer_gl0_inv
	s_clause 0x1
	scratch_load_b128 v[124:127], off, off offset:216
	scratch_load_b64 v[128:129], off, off offset:232
	v_mov_b32_e32 v2, 0
	ds_load_2addr_b32 v[130:131], v2 offset0:115 offset1:116
	ds_load_2addr_b32 v[132:133], v2 offset0:117 offset1:118
	ds_load_b32 v3, v2 offset:476
	s_mov_b32 s0, exec_lo
	s_waitcnt vmcnt(1) lgkmcnt(2)
	v_fma_f32 v125, v125, v130, 0
	s_delay_alu instid0(VALU_DEP_1) | instskip(SKIP_1) | instid1(VALU_DEP_1)
	v_fmac_f32_e32 v125, v126, v131
	s_waitcnt lgkmcnt(1)
	v_fmac_f32_e32 v125, v127, v132
	s_waitcnt vmcnt(0)
	s_delay_alu instid0(VALU_DEP_1) | instskip(SKIP_1) | instid1(VALU_DEP_1)
	v_fmac_f32_e32 v125, v128, v133
	s_waitcnt lgkmcnt(0)
	v_fmac_f32_e32 v125, v129, v3
	s_delay_alu instid0(VALU_DEP_1)
	v_sub_f32_e32 v3, v124, v125
	scratch_store_b32 off, v3, off offset:216
	v_cmpx_lt_u32_e32 53, v0
	s_cbranch_execz .LBB123_261
; %bb.260:
	scratch_load_b32 v3, off, off offset:212
	scratch_store_b32 off, v2, off offset:212
	s_waitcnt vmcnt(0)
	ds_store_b32 v1, v3
.LBB123_261:
	s_or_b32 exec_lo, exec_lo, s0
	s_waitcnt lgkmcnt(0)
	s_waitcnt_vscnt null, 0x0
	s_barrier
	buffer_gl0_inv
	s_clause 0x1
	scratch_load_b128 v[124:127], off, off offset:212
	scratch_load_b96 v[132:134], off, off offset:228
	ds_load_2addr_b64 v[128:131], v2 offset0:57 offset1:58
	ds_load_b64 v[2:3], v2 offset:472
	s_mov_b32 s0, exec_lo
	s_waitcnt vmcnt(1) lgkmcnt(1)
	v_fma_f32 v125, v125, v128, 0
	s_delay_alu instid0(VALU_DEP_1) | instskip(NEXT) | instid1(VALU_DEP_1)
	v_fmac_f32_e32 v125, v126, v129
	v_fmac_f32_e32 v125, v127, v130
	s_waitcnt vmcnt(0)
	s_delay_alu instid0(VALU_DEP_1) | instskip(SKIP_1) | instid1(VALU_DEP_1)
	v_fmac_f32_e32 v125, v132, v131
	s_waitcnt lgkmcnt(0)
	v_fmac_f32_e32 v125, v133, v2
	s_delay_alu instid0(VALU_DEP_1) | instskip(NEXT) | instid1(VALU_DEP_1)
	v_fmac_f32_e32 v125, v134, v3
	v_sub_f32_e32 v2, v124, v125
	scratch_store_b32 off, v2, off offset:212
	v_cmpx_lt_u32_e32 52, v0
	s_cbranch_execz .LBB123_263
; %bb.262:
	scratch_load_b32 v2, off, off offset:208
	v_mov_b32_e32 v3, 0
	scratch_store_b32 off, v3, off offset:208
	s_waitcnt vmcnt(0)
	ds_store_b32 v1, v2
.LBB123_263:
	s_or_b32 exec_lo, exec_lo, s0
	s_waitcnt lgkmcnt(0)
	s_waitcnt_vscnt null, 0x0
	s_barrier
	buffer_gl0_inv
	s_clause 0x1
	scratch_load_b128 v[124:127], off, off offset:208
	scratch_load_b128 v[128:131], off, off offset:224
	v_mov_b32_e32 v2, 0
	ds_load_2addr_b32 v[132:133], v2 offset0:113 offset1:114
	ds_load_2addr_b32 v[134:135], v2 offset0:115 offset1:116
	;; [unrolled: 1-line block ×3, first 2 shown]
	ds_load_b32 v3, v2 offset:476
	s_mov_b32 s0, exec_lo
	s_waitcnt vmcnt(1) lgkmcnt(3)
	v_fma_f32 v125, v125, v132, 0
	s_delay_alu instid0(VALU_DEP_1) | instskip(SKIP_1) | instid1(VALU_DEP_1)
	v_fmac_f32_e32 v125, v126, v133
	s_waitcnt lgkmcnt(2)
	v_fmac_f32_e32 v125, v127, v134
	s_waitcnt vmcnt(0)
	s_delay_alu instid0(VALU_DEP_1) | instskip(SKIP_1) | instid1(VALU_DEP_1)
	v_fmac_f32_e32 v125, v128, v135
	s_waitcnt lgkmcnt(1)
	v_fmac_f32_e32 v125, v129, v136
	s_delay_alu instid0(VALU_DEP_1) | instskip(SKIP_1) | instid1(VALU_DEP_1)
	v_fmac_f32_e32 v125, v130, v137
	s_waitcnt lgkmcnt(0)
	v_fmac_f32_e32 v125, v131, v3
	s_delay_alu instid0(VALU_DEP_1)
	v_sub_f32_e32 v3, v124, v125
	scratch_store_b32 off, v3, off offset:208
	v_cmpx_lt_u32_e32 51, v0
	s_cbranch_execz .LBB123_265
; %bb.264:
	scratch_load_b32 v3, off, off offset:204
	scratch_store_b32 off, v2, off offset:204
	s_waitcnt vmcnt(0)
	ds_store_b32 v1, v3
.LBB123_265:
	s_or_b32 exec_lo, exec_lo, s0
	s_waitcnt lgkmcnt(0)
	s_waitcnt_vscnt null, 0x0
	s_barrier
	buffer_gl0_inv
	s_clause 0x2
	scratch_load_b128 v[124:127], off, off offset:204
	scratch_load_b128 v[128:131], off, off offset:220
	scratch_load_b32 v3, off, off offset:236
	ds_load_b128 v[132:135], v2 offset:448
	ds_load_b128 v[136:139], v2 offset:464
	s_mov_b32 s0, exec_lo
	s_waitcnt vmcnt(2) lgkmcnt(1)
	v_fma_f32 v2, v125, v132, 0
	s_delay_alu instid0(VALU_DEP_1) | instskip(NEXT) | instid1(VALU_DEP_1)
	v_fmac_f32_e32 v2, v126, v133
	v_fmac_f32_e32 v2, v127, v134
	s_waitcnt vmcnt(1)
	s_delay_alu instid0(VALU_DEP_1) | instskip(SKIP_1) | instid1(VALU_DEP_1)
	v_fmac_f32_e32 v2, v128, v135
	s_waitcnt lgkmcnt(0)
	v_fmac_f32_e32 v2, v129, v136
	s_delay_alu instid0(VALU_DEP_1) | instskip(NEXT) | instid1(VALU_DEP_1)
	v_fmac_f32_e32 v2, v130, v137
	v_fmac_f32_e32 v2, v131, v138
	s_waitcnt vmcnt(0)
	s_delay_alu instid0(VALU_DEP_1) | instskip(NEXT) | instid1(VALU_DEP_1)
	v_fmac_f32_e32 v2, v3, v139
	v_sub_f32_e32 v2, v124, v2
	scratch_store_b32 off, v2, off offset:204
	v_cmpx_lt_u32_e32 50, v0
	s_cbranch_execz .LBB123_267
; %bb.266:
	scratch_load_b32 v2, off, off offset:200
	v_mov_b32_e32 v3, 0
	scratch_store_b32 off, v3, off offset:200
	s_waitcnt vmcnt(0)
	ds_store_b32 v1, v2
.LBB123_267:
	s_or_b32 exec_lo, exec_lo, s0
	s_waitcnt lgkmcnt(0)
	s_waitcnt_vscnt null, 0x0
	s_barrier
	buffer_gl0_inv
	s_clause 0x2
	scratch_load_b128 v[124:127], off, off offset:200
	scratch_load_b128 v[128:131], off, off offset:216
	scratch_load_b64 v[132:133], off, off offset:232
	v_mov_b32_e32 v2, 0
	ds_load_2addr_b32 v[134:135], v2 offset0:111 offset1:112
	ds_load_2addr_b32 v[136:137], v2 offset0:113 offset1:114
	;; [unrolled: 1-line block ×4, first 2 shown]
	s_mov_b32 s0, exec_lo
	s_waitcnt vmcnt(2) lgkmcnt(3)
	v_fma_f32 v3, v125, v134, 0
	s_delay_alu instid0(VALU_DEP_1) | instskip(SKIP_4) | instid1(VALU_DEP_1)
	v_fmac_f32_e32 v3, v126, v135
	ds_load_b32 v125, v2 offset:476
	s_waitcnt lgkmcnt(3)
	v_fmac_f32_e32 v3, v127, v136
	s_waitcnt vmcnt(1)
	v_fmac_f32_e32 v3, v128, v137
	s_waitcnt lgkmcnt(2)
	s_delay_alu instid0(VALU_DEP_1) | instskip(NEXT) | instid1(VALU_DEP_1)
	v_fmac_f32_e32 v3, v129, v138
	v_fmac_f32_e32 v3, v130, v139
	s_waitcnt lgkmcnt(1)
	s_delay_alu instid0(VALU_DEP_1) | instskip(SKIP_1) | instid1(VALU_DEP_1)
	v_fmac_f32_e32 v3, v131, v140
	s_waitcnt vmcnt(0)
	v_fmac_f32_e32 v3, v132, v141
	s_waitcnt lgkmcnt(0)
	s_delay_alu instid0(VALU_DEP_1) | instskip(NEXT) | instid1(VALU_DEP_1)
	v_fmac_f32_e32 v3, v133, v125
	v_sub_f32_e32 v3, v124, v3
	scratch_store_b32 off, v3, off offset:200
	v_cmpx_lt_u32_e32 49, v0
	s_cbranch_execz .LBB123_269
; %bb.268:
	scratch_load_b32 v3, off, off offset:196
	scratch_store_b32 off, v2, off offset:196
	s_waitcnt vmcnt(0)
	ds_store_b32 v1, v3
.LBB123_269:
	s_or_b32 exec_lo, exec_lo, s0
	s_waitcnt lgkmcnt(0)
	s_waitcnt_vscnt null, 0x0
	s_barrier
	buffer_gl0_inv
	s_clause 0x2
	scratch_load_b128 v[124:127], off, off offset:196
	scratch_load_b128 v[128:131], off, off offset:212
	scratch_load_b96 v[140:142], off, off offset:228
	ds_load_2addr_b64 v[132:135], v2 offset0:55 offset1:56
	ds_load_2addr_b64 v[136:139], v2 offset0:57 offset1:58
	ds_load_b64 v[2:3], v2 offset:472
	s_mov_b32 s0, exec_lo
	s_waitcnt vmcnt(2) lgkmcnt(2)
	v_fma_f32 v125, v125, v132, 0
	s_delay_alu instid0(VALU_DEP_1) | instskip(NEXT) | instid1(VALU_DEP_1)
	v_fmac_f32_e32 v125, v126, v133
	v_fmac_f32_e32 v125, v127, v134
	s_waitcnt vmcnt(1)
	s_delay_alu instid0(VALU_DEP_1) | instskip(SKIP_1) | instid1(VALU_DEP_1)
	v_fmac_f32_e32 v125, v128, v135
	s_waitcnt lgkmcnt(1)
	v_fmac_f32_e32 v125, v129, v136
	s_delay_alu instid0(VALU_DEP_1) | instskip(NEXT) | instid1(VALU_DEP_1)
	v_fmac_f32_e32 v125, v130, v137
	v_fmac_f32_e32 v125, v131, v138
	s_waitcnt vmcnt(0)
	s_delay_alu instid0(VALU_DEP_1) | instskip(SKIP_1) | instid1(VALU_DEP_1)
	v_fmac_f32_e32 v125, v140, v139
	s_waitcnt lgkmcnt(0)
	v_fmac_f32_e32 v125, v141, v2
	s_delay_alu instid0(VALU_DEP_1) | instskip(NEXT) | instid1(VALU_DEP_1)
	v_fmac_f32_e32 v125, v142, v3
	v_sub_f32_e32 v2, v124, v125
	scratch_store_b32 off, v2, off offset:196
	v_cmpx_lt_u32_e32 48, v0
	s_cbranch_execz .LBB123_271
; %bb.270:
	scratch_load_b32 v2, off, off offset:192
	v_mov_b32_e32 v3, 0
	scratch_store_b32 off, v3, off offset:192
	s_waitcnt vmcnt(0)
	ds_store_b32 v1, v2
.LBB123_271:
	s_or_b32 exec_lo, exec_lo, s0
	s_waitcnt lgkmcnt(0)
	s_waitcnt_vscnt null, 0x0
	s_barrier
	buffer_gl0_inv
	s_clause 0x2
	scratch_load_b128 v[124:127], off, off offset:192
	scratch_load_b128 v[128:131], off, off offset:208
	;; [unrolled: 1-line block ×3, first 2 shown]
	v_mov_b32_e32 v2, 0
	ds_load_2addr_b32 v[136:137], v2 offset0:109 offset1:110
	ds_load_2addr_b32 v[138:139], v2 offset0:111 offset1:112
	;; [unrolled: 1-line block ×4, first 2 shown]
	s_mov_b32 s0, exec_lo
	s_waitcnt vmcnt(2) lgkmcnt(3)
	v_fma_f32 v3, v125, v136, 0
	s_delay_alu instid0(VALU_DEP_1)
	v_fmac_f32_e32 v3, v126, v137
	ds_load_2addr_b32 v[125:126], v2 offset0:117 offset1:118
	s_waitcnt lgkmcnt(3)
	v_fmac_f32_e32 v3, v127, v138
	ds_load_b32 v127, v2 offset:476
	s_waitcnt vmcnt(1)
	v_fmac_f32_e32 v3, v128, v139
	s_waitcnt lgkmcnt(3)
	s_delay_alu instid0(VALU_DEP_1) | instskip(NEXT) | instid1(VALU_DEP_1)
	v_fmac_f32_e32 v3, v129, v140
	v_fmac_f32_e32 v3, v130, v141
	s_waitcnt lgkmcnt(2)
	s_delay_alu instid0(VALU_DEP_1) | instskip(SKIP_1) | instid1(VALU_DEP_1)
	v_fmac_f32_e32 v3, v131, v142
	s_waitcnt vmcnt(0)
	v_fmac_f32_e32 v3, v132, v143
	s_waitcnt lgkmcnt(1)
	s_delay_alu instid0(VALU_DEP_1) | instskip(NEXT) | instid1(VALU_DEP_1)
	v_fmac_f32_e32 v3, v133, v125
	v_fmac_f32_e32 v3, v134, v126
	s_waitcnt lgkmcnt(0)
	s_delay_alu instid0(VALU_DEP_1) | instskip(NEXT) | instid1(VALU_DEP_1)
	v_fmac_f32_e32 v3, v135, v127
	v_sub_f32_e32 v3, v124, v3
	scratch_store_b32 off, v3, off offset:192
	v_cmpx_lt_u32_e32 47, v0
	s_cbranch_execz .LBB123_273
; %bb.272:
	scratch_load_b32 v3, off, off offset:188
	scratch_store_b32 off, v2, off offset:188
	s_waitcnt vmcnt(0)
	ds_store_b32 v1, v3
.LBB123_273:
	s_or_b32 exec_lo, exec_lo, s0
	s_waitcnt lgkmcnt(0)
	s_waitcnt_vscnt null, 0x0
	s_barrier
	buffer_gl0_inv
	s_clause 0x3
	scratch_load_b128 v[124:127], off, off offset:188
	scratch_load_b128 v[128:131], off, off offset:204
	;; [unrolled: 1-line block ×3, first 2 shown]
	scratch_load_b32 v3, off, off offset:236
	ds_load_b128 v[136:139], v2 offset:432
	ds_load_b128 v[140:143], v2 offset:448
	s_mov_b32 s0, exec_lo
	s_waitcnt vmcnt(3) lgkmcnt(1)
	v_fma_f32 v136, v125, v136, 0
	s_delay_alu instid0(VALU_DEP_1) | instskip(NEXT) | instid1(VALU_DEP_1)
	v_fmac_f32_e32 v136, v126, v137
	v_fmac_f32_e32 v136, v127, v138
	s_waitcnt vmcnt(2)
	s_delay_alu instid0(VALU_DEP_1) | instskip(SKIP_3) | instid1(VALU_DEP_1)
	v_fmac_f32_e32 v136, v128, v139
	ds_load_b128 v[125:128], v2 offset:464
	s_waitcnt lgkmcnt(1)
	v_fmac_f32_e32 v136, v129, v140
	v_fmac_f32_e32 v136, v130, v141
	s_delay_alu instid0(VALU_DEP_1) | instskip(SKIP_1) | instid1(VALU_DEP_1)
	v_fmac_f32_e32 v136, v131, v142
	s_waitcnt vmcnt(1)
	v_fmac_f32_e32 v136, v132, v143
	s_waitcnt lgkmcnt(0)
	s_delay_alu instid0(VALU_DEP_1) | instskip(NEXT) | instid1(VALU_DEP_1)
	v_fmac_f32_e32 v136, v133, v125
	v_fmac_f32_e32 v136, v134, v126
	s_delay_alu instid0(VALU_DEP_1) | instskip(SKIP_1) | instid1(VALU_DEP_1)
	v_fmac_f32_e32 v136, v135, v127
	s_waitcnt vmcnt(0)
	v_fmac_f32_e32 v136, v3, v128
	s_delay_alu instid0(VALU_DEP_1)
	v_sub_f32_e32 v2, v124, v136
	scratch_store_b32 off, v2, off offset:188
	v_cmpx_lt_u32_e32 46, v0
	s_cbranch_execz .LBB123_275
; %bb.274:
	scratch_load_b32 v2, off, off offset:184
	v_mov_b32_e32 v3, 0
	scratch_store_b32 off, v3, off offset:184
	s_waitcnt vmcnt(0)
	ds_store_b32 v1, v2
.LBB123_275:
	s_or_b32 exec_lo, exec_lo, s0
	s_waitcnt lgkmcnt(0)
	s_waitcnt_vscnt null, 0x0
	s_barrier
	buffer_gl0_inv
	s_clause 0x3
	scratch_load_b128 v[124:127], off, off offset:184
	scratch_load_b128 v[128:131], off, off offset:200
	;; [unrolled: 1-line block ×3, first 2 shown]
	scratch_load_b64 v[136:137], off, off offset:232
	v_mov_b32_e32 v2, 0
	ds_load_2addr_b32 v[138:139], v2 offset0:107 offset1:108
	ds_load_2addr_b32 v[140:141], v2 offset0:109 offset1:110
	;; [unrolled: 1-line block ×4, first 2 shown]
	s_mov_b32 s0, exec_lo
	s_waitcnt vmcnt(3) lgkmcnt(3)
	v_fma_f32 v3, v125, v138, 0
	s_delay_alu instid0(VALU_DEP_1) | instskip(SKIP_4) | instid1(VALU_DEP_1)
	v_fmac_f32_e32 v3, v126, v139
	ds_load_2addr_b32 v[125:126], v2 offset0:115 offset1:116
	s_waitcnt lgkmcnt(3)
	v_fmac_f32_e32 v3, v127, v140
	s_waitcnt vmcnt(2)
	v_fmac_f32_e32 v3, v128, v141
	ds_load_2addr_b32 v[127:128], v2 offset0:117 offset1:118
	s_waitcnt lgkmcnt(3)
	v_fmac_f32_e32 v3, v129, v142
	ds_load_b32 v129, v2 offset:476
	v_fmac_f32_e32 v3, v130, v143
	s_waitcnt lgkmcnt(3)
	s_delay_alu instid0(VALU_DEP_1) | instskip(SKIP_1) | instid1(VALU_DEP_1)
	v_fmac_f32_e32 v3, v131, v144
	s_waitcnt vmcnt(1)
	v_fmac_f32_e32 v3, v132, v145
	s_waitcnt lgkmcnt(2)
	s_delay_alu instid0(VALU_DEP_1) | instskip(NEXT) | instid1(VALU_DEP_1)
	v_fmac_f32_e32 v3, v133, v125
	v_fmac_f32_e32 v3, v134, v126
	s_waitcnt lgkmcnt(1)
	s_delay_alu instid0(VALU_DEP_1) | instskip(SKIP_1) | instid1(VALU_DEP_1)
	v_fmac_f32_e32 v3, v135, v127
	s_waitcnt vmcnt(0)
	v_fmac_f32_e32 v3, v136, v128
	s_waitcnt lgkmcnt(0)
	s_delay_alu instid0(VALU_DEP_1) | instskip(NEXT) | instid1(VALU_DEP_1)
	v_fmac_f32_e32 v3, v137, v129
	v_sub_f32_e32 v3, v124, v3
	scratch_store_b32 off, v3, off offset:184
	v_cmpx_lt_u32_e32 45, v0
	s_cbranch_execz .LBB123_277
; %bb.276:
	scratch_load_b32 v3, off, off offset:180
	scratch_store_b32 off, v2, off offset:180
	s_waitcnt vmcnt(0)
	ds_store_b32 v1, v3
.LBB123_277:
	s_or_b32 exec_lo, exec_lo, s0
	s_waitcnt lgkmcnt(0)
	s_waitcnt_vscnt null, 0x0
	s_barrier
	buffer_gl0_inv
	s_clause 0x3
	scratch_load_b128 v[124:127], off, off offset:180
	scratch_load_b128 v[128:131], off, off offset:196
	;; [unrolled: 1-line block ×3, first 2 shown]
	scratch_load_b96 v[144:146], off, off offset:228
	ds_load_2addr_b64 v[136:139], v2 offset0:53 offset1:54
	ds_load_2addr_b64 v[140:143], v2 offset0:55 offset1:56
	s_mov_b32 s0, exec_lo
	s_waitcnt vmcnt(3) lgkmcnt(1)
	v_fma_f32 v136, v125, v136, 0
	s_delay_alu instid0(VALU_DEP_1) | instskip(NEXT) | instid1(VALU_DEP_1)
	v_fmac_f32_e32 v136, v126, v137
	v_fmac_f32_e32 v136, v127, v138
	s_waitcnt vmcnt(2)
	s_delay_alu instid0(VALU_DEP_1) | instskip(SKIP_4) | instid1(VALU_DEP_1)
	v_fmac_f32_e32 v136, v128, v139
	ds_load_2addr_b64 v[125:128], v2 offset0:57 offset1:58
	ds_load_b64 v[2:3], v2 offset:472
	s_waitcnt lgkmcnt(2)
	v_fmac_f32_e32 v136, v129, v140
	v_fmac_f32_e32 v136, v130, v141
	s_delay_alu instid0(VALU_DEP_1) | instskip(SKIP_1) | instid1(VALU_DEP_1)
	v_fmac_f32_e32 v136, v131, v142
	s_waitcnt vmcnt(1)
	v_fmac_f32_e32 v136, v132, v143
	s_waitcnt lgkmcnt(1)
	s_delay_alu instid0(VALU_DEP_1) | instskip(NEXT) | instid1(VALU_DEP_1)
	v_fmac_f32_e32 v136, v133, v125
	v_fmac_f32_e32 v136, v134, v126
	s_delay_alu instid0(VALU_DEP_1) | instskip(SKIP_1) | instid1(VALU_DEP_1)
	v_fmac_f32_e32 v136, v135, v127
	s_waitcnt vmcnt(0)
	v_fmac_f32_e32 v136, v144, v128
	s_waitcnt lgkmcnt(0)
	s_delay_alu instid0(VALU_DEP_1) | instskip(NEXT) | instid1(VALU_DEP_1)
	v_fmac_f32_e32 v136, v145, v2
	v_fmac_f32_e32 v136, v146, v3
	s_delay_alu instid0(VALU_DEP_1)
	v_sub_f32_e32 v2, v124, v136
	scratch_store_b32 off, v2, off offset:180
	v_cmpx_lt_u32_e32 44, v0
	s_cbranch_execz .LBB123_279
; %bb.278:
	scratch_load_b32 v2, off, off offset:176
	v_mov_b32_e32 v3, 0
	scratch_store_b32 off, v3, off offset:176
	s_waitcnt vmcnt(0)
	ds_store_b32 v1, v2
.LBB123_279:
	s_or_b32 exec_lo, exec_lo, s0
	s_waitcnt lgkmcnt(0)
	s_waitcnt_vscnt null, 0x0
	s_barrier
	buffer_gl0_inv
	s_clause 0x3
	scratch_load_b128 v[124:127], off, off offset:176
	scratch_load_b128 v[128:131], off, off offset:192
	;; [unrolled: 1-line block ×4, first 2 shown]
	v_mov_b32_e32 v2, 0
	ds_load_2addr_b32 v[140:141], v2 offset0:105 offset1:106
	ds_load_2addr_b32 v[142:143], v2 offset0:107 offset1:108
	;; [unrolled: 1-line block ×4, first 2 shown]
	s_mov_b32 s0, exec_lo
	s_waitcnt vmcnt(3) lgkmcnt(3)
	v_fma_f32 v3, v125, v140, 0
	s_delay_alu instid0(VALU_DEP_1) | instskip(SKIP_4) | instid1(VALU_DEP_1)
	v_fmac_f32_e32 v3, v126, v141
	ds_load_2addr_b32 v[125:126], v2 offset0:113 offset1:114
	s_waitcnt lgkmcnt(3)
	v_fmac_f32_e32 v3, v127, v142
	s_waitcnt vmcnt(2)
	v_fmac_f32_e32 v3, v128, v143
	ds_load_2addr_b32 v[127:128], v2 offset0:115 offset1:116
	s_waitcnt lgkmcnt(3)
	v_fmac_f32_e32 v3, v129, v144
	s_delay_alu instid0(VALU_DEP_1) | instskip(SKIP_1) | instid1(VALU_DEP_1)
	v_fmac_f32_e32 v3, v130, v145
	s_waitcnt lgkmcnt(2)
	v_fmac_f32_e32 v3, v131, v146
	ds_load_2addr_b32 v[129:130], v2 offset0:117 offset1:118
	ds_load_b32 v131, v2 offset:476
	s_waitcnt vmcnt(1)
	v_fmac_f32_e32 v3, v132, v147
	s_waitcnt lgkmcnt(3)
	s_delay_alu instid0(VALU_DEP_1) | instskip(NEXT) | instid1(VALU_DEP_1)
	v_fmac_f32_e32 v3, v133, v125
	v_fmac_f32_e32 v3, v134, v126
	s_waitcnt lgkmcnt(2)
	s_delay_alu instid0(VALU_DEP_1) | instskip(SKIP_1) | instid1(VALU_DEP_1)
	v_fmac_f32_e32 v3, v135, v127
	s_waitcnt vmcnt(0)
	v_fmac_f32_e32 v3, v136, v128
	s_waitcnt lgkmcnt(1)
	s_delay_alu instid0(VALU_DEP_1) | instskip(NEXT) | instid1(VALU_DEP_1)
	v_fmac_f32_e32 v3, v137, v129
	v_fmac_f32_e32 v3, v138, v130
	s_waitcnt lgkmcnt(0)
	s_delay_alu instid0(VALU_DEP_1) | instskip(NEXT) | instid1(VALU_DEP_1)
	v_fmac_f32_e32 v3, v139, v131
	v_sub_f32_e32 v3, v124, v3
	scratch_store_b32 off, v3, off offset:176
	v_cmpx_lt_u32_e32 43, v0
	s_cbranch_execz .LBB123_281
; %bb.280:
	scratch_load_b32 v3, off, off offset:172
	scratch_store_b32 off, v2, off offset:172
	s_waitcnt vmcnt(0)
	ds_store_b32 v1, v3
.LBB123_281:
	s_or_b32 exec_lo, exec_lo, s0
	s_waitcnt lgkmcnt(0)
	s_waitcnt_vscnt null, 0x0
	s_barrier
	buffer_gl0_inv
	s_clause 0x4
	scratch_load_b128 v[124:127], off, off offset:172
	scratch_load_b128 v[128:131], off, off offset:188
	;; [unrolled: 1-line block ×4, first 2 shown]
	scratch_load_b32 v3, off, off offset:236
	ds_load_b128 v[140:143], v2 offset:416
	ds_load_b128 v[144:147], v2 offset:432
	s_mov_b32 s0, exec_lo
	s_waitcnt vmcnt(4) lgkmcnt(1)
	v_fma_f32 v140, v125, v140, 0
	s_delay_alu instid0(VALU_DEP_1) | instskip(NEXT) | instid1(VALU_DEP_1)
	v_fmac_f32_e32 v140, v126, v141
	v_fmac_f32_e32 v140, v127, v142
	s_waitcnt vmcnt(3)
	s_delay_alu instid0(VALU_DEP_1) | instskip(SKIP_3) | instid1(VALU_DEP_1)
	v_fmac_f32_e32 v140, v128, v143
	ds_load_b128 v[125:128], v2 offset:448
	s_waitcnt lgkmcnt(1)
	v_fmac_f32_e32 v140, v129, v144
	v_fmac_f32_e32 v140, v130, v145
	s_delay_alu instid0(VALU_DEP_1) | instskip(SKIP_1) | instid1(VALU_DEP_1)
	v_fmac_f32_e32 v140, v131, v146
	s_waitcnt vmcnt(2)
	v_fmac_f32_e32 v140, v132, v147
	ds_load_b128 v[129:132], v2 offset:464
	s_waitcnt lgkmcnt(1)
	v_fmac_f32_e32 v140, v133, v125
	s_delay_alu instid0(VALU_DEP_1) | instskip(NEXT) | instid1(VALU_DEP_1)
	v_fmac_f32_e32 v140, v134, v126
	v_fmac_f32_e32 v140, v135, v127
	s_waitcnt vmcnt(1)
	s_delay_alu instid0(VALU_DEP_1) | instskip(SKIP_1) | instid1(VALU_DEP_1)
	v_fmac_f32_e32 v140, v136, v128
	s_waitcnt lgkmcnt(0)
	v_fmac_f32_e32 v140, v137, v129
	s_delay_alu instid0(VALU_DEP_1) | instskip(NEXT) | instid1(VALU_DEP_1)
	v_fmac_f32_e32 v140, v138, v130
	v_fmac_f32_e32 v140, v139, v131
	s_waitcnt vmcnt(0)
	s_delay_alu instid0(VALU_DEP_1) | instskip(NEXT) | instid1(VALU_DEP_1)
	v_fmac_f32_e32 v140, v3, v132
	v_sub_f32_e32 v2, v124, v140
	scratch_store_b32 off, v2, off offset:172
	v_cmpx_lt_u32_e32 42, v0
	s_cbranch_execz .LBB123_283
; %bb.282:
	scratch_load_b32 v2, off, off offset:168
	v_mov_b32_e32 v3, 0
	scratch_store_b32 off, v3, off offset:168
	s_waitcnt vmcnt(0)
	ds_store_b32 v1, v2
.LBB123_283:
	s_or_b32 exec_lo, exec_lo, s0
	s_waitcnt lgkmcnt(0)
	s_waitcnt_vscnt null, 0x0
	s_barrier
	buffer_gl0_inv
	s_clause 0x4
	scratch_load_b128 v[124:127], off, off offset:168
	scratch_load_b128 v[128:131], off, off offset:184
	;; [unrolled: 1-line block ×4, first 2 shown]
	scratch_load_b64 v[140:141], off, off offset:232
	v_mov_b32_e32 v2, 0
	ds_load_2addr_b32 v[142:143], v2 offset0:103 offset1:104
	ds_load_2addr_b32 v[144:145], v2 offset0:105 offset1:106
	;; [unrolled: 1-line block ×4, first 2 shown]
	s_mov_b32 s0, exec_lo
	s_waitcnt vmcnt(4) lgkmcnt(3)
	v_fma_f32 v3, v125, v142, 0
	s_delay_alu instid0(VALU_DEP_1) | instskip(SKIP_4) | instid1(VALU_DEP_1)
	v_fmac_f32_e32 v3, v126, v143
	ds_load_2addr_b32 v[125:126], v2 offset0:111 offset1:112
	s_waitcnt lgkmcnt(3)
	v_fmac_f32_e32 v3, v127, v144
	s_waitcnt vmcnt(3)
	v_fmac_f32_e32 v3, v128, v145
	ds_load_2addr_b32 v[127:128], v2 offset0:113 offset1:114
	s_waitcnt lgkmcnt(3)
	v_fmac_f32_e32 v3, v129, v146
	s_delay_alu instid0(VALU_DEP_1) | instskip(SKIP_1) | instid1(VALU_DEP_1)
	v_fmac_f32_e32 v3, v130, v147
	s_waitcnt lgkmcnt(2)
	v_fmac_f32_e32 v3, v131, v148
	s_waitcnt vmcnt(2)
	s_delay_alu instid0(VALU_DEP_1)
	v_fmac_f32_e32 v3, v132, v149
	ds_load_2addr_b32 v[129:130], v2 offset0:115 offset1:116
	ds_load_2addr_b32 v[131:132], v2 offset0:117 offset1:118
	s_waitcnt lgkmcnt(3)
	v_fmac_f32_e32 v3, v133, v125
	ds_load_b32 v125, v2 offset:476
	v_fmac_f32_e32 v3, v134, v126
	s_waitcnt lgkmcnt(3)
	s_delay_alu instid0(VALU_DEP_1) | instskip(SKIP_1) | instid1(VALU_DEP_1)
	v_fmac_f32_e32 v3, v135, v127
	s_waitcnt vmcnt(1)
	v_fmac_f32_e32 v3, v136, v128
	s_waitcnt lgkmcnt(2)
	s_delay_alu instid0(VALU_DEP_1) | instskip(NEXT) | instid1(VALU_DEP_1)
	v_fmac_f32_e32 v3, v137, v129
	v_fmac_f32_e32 v3, v138, v130
	s_waitcnt lgkmcnt(1)
	s_delay_alu instid0(VALU_DEP_1) | instskip(SKIP_1) | instid1(VALU_DEP_1)
	v_fmac_f32_e32 v3, v139, v131
	s_waitcnt vmcnt(0)
	v_fmac_f32_e32 v3, v140, v132
	s_waitcnt lgkmcnt(0)
	s_delay_alu instid0(VALU_DEP_1) | instskip(NEXT) | instid1(VALU_DEP_1)
	v_fmac_f32_e32 v3, v141, v125
	v_sub_f32_e32 v3, v124, v3
	scratch_store_b32 off, v3, off offset:168
	v_cmpx_lt_u32_e32 41, v0
	s_cbranch_execz .LBB123_285
; %bb.284:
	scratch_load_b32 v3, off, off offset:164
	scratch_store_b32 off, v2, off offset:164
	s_waitcnt vmcnt(0)
	ds_store_b32 v1, v3
.LBB123_285:
	s_or_b32 exec_lo, exec_lo, s0
	s_waitcnt lgkmcnt(0)
	s_waitcnt_vscnt null, 0x0
	s_barrier
	buffer_gl0_inv
	s_clause 0x4
	scratch_load_b128 v[124:127], off, off offset:164
	scratch_load_b128 v[128:131], off, off offset:180
	;; [unrolled: 1-line block ×4, first 2 shown]
	scratch_load_b96 v[148:150], off, off offset:228
	ds_load_2addr_b64 v[140:143], v2 offset0:51 offset1:52
	ds_load_2addr_b64 v[144:147], v2 offset0:53 offset1:54
	s_mov_b32 s0, exec_lo
	s_waitcnt vmcnt(4) lgkmcnt(1)
	v_fma_f32 v140, v125, v140, 0
	s_delay_alu instid0(VALU_DEP_1) | instskip(NEXT) | instid1(VALU_DEP_1)
	v_fmac_f32_e32 v140, v126, v141
	v_fmac_f32_e32 v140, v127, v142
	s_waitcnt vmcnt(3)
	s_delay_alu instid0(VALU_DEP_1) | instskip(SKIP_3) | instid1(VALU_DEP_1)
	v_fmac_f32_e32 v140, v128, v143
	ds_load_2addr_b64 v[125:128], v2 offset0:55 offset1:56
	s_waitcnt lgkmcnt(1)
	v_fmac_f32_e32 v140, v129, v144
	v_fmac_f32_e32 v140, v130, v145
	s_delay_alu instid0(VALU_DEP_1) | instskip(SKIP_1) | instid1(VALU_DEP_1)
	v_fmac_f32_e32 v140, v131, v146
	s_waitcnt vmcnt(2)
	v_fmac_f32_e32 v140, v132, v147
	ds_load_2addr_b64 v[129:132], v2 offset0:57 offset1:58
	ds_load_b64 v[2:3], v2 offset:472
	s_waitcnt lgkmcnt(2)
	v_fmac_f32_e32 v140, v133, v125
	s_delay_alu instid0(VALU_DEP_1) | instskip(NEXT) | instid1(VALU_DEP_1)
	v_fmac_f32_e32 v140, v134, v126
	v_fmac_f32_e32 v140, v135, v127
	s_waitcnt vmcnt(1)
	s_delay_alu instid0(VALU_DEP_1) | instskip(SKIP_1) | instid1(VALU_DEP_1)
	v_fmac_f32_e32 v140, v136, v128
	s_waitcnt lgkmcnt(1)
	v_fmac_f32_e32 v140, v137, v129
	s_delay_alu instid0(VALU_DEP_1) | instskip(NEXT) | instid1(VALU_DEP_1)
	v_fmac_f32_e32 v140, v138, v130
	v_fmac_f32_e32 v140, v139, v131
	s_waitcnt vmcnt(0)
	s_delay_alu instid0(VALU_DEP_1) | instskip(SKIP_1) | instid1(VALU_DEP_1)
	v_fmac_f32_e32 v140, v148, v132
	s_waitcnt lgkmcnt(0)
	v_fmac_f32_e32 v140, v149, v2
	s_delay_alu instid0(VALU_DEP_1) | instskip(NEXT) | instid1(VALU_DEP_1)
	v_fmac_f32_e32 v140, v150, v3
	v_sub_f32_e32 v2, v124, v140
	scratch_store_b32 off, v2, off offset:164
	v_cmpx_lt_u32_e32 40, v0
	s_cbranch_execz .LBB123_287
; %bb.286:
	scratch_load_b32 v2, off, off offset:160
	v_mov_b32_e32 v3, 0
	scratch_store_b32 off, v3, off offset:160
	s_waitcnt vmcnt(0)
	ds_store_b32 v1, v2
.LBB123_287:
	s_or_b32 exec_lo, exec_lo, s0
	s_waitcnt lgkmcnt(0)
	s_waitcnt_vscnt null, 0x0
	s_barrier
	buffer_gl0_inv
	s_clause 0x4
	scratch_load_b128 v[124:127], off, off offset:160
	scratch_load_b128 v[128:131], off, off offset:176
	;; [unrolled: 1-line block ×5, first 2 shown]
	v_mov_b32_e32 v2, 0
	ds_load_2addr_b32 v[144:145], v2 offset0:101 offset1:102
	ds_load_2addr_b32 v[146:147], v2 offset0:103 offset1:104
	ds_load_2addr_b32 v[148:149], v2 offset0:105 offset1:106
	ds_load_2addr_b32 v[150:151], v2 offset0:107 offset1:108
	s_mov_b32 s0, exec_lo
	s_waitcnt vmcnt(4) lgkmcnt(3)
	v_fma_f32 v3, v125, v144, 0
	s_delay_alu instid0(VALU_DEP_1) | instskip(SKIP_4) | instid1(VALU_DEP_1)
	v_fmac_f32_e32 v3, v126, v145
	ds_load_2addr_b32 v[125:126], v2 offset0:109 offset1:110
	s_waitcnt lgkmcnt(3)
	v_fmac_f32_e32 v3, v127, v146
	s_waitcnt vmcnt(3)
	v_fmac_f32_e32 v3, v128, v147
	ds_load_2addr_b32 v[127:128], v2 offset0:111 offset1:112
	s_waitcnt lgkmcnt(3)
	v_fmac_f32_e32 v3, v129, v148
	s_delay_alu instid0(VALU_DEP_1) | instskip(SKIP_1) | instid1(VALU_DEP_1)
	v_fmac_f32_e32 v3, v130, v149
	s_waitcnt lgkmcnt(2)
	v_fmac_f32_e32 v3, v131, v150
	s_waitcnt vmcnt(2)
	s_delay_alu instid0(VALU_DEP_1) | instskip(SKIP_4) | instid1(VALU_DEP_1)
	v_fmac_f32_e32 v3, v132, v151
	ds_load_2addr_b32 v[129:130], v2 offset0:113 offset1:114
	ds_load_2addr_b32 v[131:132], v2 offset0:115 offset1:116
	s_waitcnt lgkmcnt(3)
	v_fmac_f32_e32 v3, v133, v125
	v_fmac_f32_e32 v3, v134, v126
	ds_load_2addr_b32 v[125:126], v2 offset0:117 offset1:118
	s_waitcnt lgkmcnt(3)
	v_fmac_f32_e32 v3, v135, v127
	ds_load_b32 v127, v2 offset:476
	s_waitcnt vmcnt(1)
	v_fmac_f32_e32 v3, v136, v128
	s_waitcnt lgkmcnt(3)
	s_delay_alu instid0(VALU_DEP_1) | instskip(NEXT) | instid1(VALU_DEP_1)
	v_fmac_f32_e32 v3, v137, v129
	v_fmac_f32_e32 v3, v138, v130
	s_waitcnt lgkmcnt(2)
	s_delay_alu instid0(VALU_DEP_1) | instskip(SKIP_1) | instid1(VALU_DEP_1)
	v_fmac_f32_e32 v3, v139, v131
	s_waitcnt vmcnt(0)
	v_fmac_f32_e32 v3, v140, v132
	s_waitcnt lgkmcnt(1)
	s_delay_alu instid0(VALU_DEP_1) | instskip(NEXT) | instid1(VALU_DEP_1)
	v_fmac_f32_e32 v3, v141, v125
	v_fmac_f32_e32 v3, v142, v126
	s_waitcnt lgkmcnt(0)
	s_delay_alu instid0(VALU_DEP_1) | instskip(NEXT) | instid1(VALU_DEP_1)
	v_fmac_f32_e32 v3, v143, v127
	v_sub_f32_e32 v3, v124, v3
	scratch_store_b32 off, v3, off offset:160
	v_cmpx_lt_u32_e32 39, v0
	s_cbranch_execz .LBB123_289
; %bb.288:
	scratch_load_b32 v3, off, off offset:156
	scratch_store_b32 off, v2, off offset:156
	s_waitcnt vmcnt(0)
	ds_store_b32 v1, v3
.LBB123_289:
	s_or_b32 exec_lo, exec_lo, s0
	s_waitcnt lgkmcnt(0)
	s_waitcnt_vscnt null, 0x0
	s_barrier
	buffer_gl0_inv
	s_clause 0x5
	scratch_load_b128 v[124:127], off, off offset:156
	scratch_load_b128 v[128:131], off, off offset:172
	;; [unrolled: 1-line block ×5, first 2 shown]
	scratch_load_b32 v3, off, off offset:236
	ds_load_b128 v[144:147], v2 offset:400
	ds_load_b128 v[148:151], v2 offset:416
	s_mov_b32 s0, exec_lo
	s_waitcnt vmcnt(5) lgkmcnt(1)
	v_fma_f32 v144, v125, v144, 0
	s_delay_alu instid0(VALU_DEP_1) | instskip(NEXT) | instid1(VALU_DEP_1)
	v_fmac_f32_e32 v144, v126, v145
	v_fmac_f32_e32 v144, v127, v146
	s_waitcnt vmcnt(4)
	s_delay_alu instid0(VALU_DEP_1) | instskip(SKIP_3) | instid1(VALU_DEP_1)
	v_fmac_f32_e32 v144, v128, v147
	ds_load_b128 v[125:128], v2 offset:432
	s_waitcnt lgkmcnt(1)
	v_fmac_f32_e32 v144, v129, v148
	v_fmac_f32_e32 v144, v130, v149
	s_delay_alu instid0(VALU_DEP_1) | instskip(SKIP_1) | instid1(VALU_DEP_1)
	v_fmac_f32_e32 v144, v131, v150
	s_waitcnt vmcnt(3)
	v_fmac_f32_e32 v144, v132, v151
	ds_load_b128 v[129:132], v2 offset:448
	s_waitcnt lgkmcnt(1)
	v_fmac_f32_e32 v144, v133, v125
	s_delay_alu instid0(VALU_DEP_1) | instskip(NEXT) | instid1(VALU_DEP_1)
	v_fmac_f32_e32 v144, v134, v126
	v_fmac_f32_e32 v144, v135, v127
	s_waitcnt vmcnt(2)
	s_delay_alu instid0(VALU_DEP_1) | instskip(SKIP_3) | instid1(VALU_DEP_1)
	v_fmac_f32_e32 v144, v136, v128
	ds_load_b128 v[125:128], v2 offset:464
	s_waitcnt lgkmcnt(1)
	v_fmac_f32_e32 v144, v137, v129
	v_fmac_f32_e32 v144, v138, v130
	s_delay_alu instid0(VALU_DEP_1) | instskip(SKIP_1) | instid1(VALU_DEP_1)
	v_fmac_f32_e32 v144, v139, v131
	s_waitcnt vmcnt(1)
	v_fmac_f32_e32 v144, v140, v132
	s_waitcnt lgkmcnt(0)
	s_delay_alu instid0(VALU_DEP_1) | instskip(NEXT) | instid1(VALU_DEP_1)
	v_fmac_f32_e32 v144, v141, v125
	v_fmac_f32_e32 v144, v142, v126
	s_delay_alu instid0(VALU_DEP_1) | instskip(SKIP_1) | instid1(VALU_DEP_1)
	v_fmac_f32_e32 v144, v143, v127
	s_waitcnt vmcnt(0)
	v_fmac_f32_e32 v144, v3, v128
	s_delay_alu instid0(VALU_DEP_1)
	v_sub_f32_e32 v2, v124, v144
	scratch_store_b32 off, v2, off offset:156
	v_cmpx_lt_u32_e32 38, v0
	s_cbranch_execz .LBB123_291
; %bb.290:
	scratch_load_b32 v2, off, off offset:152
	v_mov_b32_e32 v3, 0
	scratch_store_b32 off, v3, off offset:152
	s_waitcnt vmcnt(0)
	ds_store_b32 v1, v2
.LBB123_291:
	s_or_b32 exec_lo, exec_lo, s0
	s_waitcnt lgkmcnt(0)
	s_waitcnt_vscnt null, 0x0
	s_barrier
	buffer_gl0_inv
	s_clause 0x5
	scratch_load_b128 v[124:127], off, off offset:152
	scratch_load_b128 v[128:131], off, off offset:168
	;; [unrolled: 1-line block ×5, first 2 shown]
	scratch_load_b64 v[144:145], off, off offset:232
	v_mov_b32_e32 v2, 0
	ds_load_2addr_b32 v[146:147], v2 offset0:99 offset1:100
	ds_load_2addr_b32 v[148:149], v2 offset0:101 offset1:102
	;; [unrolled: 1-line block ×4, first 2 shown]
	s_mov_b32 s0, exec_lo
	s_waitcnt vmcnt(5) lgkmcnt(3)
	v_fma_f32 v3, v125, v146, 0
	s_delay_alu instid0(VALU_DEP_1) | instskip(SKIP_4) | instid1(VALU_DEP_1)
	v_fmac_f32_e32 v3, v126, v147
	ds_load_2addr_b32 v[125:126], v2 offset0:107 offset1:108
	s_waitcnt lgkmcnt(3)
	v_fmac_f32_e32 v3, v127, v148
	s_waitcnt vmcnt(4)
	v_fmac_f32_e32 v3, v128, v149
	ds_load_2addr_b32 v[127:128], v2 offset0:109 offset1:110
	s_waitcnt lgkmcnt(3)
	v_fmac_f32_e32 v3, v129, v150
	s_delay_alu instid0(VALU_DEP_1) | instskip(SKIP_1) | instid1(VALU_DEP_1)
	v_fmac_f32_e32 v3, v130, v151
	s_waitcnt lgkmcnt(2)
	v_fmac_f32_e32 v3, v131, v152
	s_waitcnt vmcnt(3)
	s_delay_alu instid0(VALU_DEP_1) | instskip(SKIP_4) | instid1(VALU_DEP_1)
	v_fmac_f32_e32 v3, v132, v153
	ds_load_2addr_b32 v[129:130], v2 offset0:111 offset1:112
	ds_load_2addr_b32 v[131:132], v2 offset0:113 offset1:114
	s_waitcnt lgkmcnt(3)
	v_fmac_f32_e32 v3, v133, v125
	v_fmac_f32_e32 v3, v134, v126
	ds_load_2addr_b32 v[125:126], v2 offset0:115 offset1:116
	s_waitcnt lgkmcnt(3)
	v_fmac_f32_e32 v3, v135, v127
	s_waitcnt vmcnt(2)
	s_delay_alu instid0(VALU_DEP_1)
	v_fmac_f32_e32 v3, v136, v128
	ds_load_2addr_b32 v[127:128], v2 offset0:117 offset1:118
	s_waitcnt lgkmcnt(3)
	v_fmac_f32_e32 v3, v137, v129
	ds_load_b32 v129, v2 offset:476
	v_fmac_f32_e32 v3, v138, v130
	s_waitcnt lgkmcnt(3)
	s_delay_alu instid0(VALU_DEP_1) | instskip(SKIP_1) | instid1(VALU_DEP_1)
	v_fmac_f32_e32 v3, v139, v131
	s_waitcnt vmcnt(1)
	v_fmac_f32_e32 v3, v140, v132
	s_waitcnt lgkmcnt(2)
	s_delay_alu instid0(VALU_DEP_1) | instskip(NEXT) | instid1(VALU_DEP_1)
	v_fmac_f32_e32 v3, v141, v125
	v_fmac_f32_e32 v3, v142, v126
	s_waitcnt lgkmcnt(1)
	s_delay_alu instid0(VALU_DEP_1) | instskip(SKIP_1) | instid1(VALU_DEP_1)
	v_fmac_f32_e32 v3, v143, v127
	s_waitcnt vmcnt(0)
	v_fmac_f32_e32 v3, v144, v128
	s_waitcnt lgkmcnt(0)
	s_delay_alu instid0(VALU_DEP_1) | instskip(NEXT) | instid1(VALU_DEP_1)
	v_fmac_f32_e32 v3, v145, v129
	v_sub_f32_e32 v3, v124, v3
	scratch_store_b32 off, v3, off offset:152
	v_cmpx_lt_u32_e32 37, v0
	s_cbranch_execz .LBB123_293
; %bb.292:
	scratch_load_b32 v3, off, off offset:148
	scratch_store_b32 off, v2, off offset:148
	s_waitcnt vmcnt(0)
	ds_store_b32 v1, v3
.LBB123_293:
	s_or_b32 exec_lo, exec_lo, s0
	s_waitcnt lgkmcnt(0)
	s_waitcnt_vscnt null, 0x0
	s_barrier
	buffer_gl0_inv
	s_clause 0x5
	scratch_load_b128 v[124:127], off, off offset:148
	scratch_load_b128 v[128:131], off, off offset:164
	;; [unrolled: 1-line block ×5, first 2 shown]
	scratch_load_b96 v[152:154], off, off offset:228
	ds_load_2addr_b64 v[144:147], v2 offset0:49 offset1:50
	ds_load_2addr_b64 v[148:151], v2 offset0:51 offset1:52
	s_mov_b32 s0, exec_lo
	s_waitcnt vmcnt(5) lgkmcnt(1)
	v_fma_f32 v144, v125, v144, 0
	s_delay_alu instid0(VALU_DEP_1) | instskip(NEXT) | instid1(VALU_DEP_1)
	v_fmac_f32_e32 v144, v126, v145
	v_fmac_f32_e32 v144, v127, v146
	s_waitcnt vmcnt(4)
	s_delay_alu instid0(VALU_DEP_1) | instskip(SKIP_3) | instid1(VALU_DEP_1)
	v_fmac_f32_e32 v144, v128, v147
	ds_load_2addr_b64 v[125:128], v2 offset0:53 offset1:54
	s_waitcnt lgkmcnt(1)
	v_fmac_f32_e32 v144, v129, v148
	v_fmac_f32_e32 v144, v130, v149
	s_delay_alu instid0(VALU_DEP_1) | instskip(SKIP_1) | instid1(VALU_DEP_1)
	v_fmac_f32_e32 v144, v131, v150
	s_waitcnt vmcnt(3)
	v_fmac_f32_e32 v144, v132, v151
	ds_load_2addr_b64 v[129:132], v2 offset0:55 offset1:56
	s_waitcnt lgkmcnt(1)
	v_fmac_f32_e32 v144, v133, v125
	s_delay_alu instid0(VALU_DEP_1) | instskip(NEXT) | instid1(VALU_DEP_1)
	v_fmac_f32_e32 v144, v134, v126
	v_fmac_f32_e32 v144, v135, v127
	s_waitcnt vmcnt(2)
	s_delay_alu instid0(VALU_DEP_1) | instskip(SKIP_4) | instid1(VALU_DEP_1)
	v_fmac_f32_e32 v144, v136, v128
	ds_load_2addr_b64 v[125:128], v2 offset0:57 offset1:58
	ds_load_b64 v[2:3], v2 offset:472
	s_waitcnt lgkmcnt(2)
	v_fmac_f32_e32 v144, v137, v129
	v_fmac_f32_e32 v144, v138, v130
	s_delay_alu instid0(VALU_DEP_1) | instskip(SKIP_1) | instid1(VALU_DEP_1)
	v_fmac_f32_e32 v144, v139, v131
	s_waitcnt vmcnt(1)
	v_fmac_f32_e32 v144, v140, v132
	s_waitcnt lgkmcnt(1)
	s_delay_alu instid0(VALU_DEP_1) | instskip(NEXT) | instid1(VALU_DEP_1)
	v_fmac_f32_e32 v144, v141, v125
	v_fmac_f32_e32 v144, v142, v126
	s_delay_alu instid0(VALU_DEP_1) | instskip(SKIP_1) | instid1(VALU_DEP_1)
	v_fmac_f32_e32 v144, v143, v127
	s_waitcnt vmcnt(0)
	v_fmac_f32_e32 v144, v152, v128
	s_waitcnt lgkmcnt(0)
	s_delay_alu instid0(VALU_DEP_1) | instskip(NEXT) | instid1(VALU_DEP_1)
	v_fmac_f32_e32 v144, v153, v2
	v_fmac_f32_e32 v144, v154, v3
	s_delay_alu instid0(VALU_DEP_1)
	v_sub_f32_e32 v2, v124, v144
	scratch_store_b32 off, v2, off offset:148
	v_cmpx_lt_u32_e32 36, v0
	s_cbranch_execz .LBB123_295
; %bb.294:
	scratch_load_b32 v2, off, off offset:144
	v_mov_b32_e32 v3, 0
	scratch_store_b32 off, v3, off offset:144
	s_waitcnt vmcnt(0)
	ds_store_b32 v1, v2
.LBB123_295:
	s_or_b32 exec_lo, exec_lo, s0
	s_waitcnt lgkmcnt(0)
	s_waitcnt_vscnt null, 0x0
	s_barrier
	buffer_gl0_inv
	s_clause 0x5
	scratch_load_b128 v[124:127], off, off offset:144
	scratch_load_b128 v[128:131], off, off offset:160
	;; [unrolled: 1-line block ×6, first 2 shown]
	v_mov_b32_e32 v2, 0
	ds_load_2addr_b32 v[148:149], v2 offset0:97 offset1:98
	ds_load_2addr_b32 v[150:151], v2 offset0:99 offset1:100
	;; [unrolled: 1-line block ×4, first 2 shown]
	s_mov_b32 s0, exec_lo
	s_waitcnt vmcnt(5) lgkmcnt(3)
	v_fma_f32 v3, v125, v148, 0
	s_delay_alu instid0(VALU_DEP_1) | instskip(SKIP_4) | instid1(VALU_DEP_1)
	v_fmac_f32_e32 v3, v126, v149
	ds_load_2addr_b32 v[125:126], v2 offset0:105 offset1:106
	s_waitcnt lgkmcnt(3)
	v_fmac_f32_e32 v3, v127, v150
	s_waitcnt vmcnt(4)
	v_fmac_f32_e32 v3, v128, v151
	ds_load_2addr_b32 v[127:128], v2 offset0:107 offset1:108
	s_waitcnt lgkmcnt(3)
	v_fmac_f32_e32 v3, v129, v152
	s_delay_alu instid0(VALU_DEP_1) | instskip(SKIP_1) | instid1(VALU_DEP_1)
	v_fmac_f32_e32 v3, v130, v153
	s_waitcnt lgkmcnt(2)
	v_fmac_f32_e32 v3, v131, v154
	s_waitcnt vmcnt(3)
	s_delay_alu instid0(VALU_DEP_1) | instskip(SKIP_4) | instid1(VALU_DEP_1)
	v_fmac_f32_e32 v3, v132, v155
	ds_load_2addr_b32 v[129:130], v2 offset0:109 offset1:110
	ds_load_2addr_b32 v[131:132], v2 offset0:111 offset1:112
	s_waitcnt lgkmcnt(3)
	v_fmac_f32_e32 v3, v133, v125
	v_fmac_f32_e32 v3, v134, v126
	ds_load_2addr_b32 v[125:126], v2 offset0:113 offset1:114
	s_waitcnt lgkmcnt(3)
	v_fmac_f32_e32 v3, v135, v127
	s_waitcnt vmcnt(2)
	s_delay_alu instid0(VALU_DEP_1) | instskip(SKIP_3) | instid1(VALU_DEP_1)
	v_fmac_f32_e32 v3, v136, v128
	ds_load_2addr_b32 v[127:128], v2 offset0:115 offset1:116
	s_waitcnt lgkmcnt(3)
	v_fmac_f32_e32 v3, v137, v129
	v_fmac_f32_e32 v3, v138, v130
	s_waitcnt lgkmcnt(2)
	s_delay_alu instid0(VALU_DEP_1)
	v_fmac_f32_e32 v3, v139, v131
	ds_load_2addr_b32 v[129:130], v2 offset0:117 offset1:118
	ds_load_b32 v131, v2 offset:476
	s_waitcnt vmcnt(1)
	v_fmac_f32_e32 v3, v140, v132
	s_waitcnt lgkmcnt(3)
	s_delay_alu instid0(VALU_DEP_1) | instskip(NEXT) | instid1(VALU_DEP_1)
	v_fmac_f32_e32 v3, v141, v125
	v_fmac_f32_e32 v3, v142, v126
	s_waitcnt lgkmcnt(2)
	s_delay_alu instid0(VALU_DEP_1) | instskip(SKIP_1) | instid1(VALU_DEP_1)
	v_fmac_f32_e32 v3, v143, v127
	s_waitcnt vmcnt(0)
	v_fmac_f32_e32 v3, v144, v128
	s_waitcnt lgkmcnt(1)
	s_delay_alu instid0(VALU_DEP_1) | instskip(NEXT) | instid1(VALU_DEP_1)
	v_fmac_f32_e32 v3, v145, v129
	v_fmac_f32_e32 v3, v146, v130
	s_waitcnt lgkmcnt(0)
	s_delay_alu instid0(VALU_DEP_1) | instskip(NEXT) | instid1(VALU_DEP_1)
	v_fmac_f32_e32 v3, v147, v131
	v_sub_f32_e32 v3, v124, v3
	scratch_store_b32 off, v3, off offset:144
	v_cmpx_lt_u32_e32 35, v0
	s_cbranch_execz .LBB123_297
; %bb.296:
	scratch_load_b32 v3, off, off offset:140
	scratch_store_b32 off, v2, off offset:140
	s_waitcnt vmcnt(0)
	ds_store_b32 v1, v3
.LBB123_297:
	s_or_b32 exec_lo, exec_lo, s0
	s_waitcnt lgkmcnt(0)
	s_waitcnt_vscnt null, 0x0
	s_barrier
	buffer_gl0_inv
	s_clause 0x6
	scratch_load_b128 v[124:127], off, off offset:140
	scratch_load_b128 v[128:131], off, off offset:156
	;; [unrolled: 1-line block ×6, first 2 shown]
	scratch_load_b32 v3, off, off offset:236
	ds_load_b128 v[148:151], v2 offset:384
	ds_load_b128 v[152:155], v2 offset:400
	s_mov_b32 s0, exec_lo
	s_waitcnt vmcnt(6) lgkmcnt(1)
	v_fma_f32 v148, v125, v148, 0
	s_delay_alu instid0(VALU_DEP_1) | instskip(NEXT) | instid1(VALU_DEP_1)
	v_fmac_f32_e32 v148, v126, v149
	v_fmac_f32_e32 v148, v127, v150
	s_waitcnt vmcnt(5)
	s_delay_alu instid0(VALU_DEP_1) | instskip(SKIP_3) | instid1(VALU_DEP_1)
	v_fmac_f32_e32 v148, v128, v151
	ds_load_b128 v[125:128], v2 offset:416
	s_waitcnt lgkmcnt(1)
	v_fmac_f32_e32 v148, v129, v152
	v_fmac_f32_e32 v148, v130, v153
	s_delay_alu instid0(VALU_DEP_1) | instskip(SKIP_1) | instid1(VALU_DEP_1)
	v_fmac_f32_e32 v148, v131, v154
	s_waitcnt vmcnt(4)
	v_fmac_f32_e32 v148, v132, v155
	ds_load_b128 v[129:132], v2 offset:432
	s_waitcnt lgkmcnt(1)
	v_fmac_f32_e32 v148, v133, v125
	s_delay_alu instid0(VALU_DEP_1) | instskip(NEXT) | instid1(VALU_DEP_1)
	v_fmac_f32_e32 v148, v134, v126
	v_fmac_f32_e32 v148, v135, v127
	s_waitcnt vmcnt(3)
	s_delay_alu instid0(VALU_DEP_1) | instskip(SKIP_3) | instid1(VALU_DEP_1)
	v_fmac_f32_e32 v148, v136, v128
	ds_load_b128 v[125:128], v2 offset:448
	s_waitcnt lgkmcnt(1)
	v_fmac_f32_e32 v148, v137, v129
	v_fmac_f32_e32 v148, v138, v130
	s_delay_alu instid0(VALU_DEP_1) | instskip(SKIP_1) | instid1(VALU_DEP_1)
	v_fmac_f32_e32 v148, v139, v131
	s_waitcnt vmcnt(2)
	v_fmac_f32_e32 v148, v140, v132
	ds_load_b128 v[129:132], v2 offset:464
	s_waitcnt lgkmcnt(1)
	v_fmac_f32_e32 v148, v141, v125
	s_delay_alu instid0(VALU_DEP_1) | instskip(NEXT) | instid1(VALU_DEP_1)
	v_fmac_f32_e32 v148, v142, v126
	v_fmac_f32_e32 v148, v143, v127
	s_waitcnt vmcnt(1)
	s_delay_alu instid0(VALU_DEP_1) | instskip(SKIP_1) | instid1(VALU_DEP_1)
	v_fmac_f32_e32 v148, v144, v128
	s_waitcnt lgkmcnt(0)
	v_fmac_f32_e32 v148, v145, v129
	s_delay_alu instid0(VALU_DEP_1) | instskip(NEXT) | instid1(VALU_DEP_1)
	v_fmac_f32_e32 v148, v146, v130
	v_fmac_f32_e32 v148, v147, v131
	s_waitcnt vmcnt(0)
	s_delay_alu instid0(VALU_DEP_1) | instskip(NEXT) | instid1(VALU_DEP_1)
	v_fmac_f32_e32 v148, v3, v132
	v_sub_f32_e32 v2, v124, v148
	scratch_store_b32 off, v2, off offset:140
	v_cmpx_lt_u32_e32 34, v0
	s_cbranch_execz .LBB123_299
; %bb.298:
	scratch_load_b32 v2, off, off offset:136
	v_mov_b32_e32 v3, 0
	scratch_store_b32 off, v3, off offset:136
	s_waitcnt vmcnt(0)
	ds_store_b32 v1, v2
.LBB123_299:
	s_or_b32 exec_lo, exec_lo, s0
	s_waitcnt lgkmcnt(0)
	s_waitcnt_vscnt null, 0x0
	s_barrier
	buffer_gl0_inv
	s_clause 0x6
	scratch_load_b128 v[124:127], off, off offset:136
	scratch_load_b128 v[128:131], off, off offset:152
	;; [unrolled: 1-line block ×6, first 2 shown]
	scratch_load_b64 v[148:149], off, off offset:232
	v_mov_b32_e32 v2, 0
	ds_load_2addr_b32 v[150:151], v2 offset0:95 offset1:96
	ds_load_2addr_b32 v[152:153], v2 offset0:97 offset1:98
	;; [unrolled: 1-line block ×4, first 2 shown]
	s_mov_b32 s0, exec_lo
	s_waitcnt vmcnt(6) lgkmcnt(3)
	v_fma_f32 v3, v125, v150, 0
	s_delay_alu instid0(VALU_DEP_1) | instskip(SKIP_4) | instid1(VALU_DEP_1)
	v_fmac_f32_e32 v3, v126, v151
	ds_load_2addr_b32 v[125:126], v2 offset0:103 offset1:104
	s_waitcnt lgkmcnt(3)
	v_fmac_f32_e32 v3, v127, v152
	s_waitcnt vmcnt(5)
	v_fmac_f32_e32 v3, v128, v153
	ds_load_2addr_b32 v[127:128], v2 offset0:105 offset1:106
	s_waitcnt lgkmcnt(3)
	v_fmac_f32_e32 v3, v129, v154
	s_delay_alu instid0(VALU_DEP_1) | instskip(SKIP_1) | instid1(VALU_DEP_1)
	v_fmac_f32_e32 v3, v130, v155
	s_waitcnt lgkmcnt(2)
	v_fmac_f32_e32 v3, v131, v156
	s_waitcnt vmcnt(4)
	s_delay_alu instid0(VALU_DEP_1) | instskip(SKIP_4) | instid1(VALU_DEP_1)
	v_fmac_f32_e32 v3, v132, v157
	ds_load_2addr_b32 v[129:130], v2 offset0:107 offset1:108
	ds_load_2addr_b32 v[131:132], v2 offset0:109 offset1:110
	s_waitcnt lgkmcnt(3)
	v_fmac_f32_e32 v3, v133, v125
	v_fmac_f32_e32 v3, v134, v126
	ds_load_2addr_b32 v[125:126], v2 offset0:111 offset1:112
	s_waitcnt lgkmcnt(3)
	v_fmac_f32_e32 v3, v135, v127
	s_waitcnt vmcnt(3)
	s_delay_alu instid0(VALU_DEP_1) | instskip(SKIP_3) | instid1(VALU_DEP_1)
	v_fmac_f32_e32 v3, v136, v128
	ds_load_2addr_b32 v[127:128], v2 offset0:113 offset1:114
	s_waitcnt lgkmcnt(3)
	v_fmac_f32_e32 v3, v137, v129
	v_fmac_f32_e32 v3, v138, v130
	s_waitcnt lgkmcnt(2)
	s_delay_alu instid0(VALU_DEP_1) | instskip(SKIP_1) | instid1(VALU_DEP_1)
	v_fmac_f32_e32 v3, v139, v131
	s_waitcnt vmcnt(2)
	v_fmac_f32_e32 v3, v140, v132
	ds_load_2addr_b32 v[129:130], v2 offset0:115 offset1:116
	ds_load_2addr_b32 v[131:132], v2 offset0:117 offset1:118
	s_waitcnt lgkmcnt(3)
	v_fmac_f32_e32 v3, v141, v125
	ds_load_b32 v125, v2 offset:476
	v_fmac_f32_e32 v3, v142, v126
	s_waitcnt lgkmcnt(3)
	s_delay_alu instid0(VALU_DEP_1) | instskip(SKIP_1) | instid1(VALU_DEP_1)
	v_fmac_f32_e32 v3, v143, v127
	s_waitcnt vmcnt(1)
	v_fmac_f32_e32 v3, v144, v128
	s_waitcnt lgkmcnt(2)
	s_delay_alu instid0(VALU_DEP_1) | instskip(NEXT) | instid1(VALU_DEP_1)
	v_fmac_f32_e32 v3, v145, v129
	v_fmac_f32_e32 v3, v146, v130
	s_waitcnt lgkmcnt(1)
	s_delay_alu instid0(VALU_DEP_1) | instskip(SKIP_1) | instid1(VALU_DEP_1)
	v_fmac_f32_e32 v3, v147, v131
	s_waitcnt vmcnt(0)
	v_fmac_f32_e32 v3, v148, v132
	s_waitcnt lgkmcnt(0)
	s_delay_alu instid0(VALU_DEP_1) | instskip(NEXT) | instid1(VALU_DEP_1)
	v_fmac_f32_e32 v3, v149, v125
	v_sub_f32_e32 v3, v124, v3
	scratch_store_b32 off, v3, off offset:136
	v_cmpx_lt_u32_e32 33, v0
	s_cbranch_execz .LBB123_301
; %bb.300:
	scratch_load_b32 v3, off, off offset:132
	scratch_store_b32 off, v2, off offset:132
	s_waitcnt vmcnt(0)
	ds_store_b32 v1, v3
.LBB123_301:
	s_or_b32 exec_lo, exec_lo, s0
	s_waitcnt lgkmcnt(0)
	s_waitcnt_vscnt null, 0x0
	s_barrier
	buffer_gl0_inv
	s_clause 0x6
	scratch_load_b128 v[124:127], off, off offset:132
	scratch_load_b128 v[128:131], off, off offset:148
	;; [unrolled: 1-line block ×6, first 2 shown]
	scratch_load_b96 v[156:158], off, off offset:228
	ds_load_2addr_b64 v[148:151], v2 offset0:47 offset1:48
	ds_load_2addr_b64 v[152:155], v2 offset0:49 offset1:50
	s_mov_b32 s0, exec_lo
	s_waitcnt vmcnt(6) lgkmcnt(1)
	v_fma_f32 v148, v125, v148, 0
	s_delay_alu instid0(VALU_DEP_1) | instskip(NEXT) | instid1(VALU_DEP_1)
	v_fmac_f32_e32 v148, v126, v149
	v_fmac_f32_e32 v148, v127, v150
	s_waitcnt vmcnt(5)
	s_delay_alu instid0(VALU_DEP_1) | instskip(SKIP_3) | instid1(VALU_DEP_1)
	v_fmac_f32_e32 v148, v128, v151
	ds_load_2addr_b64 v[125:128], v2 offset0:51 offset1:52
	s_waitcnt lgkmcnt(1)
	v_fmac_f32_e32 v148, v129, v152
	v_fmac_f32_e32 v148, v130, v153
	s_delay_alu instid0(VALU_DEP_1) | instskip(SKIP_1) | instid1(VALU_DEP_1)
	v_fmac_f32_e32 v148, v131, v154
	s_waitcnt vmcnt(4)
	v_fmac_f32_e32 v148, v132, v155
	ds_load_2addr_b64 v[129:132], v2 offset0:53 offset1:54
	s_waitcnt lgkmcnt(1)
	v_fmac_f32_e32 v148, v133, v125
	s_delay_alu instid0(VALU_DEP_1) | instskip(NEXT) | instid1(VALU_DEP_1)
	v_fmac_f32_e32 v148, v134, v126
	v_fmac_f32_e32 v148, v135, v127
	s_waitcnt vmcnt(3)
	s_delay_alu instid0(VALU_DEP_1) | instskip(SKIP_3) | instid1(VALU_DEP_1)
	v_fmac_f32_e32 v148, v136, v128
	ds_load_2addr_b64 v[125:128], v2 offset0:55 offset1:56
	s_waitcnt lgkmcnt(1)
	v_fmac_f32_e32 v148, v137, v129
	v_fmac_f32_e32 v148, v138, v130
	s_delay_alu instid0(VALU_DEP_1) | instskip(SKIP_1) | instid1(VALU_DEP_1)
	v_fmac_f32_e32 v148, v139, v131
	s_waitcnt vmcnt(2)
	v_fmac_f32_e32 v148, v140, v132
	ds_load_2addr_b64 v[129:132], v2 offset0:57 offset1:58
	ds_load_b64 v[2:3], v2 offset:472
	s_waitcnt lgkmcnt(2)
	v_fmac_f32_e32 v148, v141, v125
	s_delay_alu instid0(VALU_DEP_1) | instskip(NEXT) | instid1(VALU_DEP_1)
	v_fmac_f32_e32 v148, v142, v126
	v_fmac_f32_e32 v148, v143, v127
	s_waitcnt vmcnt(1)
	s_delay_alu instid0(VALU_DEP_1) | instskip(SKIP_1) | instid1(VALU_DEP_1)
	v_fmac_f32_e32 v148, v144, v128
	s_waitcnt lgkmcnt(1)
	v_fmac_f32_e32 v148, v145, v129
	s_delay_alu instid0(VALU_DEP_1) | instskip(NEXT) | instid1(VALU_DEP_1)
	v_fmac_f32_e32 v148, v146, v130
	v_fmac_f32_e32 v148, v147, v131
	s_waitcnt vmcnt(0)
	s_delay_alu instid0(VALU_DEP_1) | instskip(SKIP_1) | instid1(VALU_DEP_1)
	v_fmac_f32_e32 v148, v156, v132
	s_waitcnt lgkmcnt(0)
	v_fmac_f32_e32 v148, v157, v2
	s_delay_alu instid0(VALU_DEP_1) | instskip(NEXT) | instid1(VALU_DEP_1)
	v_fmac_f32_e32 v148, v158, v3
	v_sub_f32_e32 v2, v124, v148
	scratch_store_b32 off, v2, off offset:132
	v_cmpx_lt_u32_e32 32, v0
	s_cbranch_execz .LBB123_303
; %bb.302:
	scratch_load_b32 v2, off, off offset:128
	v_mov_b32_e32 v3, 0
	scratch_store_b32 off, v3, off offset:128
	s_waitcnt vmcnt(0)
	ds_store_b32 v1, v2
.LBB123_303:
	s_or_b32 exec_lo, exec_lo, s0
	s_waitcnt lgkmcnt(0)
	s_waitcnt_vscnt null, 0x0
	s_barrier
	buffer_gl0_inv
	s_clause 0x6
	scratch_load_b128 v[124:127], off, off offset:128
	scratch_load_b128 v[128:131], off, off offset:144
	;; [unrolled: 1-line block ×7, first 2 shown]
	v_mov_b32_e32 v2, 0
	ds_load_2addr_b32 v[152:153], v2 offset0:93 offset1:94
	ds_load_2addr_b32 v[154:155], v2 offset0:95 offset1:96
	;; [unrolled: 1-line block ×4, first 2 shown]
	s_mov_b32 s0, exec_lo
	s_waitcnt vmcnt(6) lgkmcnt(3)
	v_fma_f32 v3, v125, v152, 0
	s_delay_alu instid0(VALU_DEP_1) | instskip(SKIP_4) | instid1(VALU_DEP_1)
	v_fmac_f32_e32 v3, v126, v153
	ds_load_2addr_b32 v[125:126], v2 offset0:101 offset1:102
	s_waitcnt lgkmcnt(3)
	v_fmac_f32_e32 v3, v127, v154
	s_waitcnt vmcnt(5)
	v_fmac_f32_e32 v3, v128, v155
	ds_load_2addr_b32 v[127:128], v2 offset0:103 offset1:104
	s_waitcnt lgkmcnt(3)
	v_fmac_f32_e32 v3, v129, v156
	s_delay_alu instid0(VALU_DEP_1) | instskip(SKIP_1) | instid1(VALU_DEP_1)
	v_fmac_f32_e32 v3, v130, v157
	s_waitcnt lgkmcnt(2)
	v_fmac_f32_e32 v3, v131, v158
	s_waitcnt vmcnt(4)
	s_delay_alu instid0(VALU_DEP_1) | instskip(SKIP_4) | instid1(VALU_DEP_1)
	v_fmac_f32_e32 v3, v132, v159
	ds_load_2addr_b32 v[129:130], v2 offset0:105 offset1:106
	ds_load_2addr_b32 v[131:132], v2 offset0:107 offset1:108
	s_waitcnt lgkmcnt(3)
	v_fmac_f32_e32 v3, v133, v125
	v_fmac_f32_e32 v3, v134, v126
	ds_load_2addr_b32 v[125:126], v2 offset0:109 offset1:110
	s_waitcnt lgkmcnt(3)
	v_fmac_f32_e32 v3, v135, v127
	s_waitcnt vmcnt(3)
	s_delay_alu instid0(VALU_DEP_1) | instskip(SKIP_3) | instid1(VALU_DEP_1)
	v_fmac_f32_e32 v3, v136, v128
	ds_load_2addr_b32 v[127:128], v2 offset0:111 offset1:112
	s_waitcnt lgkmcnt(3)
	v_fmac_f32_e32 v3, v137, v129
	v_fmac_f32_e32 v3, v138, v130
	s_waitcnt lgkmcnt(2)
	s_delay_alu instid0(VALU_DEP_1) | instskip(SKIP_1) | instid1(VALU_DEP_1)
	v_fmac_f32_e32 v3, v139, v131
	s_waitcnt vmcnt(2)
	v_fmac_f32_e32 v3, v140, v132
	ds_load_2addr_b32 v[129:130], v2 offset0:113 offset1:114
	ds_load_2addr_b32 v[131:132], v2 offset0:115 offset1:116
	s_waitcnt lgkmcnt(3)
	v_fmac_f32_e32 v3, v141, v125
	s_delay_alu instid0(VALU_DEP_1)
	v_fmac_f32_e32 v3, v142, v126
	ds_load_2addr_b32 v[125:126], v2 offset0:117 offset1:118
	s_waitcnt lgkmcnt(3)
	v_fmac_f32_e32 v3, v143, v127
	ds_load_b32 v127, v2 offset:476
	s_waitcnt vmcnt(1)
	v_fmac_f32_e32 v3, v144, v128
	s_waitcnt lgkmcnt(3)
	s_delay_alu instid0(VALU_DEP_1) | instskip(NEXT) | instid1(VALU_DEP_1)
	v_fmac_f32_e32 v3, v145, v129
	v_fmac_f32_e32 v3, v146, v130
	s_waitcnt lgkmcnt(2)
	s_delay_alu instid0(VALU_DEP_1) | instskip(SKIP_1) | instid1(VALU_DEP_1)
	v_fmac_f32_e32 v3, v147, v131
	s_waitcnt vmcnt(0)
	v_fmac_f32_e32 v3, v148, v132
	s_waitcnt lgkmcnt(1)
	s_delay_alu instid0(VALU_DEP_1) | instskip(NEXT) | instid1(VALU_DEP_1)
	v_fmac_f32_e32 v3, v149, v125
	v_fmac_f32_e32 v3, v150, v126
	s_waitcnt lgkmcnt(0)
	s_delay_alu instid0(VALU_DEP_1) | instskip(NEXT) | instid1(VALU_DEP_1)
	v_fmac_f32_e32 v3, v151, v127
	v_sub_f32_e32 v3, v124, v3
	scratch_store_b32 off, v3, off offset:128
	v_cmpx_lt_u32_e32 31, v0
	s_cbranch_execz .LBB123_305
; %bb.304:
	scratch_load_b32 v3, off, off offset:124
	scratch_store_b32 off, v2, off offset:124
	s_waitcnt vmcnt(0)
	ds_store_b32 v1, v3
.LBB123_305:
	s_or_b32 exec_lo, exec_lo, s0
	s_waitcnt lgkmcnt(0)
	s_waitcnt_vscnt null, 0x0
	s_barrier
	buffer_gl0_inv
	s_clause 0x7
	scratch_load_b128 v[124:127], off, off offset:124
	scratch_load_b128 v[128:131], off, off offset:140
	;; [unrolled: 1-line block ×7, first 2 shown]
	scratch_load_b32 v3, off, off offset:236
	ds_load_b128 v[152:155], v2 offset:368
	ds_load_b128 v[156:159], v2 offset:384
	s_mov_b32 s0, exec_lo
	s_waitcnt vmcnt(7) lgkmcnt(1)
	v_fma_f32 v152, v125, v152, 0
	s_delay_alu instid0(VALU_DEP_1) | instskip(NEXT) | instid1(VALU_DEP_1)
	v_fmac_f32_e32 v152, v126, v153
	v_fmac_f32_e32 v152, v127, v154
	s_waitcnt vmcnt(6)
	s_delay_alu instid0(VALU_DEP_1) | instskip(SKIP_3) | instid1(VALU_DEP_1)
	v_fmac_f32_e32 v152, v128, v155
	ds_load_b128 v[125:128], v2 offset:400
	s_waitcnt lgkmcnt(1)
	v_fmac_f32_e32 v152, v129, v156
	v_fmac_f32_e32 v152, v130, v157
	s_delay_alu instid0(VALU_DEP_1) | instskip(SKIP_1) | instid1(VALU_DEP_1)
	v_fmac_f32_e32 v152, v131, v158
	s_waitcnt vmcnt(5)
	v_fmac_f32_e32 v152, v132, v159
	ds_load_b128 v[129:132], v2 offset:416
	s_waitcnt lgkmcnt(1)
	v_fmac_f32_e32 v152, v133, v125
	s_delay_alu instid0(VALU_DEP_1) | instskip(NEXT) | instid1(VALU_DEP_1)
	v_fmac_f32_e32 v152, v134, v126
	v_fmac_f32_e32 v152, v135, v127
	s_waitcnt vmcnt(4)
	s_delay_alu instid0(VALU_DEP_1) | instskip(SKIP_3) | instid1(VALU_DEP_1)
	v_fmac_f32_e32 v152, v136, v128
	ds_load_b128 v[125:128], v2 offset:432
	s_waitcnt lgkmcnt(1)
	v_fmac_f32_e32 v152, v137, v129
	v_fmac_f32_e32 v152, v138, v130
	s_delay_alu instid0(VALU_DEP_1) | instskip(SKIP_1) | instid1(VALU_DEP_1)
	v_fmac_f32_e32 v152, v139, v131
	s_waitcnt vmcnt(3)
	v_fmac_f32_e32 v152, v140, v132
	ds_load_b128 v[129:132], v2 offset:448
	s_waitcnt lgkmcnt(1)
	v_fmac_f32_e32 v152, v141, v125
	s_delay_alu instid0(VALU_DEP_1) | instskip(NEXT) | instid1(VALU_DEP_1)
	v_fmac_f32_e32 v152, v142, v126
	v_fmac_f32_e32 v152, v143, v127
	s_waitcnt vmcnt(2)
	s_delay_alu instid0(VALU_DEP_1) | instskip(SKIP_3) | instid1(VALU_DEP_1)
	v_fmac_f32_e32 v152, v144, v128
	ds_load_b128 v[125:128], v2 offset:464
	s_waitcnt lgkmcnt(1)
	v_fmac_f32_e32 v152, v145, v129
	v_fmac_f32_e32 v152, v146, v130
	s_delay_alu instid0(VALU_DEP_1) | instskip(SKIP_1) | instid1(VALU_DEP_1)
	v_fmac_f32_e32 v152, v147, v131
	s_waitcnt vmcnt(1)
	v_fmac_f32_e32 v152, v148, v132
	s_waitcnt lgkmcnt(0)
	s_delay_alu instid0(VALU_DEP_1) | instskip(NEXT) | instid1(VALU_DEP_1)
	v_fmac_f32_e32 v152, v149, v125
	v_fmac_f32_e32 v152, v150, v126
	s_delay_alu instid0(VALU_DEP_1) | instskip(SKIP_1) | instid1(VALU_DEP_1)
	v_fmac_f32_e32 v152, v151, v127
	s_waitcnt vmcnt(0)
	v_fmac_f32_e32 v152, v3, v128
	s_delay_alu instid0(VALU_DEP_1)
	v_sub_f32_e32 v2, v124, v152
	scratch_store_b32 off, v2, off offset:124
	v_cmpx_lt_u32_e32 30, v0
	s_cbranch_execz .LBB123_307
; %bb.306:
	scratch_load_b32 v2, off, off offset:120
	v_mov_b32_e32 v3, 0
	scratch_store_b32 off, v3, off offset:120
	s_waitcnt vmcnt(0)
	ds_store_b32 v1, v2
.LBB123_307:
	s_or_b32 exec_lo, exec_lo, s0
	s_waitcnt lgkmcnt(0)
	s_waitcnt_vscnt null, 0x0
	s_barrier
	buffer_gl0_inv
	s_clause 0x7
	scratch_load_b128 v[124:127], off, off offset:120
	scratch_load_b128 v[128:131], off, off offset:136
	scratch_load_b128 v[132:135], off, off offset:152
	scratch_load_b128 v[136:139], off, off offset:168
	scratch_load_b128 v[140:143], off, off offset:184
	scratch_load_b128 v[144:147], off, off offset:200
	scratch_load_b128 v[148:151], off, off offset:216
	scratch_load_b64 v[152:153], off, off offset:232
	v_mov_b32_e32 v2, 0
	ds_load_2addr_b32 v[154:155], v2 offset0:91 offset1:92
	ds_load_2addr_b32 v[156:157], v2 offset0:93 offset1:94
	;; [unrolled: 1-line block ×4, first 2 shown]
	s_mov_b32 s0, exec_lo
	s_waitcnt vmcnt(7) lgkmcnt(3)
	v_fma_f32 v3, v125, v154, 0
	s_delay_alu instid0(VALU_DEP_1) | instskip(SKIP_4) | instid1(VALU_DEP_1)
	v_fmac_f32_e32 v3, v126, v155
	ds_load_2addr_b32 v[125:126], v2 offset0:99 offset1:100
	s_waitcnt lgkmcnt(3)
	v_fmac_f32_e32 v3, v127, v156
	s_waitcnt vmcnt(6)
	v_fmac_f32_e32 v3, v128, v157
	ds_load_2addr_b32 v[127:128], v2 offset0:101 offset1:102
	s_waitcnt lgkmcnt(3)
	v_fmac_f32_e32 v3, v129, v158
	s_delay_alu instid0(VALU_DEP_1) | instskip(SKIP_1) | instid1(VALU_DEP_1)
	v_fmac_f32_e32 v3, v130, v159
	s_waitcnt lgkmcnt(2)
	v_fmac_f32_e32 v3, v131, v160
	s_waitcnt vmcnt(5)
	s_delay_alu instid0(VALU_DEP_1) | instskip(SKIP_4) | instid1(VALU_DEP_1)
	v_fmac_f32_e32 v3, v132, v161
	ds_load_2addr_b32 v[129:130], v2 offset0:103 offset1:104
	ds_load_2addr_b32 v[131:132], v2 offset0:105 offset1:106
	s_waitcnt lgkmcnt(3)
	v_fmac_f32_e32 v3, v133, v125
	v_fmac_f32_e32 v3, v134, v126
	ds_load_2addr_b32 v[125:126], v2 offset0:107 offset1:108
	s_waitcnt lgkmcnt(3)
	v_fmac_f32_e32 v3, v135, v127
	s_waitcnt vmcnt(4)
	s_delay_alu instid0(VALU_DEP_1) | instskip(SKIP_3) | instid1(VALU_DEP_1)
	v_fmac_f32_e32 v3, v136, v128
	ds_load_2addr_b32 v[127:128], v2 offset0:109 offset1:110
	s_waitcnt lgkmcnt(3)
	v_fmac_f32_e32 v3, v137, v129
	v_fmac_f32_e32 v3, v138, v130
	s_waitcnt lgkmcnt(2)
	s_delay_alu instid0(VALU_DEP_1) | instskip(SKIP_1) | instid1(VALU_DEP_1)
	v_fmac_f32_e32 v3, v139, v131
	s_waitcnt vmcnt(3)
	v_fmac_f32_e32 v3, v140, v132
	ds_load_2addr_b32 v[129:130], v2 offset0:111 offset1:112
	ds_load_2addr_b32 v[131:132], v2 offset0:113 offset1:114
	s_waitcnt lgkmcnt(3)
	v_fmac_f32_e32 v3, v141, v125
	s_delay_alu instid0(VALU_DEP_1) | instskip(SKIP_4) | instid1(VALU_DEP_1)
	v_fmac_f32_e32 v3, v142, v126
	ds_load_2addr_b32 v[125:126], v2 offset0:115 offset1:116
	s_waitcnt lgkmcnt(3)
	v_fmac_f32_e32 v3, v143, v127
	s_waitcnt vmcnt(2)
	v_fmac_f32_e32 v3, v144, v128
	ds_load_2addr_b32 v[127:128], v2 offset0:117 offset1:118
	s_waitcnt lgkmcnt(3)
	v_fmac_f32_e32 v3, v145, v129
	ds_load_b32 v129, v2 offset:476
	v_fmac_f32_e32 v3, v146, v130
	s_waitcnt lgkmcnt(3)
	s_delay_alu instid0(VALU_DEP_1) | instskip(SKIP_1) | instid1(VALU_DEP_1)
	v_fmac_f32_e32 v3, v147, v131
	s_waitcnt vmcnt(1)
	v_fmac_f32_e32 v3, v148, v132
	s_waitcnt lgkmcnt(2)
	s_delay_alu instid0(VALU_DEP_1) | instskip(NEXT) | instid1(VALU_DEP_1)
	v_fmac_f32_e32 v3, v149, v125
	v_fmac_f32_e32 v3, v150, v126
	s_waitcnt lgkmcnt(1)
	s_delay_alu instid0(VALU_DEP_1) | instskip(SKIP_1) | instid1(VALU_DEP_1)
	v_fmac_f32_e32 v3, v151, v127
	s_waitcnt vmcnt(0)
	v_fmac_f32_e32 v3, v152, v128
	s_waitcnt lgkmcnt(0)
	s_delay_alu instid0(VALU_DEP_1) | instskip(NEXT) | instid1(VALU_DEP_1)
	v_fmac_f32_e32 v3, v153, v129
	v_sub_f32_e32 v3, v124, v3
	scratch_store_b32 off, v3, off offset:120
	v_cmpx_lt_u32_e32 29, v0
	s_cbranch_execz .LBB123_309
; %bb.308:
	scratch_load_b32 v3, off, off offset:116
	scratch_store_b32 off, v2, off offset:116
	s_waitcnt vmcnt(0)
	ds_store_b32 v1, v3
.LBB123_309:
	s_or_b32 exec_lo, exec_lo, s0
	s_waitcnt lgkmcnt(0)
	s_waitcnt_vscnt null, 0x0
	s_barrier
	buffer_gl0_inv
	s_clause 0x7
	scratch_load_b128 v[124:127], off, off offset:116
	scratch_load_b128 v[128:131], off, off offset:132
	scratch_load_b128 v[132:135], off, off offset:148
	scratch_load_b128 v[136:139], off, off offset:164
	scratch_load_b128 v[140:143], off, off offset:180
	scratch_load_b128 v[144:147], off, off offset:196
	scratch_load_b128 v[148:151], off, off offset:212
	scratch_load_b96 v[160:162], off, off offset:228
	ds_load_2addr_b64 v[152:155], v2 offset0:45 offset1:46
	ds_load_2addr_b64 v[156:159], v2 offset0:47 offset1:48
	s_mov_b32 s0, exec_lo
	s_waitcnt vmcnt(7) lgkmcnt(1)
	v_fma_f32 v152, v125, v152, 0
	s_delay_alu instid0(VALU_DEP_1) | instskip(NEXT) | instid1(VALU_DEP_1)
	v_fmac_f32_e32 v152, v126, v153
	v_fmac_f32_e32 v152, v127, v154
	s_waitcnt vmcnt(6)
	s_delay_alu instid0(VALU_DEP_1) | instskip(SKIP_3) | instid1(VALU_DEP_1)
	v_fmac_f32_e32 v152, v128, v155
	ds_load_2addr_b64 v[125:128], v2 offset0:49 offset1:50
	s_waitcnt lgkmcnt(1)
	v_fmac_f32_e32 v152, v129, v156
	v_fmac_f32_e32 v152, v130, v157
	s_delay_alu instid0(VALU_DEP_1) | instskip(SKIP_1) | instid1(VALU_DEP_1)
	v_fmac_f32_e32 v152, v131, v158
	s_waitcnt vmcnt(5)
	v_fmac_f32_e32 v152, v132, v159
	ds_load_2addr_b64 v[129:132], v2 offset0:51 offset1:52
	s_waitcnt lgkmcnt(1)
	v_fmac_f32_e32 v152, v133, v125
	s_delay_alu instid0(VALU_DEP_1) | instskip(NEXT) | instid1(VALU_DEP_1)
	v_fmac_f32_e32 v152, v134, v126
	v_fmac_f32_e32 v152, v135, v127
	s_waitcnt vmcnt(4)
	s_delay_alu instid0(VALU_DEP_1) | instskip(SKIP_3) | instid1(VALU_DEP_1)
	v_fmac_f32_e32 v152, v136, v128
	ds_load_2addr_b64 v[125:128], v2 offset0:53 offset1:54
	s_waitcnt lgkmcnt(1)
	v_fmac_f32_e32 v152, v137, v129
	v_fmac_f32_e32 v152, v138, v130
	s_delay_alu instid0(VALU_DEP_1) | instskip(SKIP_1) | instid1(VALU_DEP_1)
	v_fmac_f32_e32 v152, v139, v131
	s_waitcnt vmcnt(3)
	v_fmac_f32_e32 v152, v140, v132
	ds_load_2addr_b64 v[129:132], v2 offset0:55 offset1:56
	s_waitcnt lgkmcnt(1)
	v_fmac_f32_e32 v152, v141, v125
	s_delay_alu instid0(VALU_DEP_1) | instskip(NEXT) | instid1(VALU_DEP_1)
	v_fmac_f32_e32 v152, v142, v126
	v_fmac_f32_e32 v152, v143, v127
	s_waitcnt vmcnt(2)
	s_delay_alu instid0(VALU_DEP_1) | instskip(SKIP_4) | instid1(VALU_DEP_1)
	v_fmac_f32_e32 v152, v144, v128
	ds_load_2addr_b64 v[125:128], v2 offset0:57 offset1:58
	ds_load_b64 v[2:3], v2 offset:472
	s_waitcnt lgkmcnt(2)
	v_fmac_f32_e32 v152, v145, v129
	v_fmac_f32_e32 v152, v146, v130
	s_delay_alu instid0(VALU_DEP_1) | instskip(SKIP_1) | instid1(VALU_DEP_1)
	v_fmac_f32_e32 v152, v147, v131
	s_waitcnt vmcnt(1)
	v_fmac_f32_e32 v152, v148, v132
	s_waitcnt lgkmcnt(1)
	s_delay_alu instid0(VALU_DEP_1) | instskip(NEXT) | instid1(VALU_DEP_1)
	v_fmac_f32_e32 v152, v149, v125
	v_fmac_f32_e32 v152, v150, v126
	s_delay_alu instid0(VALU_DEP_1) | instskip(SKIP_1) | instid1(VALU_DEP_1)
	v_fmac_f32_e32 v152, v151, v127
	s_waitcnt vmcnt(0)
	v_fmac_f32_e32 v152, v160, v128
	s_waitcnt lgkmcnt(0)
	s_delay_alu instid0(VALU_DEP_1) | instskip(NEXT) | instid1(VALU_DEP_1)
	v_fmac_f32_e32 v152, v161, v2
	v_fmac_f32_e32 v152, v162, v3
	s_delay_alu instid0(VALU_DEP_1)
	v_sub_f32_e32 v2, v124, v152
	scratch_store_b32 off, v2, off offset:116
	v_cmpx_lt_u32_e32 28, v0
	s_cbranch_execz .LBB123_311
; %bb.310:
	scratch_load_b32 v2, off, off offset:112
	v_mov_b32_e32 v3, 0
	scratch_store_b32 off, v3, off offset:112
	s_waitcnt vmcnt(0)
	ds_store_b32 v1, v2
.LBB123_311:
	s_or_b32 exec_lo, exec_lo, s0
	s_waitcnt lgkmcnt(0)
	s_waitcnt_vscnt null, 0x0
	s_barrier
	buffer_gl0_inv
	s_clause 0x7
	scratch_load_b128 v[124:127], off, off offset:112
	scratch_load_b128 v[128:131], off, off offset:128
	;; [unrolled: 1-line block ×8, first 2 shown]
	v_mov_b32_e32 v2, 0
	ds_load_2addr_b32 v[156:157], v2 offset0:89 offset1:90
	ds_load_2addr_b32 v[158:159], v2 offset0:91 offset1:92
	;; [unrolled: 1-line block ×4, first 2 shown]
	s_mov_b32 s0, exec_lo
	s_waitcnt vmcnt(7) lgkmcnt(3)
	v_fma_f32 v3, v125, v156, 0
	s_delay_alu instid0(VALU_DEP_1) | instskip(SKIP_4) | instid1(VALU_DEP_1)
	v_fmac_f32_e32 v3, v126, v157
	ds_load_2addr_b32 v[125:126], v2 offset0:97 offset1:98
	s_waitcnt lgkmcnt(3)
	v_fmac_f32_e32 v3, v127, v158
	s_waitcnt vmcnt(6)
	v_fmac_f32_e32 v3, v128, v159
	ds_load_2addr_b32 v[127:128], v2 offset0:99 offset1:100
	s_waitcnt lgkmcnt(3)
	v_fmac_f32_e32 v3, v129, v160
	s_delay_alu instid0(VALU_DEP_1) | instskip(SKIP_1) | instid1(VALU_DEP_1)
	v_fmac_f32_e32 v3, v130, v161
	s_waitcnt lgkmcnt(2)
	v_fmac_f32_e32 v3, v131, v162
	s_waitcnt vmcnt(5)
	s_delay_alu instid0(VALU_DEP_1) | instskip(SKIP_4) | instid1(VALU_DEP_1)
	v_fmac_f32_e32 v3, v132, v163
	ds_load_2addr_b32 v[129:130], v2 offset0:101 offset1:102
	ds_load_2addr_b32 v[131:132], v2 offset0:103 offset1:104
	s_waitcnt lgkmcnt(3)
	v_fmac_f32_e32 v3, v133, v125
	v_fmac_f32_e32 v3, v134, v126
	ds_load_2addr_b32 v[125:126], v2 offset0:105 offset1:106
	s_waitcnt lgkmcnt(3)
	v_fmac_f32_e32 v3, v135, v127
	s_waitcnt vmcnt(4)
	s_delay_alu instid0(VALU_DEP_1) | instskip(SKIP_3) | instid1(VALU_DEP_1)
	v_fmac_f32_e32 v3, v136, v128
	ds_load_2addr_b32 v[127:128], v2 offset0:107 offset1:108
	s_waitcnt lgkmcnt(3)
	v_fmac_f32_e32 v3, v137, v129
	v_fmac_f32_e32 v3, v138, v130
	s_waitcnt lgkmcnt(2)
	s_delay_alu instid0(VALU_DEP_1) | instskip(SKIP_1) | instid1(VALU_DEP_1)
	v_fmac_f32_e32 v3, v139, v131
	s_waitcnt vmcnt(3)
	v_fmac_f32_e32 v3, v140, v132
	ds_load_2addr_b32 v[129:130], v2 offset0:109 offset1:110
	ds_load_2addr_b32 v[131:132], v2 offset0:111 offset1:112
	s_waitcnt lgkmcnt(3)
	v_fmac_f32_e32 v3, v141, v125
	s_delay_alu instid0(VALU_DEP_1) | instskip(SKIP_4) | instid1(VALU_DEP_1)
	v_fmac_f32_e32 v3, v142, v126
	ds_load_2addr_b32 v[125:126], v2 offset0:113 offset1:114
	s_waitcnt lgkmcnt(3)
	v_fmac_f32_e32 v3, v143, v127
	s_waitcnt vmcnt(2)
	v_fmac_f32_e32 v3, v144, v128
	ds_load_2addr_b32 v[127:128], v2 offset0:115 offset1:116
	s_waitcnt lgkmcnt(3)
	v_fmac_f32_e32 v3, v145, v129
	s_delay_alu instid0(VALU_DEP_1) | instskip(SKIP_1) | instid1(VALU_DEP_1)
	v_fmac_f32_e32 v3, v146, v130
	s_waitcnt lgkmcnt(2)
	v_fmac_f32_e32 v3, v147, v131
	ds_load_2addr_b32 v[129:130], v2 offset0:117 offset1:118
	ds_load_b32 v131, v2 offset:476
	s_waitcnt vmcnt(1)
	v_fmac_f32_e32 v3, v148, v132
	s_waitcnt lgkmcnt(3)
	s_delay_alu instid0(VALU_DEP_1) | instskip(NEXT) | instid1(VALU_DEP_1)
	v_fmac_f32_e32 v3, v149, v125
	v_fmac_f32_e32 v3, v150, v126
	s_waitcnt lgkmcnt(2)
	s_delay_alu instid0(VALU_DEP_1) | instskip(SKIP_1) | instid1(VALU_DEP_1)
	v_fmac_f32_e32 v3, v151, v127
	s_waitcnt vmcnt(0)
	v_fmac_f32_e32 v3, v152, v128
	s_waitcnt lgkmcnt(1)
	s_delay_alu instid0(VALU_DEP_1) | instskip(NEXT) | instid1(VALU_DEP_1)
	v_fmac_f32_e32 v3, v153, v129
	v_fmac_f32_e32 v3, v154, v130
	s_waitcnt lgkmcnt(0)
	s_delay_alu instid0(VALU_DEP_1) | instskip(NEXT) | instid1(VALU_DEP_1)
	v_fmac_f32_e32 v3, v155, v131
	v_sub_f32_e32 v3, v124, v3
	scratch_store_b32 off, v3, off offset:112
	v_cmpx_lt_u32_e32 27, v0
	s_cbranch_execz .LBB123_313
; %bb.312:
	scratch_load_b32 v3, off, off offset:108
	scratch_store_b32 off, v2, off offset:108
	s_waitcnt vmcnt(0)
	ds_store_b32 v1, v3
.LBB123_313:
	s_or_b32 exec_lo, exec_lo, s0
	s_waitcnt lgkmcnt(0)
	s_waitcnt_vscnt null, 0x0
	s_barrier
	buffer_gl0_inv
	s_clause 0x8
	scratch_load_b128 v[124:127], off, off offset:108
	scratch_load_b128 v[128:131], off, off offset:124
	;; [unrolled: 1-line block ×8, first 2 shown]
	scratch_load_b32 v3, off, off offset:236
	ds_load_b128 v[156:159], v2 offset:352
	ds_load_b128 v[160:163], v2 offset:368
	s_mov_b32 s0, exec_lo
	s_waitcnt vmcnt(8) lgkmcnt(1)
	v_fma_f32 v156, v125, v156, 0
	s_delay_alu instid0(VALU_DEP_1) | instskip(NEXT) | instid1(VALU_DEP_1)
	v_fmac_f32_e32 v156, v126, v157
	v_fmac_f32_e32 v156, v127, v158
	s_waitcnt vmcnt(7)
	s_delay_alu instid0(VALU_DEP_1) | instskip(SKIP_3) | instid1(VALU_DEP_1)
	v_fmac_f32_e32 v156, v128, v159
	ds_load_b128 v[125:128], v2 offset:384
	s_waitcnt lgkmcnt(1)
	v_fmac_f32_e32 v156, v129, v160
	v_fmac_f32_e32 v156, v130, v161
	s_delay_alu instid0(VALU_DEP_1) | instskip(SKIP_1) | instid1(VALU_DEP_1)
	v_fmac_f32_e32 v156, v131, v162
	s_waitcnt vmcnt(6)
	v_fmac_f32_e32 v156, v132, v163
	ds_load_b128 v[129:132], v2 offset:400
	s_waitcnt lgkmcnt(1)
	v_fmac_f32_e32 v156, v133, v125
	s_delay_alu instid0(VALU_DEP_1) | instskip(NEXT) | instid1(VALU_DEP_1)
	v_fmac_f32_e32 v156, v134, v126
	v_fmac_f32_e32 v156, v135, v127
	s_waitcnt vmcnt(5)
	s_delay_alu instid0(VALU_DEP_1) | instskip(SKIP_3) | instid1(VALU_DEP_1)
	v_fmac_f32_e32 v156, v136, v128
	ds_load_b128 v[125:128], v2 offset:416
	s_waitcnt lgkmcnt(1)
	v_fmac_f32_e32 v156, v137, v129
	v_fmac_f32_e32 v156, v138, v130
	s_delay_alu instid0(VALU_DEP_1) | instskip(SKIP_1) | instid1(VALU_DEP_1)
	v_fmac_f32_e32 v156, v139, v131
	s_waitcnt vmcnt(4)
	v_fmac_f32_e32 v156, v140, v132
	ds_load_b128 v[129:132], v2 offset:432
	s_waitcnt lgkmcnt(1)
	v_fmac_f32_e32 v156, v141, v125
	;; [unrolled: 17-line block ×3, first 2 shown]
	s_delay_alu instid0(VALU_DEP_1) | instskip(NEXT) | instid1(VALU_DEP_1)
	v_fmac_f32_e32 v156, v150, v126
	v_fmac_f32_e32 v156, v151, v127
	s_waitcnt vmcnt(1)
	s_delay_alu instid0(VALU_DEP_1) | instskip(SKIP_1) | instid1(VALU_DEP_1)
	v_fmac_f32_e32 v156, v152, v128
	s_waitcnt lgkmcnt(0)
	v_fmac_f32_e32 v156, v153, v129
	s_delay_alu instid0(VALU_DEP_1) | instskip(NEXT) | instid1(VALU_DEP_1)
	v_fmac_f32_e32 v156, v154, v130
	v_fmac_f32_e32 v156, v155, v131
	s_waitcnt vmcnt(0)
	s_delay_alu instid0(VALU_DEP_1) | instskip(NEXT) | instid1(VALU_DEP_1)
	v_fmac_f32_e32 v156, v3, v132
	v_sub_f32_e32 v2, v124, v156
	scratch_store_b32 off, v2, off offset:108
	v_cmpx_lt_u32_e32 26, v0
	s_cbranch_execz .LBB123_315
; %bb.314:
	scratch_load_b32 v2, off, off offset:104
	v_mov_b32_e32 v3, 0
	scratch_store_b32 off, v3, off offset:104
	s_waitcnt vmcnt(0)
	ds_store_b32 v1, v2
.LBB123_315:
	s_or_b32 exec_lo, exec_lo, s0
	s_waitcnt lgkmcnt(0)
	s_waitcnt_vscnt null, 0x0
	s_barrier
	buffer_gl0_inv
	s_clause 0x8
	scratch_load_b128 v[124:127], off, off offset:104
	scratch_load_b128 v[128:131], off, off offset:120
	;; [unrolled: 1-line block ×8, first 2 shown]
	scratch_load_b64 v[156:157], off, off offset:232
	v_mov_b32_e32 v2, 0
	ds_load_2addr_b32 v[158:159], v2 offset0:87 offset1:88
	ds_load_2addr_b32 v[160:161], v2 offset0:89 offset1:90
	;; [unrolled: 1-line block ×4, first 2 shown]
	s_mov_b32 s0, exec_lo
	s_waitcnt vmcnt(8) lgkmcnt(3)
	v_fma_f32 v3, v125, v158, 0
	s_delay_alu instid0(VALU_DEP_1) | instskip(SKIP_4) | instid1(VALU_DEP_1)
	v_fmac_f32_e32 v3, v126, v159
	ds_load_2addr_b32 v[125:126], v2 offset0:95 offset1:96
	s_waitcnt lgkmcnt(3)
	v_fmac_f32_e32 v3, v127, v160
	s_waitcnt vmcnt(7)
	v_fmac_f32_e32 v3, v128, v161
	ds_load_2addr_b32 v[127:128], v2 offset0:97 offset1:98
	s_waitcnt lgkmcnt(3)
	v_fmac_f32_e32 v3, v129, v162
	s_delay_alu instid0(VALU_DEP_1) | instskip(SKIP_1) | instid1(VALU_DEP_1)
	v_fmac_f32_e32 v3, v130, v163
	s_waitcnt lgkmcnt(2)
	v_fmac_f32_e32 v3, v131, v164
	s_waitcnt vmcnt(6)
	s_delay_alu instid0(VALU_DEP_1) | instskip(SKIP_4) | instid1(VALU_DEP_1)
	v_fmac_f32_e32 v3, v132, v165
	ds_load_2addr_b32 v[129:130], v2 offset0:99 offset1:100
	ds_load_2addr_b32 v[131:132], v2 offset0:101 offset1:102
	s_waitcnt lgkmcnt(3)
	v_fmac_f32_e32 v3, v133, v125
	v_fmac_f32_e32 v3, v134, v126
	ds_load_2addr_b32 v[125:126], v2 offset0:103 offset1:104
	s_waitcnt lgkmcnt(3)
	v_fmac_f32_e32 v3, v135, v127
	s_waitcnt vmcnt(5)
	s_delay_alu instid0(VALU_DEP_1) | instskip(SKIP_3) | instid1(VALU_DEP_1)
	v_fmac_f32_e32 v3, v136, v128
	ds_load_2addr_b32 v[127:128], v2 offset0:105 offset1:106
	s_waitcnt lgkmcnt(3)
	v_fmac_f32_e32 v3, v137, v129
	v_fmac_f32_e32 v3, v138, v130
	s_waitcnt lgkmcnt(2)
	s_delay_alu instid0(VALU_DEP_1) | instskip(SKIP_1) | instid1(VALU_DEP_1)
	v_fmac_f32_e32 v3, v139, v131
	s_waitcnt vmcnt(4)
	v_fmac_f32_e32 v3, v140, v132
	ds_load_2addr_b32 v[129:130], v2 offset0:107 offset1:108
	ds_load_2addr_b32 v[131:132], v2 offset0:109 offset1:110
	s_waitcnt lgkmcnt(3)
	v_fmac_f32_e32 v3, v141, v125
	s_delay_alu instid0(VALU_DEP_1) | instskip(SKIP_4) | instid1(VALU_DEP_1)
	v_fmac_f32_e32 v3, v142, v126
	ds_load_2addr_b32 v[125:126], v2 offset0:111 offset1:112
	s_waitcnt lgkmcnt(3)
	v_fmac_f32_e32 v3, v143, v127
	s_waitcnt vmcnt(3)
	v_fmac_f32_e32 v3, v144, v128
	ds_load_2addr_b32 v[127:128], v2 offset0:113 offset1:114
	s_waitcnt lgkmcnt(3)
	v_fmac_f32_e32 v3, v145, v129
	s_delay_alu instid0(VALU_DEP_1) | instskip(SKIP_1) | instid1(VALU_DEP_1)
	v_fmac_f32_e32 v3, v146, v130
	s_waitcnt lgkmcnt(2)
	v_fmac_f32_e32 v3, v147, v131
	s_waitcnt vmcnt(2)
	s_delay_alu instid0(VALU_DEP_1)
	v_fmac_f32_e32 v3, v148, v132
	ds_load_2addr_b32 v[129:130], v2 offset0:115 offset1:116
	ds_load_2addr_b32 v[131:132], v2 offset0:117 offset1:118
	s_waitcnt lgkmcnt(3)
	v_fmac_f32_e32 v3, v149, v125
	ds_load_b32 v125, v2 offset:476
	v_fmac_f32_e32 v3, v150, v126
	s_waitcnt lgkmcnt(3)
	s_delay_alu instid0(VALU_DEP_1) | instskip(SKIP_1) | instid1(VALU_DEP_1)
	v_fmac_f32_e32 v3, v151, v127
	s_waitcnt vmcnt(1)
	v_fmac_f32_e32 v3, v152, v128
	s_waitcnt lgkmcnt(2)
	s_delay_alu instid0(VALU_DEP_1) | instskip(NEXT) | instid1(VALU_DEP_1)
	v_fmac_f32_e32 v3, v153, v129
	v_fmac_f32_e32 v3, v154, v130
	s_waitcnt lgkmcnt(1)
	s_delay_alu instid0(VALU_DEP_1) | instskip(SKIP_1) | instid1(VALU_DEP_1)
	v_fmac_f32_e32 v3, v155, v131
	s_waitcnt vmcnt(0)
	v_fmac_f32_e32 v3, v156, v132
	s_waitcnt lgkmcnt(0)
	s_delay_alu instid0(VALU_DEP_1) | instskip(NEXT) | instid1(VALU_DEP_1)
	v_fmac_f32_e32 v3, v157, v125
	v_sub_f32_e32 v3, v124, v3
	scratch_store_b32 off, v3, off offset:104
	v_cmpx_lt_u32_e32 25, v0
	s_cbranch_execz .LBB123_317
; %bb.316:
	scratch_load_b32 v3, off, off offset:100
	scratch_store_b32 off, v2, off offset:100
	s_waitcnt vmcnt(0)
	ds_store_b32 v1, v3
.LBB123_317:
	s_or_b32 exec_lo, exec_lo, s0
	s_waitcnt lgkmcnt(0)
	s_waitcnt_vscnt null, 0x0
	s_barrier
	buffer_gl0_inv
	s_clause 0x8
	scratch_load_b128 v[124:127], off, off offset:100
	scratch_load_b128 v[128:131], off, off offset:116
	;; [unrolled: 1-line block ×8, first 2 shown]
	scratch_load_b96 v[164:166], off, off offset:228
	ds_load_2addr_b64 v[156:159], v2 offset0:43 offset1:44
	ds_load_2addr_b64 v[160:163], v2 offset0:45 offset1:46
	s_mov_b32 s0, exec_lo
	s_waitcnt vmcnt(8) lgkmcnt(1)
	v_fma_f32 v156, v125, v156, 0
	s_delay_alu instid0(VALU_DEP_1) | instskip(NEXT) | instid1(VALU_DEP_1)
	v_fmac_f32_e32 v156, v126, v157
	v_fmac_f32_e32 v156, v127, v158
	s_waitcnt vmcnt(7)
	s_delay_alu instid0(VALU_DEP_1) | instskip(SKIP_3) | instid1(VALU_DEP_1)
	v_fmac_f32_e32 v156, v128, v159
	ds_load_2addr_b64 v[125:128], v2 offset0:47 offset1:48
	s_waitcnt lgkmcnt(1)
	v_fmac_f32_e32 v156, v129, v160
	v_fmac_f32_e32 v156, v130, v161
	s_delay_alu instid0(VALU_DEP_1) | instskip(SKIP_1) | instid1(VALU_DEP_1)
	v_fmac_f32_e32 v156, v131, v162
	s_waitcnt vmcnt(6)
	v_fmac_f32_e32 v156, v132, v163
	ds_load_2addr_b64 v[129:132], v2 offset0:49 offset1:50
	s_waitcnt lgkmcnt(1)
	v_fmac_f32_e32 v156, v133, v125
	s_delay_alu instid0(VALU_DEP_1) | instskip(NEXT) | instid1(VALU_DEP_1)
	v_fmac_f32_e32 v156, v134, v126
	v_fmac_f32_e32 v156, v135, v127
	s_waitcnt vmcnt(5)
	s_delay_alu instid0(VALU_DEP_1) | instskip(SKIP_3) | instid1(VALU_DEP_1)
	v_fmac_f32_e32 v156, v136, v128
	ds_load_2addr_b64 v[125:128], v2 offset0:51 offset1:52
	s_waitcnt lgkmcnt(1)
	v_fmac_f32_e32 v156, v137, v129
	v_fmac_f32_e32 v156, v138, v130
	s_delay_alu instid0(VALU_DEP_1) | instskip(SKIP_1) | instid1(VALU_DEP_1)
	v_fmac_f32_e32 v156, v139, v131
	s_waitcnt vmcnt(4)
	v_fmac_f32_e32 v156, v140, v132
	ds_load_2addr_b64 v[129:132], v2 offset0:53 offset1:54
	s_waitcnt lgkmcnt(1)
	v_fmac_f32_e32 v156, v141, v125
	s_delay_alu instid0(VALU_DEP_1) | instskip(NEXT) | instid1(VALU_DEP_1)
	v_fmac_f32_e32 v156, v142, v126
	v_fmac_f32_e32 v156, v143, v127
	s_waitcnt vmcnt(3)
	s_delay_alu instid0(VALU_DEP_1) | instskip(SKIP_3) | instid1(VALU_DEP_1)
	v_fmac_f32_e32 v156, v144, v128
	ds_load_2addr_b64 v[125:128], v2 offset0:55 offset1:56
	s_waitcnt lgkmcnt(1)
	v_fmac_f32_e32 v156, v145, v129
	v_fmac_f32_e32 v156, v146, v130
	s_delay_alu instid0(VALU_DEP_1) | instskip(SKIP_1) | instid1(VALU_DEP_1)
	v_fmac_f32_e32 v156, v147, v131
	s_waitcnt vmcnt(2)
	v_fmac_f32_e32 v156, v148, v132
	ds_load_2addr_b64 v[129:132], v2 offset0:57 offset1:58
	ds_load_b64 v[2:3], v2 offset:472
	s_waitcnt lgkmcnt(2)
	v_fmac_f32_e32 v156, v149, v125
	s_delay_alu instid0(VALU_DEP_1) | instskip(NEXT) | instid1(VALU_DEP_1)
	v_fmac_f32_e32 v156, v150, v126
	v_fmac_f32_e32 v156, v151, v127
	s_waitcnt vmcnt(1)
	s_delay_alu instid0(VALU_DEP_1) | instskip(SKIP_1) | instid1(VALU_DEP_1)
	v_fmac_f32_e32 v156, v152, v128
	s_waitcnt lgkmcnt(1)
	v_fmac_f32_e32 v156, v153, v129
	s_delay_alu instid0(VALU_DEP_1) | instskip(NEXT) | instid1(VALU_DEP_1)
	v_fmac_f32_e32 v156, v154, v130
	v_fmac_f32_e32 v156, v155, v131
	s_waitcnt vmcnt(0)
	s_delay_alu instid0(VALU_DEP_1) | instskip(SKIP_1) | instid1(VALU_DEP_1)
	v_fmac_f32_e32 v156, v164, v132
	s_waitcnt lgkmcnt(0)
	v_fmac_f32_e32 v156, v165, v2
	s_delay_alu instid0(VALU_DEP_1) | instskip(NEXT) | instid1(VALU_DEP_1)
	v_fmac_f32_e32 v156, v166, v3
	v_sub_f32_e32 v2, v124, v156
	scratch_store_b32 off, v2, off offset:100
	v_cmpx_lt_u32_e32 24, v0
	s_cbranch_execz .LBB123_319
; %bb.318:
	scratch_load_b32 v2, off, off offset:96
	v_mov_b32_e32 v3, 0
	scratch_store_b32 off, v3, off offset:96
	s_waitcnt vmcnt(0)
	ds_store_b32 v1, v2
.LBB123_319:
	s_or_b32 exec_lo, exec_lo, s0
	s_waitcnt lgkmcnt(0)
	s_waitcnt_vscnt null, 0x0
	s_barrier
	buffer_gl0_inv
	s_clause 0x8
	scratch_load_b128 v[124:127], off, off offset:96
	scratch_load_b128 v[128:131], off, off offset:112
	;; [unrolled: 1-line block ×9, first 2 shown]
	v_mov_b32_e32 v2, 0
	ds_load_2addr_b32 v[160:161], v2 offset0:85 offset1:86
	ds_load_2addr_b32 v[162:163], v2 offset0:87 offset1:88
	;; [unrolled: 1-line block ×4, first 2 shown]
	s_mov_b32 s0, exec_lo
	s_waitcnt vmcnt(8) lgkmcnt(3)
	v_fma_f32 v3, v125, v160, 0
	s_delay_alu instid0(VALU_DEP_1) | instskip(SKIP_4) | instid1(VALU_DEP_1)
	v_fmac_f32_e32 v3, v126, v161
	ds_load_2addr_b32 v[125:126], v2 offset0:93 offset1:94
	s_waitcnt lgkmcnt(3)
	v_fmac_f32_e32 v3, v127, v162
	s_waitcnt vmcnt(7)
	v_fmac_f32_e32 v3, v128, v163
	ds_load_2addr_b32 v[127:128], v2 offset0:95 offset1:96
	s_waitcnt lgkmcnt(3)
	v_fmac_f32_e32 v3, v129, v164
	s_delay_alu instid0(VALU_DEP_1) | instskip(SKIP_1) | instid1(VALU_DEP_1)
	v_fmac_f32_e32 v3, v130, v165
	s_waitcnt lgkmcnt(2)
	v_fmac_f32_e32 v3, v131, v166
	s_waitcnt vmcnt(6)
	s_delay_alu instid0(VALU_DEP_1) | instskip(SKIP_4) | instid1(VALU_DEP_1)
	v_fmac_f32_e32 v3, v132, v167
	ds_load_2addr_b32 v[129:130], v2 offset0:97 offset1:98
	ds_load_2addr_b32 v[131:132], v2 offset0:99 offset1:100
	s_waitcnt lgkmcnt(3)
	v_fmac_f32_e32 v3, v133, v125
	v_fmac_f32_e32 v3, v134, v126
	ds_load_2addr_b32 v[125:126], v2 offset0:101 offset1:102
	s_waitcnt lgkmcnt(3)
	v_fmac_f32_e32 v3, v135, v127
	s_waitcnt vmcnt(5)
	s_delay_alu instid0(VALU_DEP_1) | instskip(SKIP_3) | instid1(VALU_DEP_1)
	v_fmac_f32_e32 v3, v136, v128
	ds_load_2addr_b32 v[127:128], v2 offset0:103 offset1:104
	s_waitcnt lgkmcnt(3)
	v_fmac_f32_e32 v3, v137, v129
	v_fmac_f32_e32 v3, v138, v130
	s_waitcnt lgkmcnt(2)
	s_delay_alu instid0(VALU_DEP_1) | instskip(SKIP_1) | instid1(VALU_DEP_1)
	v_fmac_f32_e32 v3, v139, v131
	s_waitcnt vmcnt(4)
	v_fmac_f32_e32 v3, v140, v132
	ds_load_2addr_b32 v[129:130], v2 offset0:105 offset1:106
	ds_load_2addr_b32 v[131:132], v2 offset0:107 offset1:108
	s_waitcnt lgkmcnt(3)
	v_fmac_f32_e32 v3, v141, v125
	s_delay_alu instid0(VALU_DEP_1) | instskip(SKIP_4) | instid1(VALU_DEP_1)
	v_fmac_f32_e32 v3, v142, v126
	ds_load_2addr_b32 v[125:126], v2 offset0:109 offset1:110
	s_waitcnt lgkmcnt(3)
	v_fmac_f32_e32 v3, v143, v127
	s_waitcnt vmcnt(3)
	v_fmac_f32_e32 v3, v144, v128
	ds_load_2addr_b32 v[127:128], v2 offset0:111 offset1:112
	s_waitcnt lgkmcnt(3)
	v_fmac_f32_e32 v3, v145, v129
	s_delay_alu instid0(VALU_DEP_1) | instskip(SKIP_1) | instid1(VALU_DEP_1)
	v_fmac_f32_e32 v3, v146, v130
	s_waitcnt lgkmcnt(2)
	v_fmac_f32_e32 v3, v147, v131
	s_waitcnt vmcnt(2)
	s_delay_alu instid0(VALU_DEP_1) | instskip(SKIP_4) | instid1(VALU_DEP_1)
	v_fmac_f32_e32 v3, v148, v132
	ds_load_2addr_b32 v[129:130], v2 offset0:113 offset1:114
	ds_load_2addr_b32 v[131:132], v2 offset0:115 offset1:116
	s_waitcnt lgkmcnt(3)
	v_fmac_f32_e32 v3, v149, v125
	v_fmac_f32_e32 v3, v150, v126
	ds_load_2addr_b32 v[125:126], v2 offset0:117 offset1:118
	s_waitcnt lgkmcnt(3)
	v_fmac_f32_e32 v3, v151, v127
	ds_load_b32 v127, v2 offset:476
	s_waitcnt vmcnt(1)
	v_fmac_f32_e32 v3, v152, v128
	s_waitcnt lgkmcnt(3)
	s_delay_alu instid0(VALU_DEP_1) | instskip(NEXT) | instid1(VALU_DEP_1)
	v_fmac_f32_e32 v3, v153, v129
	v_fmac_f32_e32 v3, v154, v130
	s_waitcnt lgkmcnt(2)
	s_delay_alu instid0(VALU_DEP_1) | instskip(SKIP_1) | instid1(VALU_DEP_1)
	v_fmac_f32_e32 v3, v155, v131
	s_waitcnt vmcnt(0)
	v_fmac_f32_e32 v3, v156, v132
	s_waitcnt lgkmcnt(1)
	s_delay_alu instid0(VALU_DEP_1) | instskip(NEXT) | instid1(VALU_DEP_1)
	v_fmac_f32_e32 v3, v157, v125
	v_fmac_f32_e32 v3, v158, v126
	s_waitcnt lgkmcnt(0)
	s_delay_alu instid0(VALU_DEP_1) | instskip(NEXT) | instid1(VALU_DEP_1)
	v_fmac_f32_e32 v3, v159, v127
	v_sub_f32_e32 v3, v124, v3
	scratch_store_b32 off, v3, off offset:96
	v_cmpx_lt_u32_e32 23, v0
	s_cbranch_execz .LBB123_321
; %bb.320:
	scratch_load_b32 v3, off, off offset:92
	scratch_store_b32 off, v2, off offset:92
	s_waitcnt vmcnt(0)
	ds_store_b32 v1, v3
.LBB123_321:
	s_or_b32 exec_lo, exec_lo, s0
	s_waitcnt lgkmcnt(0)
	s_waitcnt_vscnt null, 0x0
	s_barrier
	buffer_gl0_inv
	s_clause 0x9
	scratch_load_b128 v[124:127], off, off offset:92
	scratch_load_b128 v[128:131], off, off offset:108
	;; [unrolled: 1-line block ×9, first 2 shown]
	scratch_load_b32 v3, off, off offset:236
	ds_load_b128 v[160:163], v2 offset:336
	ds_load_b128 v[164:167], v2 offset:352
	s_mov_b32 s0, exec_lo
	s_waitcnt vmcnt(9) lgkmcnt(1)
	v_fma_f32 v160, v125, v160, 0
	s_delay_alu instid0(VALU_DEP_1) | instskip(NEXT) | instid1(VALU_DEP_1)
	v_fmac_f32_e32 v160, v126, v161
	v_fmac_f32_e32 v160, v127, v162
	s_waitcnt vmcnt(8)
	s_delay_alu instid0(VALU_DEP_1) | instskip(SKIP_3) | instid1(VALU_DEP_1)
	v_fmac_f32_e32 v160, v128, v163
	ds_load_b128 v[125:128], v2 offset:368
	s_waitcnt lgkmcnt(1)
	v_fmac_f32_e32 v160, v129, v164
	v_fmac_f32_e32 v160, v130, v165
	s_delay_alu instid0(VALU_DEP_1) | instskip(SKIP_1) | instid1(VALU_DEP_1)
	v_fmac_f32_e32 v160, v131, v166
	s_waitcnt vmcnt(7)
	v_fmac_f32_e32 v160, v132, v167
	ds_load_b128 v[129:132], v2 offset:384
	s_waitcnt lgkmcnt(1)
	v_fmac_f32_e32 v160, v133, v125
	s_delay_alu instid0(VALU_DEP_1) | instskip(NEXT) | instid1(VALU_DEP_1)
	v_fmac_f32_e32 v160, v134, v126
	v_fmac_f32_e32 v160, v135, v127
	s_waitcnt vmcnt(6)
	s_delay_alu instid0(VALU_DEP_1) | instskip(SKIP_3) | instid1(VALU_DEP_1)
	v_fmac_f32_e32 v160, v136, v128
	ds_load_b128 v[125:128], v2 offset:400
	s_waitcnt lgkmcnt(1)
	v_fmac_f32_e32 v160, v137, v129
	v_fmac_f32_e32 v160, v138, v130
	s_delay_alu instid0(VALU_DEP_1) | instskip(SKIP_1) | instid1(VALU_DEP_1)
	v_fmac_f32_e32 v160, v139, v131
	s_waitcnt vmcnt(5)
	v_fmac_f32_e32 v160, v140, v132
	ds_load_b128 v[129:132], v2 offset:416
	s_waitcnt lgkmcnt(1)
	v_fmac_f32_e32 v160, v141, v125
	;; [unrolled: 17-line block ×3, first 2 shown]
	s_delay_alu instid0(VALU_DEP_1) | instskip(NEXT) | instid1(VALU_DEP_1)
	v_fmac_f32_e32 v160, v150, v126
	v_fmac_f32_e32 v160, v151, v127
	s_waitcnt vmcnt(2)
	s_delay_alu instid0(VALU_DEP_1) | instskip(SKIP_3) | instid1(VALU_DEP_1)
	v_fmac_f32_e32 v160, v152, v128
	ds_load_b128 v[125:128], v2 offset:464
	s_waitcnt lgkmcnt(1)
	v_fmac_f32_e32 v160, v153, v129
	v_fmac_f32_e32 v160, v154, v130
	s_delay_alu instid0(VALU_DEP_1) | instskip(SKIP_1) | instid1(VALU_DEP_1)
	v_fmac_f32_e32 v160, v155, v131
	s_waitcnt vmcnt(1)
	v_fmac_f32_e32 v160, v156, v132
	s_waitcnt lgkmcnt(0)
	s_delay_alu instid0(VALU_DEP_1) | instskip(NEXT) | instid1(VALU_DEP_1)
	v_fmac_f32_e32 v160, v157, v125
	v_fmac_f32_e32 v160, v158, v126
	s_delay_alu instid0(VALU_DEP_1) | instskip(SKIP_1) | instid1(VALU_DEP_1)
	v_fmac_f32_e32 v160, v159, v127
	s_waitcnt vmcnt(0)
	v_fmac_f32_e32 v160, v3, v128
	s_delay_alu instid0(VALU_DEP_1)
	v_sub_f32_e32 v2, v124, v160
	scratch_store_b32 off, v2, off offset:92
	v_cmpx_lt_u32_e32 22, v0
	s_cbranch_execz .LBB123_323
; %bb.322:
	scratch_load_b32 v2, off, off offset:88
	v_mov_b32_e32 v3, 0
	scratch_store_b32 off, v3, off offset:88
	s_waitcnt vmcnt(0)
	ds_store_b32 v1, v2
.LBB123_323:
	s_or_b32 exec_lo, exec_lo, s0
	s_waitcnt lgkmcnt(0)
	s_waitcnt_vscnt null, 0x0
	s_barrier
	buffer_gl0_inv
	s_clause 0x9
	scratch_load_b128 v[124:127], off, off offset:88
	scratch_load_b128 v[128:131], off, off offset:104
	;; [unrolled: 1-line block ×9, first 2 shown]
	scratch_load_b64 v[160:161], off, off offset:232
	v_mov_b32_e32 v2, 0
	ds_load_2addr_b32 v[162:163], v2 offset0:83 offset1:84
	ds_load_2addr_b32 v[164:165], v2 offset0:85 offset1:86
	;; [unrolled: 1-line block ×4, first 2 shown]
	s_mov_b32 s0, exec_lo
	s_waitcnt vmcnt(9) lgkmcnt(3)
	v_fma_f32 v3, v125, v162, 0
	s_delay_alu instid0(VALU_DEP_1) | instskip(SKIP_4) | instid1(VALU_DEP_1)
	v_fmac_f32_e32 v3, v126, v163
	ds_load_2addr_b32 v[125:126], v2 offset0:91 offset1:92
	s_waitcnt lgkmcnt(3)
	v_fmac_f32_e32 v3, v127, v164
	s_waitcnt vmcnt(8)
	v_fmac_f32_e32 v3, v128, v165
	ds_load_2addr_b32 v[127:128], v2 offset0:93 offset1:94
	s_waitcnt lgkmcnt(3)
	v_fmac_f32_e32 v3, v129, v166
	s_delay_alu instid0(VALU_DEP_1) | instskip(SKIP_1) | instid1(VALU_DEP_1)
	v_fmac_f32_e32 v3, v130, v167
	s_waitcnt lgkmcnt(2)
	v_fmac_f32_e32 v3, v131, v168
	s_waitcnt vmcnt(7)
	s_delay_alu instid0(VALU_DEP_1) | instskip(SKIP_4) | instid1(VALU_DEP_1)
	v_fmac_f32_e32 v3, v132, v169
	ds_load_2addr_b32 v[129:130], v2 offset0:95 offset1:96
	ds_load_2addr_b32 v[131:132], v2 offset0:97 offset1:98
	s_waitcnt lgkmcnt(3)
	v_fmac_f32_e32 v3, v133, v125
	v_fmac_f32_e32 v3, v134, v126
	ds_load_2addr_b32 v[125:126], v2 offset0:99 offset1:100
	s_waitcnt lgkmcnt(3)
	v_fmac_f32_e32 v3, v135, v127
	s_waitcnt vmcnt(6)
	s_delay_alu instid0(VALU_DEP_1) | instskip(SKIP_3) | instid1(VALU_DEP_1)
	v_fmac_f32_e32 v3, v136, v128
	ds_load_2addr_b32 v[127:128], v2 offset0:101 offset1:102
	s_waitcnt lgkmcnt(3)
	v_fmac_f32_e32 v3, v137, v129
	v_fmac_f32_e32 v3, v138, v130
	s_waitcnt lgkmcnt(2)
	s_delay_alu instid0(VALU_DEP_1) | instskip(SKIP_1) | instid1(VALU_DEP_1)
	v_fmac_f32_e32 v3, v139, v131
	s_waitcnt vmcnt(5)
	v_fmac_f32_e32 v3, v140, v132
	ds_load_2addr_b32 v[129:130], v2 offset0:103 offset1:104
	ds_load_2addr_b32 v[131:132], v2 offset0:105 offset1:106
	s_waitcnt lgkmcnt(3)
	v_fmac_f32_e32 v3, v141, v125
	s_delay_alu instid0(VALU_DEP_1) | instskip(SKIP_4) | instid1(VALU_DEP_1)
	v_fmac_f32_e32 v3, v142, v126
	ds_load_2addr_b32 v[125:126], v2 offset0:107 offset1:108
	s_waitcnt lgkmcnt(3)
	v_fmac_f32_e32 v3, v143, v127
	s_waitcnt vmcnt(4)
	v_fmac_f32_e32 v3, v144, v128
	ds_load_2addr_b32 v[127:128], v2 offset0:109 offset1:110
	s_waitcnt lgkmcnt(3)
	v_fmac_f32_e32 v3, v145, v129
	s_delay_alu instid0(VALU_DEP_1) | instskip(SKIP_1) | instid1(VALU_DEP_1)
	v_fmac_f32_e32 v3, v146, v130
	s_waitcnt lgkmcnt(2)
	v_fmac_f32_e32 v3, v147, v131
	s_waitcnt vmcnt(3)
	s_delay_alu instid0(VALU_DEP_1) | instskip(SKIP_4) | instid1(VALU_DEP_1)
	v_fmac_f32_e32 v3, v148, v132
	ds_load_2addr_b32 v[129:130], v2 offset0:111 offset1:112
	ds_load_2addr_b32 v[131:132], v2 offset0:113 offset1:114
	s_waitcnt lgkmcnt(3)
	v_fmac_f32_e32 v3, v149, v125
	v_fmac_f32_e32 v3, v150, v126
	ds_load_2addr_b32 v[125:126], v2 offset0:115 offset1:116
	s_waitcnt lgkmcnt(3)
	v_fmac_f32_e32 v3, v151, v127
	s_waitcnt vmcnt(2)
	s_delay_alu instid0(VALU_DEP_1)
	v_fmac_f32_e32 v3, v152, v128
	ds_load_2addr_b32 v[127:128], v2 offset0:117 offset1:118
	s_waitcnt lgkmcnt(3)
	v_fmac_f32_e32 v3, v153, v129
	ds_load_b32 v129, v2 offset:476
	v_fmac_f32_e32 v3, v154, v130
	s_waitcnt lgkmcnt(3)
	s_delay_alu instid0(VALU_DEP_1) | instskip(SKIP_1) | instid1(VALU_DEP_1)
	v_fmac_f32_e32 v3, v155, v131
	s_waitcnt vmcnt(1)
	v_fmac_f32_e32 v3, v156, v132
	s_waitcnt lgkmcnt(2)
	s_delay_alu instid0(VALU_DEP_1) | instskip(NEXT) | instid1(VALU_DEP_1)
	v_fmac_f32_e32 v3, v157, v125
	v_fmac_f32_e32 v3, v158, v126
	s_waitcnt lgkmcnt(1)
	s_delay_alu instid0(VALU_DEP_1) | instskip(SKIP_1) | instid1(VALU_DEP_1)
	v_fmac_f32_e32 v3, v159, v127
	s_waitcnt vmcnt(0)
	v_fmac_f32_e32 v3, v160, v128
	s_waitcnt lgkmcnt(0)
	s_delay_alu instid0(VALU_DEP_1) | instskip(NEXT) | instid1(VALU_DEP_1)
	v_fmac_f32_e32 v3, v161, v129
	v_sub_f32_e32 v3, v124, v3
	scratch_store_b32 off, v3, off offset:88
	v_cmpx_lt_u32_e32 21, v0
	s_cbranch_execz .LBB123_325
; %bb.324:
	scratch_load_b32 v3, off, off offset:84
	scratch_store_b32 off, v2, off offset:84
	s_waitcnt vmcnt(0)
	ds_store_b32 v1, v3
.LBB123_325:
	s_or_b32 exec_lo, exec_lo, s0
	s_waitcnt lgkmcnt(0)
	s_waitcnt_vscnt null, 0x0
	s_barrier
	buffer_gl0_inv
	s_clause 0x9
	scratch_load_b128 v[124:127], off, off offset:84
	scratch_load_b128 v[128:131], off, off offset:100
	;; [unrolled: 1-line block ×9, first 2 shown]
	scratch_load_b96 v[168:170], off, off offset:228
	ds_load_2addr_b64 v[160:163], v2 offset0:41 offset1:42
	ds_load_2addr_b64 v[164:167], v2 offset0:43 offset1:44
	s_mov_b32 s0, exec_lo
	s_waitcnt vmcnt(9) lgkmcnt(1)
	v_fma_f32 v160, v125, v160, 0
	s_delay_alu instid0(VALU_DEP_1) | instskip(NEXT) | instid1(VALU_DEP_1)
	v_fmac_f32_e32 v160, v126, v161
	v_fmac_f32_e32 v160, v127, v162
	s_waitcnt vmcnt(8)
	s_delay_alu instid0(VALU_DEP_1) | instskip(SKIP_3) | instid1(VALU_DEP_1)
	v_fmac_f32_e32 v160, v128, v163
	ds_load_2addr_b64 v[125:128], v2 offset0:45 offset1:46
	s_waitcnt lgkmcnt(1)
	v_fmac_f32_e32 v160, v129, v164
	v_fmac_f32_e32 v160, v130, v165
	s_delay_alu instid0(VALU_DEP_1) | instskip(SKIP_1) | instid1(VALU_DEP_1)
	v_fmac_f32_e32 v160, v131, v166
	s_waitcnt vmcnt(7)
	v_fmac_f32_e32 v160, v132, v167
	ds_load_2addr_b64 v[129:132], v2 offset0:47 offset1:48
	s_waitcnt lgkmcnt(1)
	v_fmac_f32_e32 v160, v133, v125
	s_delay_alu instid0(VALU_DEP_1) | instskip(NEXT) | instid1(VALU_DEP_1)
	v_fmac_f32_e32 v160, v134, v126
	v_fmac_f32_e32 v160, v135, v127
	s_waitcnt vmcnt(6)
	s_delay_alu instid0(VALU_DEP_1) | instskip(SKIP_3) | instid1(VALU_DEP_1)
	v_fmac_f32_e32 v160, v136, v128
	ds_load_2addr_b64 v[125:128], v2 offset0:49 offset1:50
	s_waitcnt lgkmcnt(1)
	v_fmac_f32_e32 v160, v137, v129
	v_fmac_f32_e32 v160, v138, v130
	s_delay_alu instid0(VALU_DEP_1) | instskip(SKIP_1) | instid1(VALU_DEP_1)
	v_fmac_f32_e32 v160, v139, v131
	s_waitcnt vmcnt(5)
	v_fmac_f32_e32 v160, v140, v132
	ds_load_2addr_b64 v[129:132], v2 offset0:51 offset1:52
	s_waitcnt lgkmcnt(1)
	v_fmac_f32_e32 v160, v141, v125
	;; [unrolled: 17-line block ×3, first 2 shown]
	s_delay_alu instid0(VALU_DEP_1) | instskip(NEXT) | instid1(VALU_DEP_1)
	v_fmac_f32_e32 v160, v150, v126
	v_fmac_f32_e32 v160, v151, v127
	s_waitcnt vmcnt(2)
	s_delay_alu instid0(VALU_DEP_1) | instskip(SKIP_4) | instid1(VALU_DEP_1)
	v_fmac_f32_e32 v160, v152, v128
	ds_load_2addr_b64 v[125:128], v2 offset0:57 offset1:58
	ds_load_b64 v[2:3], v2 offset:472
	s_waitcnt lgkmcnt(2)
	v_fmac_f32_e32 v160, v153, v129
	v_fmac_f32_e32 v160, v154, v130
	s_delay_alu instid0(VALU_DEP_1) | instskip(SKIP_1) | instid1(VALU_DEP_1)
	v_fmac_f32_e32 v160, v155, v131
	s_waitcnt vmcnt(1)
	v_fmac_f32_e32 v160, v156, v132
	s_waitcnt lgkmcnt(1)
	s_delay_alu instid0(VALU_DEP_1) | instskip(NEXT) | instid1(VALU_DEP_1)
	v_fmac_f32_e32 v160, v157, v125
	v_fmac_f32_e32 v160, v158, v126
	s_delay_alu instid0(VALU_DEP_1) | instskip(SKIP_1) | instid1(VALU_DEP_1)
	v_fmac_f32_e32 v160, v159, v127
	s_waitcnt vmcnt(0)
	v_fmac_f32_e32 v160, v168, v128
	s_waitcnt lgkmcnt(0)
	s_delay_alu instid0(VALU_DEP_1) | instskip(NEXT) | instid1(VALU_DEP_1)
	v_fmac_f32_e32 v160, v169, v2
	v_fmac_f32_e32 v160, v170, v3
	s_delay_alu instid0(VALU_DEP_1)
	v_sub_f32_e32 v2, v124, v160
	scratch_store_b32 off, v2, off offset:84
	v_cmpx_lt_u32_e32 20, v0
	s_cbranch_execz .LBB123_327
; %bb.326:
	scratch_load_b32 v2, off, off offset:80
	v_mov_b32_e32 v3, 0
	scratch_store_b32 off, v3, off offset:80
	s_waitcnt vmcnt(0)
	ds_store_b32 v1, v2
.LBB123_327:
	s_or_b32 exec_lo, exec_lo, s0
	s_waitcnt lgkmcnt(0)
	s_waitcnt_vscnt null, 0x0
	s_barrier
	buffer_gl0_inv
	s_clause 0x9
	scratch_load_b128 v[124:127], off, off offset:80
	scratch_load_b128 v[128:131], off, off offset:96
	;; [unrolled: 1-line block ×10, first 2 shown]
	v_mov_b32_e32 v2, 0
	ds_load_2addr_b32 v[164:165], v2 offset0:81 offset1:82
	ds_load_2addr_b32 v[166:167], v2 offset0:83 offset1:84
	;; [unrolled: 1-line block ×4, first 2 shown]
	s_mov_b32 s0, exec_lo
	s_waitcnt vmcnt(9) lgkmcnt(3)
	v_fma_f32 v3, v125, v164, 0
	s_delay_alu instid0(VALU_DEP_1) | instskip(SKIP_4) | instid1(VALU_DEP_1)
	v_fmac_f32_e32 v3, v126, v165
	ds_load_2addr_b32 v[125:126], v2 offset0:89 offset1:90
	s_waitcnt lgkmcnt(3)
	v_fmac_f32_e32 v3, v127, v166
	s_waitcnt vmcnt(8)
	v_fmac_f32_e32 v3, v128, v167
	ds_load_2addr_b32 v[127:128], v2 offset0:91 offset1:92
	s_waitcnt lgkmcnt(3)
	v_fmac_f32_e32 v3, v129, v168
	s_delay_alu instid0(VALU_DEP_1) | instskip(SKIP_1) | instid1(VALU_DEP_1)
	v_fmac_f32_e32 v3, v130, v169
	s_waitcnt lgkmcnt(2)
	v_fmac_f32_e32 v3, v131, v170
	s_waitcnt vmcnt(7)
	s_delay_alu instid0(VALU_DEP_1) | instskip(SKIP_4) | instid1(VALU_DEP_1)
	v_fmac_f32_e32 v3, v132, v171
	ds_load_2addr_b32 v[129:130], v2 offset0:93 offset1:94
	ds_load_2addr_b32 v[131:132], v2 offset0:95 offset1:96
	s_waitcnt lgkmcnt(3)
	v_fmac_f32_e32 v3, v133, v125
	v_fmac_f32_e32 v3, v134, v126
	ds_load_2addr_b32 v[125:126], v2 offset0:97 offset1:98
	s_waitcnt lgkmcnt(3)
	v_fmac_f32_e32 v3, v135, v127
	s_waitcnt vmcnt(6)
	s_delay_alu instid0(VALU_DEP_1) | instskip(SKIP_3) | instid1(VALU_DEP_1)
	v_fmac_f32_e32 v3, v136, v128
	ds_load_2addr_b32 v[127:128], v2 offset0:99 offset1:100
	s_waitcnt lgkmcnt(3)
	v_fmac_f32_e32 v3, v137, v129
	v_fmac_f32_e32 v3, v138, v130
	s_waitcnt lgkmcnt(2)
	s_delay_alu instid0(VALU_DEP_1) | instskip(SKIP_1) | instid1(VALU_DEP_1)
	v_fmac_f32_e32 v3, v139, v131
	s_waitcnt vmcnt(5)
	v_fmac_f32_e32 v3, v140, v132
	ds_load_2addr_b32 v[129:130], v2 offset0:101 offset1:102
	ds_load_2addr_b32 v[131:132], v2 offset0:103 offset1:104
	s_waitcnt lgkmcnt(3)
	v_fmac_f32_e32 v3, v141, v125
	s_delay_alu instid0(VALU_DEP_1) | instskip(SKIP_4) | instid1(VALU_DEP_1)
	v_fmac_f32_e32 v3, v142, v126
	ds_load_2addr_b32 v[125:126], v2 offset0:105 offset1:106
	s_waitcnt lgkmcnt(3)
	v_fmac_f32_e32 v3, v143, v127
	s_waitcnt vmcnt(4)
	v_fmac_f32_e32 v3, v144, v128
	ds_load_2addr_b32 v[127:128], v2 offset0:107 offset1:108
	s_waitcnt lgkmcnt(3)
	v_fmac_f32_e32 v3, v145, v129
	s_delay_alu instid0(VALU_DEP_1) | instskip(SKIP_1) | instid1(VALU_DEP_1)
	v_fmac_f32_e32 v3, v146, v130
	s_waitcnt lgkmcnt(2)
	v_fmac_f32_e32 v3, v147, v131
	s_waitcnt vmcnt(3)
	s_delay_alu instid0(VALU_DEP_1) | instskip(SKIP_4) | instid1(VALU_DEP_1)
	v_fmac_f32_e32 v3, v148, v132
	ds_load_2addr_b32 v[129:130], v2 offset0:109 offset1:110
	ds_load_2addr_b32 v[131:132], v2 offset0:111 offset1:112
	s_waitcnt lgkmcnt(3)
	v_fmac_f32_e32 v3, v149, v125
	v_fmac_f32_e32 v3, v150, v126
	ds_load_2addr_b32 v[125:126], v2 offset0:113 offset1:114
	s_waitcnt lgkmcnt(3)
	v_fmac_f32_e32 v3, v151, v127
	s_waitcnt vmcnt(2)
	s_delay_alu instid0(VALU_DEP_1) | instskip(SKIP_3) | instid1(VALU_DEP_1)
	v_fmac_f32_e32 v3, v152, v128
	ds_load_2addr_b32 v[127:128], v2 offset0:115 offset1:116
	s_waitcnt lgkmcnt(3)
	v_fmac_f32_e32 v3, v153, v129
	v_fmac_f32_e32 v3, v154, v130
	s_waitcnt lgkmcnt(2)
	s_delay_alu instid0(VALU_DEP_1)
	v_fmac_f32_e32 v3, v155, v131
	ds_load_2addr_b32 v[129:130], v2 offset0:117 offset1:118
	ds_load_b32 v131, v2 offset:476
	s_waitcnt vmcnt(1)
	v_fmac_f32_e32 v3, v156, v132
	s_waitcnt lgkmcnt(3)
	s_delay_alu instid0(VALU_DEP_1) | instskip(NEXT) | instid1(VALU_DEP_1)
	v_fmac_f32_e32 v3, v157, v125
	v_fmac_f32_e32 v3, v158, v126
	s_waitcnt lgkmcnt(2)
	s_delay_alu instid0(VALU_DEP_1) | instskip(SKIP_1) | instid1(VALU_DEP_1)
	v_fmac_f32_e32 v3, v159, v127
	s_waitcnt vmcnt(0)
	v_fmac_f32_e32 v3, v160, v128
	s_waitcnt lgkmcnt(1)
	s_delay_alu instid0(VALU_DEP_1) | instskip(NEXT) | instid1(VALU_DEP_1)
	v_fmac_f32_e32 v3, v161, v129
	v_fmac_f32_e32 v3, v162, v130
	s_waitcnt lgkmcnt(0)
	s_delay_alu instid0(VALU_DEP_1) | instskip(NEXT) | instid1(VALU_DEP_1)
	v_fmac_f32_e32 v3, v163, v131
	v_sub_f32_e32 v3, v124, v3
	scratch_store_b32 off, v3, off offset:80
	v_cmpx_lt_u32_e32 19, v0
	s_cbranch_execz .LBB123_329
; %bb.328:
	scratch_load_b32 v3, off, off offset:76
	scratch_store_b32 off, v2, off offset:76
	s_waitcnt vmcnt(0)
	ds_store_b32 v1, v3
.LBB123_329:
	s_or_b32 exec_lo, exec_lo, s0
	s_waitcnt lgkmcnt(0)
	s_waitcnt_vscnt null, 0x0
	s_barrier
	buffer_gl0_inv
	s_clause 0xa
	scratch_load_b128 v[124:127], off, off offset:76
	scratch_load_b128 v[128:131], off, off offset:92
	;; [unrolled: 1-line block ×10, first 2 shown]
	scratch_load_b32 v3, off, off offset:236
	ds_load_b128 v[164:167], v2 offset:320
	ds_load_b128 v[168:171], v2 offset:336
	s_mov_b32 s0, exec_lo
	s_waitcnt vmcnt(10) lgkmcnt(1)
	v_fma_f32 v164, v125, v164, 0
	s_delay_alu instid0(VALU_DEP_1) | instskip(NEXT) | instid1(VALU_DEP_1)
	v_fmac_f32_e32 v164, v126, v165
	v_fmac_f32_e32 v164, v127, v166
	s_waitcnt vmcnt(9)
	s_delay_alu instid0(VALU_DEP_1) | instskip(SKIP_3) | instid1(VALU_DEP_1)
	v_fmac_f32_e32 v164, v128, v167
	ds_load_b128 v[125:128], v2 offset:352
	s_waitcnt lgkmcnt(1)
	v_fmac_f32_e32 v164, v129, v168
	v_fmac_f32_e32 v164, v130, v169
	s_delay_alu instid0(VALU_DEP_1) | instskip(SKIP_1) | instid1(VALU_DEP_1)
	v_fmac_f32_e32 v164, v131, v170
	s_waitcnt vmcnt(8)
	v_fmac_f32_e32 v164, v132, v171
	ds_load_b128 v[129:132], v2 offset:368
	s_waitcnt lgkmcnt(1)
	v_fmac_f32_e32 v164, v133, v125
	s_delay_alu instid0(VALU_DEP_1) | instskip(NEXT) | instid1(VALU_DEP_1)
	v_fmac_f32_e32 v164, v134, v126
	v_fmac_f32_e32 v164, v135, v127
	s_waitcnt vmcnt(7)
	s_delay_alu instid0(VALU_DEP_1) | instskip(SKIP_3) | instid1(VALU_DEP_1)
	v_fmac_f32_e32 v164, v136, v128
	ds_load_b128 v[125:128], v2 offset:384
	s_waitcnt lgkmcnt(1)
	v_fmac_f32_e32 v164, v137, v129
	v_fmac_f32_e32 v164, v138, v130
	s_delay_alu instid0(VALU_DEP_1) | instskip(SKIP_1) | instid1(VALU_DEP_1)
	v_fmac_f32_e32 v164, v139, v131
	s_waitcnt vmcnt(6)
	v_fmac_f32_e32 v164, v140, v132
	ds_load_b128 v[129:132], v2 offset:400
	s_waitcnt lgkmcnt(1)
	v_fmac_f32_e32 v164, v141, v125
	s_delay_alu instid0(VALU_DEP_1) | instskip(NEXT) | instid1(VALU_DEP_1)
	v_fmac_f32_e32 v164, v142, v126
	v_fmac_f32_e32 v164, v143, v127
	s_waitcnt vmcnt(5)
	s_delay_alu instid0(VALU_DEP_1) | instskip(SKIP_3) | instid1(VALU_DEP_1)
	v_fmac_f32_e32 v164, v144, v128
	ds_load_b128 v[125:128], v2 offset:416
	s_waitcnt lgkmcnt(1)
	v_fmac_f32_e32 v164, v145, v129
	v_fmac_f32_e32 v164, v146, v130
	s_delay_alu instid0(VALU_DEP_1) | instskip(SKIP_1) | instid1(VALU_DEP_1)
	v_fmac_f32_e32 v164, v147, v131
	s_waitcnt vmcnt(4)
	v_fmac_f32_e32 v164, v148, v132
	ds_load_b128 v[129:132], v2 offset:432
	s_waitcnt lgkmcnt(1)
	v_fmac_f32_e32 v164, v149, v125
	s_delay_alu instid0(VALU_DEP_1) | instskip(NEXT) | instid1(VALU_DEP_1)
	v_fmac_f32_e32 v164, v150, v126
	v_fmac_f32_e32 v164, v151, v127
	s_waitcnt vmcnt(3)
	s_delay_alu instid0(VALU_DEP_1) | instskip(SKIP_3) | instid1(VALU_DEP_1)
	v_fmac_f32_e32 v164, v152, v128
	ds_load_b128 v[125:128], v2 offset:448
	s_waitcnt lgkmcnt(1)
	v_fmac_f32_e32 v164, v153, v129
	v_fmac_f32_e32 v164, v154, v130
	s_delay_alu instid0(VALU_DEP_1) | instskip(SKIP_1) | instid1(VALU_DEP_1)
	v_fmac_f32_e32 v164, v155, v131
	s_waitcnt vmcnt(2)
	v_fmac_f32_e32 v164, v156, v132
	ds_load_b128 v[129:132], v2 offset:464
	s_waitcnt lgkmcnt(1)
	v_fmac_f32_e32 v164, v157, v125
	s_delay_alu instid0(VALU_DEP_1) | instskip(NEXT) | instid1(VALU_DEP_1)
	v_fmac_f32_e32 v164, v158, v126
	v_fmac_f32_e32 v164, v159, v127
	s_waitcnt vmcnt(1)
	s_delay_alu instid0(VALU_DEP_1) | instskip(SKIP_1) | instid1(VALU_DEP_1)
	v_fmac_f32_e32 v164, v160, v128
	s_waitcnt lgkmcnt(0)
	v_fmac_f32_e32 v164, v161, v129
	s_delay_alu instid0(VALU_DEP_1) | instskip(NEXT) | instid1(VALU_DEP_1)
	v_fmac_f32_e32 v164, v162, v130
	v_fmac_f32_e32 v164, v163, v131
	s_waitcnt vmcnt(0)
	s_delay_alu instid0(VALU_DEP_1) | instskip(NEXT) | instid1(VALU_DEP_1)
	v_fmac_f32_e32 v164, v3, v132
	v_sub_f32_e32 v2, v124, v164
	scratch_store_b32 off, v2, off offset:76
	v_cmpx_lt_u32_e32 18, v0
	s_cbranch_execz .LBB123_331
; %bb.330:
	scratch_load_b32 v2, off, off offset:72
	v_mov_b32_e32 v3, 0
	scratch_store_b32 off, v3, off offset:72
	s_waitcnt vmcnt(0)
	ds_store_b32 v1, v2
.LBB123_331:
	s_or_b32 exec_lo, exec_lo, s0
	s_waitcnt lgkmcnt(0)
	s_waitcnt_vscnt null, 0x0
	s_barrier
	buffer_gl0_inv
	s_clause 0xa
	scratch_load_b128 v[124:127], off, off offset:72
	scratch_load_b128 v[128:131], off, off offset:88
	;; [unrolled: 1-line block ×10, first 2 shown]
	scratch_load_b64 v[164:165], off, off offset:232
	v_mov_b32_e32 v2, 0
	ds_load_2addr_b32 v[166:167], v2 offset0:79 offset1:80
	ds_load_2addr_b32 v[168:169], v2 offset0:81 offset1:82
	;; [unrolled: 1-line block ×4, first 2 shown]
	s_mov_b32 s0, exec_lo
	s_waitcnt vmcnt(10) lgkmcnt(3)
	v_fma_f32 v3, v125, v166, 0
	s_delay_alu instid0(VALU_DEP_1) | instskip(SKIP_4) | instid1(VALU_DEP_1)
	v_fmac_f32_e32 v3, v126, v167
	ds_load_2addr_b32 v[125:126], v2 offset0:87 offset1:88
	s_waitcnt lgkmcnt(3)
	v_fmac_f32_e32 v3, v127, v168
	s_waitcnt vmcnt(9)
	v_fmac_f32_e32 v3, v128, v169
	ds_load_2addr_b32 v[127:128], v2 offset0:89 offset1:90
	s_waitcnt lgkmcnt(3)
	v_fmac_f32_e32 v3, v129, v170
	s_delay_alu instid0(VALU_DEP_1) | instskip(SKIP_1) | instid1(VALU_DEP_1)
	v_fmac_f32_e32 v3, v130, v171
	s_waitcnt lgkmcnt(2)
	v_fmac_f32_e32 v3, v131, v172
	s_waitcnt vmcnt(8)
	s_delay_alu instid0(VALU_DEP_1) | instskip(SKIP_4) | instid1(VALU_DEP_1)
	v_fmac_f32_e32 v3, v132, v173
	ds_load_2addr_b32 v[129:130], v2 offset0:91 offset1:92
	ds_load_2addr_b32 v[131:132], v2 offset0:93 offset1:94
	s_waitcnt lgkmcnt(3)
	v_fmac_f32_e32 v3, v133, v125
	v_fmac_f32_e32 v3, v134, v126
	ds_load_2addr_b32 v[125:126], v2 offset0:95 offset1:96
	s_waitcnt lgkmcnt(3)
	v_fmac_f32_e32 v3, v135, v127
	s_waitcnt vmcnt(7)
	s_delay_alu instid0(VALU_DEP_1) | instskip(SKIP_3) | instid1(VALU_DEP_1)
	v_fmac_f32_e32 v3, v136, v128
	ds_load_2addr_b32 v[127:128], v2 offset0:97 offset1:98
	s_waitcnt lgkmcnt(3)
	v_fmac_f32_e32 v3, v137, v129
	v_fmac_f32_e32 v3, v138, v130
	s_waitcnt lgkmcnt(2)
	s_delay_alu instid0(VALU_DEP_1) | instskip(SKIP_1) | instid1(VALU_DEP_1)
	v_fmac_f32_e32 v3, v139, v131
	s_waitcnt vmcnt(6)
	v_fmac_f32_e32 v3, v140, v132
	ds_load_2addr_b32 v[129:130], v2 offset0:99 offset1:100
	ds_load_2addr_b32 v[131:132], v2 offset0:101 offset1:102
	s_waitcnt lgkmcnt(3)
	v_fmac_f32_e32 v3, v141, v125
	s_delay_alu instid0(VALU_DEP_1) | instskip(SKIP_4) | instid1(VALU_DEP_1)
	v_fmac_f32_e32 v3, v142, v126
	ds_load_2addr_b32 v[125:126], v2 offset0:103 offset1:104
	s_waitcnt lgkmcnt(3)
	v_fmac_f32_e32 v3, v143, v127
	s_waitcnt vmcnt(5)
	v_fmac_f32_e32 v3, v144, v128
	ds_load_2addr_b32 v[127:128], v2 offset0:105 offset1:106
	s_waitcnt lgkmcnt(3)
	v_fmac_f32_e32 v3, v145, v129
	s_delay_alu instid0(VALU_DEP_1) | instskip(SKIP_1) | instid1(VALU_DEP_1)
	v_fmac_f32_e32 v3, v146, v130
	s_waitcnt lgkmcnt(2)
	v_fmac_f32_e32 v3, v147, v131
	s_waitcnt vmcnt(4)
	s_delay_alu instid0(VALU_DEP_1) | instskip(SKIP_4) | instid1(VALU_DEP_1)
	v_fmac_f32_e32 v3, v148, v132
	ds_load_2addr_b32 v[129:130], v2 offset0:107 offset1:108
	ds_load_2addr_b32 v[131:132], v2 offset0:109 offset1:110
	s_waitcnt lgkmcnt(3)
	v_fmac_f32_e32 v3, v149, v125
	v_fmac_f32_e32 v3, v150, v126
	ds_load_2addr_b32 v[125:126], v2 offset0:111 offset1:112
	s_waitcnt lgkmcnt(3)
	v_fmac_f32_e32 v3, v151, v127
	s_waitcnt vmcnt(3)
	s_delay_alu instid0(VALU_DEP_1) | instskip(SKIP_3) | instid1(VALU_DEP_1)
	v_fmac_f32_e32 v3, v152, v128
	ds_load_2addr_b32 v[127:128], v2 offset0:113 offset1:114
	s_waitcnt lgkmcnt(3)
	v_fmac_f32_e32 v3, v153, v129
	v_fmac_f32_e32 v3, v154, v130
	s_waitcnt lgkmcnt(2)
	s_delay_alu instid0(VALU_DEP_1) | instskip(SKIP_1) | instid1(VALU_DEP_1)
	v_fmac_f32_e32 v3, v155, v131
	s_waitcnt vmcnt(2)
	v_fmac_f32_e32 v3, v156, v132
	ds_load_2addr_b32 v[129:130], v2 offset0:115 offset1:116
	ds_load_2addr_b32 v[131:132], v2 offset0:117 offset1:118
	s_waitcnt lgkmcnt(3)
	v_fmac_f32_e32 v3, v157, v125
	ds_load_b32 v125, v2 offset:476
	v_fmac_f32_e32 v3, v158, v126
	s_waitcnt lgkmcnt(3)
	s_delay_alu instid0(VALU_DEP_1) | instskip(SKIP_1) | instid1(VALU_DEP_1)
	v_fmac_f32_e32 v3, v159, v127
	s_waitcnt vmcnt(1)
	v_fmac_f32_e32 v3, v160, v128
	s_waitcnt lgkmcnt(2)
	s_delay_alu instid0(VALU_DEP_1) | instskip(NEXT) | instid1(VALU_DEP_1)
	v_fmac_f32_e32 v3, v161, v129
	v_fmac_f32_e32 v3, v162, v130
	s_waitcnt lgkmcnt(1)
	s_delay_alu instid0(VALU_DEP_1) | instskip(SKIP_1) | instid1(VALU_DEP_1)
	v_fmac_f32_e32 v3, v163, v131
	s_waitcnt vmcnt(0)
	v_fmac_f32_e32 v3, v164, v132
	s_waitcnt lgkmcnt(0)
	s_delay_alu instid0(VALU_DEP_1) | instskip(NEXT) | instid1(VALU_DEP_1)
	v_fmac_f32_e32 v3, v165, v125
	v_sub_f32_e32 v3, v124, v3
	scratch_store_b32 off, v3, off offset:72
	v_cmpx_lt_u32_e32 17, v0
	s_cbranch_execz .LBB123_333
; %bb.332:
	scratch_load_b32 v3, off, off offset:68
	scratch_store_b32 off, v2, off offset:68
	s_waitcnt vmcnt(0)
	ds_store_b32 v1, v3
.LBB123_333:
	s_or_b32 exec_lo, exec_lo, s0
	s_waitcnt lgkmcnt(0)
	s_waitcnt_vscnt null, 0x0
	s_barrier
	buffer_gl0_inv
	s_clause 0xa
	scratch_load_b128 v[124:127], off, off offset:68
	scratch_load_b128 v[128:131], off, off offset:84
	;; [unrolled: 1-line block ×10, first 2 shown]
	scratch_load_b96 v[172:174], off, off offset:228
	ds_load_2addr_b64 v[164:167], v2 offset0:39 offset1:40
	ds_load_2addr_b64 v[168:171], v2 offset0:41 offset1:42
	s_mov_b32 s0, exec_lo
	s_waitcnt vmcnt(10) lgkmcnt(1)
	v_fma_f32 v164, v125, v164, 0
	s_delay_alu instid0(VALU_DEP_1) | instskip(NEXT) | instid1(VALU_DEP_1)
	v_fmac_f32_e32 v164, v126, v165
	v_fmac_f32_e32 v164, v127, v166
	s_waitcnt vmcnt(9)
	s_delay_alu instid0(VALU_DEP_1) | instskip(SKIP_3) | instid1(VALU_DEP_1)
	v_fmac_f32_e32 v164, v128, v167
	ds_load_2addr_b64 v[125:128], v2 offset0:43 offset1:44
	s_waitcnt lgkmcnt(1)
	v_fmac_f32_e32 v164, v129, v168
	v_fmac_f32_e32 v164, v130, v169
	s_delay_alu instid0(VALU_DEP_1) | instskip(SKIP_1) | instid1(VALU_DEP_1)
	v_fmac_f32_e32 v164, v131, v170
	s_waitcnt vmcnt(8)
	v_fmac_f32_e32 v164, v132, v171
	ds_load_2addr_b64 v[129:132], v2 offset0:45 offset1:46
	s_waitcnt lgkmcnt(1)
	v_fmac_f32_e32 v164, v133, v125
	s_delay_alu instid0(VALU_DEP_1) | instskip(NEXT) | instid1(VALU_DEP_1)
	v_fmac_f32_e32 v164, v134, v126
	v_fmac_f32_e32 v164, v135, v127
	s_waitcnt vmcnt(7)
	s_delay_alu instid0(VALU_DEP_1) | instskip(SKIP_3) | instid1(VALU_DEP_1)
	v_fmac_f32_e32 v164, v136, v128
	ds_load_2addr_b64 v[125:128], v2 offset0:47 offset1:48
	s_waitcnt lgkmcnt(1)
	v_fmac_f32_e32 v164, v137, v129
	v_fmac_f32_e32 v164, v138, v130
	s_delay_alu instid0(VALU_DEP_1) | instskip(SKIP_1) | instid1(VALU_DEP_1)
	v_fmac_f32_e32 v164, v139, v131
	s_waitcnt vmcnt(6)
	v_fmac_f32_e32 v164, v140, v132
	ds_load_2addr_b64 v[129:132], v2 offset0:49 offset1:50
	s_waitcnt lgkmcnt(1)
	v_fmac_f32_e32 v164, v141, v125
	;; [unrolled: 17-line block ×3, first 2 shown]
	s_delay_alu instid0(VALU_DEP_1) | instskip(NEXT) | instid1(VALU_DEP_1)
	v_fmac_f32_e32 v164, v150, v126
	v_fmac_f32_e32 v164, v151, v127
	s_waitcnt vmcnt(3)
	s_delay_alu instid0(VALU_DEP_1) | instskip(SKIP_3) | instid1(VALU_DEP_1)
	v_fmac_f32_e32 v164, v152, v128
	ds_load_2addr_b64 v[125:128], v2 offset0:55 offset1:56
	s_waitcnt lgkmcnt(1)
	v_fmac_f32_e32 v164, v153, v129
	v_fmac_f32_e32 v164, v154, v130
	s_delay_alu instid0(VALU_DEP_1) | instskip(SKIP_1) | instid1(VALU_DEP_1)
	v_fmac_f32_e32 v164, v155, v131
	s_waitcnt vmcnt(2)
	v_fmac_f32_e32 v164, v156, v132
	ds_load_2addr_b64 v[129:132], v2 offset0:57 offset1:58
	ds_load_b64 v[2:3], v2 offset:472
	s_waitcnt lgkmcnt(2)
	v_fmac_f32_e32 v164, v157, v125
	s_delay_alu instid0(VALU_DEP_1) | instskip(NEXT) | instid1(VALU_DEP_1)
	v_fmac_f32_e32 v164, v158, v126
	v_fmac_f32_e32 v164, v159, v127
	s_waitcnt vmcnt(1)
	s_delay_alu instid0(VALU_DEP_1) | instskip(SKIP_1) | instid1(VALU_DEP_1)
	v_fmac_f32_e32 v164, v160, v128
	s_waitcnt lgkmcnt(1)
	v_fmac_f32_e32 v164, v161, v129
	s_delay_alu instid0(VALU_DEP_1) | instskip(NEXT) | instid1(VALU_DEP_1)
	v_fmac_f32_e32 v164, v162, v130
	v_fmac_f32_e32 v164, v163, v131
	s_waitcnt vmcnt(0)
	s_delay_alu instid0(VALU_DEP_1) | instskip(SKIP_1) | instid1(VALU_DEP_1)
	v_fmac_f32_e32 v164, v172, v132
	s_waitcnt lgkmcnt(0)
	v_fmac_f32_e32 v164, v173, v2
	s_delay_alu instid0(VALU_DEP_1) | instskip(NEXT) | instid1(VALU_DEP_1)
	v_fmac_f32_e32 v164, v174, v3
	v_sub_f32_e32 v2, v124, v164
	scratch_store_b32 off, v2, off offset:68
	v_cmpx_lt_u32_e32 16, v0
	s_cbranch_execz .LBB123_335
; %bb.334:
	scratch_load_b32 v2, off, off offset:64
	v_mov_b32_e32 v3, 0
	scratch_store_b32 off, v3, off offset:64
	s_waitcnt vmcnt(0)
	ds_store_b32 v1, v2
.LBB123_335:
	s_or_b32 exec_lo, exec_lo, s0
	s_waitcnt lgkmcnt(0)
	s_waitcnt_vscnt null, 0x0
	s_barrier
	buffer_gl0_inv
	s_clause 0xa
	scratch_load_b128 v[124:127], off, off offset:64
	scratch_load_b128 v[128:131], off, off offset:80
	;; [unrolled: 1-line block ×11, first 2 shown]
	v_mov_b32_e32 v2, 0
	ds_load_2addr_b32 v[168:169], v2 offset0:77 offset1:78
	ds_load_2addr_b32 v[170:171], v2 offset0:79 offset1:80
	;; [unrolled: 1-line block ×4, first 2 shown]
	s_mov_b32 s0, exec_lo
	s_waitcnt vmcnt(10) lgkmcnt(3)
	v_fma_f32 v3, v125, v168, 0
	s_delay_alu instid0(VALU_DEP_1) | instskip(SKIP_4) | instid1(VALU_DEP_1)
	v_fmac_f32_e32 v3, v126, v169
	ds_load_2addr_b32 v[125:126], v2 offset0:85 offset1:86
	s_waitcnt lgkmcnt(3)
	v_fmac_f32_e32 v3, v127, v170
	s_waitcnt vmcnt(9)
	v_fmac_f32_e32 v3, v128, v171
	ds_load_2addr_b32 v[127:128], v2 offset0:87 offset1:88
	s_waitcnt lgkmcnt(3)
	v_fmac_f32_e32 v3, v129, v172
	s_delay_alu instid0(VALU_DEP_1) | instskip(SKIP_1) | instid1(VALU_DEP_1)
	v_fmac_f32_e32 v3, v130, v173
	s_waitcnt lgkmcnt(2)
	v_fmac_f32_e32 v3, v131, v174
	s_waitcnt vmcnt(8)
	s_delay_alu instid0(VALU_DEP_1) | instskip(SKIP_4) | instid1(VALU_DEP_1)
	v_fmac_f32_e32 v3, v132, v175
	ds_load_2addr_b32 v[129:130], v2 offset0:89 offset1:90
	ds_load_2addr_b32 v[131:132], v2 offset0:91 offset1:92
	s_waitcnt lgkmcnt(3)
	v_fmac_f32_e32 v3, v133, v125
	v_fmac_f32_e32 v3, v134, v126
	ds_load_2addr_b32 v[125:126], v2 offset0:93 offset1:94
	s_waitcnt lgkmcnt(3)
	v_fmac_f32_e32 v3, v135, v127
	s_waitcnt vmcnt(7)
	s_delay_alu instid0(VALU_DEP_1) | instskip(SKIP_3) | instid1(VALU_DEP_1)
	v_fmac_f32_e32 v3, v136, v128
	ds_load_2addr_b32 v[127:128], v2 offset0:95 offset1:96
	s_waitcnt lgkmcnt(3)
	v_fmac_f32_e32 v3, v137, v129
	v_fmac_f32_e32 v3, v138, v130
	s_waitcnt lgkmcnt(2)
	s_delay_alu instid0(VALU_DEP_1) | instskip(SKIP_1) | instid1(VALU_DEP_1)
	v_fmac_f32_e32 v3, v139, v131
	s_waitcnt vmcnt(6)
	v_fmac_f32_e32 v3, v140, v132
	ds_load_2addr_b32 v[129:130], v2 offset0:97 offset1:98
	ds_load_2addr_b32 v[131:132], v2 offset0:99 offset1:100
	s_waitcnt lgkmcnt(3)
	v_fmac_f32_e32 v3, v141, v125
	s_delay_alu instid0(VALU_DEP_1) | instskip(SKIP_4) | instid1(VALU_DEP_1)
	v_fmac_f32_e32 v3, v142, v126
	ds_load_2addr_b32 v[125:126], v2 offset0:101 offset1:102
	s_waitcnt lgkmcnt(3)
	v_fmac_f32_e32 v3, v143, v127
	s_waitcnt vmcnt(5)
	v_fmac_f32_e32 v3, v144, v128
	ds_load_2addr_b32 v[127:128], v2 offset0:103 offset1:104
	s_waitcnt lgkmcnt(3)
	v_fmac_f32_e32 v3, v145, v129
	s_delay_alu instid0(VALU_DEP_1) | instskip(SKIP_1) | instid1(VALU_DEP_1)
	v_fmac_f32_e32 v3, v146, v130
	s_waitcnt lgkmcnt(2)
	v_fmac_f32_e32 v3, v147, v131
	s_waitcnt vmcnt(4)
	s_delay_alu instid0(VALU_DEP_1) | instskip(SKIP_4) | instid1(VALU_DEP_1)
	v_fmac_f32_e32 v3, v148, v132
	ds_load_2addr_b32 v[129:130], v2 offset0:105 offset1:106
	ds_load_2addr_b32 v[131:132], v2 offset0:107 offset1:108
	s_waitcnt lgkmcnt(3)
	v_fmac_f32_e32 v3, v149, v125
	v_fmac_f32_e32 v3, v150, v126
	ds_load_2addr_b32 v[125:126], v2 offset0:109 offset1:110
	s_waitcnt lgkmcnt(3)
	v_fmac_f32_e32 v3, v151, v127
	s_waitcnt vmcnt(3)
	s_delay_alu instid0(VALU_DEP_1) | instskip(SKIP_3) | instid1(VALU_DEP_1)
	v_fmac_f32_e32 v3, v152, v128
	ds_load_2addr_b32 v[127:128], v2 offset0:111 offset1:112
	s_waitcnt lgkmcnt(3)
	v_fmac_f32_e32 v3, v153, v129
	v_fmac_f32_e32 v3, v154, v130
	s_waitcnt lgkmcnt(2)
	s_delay_alu instid0(VALU_DEP_1) | instskip(SKIP_1) | instid1(VALU_DEP_1)
	v_fmac_f32_e32 v3, v155, v131
	s_waitcnt vmcnt(2)
	v_fmac_f32_e32 v3, v156, v132
	ds_load_2addr_b32 v[129:130], v2 offset0:113 offset1:114
	ds_load_2addr_b32 v[131:132], v2 offset0:115 offset1:116
	s_waitcnt lgkmcnt(3)
	v_fmac_f32_e32 v3, v157, v125
	s_delay_alu instid0(VALU_DEP_1)
	v_fmac_f32_e32 v3, v158, v126
	ds_load_2addr_b32 v[125:126], v2 offset0:117 offset1:118
	s_waitcnt lgkmcnt(3)
	v_fmac_f32_e32 v3, v159, v127
	ds_load_b32 v127, v2 offset:476
	s_waitcnt vmcnt(1)
	v_fmac_f32_e32 v3, v160, v128
	s_waitcnt lgkmcnt(3)
	s_delay_alu instid0(VALU_DEP_1) | instskip(NEXT) | instid1(VALU_DEP_1)
	v_fmac_f32_e32 v3, v161, v129
	v_fmac_f32_e32 v3, v162, v130
	s_waitcnt lgkmcnt(2)
	s_delay_alu instid0(VALU_DEP_1) | instskip(SKIP_1) | instid1(VALU_DEP_1)
	v_fmac_f32_e32 v3, v163, v131
	s_waitcnt vmcnt(0)
	v_fmac_f32_e32 v3, v164, v132
	s_waitcnt lgkmcnt(1)
	s_delay_alu instid0(VALU_DEP_1) | instskip(NEXT) | instid1(VALU_DEP_1)
	v_fmac_f32_e32 v3, v165, v125
	v_fmac_f32_e32 v3, v166, v126
	s_waitcnt lgkmcnt(0)
	s_delay_alu instid0(VALU_DEP_1) | instskip(NEXT) | instid1(VALU_DEP_1)
	v_fmac_f32_e32 v3, v167, v127
	v_sub_f32_e32 v3, v124, v3
	scratch_store_b32 off, v3, off offset:64
	v_cmpx_lt_u32_e32 15, v0
	s_cbranch_execz .LBB123_337
; %bb.336:
	scratch_load_b32 v3, off, off offset:60
	scratch_store_b32 off, v2, off offset:60
	s_waitcnt vmcnt(0)
	ds_store_b32 v1, v3
.LBB123_337:
	s_or_b32 exec_lo, exec_lo, s0
	s_waitcnt lgkmcnt(0)
	s_waitcnt_vscnt null, 0x0
	s_barrier
	buffer_gl0_inv
	s_clause 0xb
	scratch_load_b128 v[124:127], off, off offset:60
	scratch_load_b128 v[128:131], off, off offset:76
	;; [unrolled: 1-line block ×11, first 2 shown]
	scratch_load_b32 v3, off, off offset:236
	ds_load_b128 v[168:171], v2 offset:304
	ds_load_b128 v[172:175], v2 offset:320
	s_mov_b32 s0, exec_lo
	s_waitcnt vmcnt(11) lgkmcnt(1)
	v_fma_f32 v168, v125, v168, 0
	s_delay_alu instid0(VALU_DEP_1) | instskip(NEXT) | instid1(VALU_DEP_1)
	v_fmac_f32_e32 v168, v126, v169
	v_fmac_f32_e32 v168, v127, v170
	s_waitcnt vmcnt(10)
	s_delay_alu instid0(VALU_DEP_1) | instskip(SKIP_3) | instid1(VALU_DEP_1)
	v_fmac_f32_e32 v168, v128, v171
	ds_load_b128 v[125:128], v2 offset:336
	s_waitcnt lgkmcnt(1)
	v_fmac_f32_e32 v168, v129, v172
	v_fmac_f32_e32 v168, v130, v173
	s_delay_alu instid0(VALU_DEP_1) | instskip(SKIP_1) | instid1(VALU_DEP_1)
	v_fmac_f32_e32 v168, v131, v174
	s_waitcnt vmcnt(9)
	v_fmac_f32_e32 v168, v132, v175
	ds_load_b128 v[129:132], v2 offset:352
	s_waitcnt lgkmcnt(1)
	v_fmac_f32_e32 v168, v133, v125
	s_delay_alu instid0(VALU_DEP_1) | instskip(NEXT) | instid1(VALU_DEP_1)
	v_fmac_f32_e32 v168, v134, v126
	v_fmac_f32_e32 v168, v135, v127
	s_waitcnt vmcnt(8)
	s_delay_alu instid0(VALU_DEP_1) | instskip(SKIP_3) | instid1(VALU_DEP_1)
	v_fmac_f32_e32 v168, v136, v128
	ds_load_b128 v[125:128], v2 offset:368
	s_waitcnt lgkmcnt(1)
	v_fmac_f32_e32 v168, v137, v129
	v_fmac_f32_e32 v168, v138, v130
	s_delay_alu instid0(VALU_DEP_1) | instskip(SKIP_1) | instid1(VALU_DEP_1)
	v_fmac_f32_e32 v168, v139, v131
	s_waitcnt vmcnt(7)
	v_fmac_f32_e32 v168, v140, v132
	ds_load_b128 v[129:132], v2 offset:384
	s_waitcnt lgkmcnt(1)
	v_fmac_f32_e32 v168, v141, v125
	;; [unrolled: 17-line block ×4, first 2 shown]
	s_delay_alu instid0(VALU_DEP_1) | instskip(NEXT) | instid1(VALU_DEP_1)
	v_fmac_f32_e32 v168, v158, v126
	v_fmac_f32_e32 v168, v159, v127
	s_waitcnt vmcnt(2)
	s_delay_alu instid0(VALU_DEP_1) | instskip(SKIP_3) | instid1(VALU_DEP_1)
	v_fmac_f32_e32 v168, v160, v128
	ds_load_b128 v[125:128], v2 offset:464
	s_waitcnt lgkmcnt(1)
	v_fmac_f32_e32 v168, v161, v129
	v_fmac_f32_e32 v168, v162, v130
	s_delay_alu instid0(VALU_DEP_1) | instskip(SKIP_1) | instid1(VALU_DEP_1)
	v_fmac_f32_e32 v168, v163, v131
	s_waitcnt vmcnt(1)
	v_fmac_f32_e32 v168, v164, v132
	s_waitcnt lgkmcnt(0)
	s_delay_alu instid0(VALU_DEP_1) | instskip(NEXT) | instid1(VALU_DEP_1)
	v_fmac_f32_e32 v168, v165, v125
	v_fmac_f32_e32 v168, v166, v126
	s_delay_alu instid0(VALU_DEP_1) | instskip(SKIP_1) | instid1(VALU_DEP_1)
	v_fmac_f32_e32 v168, v167, v127
	s_waitcnt vmcnt(0)
	v_fmac_f32_e32 v168, v3, v128
	s_delay_alu instid0(VALU_DEP_1)
	v_sub_f32_e32 v2, v124, v168
	scratch_store_b32 off, v2, off offset:60
	v_cmpx_lt_u32_e32 14, v0
	s_cbranch_execz .LBB123_339
; %bb.338:
	scratch_load_b32 v2, off, off offset:56
	v_mov_b32_e32 v3, 0
	scratch_store_b32 off, v3, off offset:56
	s_waitcnt vmcnt(0)
	ds_store_b32 v1, v2
.LBB123_339:
	s_or_b32 exec_lo, exec_lo, s0
	s_waitcnt lgkmcnt(0)
	s_waitcnt_vscnt null, 0x0
	s_barrier
	buffer_gl0_inv
	s_clause 0xb
	scratch_load_b128 v[124:127], off, off offset:56
	scratch_load_b128 v[128:131], off, off offset:72
	;; [unrolled: 1-line block ×11, first 2 shown]
	scratch_load_b64 v[168:169], off, off offset:232
	v_mov_b32_e32 v2, 0
	ds_load_2addr_b32 v[170:171], v2 offset0:75 offset1:76
	ds_load_2addr_b32 v[172:173], v2 offset0:77 offset1:78
	;; [unrolled: 1-line block ×4, first 2 shown]
	s_mov_b32 s0, exec_lo
	s_waitcnt vmcnt(11) lgkmcnt(3)
	v_fma_f32 v3, v125, v170, 0
	s_delay_alu instid0(VALU_DEP_1) | instskip(SKIP_4) | instid1(VALU_DEP_1)
	v_fmac_f32_e32 v3, v126, v171
	ds_load_2addr_b32 v[125:126], v2 offset0:83 offset1:84
	s_waitcnt lgkmcnt(3)
	v_fmac_f32_e32 v3, v127, v172
	s_waitcnt vmcnt(10)
	v_fmac_f32_e32 v3, v128, v173
	ds_load_2addr_b32 v[127:128], v2 offset0:85 offset1:86
	s_waitcnt lgkmcnt(3)
	v_fmac_f32_e32 v3, v129, v174
	s_delay_alu instid0(VALU_DEP_1) | instskip(SKIP_1) | instid1(VALU_DEP_1)
	v_fmac_f32_e32 v3, v130, v175
	s_waitcnt lgkmcnt(2)
	v_fmac_f32_e32 v3, v131, v176
	s_waitcnt vmcnt(9)
	s_delay_alu instid0(VALU_DEP_1) | instskip(SKIP_4) | instid1(VALU_DEP_1)
	v_fmac_f32_e32 v3, v132, v177
	ds_load_2addr_b32 v[129:130], v2 offset0:87 offset1:88
	ds_load_2addr_b32 v[131:132], v2 offset0:89 offset1:90
	s_waitcnt lgkmcnt(3)
	v_fmac_f32_e32 v3, v133, v125
	v_fmac_f32_e32 v3, v134, v126
	ds_load_2addr_b32 v[125:126], v2 offset0:91 offset1:92
	s_waitcnt lgkmcnt(3)
	v_fmac_f32_e32 v3, v135, v127
	s_waitcnt vmcnt(8)
	s_delay_alu instid0(VALU_DEP_1) | instskip(SKIP_3) | instid1(VALU_DEP_1)
	v_fmac_f32_e32 v3, v136, v128
	ds_load_2addr_b32 v[127:128], v2 offset0:93 offset1:94
	s_waitcnt lgkmcnt(3)
	v_fmac_f32_e32 v3, v137, v129
	v_fmac_f32_e32 v3, v138, v130
	s_waitcnt lgkmcnt(2)
	s_delay_alu instid0(VALU_DEP_1) | instskip(SKIP_1) | instid1(VALU_DEP_1)
	v_fmac_f32_e32 v3, v139, v131
	s_waitcnt vmcnt(7)
	v_fmac_f32_e32 v3, v140, v132
	ds_load_2addr_b32 v[129:130], v2 offset0:95 offset1:96
	ds_load_2addr_b32 v[131:132], v2 offset0:97 offset1:98
	s_waitcnt lgkmcnt(3)
	v_fmac_f32_e32 v3, v141, v125
	s_delay_alu instid0(VALU_DEP_1) | instskip(SKIP_4) | instid1(VALU_DEP_1)
	v_fmac_f32_e32 v3, v142, v126
	ds_load_2addr_b32 v[125:126], v2 offset0:99 offset1:100
	s_waitcnt lgkmcnt(3)
	v_fmac_f32_e32 v3, v143, v127
	s_waitcnt vmcnt(6)
	v_fmac_f32_e32 v3, v144, v128
	ds_load_2addr_b32 v[127:128], v2 offset0:101 offset1:102
	s_waitcnt lgkmcnt(3)
	v_fmac_f32_e32 v3, v145, v129
	s_delay_alu instid0(VALU_DEP_1) | instskip(SKIP_1) | instid1(VALU_DEP_1)
	v_fmac_f32_e32 v3, v146, v130
	s_waitcnt lgkmcnt(2)
	v_fmac_f32_e32 v3, v147, v131
	s_waitcnt vmcnt(5)
	s_delay_alu instid0(VALU_DEP_1) | instskip(SKIP_4) | instid1(VALU_DEP_1)
	v_fmac_f32_e32 v3, v148, v132
	ds_load_2addr_b32 v[129:130], v2 offset0:103 offset1:104
	ds_load_2addr_b32 v[131:132], v2 offset0:105 offset1:106
	s_waitcnt lgkmcnt(3)
	v_fmac_f32_e32 v3, v149, v125
	v_fmac_f32_e32 v3, v150, v126
	ds_load_2addr_b32 v[125:126], v2 offset0:107 offset1:108
	s_waitcnt lgkmcnt(3)
	v_fmac_f32_e32 v3, v151, v127
	s_waitcnt vmcnt(4)
	s_delay_alu instid0(VALU_DEP_1) | instskip(SKIP_3) | instid1(VALU_DEP_1)
	v_fmac_f32_e32 v3, v152, v128
	ds_load_2addr_b32 v[127:128], v2 offset0:109 offset1:110
	s_waitcnt lgkmcnt(3)
	v_fmac_f32_e32 v3, v153, v129
	v_fmac_f32_e32 v3, v154, v130
	s_waitcnt lgkmcnt(2)
	s_delay_alu instid0(VALU_DEP_1) | instskip(SKIP_1) | instid1(VALU_DEP_1)
	v_fmac_f32_e32 v3, v155, v131
	s_waitcnt vmcnt(3)
	v_fmac_f32_e32 v3, v156, v132
	ds_load_2addr_b32 v[129:130], v2 offset0:111 offset1:112
	ds_load_2addr_b32 v[131:132], v2 offset0:113 offset1:114
	s_waitcnt lgkmcnt(3)
	v_fmac_f32_e32 v3, v157, v125
	s_delay_alu instid0(VALU_DEP_1) | instskip(SKIP_4) | instid1(VALU_DEP_1)
	v_fmac_f32_e32 v3, v158, v126
	ds_load_2addr_b32 v[125:126], v2 offset0:115 offset1:116
	s_waitcnt lgkmcnt(3)
	v_fmac_f32_e32 v3, v159, v127
	s_waitcnt vmcnt(2)
	v_fmac_f32_e32 v3, v160, v128
	ds_load_2addr_b32 v[127:128], v2 offset0:117 offset1:118
	s_waitcnt lgkmcnt(3)
	v_fmac_f32_e32 v3, v161, v129
	ds_load_b32 v129, v2 offset:476
	v_fmac_f32_e32 v3, v162, v130
	s_waitcnt lgkmcnt(3)
	s_delay_alu instid0(VALU_DEP_1) | instskip(SKIP_1) | instid1(VALU_DEP_1)
	v_fmac_f32_e32 v3, v163, v131
	s_waitcnt vmcnt(1)
	v_fmac_f32_e32 v3, v164, v132
	s_waitcnt lgkmcnt(2)
	s_delay_alu instid0(VALU_DEP_1) | instskip(NEXT) | instid1(VALU_DEP_1)
	v_fmac_f32_e32 v3, v165, v125
	v_fmac_f32_e32 v3, v166, v126
	s_waitcnt lgkmcnt(1)
	s_delay_alu instid0(VALU_DEP_1) | instskip(SKIP_1) | instid1(VALU_DEP_1)
	v_fmac_f32_e32 v3, v167, v127
	s_waitcnt vmcnt(0)
	v_fmac_f32_e32 v3, v168, v128
	s_waitcnt lgkmcnt(0)
	s_delay_alu instid0(VALU_DEP_1) | instskip(NEXT) | instid1(VALU_DEP_1)
	v_fmac_f32_e32 v3, v169, v129
	v_sub_f32_e32 v3, v124, v3
	scratch_store_b32 off, v3, off offset:56
	v_cmpx_lt_u32_e32 13, v0
	s_cbranch_execz .LBB123_341
; %bb.340:
	scratch_load_b32 v3, off, off offset:52
	scratch_store_b32 off, v2, off offset:52
	s_waitcnt vmcnt(0)
	ds_store_b32 v1, v3
.LBB123_341:
	s_or_b32 exec_lo, exec_lo, s0
	s_waitcnt lgkmcnt(0)
	s_waitcnt_vscnt null, 0x0
	s_barrier
	buffer_gl0_inv
	s_clause 0xb
	scratch_load_b128 v[124:127], off, off offset:52
	scratch_load_b128 v[128:131], off, off offset:68
	;; [unrolled: 1-line block ×11, first 2 shown]
	scratch_load_b96 v[176:178], off, off offset:228
	ds_load_2addr_b64 v[168:171], v2 offset0:37 offset1:38
	ds_load_2addr_b64 v[172:175], v2 offset0:39 offset1:40
	s_mov_b32 s0, exec_lo
	s_waitcnt vmcnt(11) lgkmcnt(1)
	v_fma_f32 v168, v125, v168, 0
	s_delay_alu instid0(VALU_DEP_1) | instskip(NEXT) | instid1(VALU_DEP_1)
	v_fmac_f32_e32 v168, v126, v169
	v_fmac_f32_e32 v168, v127, v170
	s_waitcnt vmcnt(10)
	s_delay_alu instid0(VALU_DEP_1) | instskip(SKIP_3) | instid1(VALU_DEP_1)
	v_fmac_f32_e32 v168, v128, v171
	ds_load_2addr_b64 v[125:128], v2 offset0:41 offset1:42
	s_waitcnt lgkmcnt(1)
	v_fmac_f32_e32 v168, v129, v172
	v_fmac_f32_e32 v168, v130, v173
	s_delay_alu instid0(VALU_DEP_1) | instskip(SKIP_1) | instid1(VALU_DEP_1)
	v_fmac_f32_e32 v168, v131, v174
	s_waitcnt vmcnt(9)
	v_fmac_f32_e32 v168, v132, v175
	ds_load_2addr_b64 v[129:132], v2 offset0:43 offset1:44
	s_waitcnt lgkmcnt(1)
	v_fmac_f32_e32 v168, v133, v125
	s_delay_alu instid0(VALU_DEP_1) | instskip(NEXT) | instid1(VALU_DEP_1)
	v_fmac_f32_e32 v168, v134, v126
	v_fmac_f32_e32 v168, v135, v127
	s_waitcnt vmcnt(8)
	s_delay_alu instid0(VALU_DEP_1) | instskip(SKIP_3) | instid1(VALU_DEP_1)
	v_fmac_f32_e32 v168, v136, v128
	ds_load_2addr_b64 v[125:128], v2 offset0:45 offset1:46
	s_waitcnt lgkmcnt(1)
	v_fmac_f32_e32 v168, v137, v129
	v_fmac_f32_e32 v168, v138, v130
	s_delay_alu instid0(VALU_DEP_1) | instskip(SKIP_1) | instid1(VALU_DEP_1)
	v_fmac_f32_e32 v168, v139, v131
	s_waitcnt vmcnt(7)
	v_fmac_f32_e32 v168, v140, v132
	ds_load_2addr_b64 v[129:132], v2 offset0:47 offset1:48
	s_waitcnt lgkmcnt(1)
	v_fmac_f32_e32 v168, v141, v125
	s_delay_alu instid0(VALU_DEP_1) | instskip(NEXT) | instid1(VALU_DEP_1)
	v_fmac_f32_e32 v168, v142, v126
	v_fmac_f32_e32 v168, v143, v127
	s_waitcnt vmcnt(6)
	s_delay_alu instid0(VALU_DEP_1) | instskip(SKIP_3) | instid1(VALU_DEP_1)
	v_fmac_f32_e32 v168, v144, v128
	ds_load_2addr_b64 v[125:128], v2 offset0:49 offset1:50
	s_waitcnt lgkmcnt(1)
	v_fmac_f32_e32 v168, v145, v129
	v_fmac_f32_e32 v168, v146, v130
	s_delay_alu instid0(VALU_DEP_1) | instskip(SKIP_1) | instid1(VALU_DEP_1)
	v_fmac_f32_e32 v168, v147, v131
	s_waitcnt vmcnt(5)
	v_fmac_f32_e32 v168, v148, v132
	ds_load_2addr_b64 v[129:132], v2 offset0:51 offset1:52
	s_waitcnt lgkmcnt(1)
	v_fmac_f32_e32 v168, v149, v125
	s_delay_alu instid0(VALU_DEP_1) | instskip(NEXT) | instid1(VALU_DEP_1)
	v_fmac_f32_e32 v168, v150, v126
	v_fmac_f32_e32 v168, v151, v127
	s_waitcnt vmcnt(4)
	s_delay_alu instid0(VALU_DEP_1) | instskip(SKIP_3) | instid1(VALU_DEP_1)
	v_fmac_f32_e32 v168, v152, v128
	ds_load_2addr_b64 v[125:128], v2 offset0:53 offset1:54
	s_waitcnt lgkmcnt(1)
	v_fmac_f32_e32 v168, v153, v129
	v_fmac_f32_e32 v168, v154, v130
	s_delay_alu instid0(VALU_DEP_1) | instskip(SKIP_1) | instid1(VALU_DEP_1)
	v_fmac_f32_e32 v168, v155, v131
	s_waitcnt vmcnt(3)
	v_fmac_f32_e32 v168, v156, v132
	ds_load_2addr_b64 v[129:132], v2 offset0:55 offset1:56
	s_waitcnt lgkmcnt(1)
	v_fmac_f32_e32 v168, v157, v125
	s_delay_alu instid0(VALU_DEP_1) | instskip(NEXT) | instid1(VALU_DEP_1)
	v_fmac_f32_e32 v168, v158, v126
	v_fmac_f32_e32 v168, v159, v127
	s_waitcnt vmcnt(2)
	s_delay_alu instid0(VALU_DEP_1) | instskip(SKIP_4) | instid1(VALU_DEP_1)
	v_fmac_f32_e32 v168, v160, v128
	ds_load_2addr_b64 v[125:128], v2 offset0:57 offset1:58
	ds_load_b64 v[2:3], v2 offset:472
	s_waitcnt lgkmcnt(2)
	v_fmac_f32_e32 v168, v161, v129
	v_fmac_f32_e32 v168, v162, v130
	s_delay_alu instid0(VALU_DEP_1) | instskip(SKIP_1) | instid1(VALU_DEP_1)
	v_fmac_f32_e32 v168, v163, v131
	s_waitcnt vmcnt(1)
	v_fmac_f32_e32 v168, v164, v132
	s_waitcnt lgkmcnt(1)
	s_delay_alu instid0(VALU_DEP_1) | instskip(NEXT) | instid1(VALU_DEP_1)
	v_fmac_f32_e32 v168, v165, v125
	v_fmac_f32_e32 v168, v166, v126
	s_delay_alu instid0(VALU_DEP_1) | instskip(SKIP_1) | instid1(VALU_DEP_1)
	v_fmac_f32_e32 v168, v167, v127
	s_waitcnt vmcnt(0)
	v_fmac_f32_e32 v168, v176, v128
	s_waitcnt lgkmcnt(0)
	s_delay_alu instid0(VALU_DEP_1) | instskip(NEXT) | instid1(VALU_DEP_1)
	v_fmac_f32_e32 v168, v177, v2
	v_fmac_f32_e32 v168, v178, v3
	s_delay_alu instid0(VALU_DEP_1)
	v_sub_f32_e32 v2, v124, v168
	scratch_store_b32 off, v2, off offset:52
	v_cmpx_lt_u32_e32 12, v0
	s_cbranch_execz .LBB123_343
; %bb.342:
	scratch_load_b32 v2, off, off offset:48
	v_mov_b32_e32 v3, 0
	scratch_store_b32 off, v3, off offset:48
	s_waitcnt vmcnt(0)
	ds_store_b32 v1, v2
.LBB123_343:
	s_or_b32 exec_lo, exec_lo, s0
	s_waitcnt lgkmcnt(0)
	s_waitcnt_vscnt null, 0x0
	s_barrier
	buffer_gl0_inv
	s_clause 0xb
	scratch_load_b128 v[124:127], off, off offset:48
	scratch_load_b128 v[128:131], off, off offset:64
	;; [unrolled: 1-line block ×12, first 2 shown]
	v_mov_b32_e32 v2, 0
	ds_load_2addr_b32 v[172:173], v2 offset0:73 offset1:74
	ds_load_2addr_b32 v[174:175], v2 offset0:75 offset1:76
	;; [unrolled: 1-line block ×4, first 2 shown]
	s_mov_b32 s0, exec_lo
	s_waitcnt vmcnt(11) lgkmcnt(3)
	v_fma_f32 v3, v125, v172, 0
	s_delay_alu instid0(VALU_DEP_1) | instskip(SKIP_4) | instid1(VALU_DEP_1)
	v_fmac_f32_e32 v3, v126, v173
	ds_load_2addr_b32 v[125:126], v2 offset0:81 offset1:82
	s_waitcnt lgkmcnt(3)
	v_fmac_f32_e32 v3, v127, v174
	s_waitcnt vmcnt(10)
	v_fmac_f32_e32 v3, v128, v175
	ds_load_2addr_b32 v[127:128], v2 offset0:83 offset1:84
	s_waitcnt lgkmcnt(3)
	v_fmac_f32_e32 v3, v129, v176
	s_delay_alu instid0(VALU_DEP_1) | instskip(SKIP_1) | instid1(VALU_DEP_1)
	v_fmac_f32_e32 v3, v130, v177
	s_waitcnt lgkmcnt(2)
	v_fmac_f32_e32 v3, v131, v178
	s_waitcnt vmcnt(9)
	s_delay_alu instid0(VALU_DEP_1) | instskip(SKIP_4) | instid1(VALU_DEP_1)
	v_fmac_f32_e32 v3, v132, v179
	ds_load_2addr_b32 v[129:130], v2 offset0:85 offset1:86
	ds_load_2addr_b32 v[131:132], v2 offset0:87 offset1:88
	s_waitcnt lgkmcnt(3)
	v_fmac_f32_e32 v3, v133, v125
	v_fmac_f32_e32 v3, v134, v126
	ds_load_2addr_b32 v[125:126], v2 offset0:89 offset1:90
	s_waitcnt lgkmcnt(3)
	v_fmac_f32_e32 v3, v135, v127
	s_waitcnt vmcnt(8)
	s_delay_alu instid0(VALU_DEP_1) | instskip(SKIP_3) | instid1(VALU_DEP_1)
	v_fmac_f32_e32 v3, v136, v128
	ds_load_2addr_b32 v[127:128], v2 offset0:91 offset1:92
	s_waitcnt lgkmcnt(3)
	v_fmac_f32_e32 v3, v137, v129
	v_fmac_f32_e32 v3, v138, v130
	s_waitcnt lgkmcnt(2)
	s_delay_alu instid0(VALU_DEP_1) | instskip(SKIP_1) | instid1(VALU_DEP_1)
	v_fmac_f32_e32 v3, v139, v131
	s_waitcnt vmcnt(7)
	v_fmac_f32_e32 v3, v140, v132
	ds_load_2addr_b32 v[129:130], v2 offset0:93 offset1:94
	ds_load_2addr_b32 v[131:132], v2 offset0:95 offset1:96
	s_waitcnt lgkmcnt(3)
	v_fmac_f32_e32 v3, v141, v125
	s_delay_alu instid0(VALU_DEP_1) | instskip(SKIP_4) | instid1(VALU_DEP_1)
	v_fmac_f32_e32 v3, v142, v126
	ds_load_2addr_b32 v[125:126], v2 offset0:97 offset1:98
	s_waitcnt lgkmcnt(3)
	v_fmac_f32_e32 v3, v143, v127
	s_waitcnt vmcnt(6)
	v_fmac_f32_e32 v3, v144, v128
	ds_load_2addr_b32 v[127:128], v2 offset0:99 offset1:100
	s_waitcnt lgkmcnt(3)
	v_fmac_f32_e32 v3, v145, v129
	s_delay_alu instid0(VALU_DEP_1) | instskip(SKIP_1) | instid1(VALU_DEP_1)
	v_fmac_f32_e32 v3, v146, v130
	s_waitcnt lgkmcnt(2)
	v_fmac_f32_e32 v3, v147, v131
	s_waitcnt vmcnt(5)
	s_delay_alu instid0(VALU_DEP_1) | instskip(SKIP_4) | instid1(VALU_DEP_1)
	v_fmac_f32_e32 v3, v148, v132
	ds_load_2addr_b32 v[129:130], v2 offset0:101 offset1:102
	ds_load_2addr_b32 v[131:132], v2 offset0:103 offset1:104
	s_waitcnt lgkmcnt(3)
	v_fmac_f32_e32 v3, v149, v125
	v_fmac_f32_e32 v3, v150, v126
	ds_load_2addr_b32 v[125:126], v2 offset0:105 offset1:106
	s_waitcnt lgkmcnt(3)
	v_fmac_f32_e32 v3, v151, v127
	s_waitcnt vmcnt(4)
	s_delay_alu instid0(VALU_DEP_1) | instskip(SKIP_3) | instid1(VALU_DEP_1)
	v_fmac_f32_e32 v3, v152, v128
	ds_load_2addr_b32 v[127:128], v2 offset0:107 offset1:108
	s_waitcnt lgkmcnt(3)
	v_fmac_f32_e32 v3, v153, v129
	v_fmac_f32_e32 v3, v154, v130
	s_waitcnt lgkmcnt(2)
	s_delay_alu instid0(VALU_DEP_1) | instskip(SKIP_1) | instid1(VALU_DEP_1)
	v_fmac_f32_e32 v3, v155, v131
	s_waitcnt vmcnt(3)
	v_fmac_f32_e32 v3, v156, v132
	ds_load_2addr_b32 v[129:130], v2 offset0:109 offset1:110
	ds_load_2addr_b32 v[131:132], v2 offset0:111 offset1:112
	s_waitcnt lgkmcnt(3)
	v_fmac_f32_e32 v3, v157, v125
	s_delay_alu instid0(VALU_DEP_1) | instskip(SKIP_4) | instid1(VALU_DEP_1)
	v_fmac_f32_e32 v3, v158, v126
	ds_load_2addr_b32 v[125:126], v2 offset0:113 offset1:114
	s_waitcnt lgkmcnt(3)
	v_fmac_f32_e32 v3, v159, v127
	s_waitcnt vmcnt(2)
	v_fmac_f32_e32 v3, v160, v128
	ds_load_2addr_b32 v[127:128], v2 offset0:115 offset1:116
	s_waitcnt lgkmcnt(3)
	v_fmac_f32_e32 v3, v161, v129
	s_delay_alu instid0(VALU_DEP_1) | instskip(SKIP_1) | instid1(VALU_DEP_1)
	v_fmac_f32_e32 v3, v162, v130
	s_waitcnt lgkmcnt(2)
	v_fmac_f32_e32 v3, v163, v131
	ds_load_2addr_b32 v[129:130], v2 offset0:117 offset1:118
	ds_load_b32 v131, v2 offset:476
	s_waitcnt vmcnt(1)
	v_fmac_f32_e32 v3, v164, v132
	s_waitcnt lgkmcnt(3)
	s_delay_alu instid0(VALU_DEP_1) | instskip(NEXT) | instid1(VALU_DEP_1)
	v_fmac_f32_e32 v3, v165, v125
	v_fmac_f32_e32 v3, v166, v126
	s_waitcnt lgkmcnt(2)
	s_delay_alu instid0(VALU_DEP_1) | instskip(SKIP_1) | instid1(VALU_DEP_1)
	v_fmac_f32_e32 v3, v167, v127
	s_waitcnt vmcnt(0)
	v_fmac_f32_e32 v3, v168, v128
	s_waitcnt lgkmcnt(1)
	s_delay_alu instid0(VALU_DEP_1) | instskip(NEXT) | instid1(VALU_DEP_1)
	v_fmac_f32_e32 v3, v169, v129
	v_fmac_f32_e32 v3, v170, v130
	s_waitcnt lgkmcnt(0)
	s_delay_alu instid0(VALU_DEP_1) | instskip(NEXT) | instid1(VALU_DEP_1)
	v_fmac_f32_e32 v3, v171, v131
	v_sub_f32_e32 v3, v124, v3
	scratch_store_b32 off, v3, off offset:48
	v_cmpx_lt_u32_e32 11, v0
	s_cbranch_execz .LBB123_345
; %bb.344:
	scratch_load_b32 v3, off, off offset:44
	scratch_store_b32 off, v2, off offset:44
	s_waitcnt vmcnt(0)
	ds_store_b32 v1, v3
.LBB123_345:
	s_or_b32 exec_lo, exec_lo, s0
	s_waitcnt lgkmcnt(0)
	s_waitcnt_vscnt null, 0x0
	s_barrier
	buffer_gl0_inv
	s_clause 0xc
	scratch_load_b128 v[124:127], off, off offset:44
	scratch_load_b128 v[128:131], off, off offset:60
	;; [unrolled: 1-line block ×12, first 2 shown]
	scratch_load_b32 v3, off, off offset:236
	ds_load_b128 v[172:175], v2 offset:288
	ds_load_b128 v[176:179], v2 offset:304
	s_mov_b32 s0, exec_lo
	s_waitcnt vmcnt(12) lgkmcnt(1)
	v_fma_f32 v172, v125, v172, 0
	s_delay_alu instid0(VALU_DEP_1) | instskip(NEXT) | instid1(VALU_DEP_1)
	v_fmac_f32_e32 v172, v126, v173
	v_fmac_f32_e32 v172, v127, v174
	s_waitcnt vmcnt(11)
	s_delay_alu instid0(VALU_DEP_1) | instskip(SKIP_3) | instid1(VALU_DEP_1)
	v_fmac_f32_e32 v172, v128, v175
	ds_load_b128 v[125:128], v2 offset:320
	s_waitcnt lgkmcnt(1)
	v_fmac_f32_e32 v172, v129, v176
	v_fmac_f32_e32 v172, v130, v177
	s_delay_alu instid0(VALU_DEP_1) | instskip(SKIP_1) | instid1(VALU_DEP_1)
	v_fmac_f32_e32 v172, v131, v178
	s_waitcnt vmcnt(10)
	v_fmac_f32_e32 v172, v132, v179
	ds_load_b128 v[129:132], v2 offset:336
	s_waitcnt lgkmcnt(1)
	v_fmac_f32_e32 v172, v133, v125
	s_delay_alu instid0(VALU_DEP_1) | instskip(NEXT) | instid1(VALU_DEP_1)
	v_fmac_f32_e32 v172, v134, v126
	v_fmac_f32_e32 v172, v135, v127
	s_waitcnt vmcnt(9)
	s_delay_alu instid0(VALU_DEP_1) | instskip(SKIP_3) | instid1(VALU_DEP_1)
	v_fmac_f32_e32 v172, v136, v128
	ds_load_b128 v[125:128], v2 offset:352
	s_waitcnt lgkmcnt(1)
	v_fmac_f32_e32 v172, v137, v129
	v_fmac_f32_e32 v172, v138, v130
	s_delay_alu instid0(VALU_DEP_1) | instskip(SKIP_1) | instid1(VALU_DEP_1)
	v_fmac_f32_e32 v172, v139, v131
	s_waitcnt vmcnt(8)
	v_fmac_f32_e32 v172, v140, v132
	ds_load_b128 v[129:132], v2 offset:368
	s_waitcnt lgkmcnt(1)
	v_fmac_f32_e32 v172, v141, v125
	s_delay_alu instid0(VALU_DEP_1) | instskip(NEXT) | instid1(VALU_DEP_1)
	v_fmac_f32_e32 v172, v142, v126
	v_fmac_f32_e32 v172, v143, v127
	s_waitcnt vmcnt(7)
	s_delay_alu instid0(VALU_DEP_1) | instskip(SKIP_3) | instid1(VALU_DEP_1)
	v_fmac_f32_e32 v172, v144, v128
	ds_load_b128 v[125:128], v2 offset:384
	s_waitcnt lgkmcnt(1)
	v_fmac_f32_e32 v172, v145, v129
	v_fmac_f32_e32 v172, v146, v130
	s_delay_alu instid0(VALU_DEP_1) | instskip(SKIP_1) | instid1(VALU_DEP_1)
	v_fmac_f32_e32 v172, v147, v131
	s_waitcnt vmcnt(6)
	v_fmac_f32_e32 v172, v148, v132
	ds_load_b128 v[129:132], v2 offset:400
	s_waitcnt lgkmcnt(1)
	v_fmac_f32_e32 v172, v149, v125
	s_delay_alu instid0(VALU_DEP_1) | instskip(NEXT) | instid1(VALU_DEP_1)
	v_fmac_f32_e32 v172, v150, v126
	v_fmac_f32_e32 v172, v151, v127
	s_waitcnt vmcnt(5)
	s_delay_alu instid0(VALU_DEP_1) | instskip(SKIP_3) | instid1(VALU_DEP_1)
	v_fmac_f32_e32 v172, v152, v128
	ds_load_b128 v[125:128], v2 offset:416
	s_waitcnt lgkmcnt(1)
	v_fmac_f32_e32 v172, v153, v129
	v_fmac_f32_e32 v172, v154, v130
	s_delay_alu instid0(VALU_DEP_1) | instskip(SKIP_1) | instid1(VALU_DEP_1)
	v_fmac_f32_e32 v172, v155, v131
	s_waitcnt vmcnt(4)
	v_fmac_f32_e32 v172, v156, v132
	ds_load_b128 v[129:132], v2 offset:432
	s_waitcnt lgkmcnt(1)
	v_fmac_f32_e32 v172, v157, v125
	s_delay_alu instid0(VALU_DEP_1) | instskip(NEXT) | instid1(VALU_DEP_1)
	v_fmac_f32_e32 v172, v158, v126
	v_fmac_f32_e32 v172, v159, v127
	s_waitcnt vmcnt(3)
	s_delay_alu instid0(VALU_DEP_1) | instskip(SKIP_3) | instid1(VALU_DEP_1)
	v_fmac_f32_e32 v172, v160, v128
	ds_load_b128 v[125:128], v2 offset:448
	s_waitcnt lgkmcnt(1)
	v_fmac_f32_e32 v172, v161, v129
	v_fmac_f32_e32 v172, v162, v130
	s_delay_alu instid0(VALU_DEP_1) | instskip(SKIP_1) | instid1(VALU_DEP_1)
	v_fmac_f32_e32 v172, v163, v131
	s_waitcnt vmcnt(2)
	v_fmac_f32_e32 v172, v164, v132
	ds_load_b128 v[129:132], v2 offset:464
	s_waitcnt lgkmcnt(1)
	v_fmac_f32_e32 v172, v165, v125
	s_delay_alu instid0(VALU_DEP_1) | instskip(NEXT) | instid1(VALU_DEP_1)
	v_fmac_f32_e32 v172, v166, v126
	v_fmac_f32_e32 v172, v167, v127
	s_waitcnt vmcnt(1)
	s_delay_alu instid0(VALU_DEP_1) | instskip(SKIP_1) | instid1(VALU_DEP_1)
	v_fmac_f32_e32 v172, v168, v128
	s_waitcnt lgkmcnt(0)
	v_fmac_f32_e32 v172, v169, v129
	s_delay_alu instid0(VALU_DEP_1) | instskip(NEXT) | instid1(VALU_DEP_1)
	v_fmac_f32_e32 v172, v170, v130
	v_fmac_f32_e32 v172, v171, v131
	s_waitcnt vmcnt(0)
	s_delay_alu instid0(VALU_DEP_1) | instskip(NEXT) | instid1(VALU_DEP_1)
	v_fmac_f32_e32 v172, v3, v132
	v_sub_f32_e32 v2, v124, v172
	scratch_store_b32 off, v2, off offset:44
	v_cmpx_lt_u32_e32 10, v0
	s_cbranch_execz .LBB123_347
; %bb.346:
	scratch_load_b32 v2, off, off offset:40
	v_mov_b32_e32 v3, 0
	scratch_store_b32 off, v3, off offset:40
	s_waitcnt vmcnt(0)
	ds_store_b32 v1, v2
.LBB123_347:
	s_or_b32 exec_lo, exec_lo, s0
	s_waitcnt lgkmcnt(0)
	s_waitcnt_vscnt null, 0x0
	s_barrier
	buffer_gl0_inv
	s_clause 0xc
	scratch_load_b128 v[124:127], off, off offset:40
	scratch_load_b128 v[128:131], off, off offset:56
	;; [unrolled: 1-line block ×12, first 2 shown]
	scratch_load_b64 v[172:173], off, off offset:232
	v_mov_b32_e32 v2, 0
	ds_load_2addr_b32 v[174:175], v2 offset0:71 offset1:72
	ds_load_2addr_b32 v[176:177], v2 offset0:73 offset1:74
	;; [unrolled: 1-line block ×4, first 2 shown]
	s_mov_b32 s0, exec_lo
	s_waitcnt vmcnt(12) lgkmcnt(3)
	v_fma_f32 v3, v125, v174, 0
	s_delay_alu instid0(VALU_DEP_1) | instskip(SKIP_4) | instid1(VALU_DEP_1)
	v_fmac_f32_e32 v3, v126, v175
	ds_load_2addr_b32 v[125:126], v2 offset0:79 offset1:80
	s_waitcnt lgkmcnt(3)
	v_fmac_f32_e32 v3, v127, v176
	s_waitcnt vmcnt(11)
	v_fmac_f32_e32 v3, v128, v177
	ds_load_2addr_b32 v[127:128], v2 offset0:81 offset1:82
	s_waitcnt lgkmcnt(3)
	v_fmac_f32_e32 v3, v129, v178
	s_delay_alu instid0(VALU_DEP_1) | instskip(SKIP_1) | instid1(VALU_DEP_1)
	v_fmac_f32_e32 v3, v130, v179
	s_waitcnt lgkmcnt(2)
	v_fmac_f32_e32 v3, v131, v180
	s_waitcnt vmcnt(10)
	s_delay_alu instid0(VALU_DEP_1) | instskip(SKIP_4) | instid1(VALU_DEP_1)
	v_fmac_f32_e32 v3, v132, v181
	ds_load_2addr_b32 v[129:130], v2 offset0:83 offset1:84
	ds_load_2addr_b32 v[131:132], v2 offset0:85 offset1:86
	s_waitcnt lgkmcnt(3)
	v_fmac_f32_e32 v3, v133, v125
	v_fmac_f32_e32 v3, v134, v126
	ds_load_2addr_b32 v[125:126], v2 offset0:87 offset1:88
	s_waitcnt lgkmcnt(3)
	v_fmac_f32_e32 v3, v135, v127
	s_waitcnt vmcnt(9)
	s_delay_alu instid0(VALU_DEP_1) | instskip(SKIP_3) | instid1(VALU_DEP_1)
	v_fmac_f32_e32 v3, v136, v128
	ds_load_2addr_b32 v[127:128], v2 offset0:89 offset1:90
	s_waitcnt lgkmcnt(3)
	v_fmac_f32_e32 v3, v137, v129
	v_fmac_f32_e32 v3, v138, v130
	s_waitcnt lgkmcnt(2)
	s_delay_alu instid0(VALU_DEP_1) | instskip(SKIP_1) | instid1(VALU_DEP_1)
	v_fmac_f32_e32 v3, v139, v131
	s_waitcnt vmcnt(8)
	v_fmac_f32_e32 v3, v140, v132
	ds_load_2addr_b32 v[129:130], v2 offset0:91 offset1:92
	ds_load_2addr_b32 v[131:132], v2 offset0:93 offset1:94
	s_waitcnt lgkmcnt(3)
	v_fmac_f32_e32 v3, v141, v125
	s_delay_alu instid0(VALU_DEP_1) | instskip(SKIP_4) | instid1(VALU_DEP_1)
	v_fmac_f32_e32 v3, v142, v126
	ds_load_2addr_b32 v[125:126], v2 offset0:95 offset1:96
	s_waitcnt lgkmcnt(3)
	v_fmac_f32_e32 v3, v143, v127
	s_waitcnt vmcnt(7)
	v_fmac_f32_e32 v3, v144, v128
	ds_load_2addr_b32 v[127:128], v2 offset0:97 offset1:98
	s_waitcnt lgkmcnt(3)
	v_fmac_f32_e32 v3, v145, v129
	s_delay_alu instid0(VALU_DEP_1) | instskip(SKIP_1) | instid1(VALU_DEP_1)
	v_fmac_f32_e32 v3, v146, v130
	s_waitcnt lgkmcnt(2)
	v_fmac_f32_e32 v3, v147, v131
	s_waitcnt vmcnt(6)
	s_delay_alu instid0(VALU_DEP_1) | instskip(SKIP_4) | instid1(VALU_DEP_1)
	v_fmac_f32_e32 v3, v148, v132
	ds_load_2addr_b32 v[129:130], v2 offset0:99 offset1:100
	ds_load_2addr_b32 v[131:132], v2 offset0:101 offset1:102
	s_waitcnt lgkmcnt(3)
	v_fmac_f32_e32 v3, v149, v125
	v_fmac_f32_e32 v3, v150, v126
	ds_load_2addr_b32 v[125:126], v2 offset0:103 offset1:104
	s_waitcnt lgkmcnt(3)
	v_fmac_f32_e32 v3, v151, v127
	s_waitcnt vmcnt(5)
	s_delay_alu instid0(VALU_DEP_1) | instskip(SKIP_3) | instid1(VALU_DEP_1)
	v_fmac_f32_e32 v3, v152, v128
	ds_load_2addr_b32 v[127:128], v2 offset0:105 offset1:106
	s_waitcnt lgkmcnt(3)
	v_fmac_f32_e32 v3, v153, v129
	v_fmac_f32_e32 v3, v154, v130
	s_waitcnt lgkmcnt(2)
	s_delay_alu instid0(VALU_DEP_1) | instskip(SKIP_1) | instid1(VALU_DEP_1)
	v_fmac_f32_e32 v3, v155, v131
	s_waitcnt vmcnt(4)
	v_fmac_f32_e32 v3, v156, v132
	ds_load_2addr_b32 v[129:130], v2 offset0:107 offset1:108
	ds_load_2addr_b32 v[131:132], v2 offset0:109 offset1:110
	s_waitcnt lgkmcnt(3)
	v_fmac_f32_e32 v3, v157, v125
	s_delay_alu instid0(VALU_DEP_1) | instskip(SKIP_4) | instid1(VALU_DEP_1)
	v_fmac_f32_e32 v3, v158, v126
	ds_load_2addr_b32 v[125:126], v2 offset0:111 offset1:112
	s_waitcnt lgkmcnt(3)
	v_fmac_f32_e32 v3, v159, v127
	s_waitcnt vmcnt(3)
	v_fmac_f32_e32 v3, v160, v128
	ds_load_2addr_b32 v[127:128], v2 offset0:113 offset1:114
	s_waitcnt lgkmcnt(3)
	v_fmac_f32_e32 v3, v161, v129
	s_delay_alu instid0(VALU_DEP_1) | instskip(SKIP_1) | instid1(VALU_DEP_1)
	v_fmac_f32_e32 v3, v162, v130
	s_waitcnt lgkmcnt(2)
	v_fmac_f32_e32 v3, v163, v131
	s_waitcnt vmcnt(2)
	s_delay_alu instid0(VALU_DEP_1)
	v_fmac_f32_e32 v3, v164, v132
	ds_load_2addr_b32 v[129:130], v2 offset0:115 offset1:116
	ds_load_2addr_b32 v[131:132], v2 offset0:117 offset1:118
	s_waitcnt lgkmcnt(3)
	v_fmac_f32_e32 v3, v165, v125
	ds_load_b32 v125, v2 offset:476
	v_fmac_f32_e32 v3, v166, v126
	s_waitcnt lgkmcnt(3)
	s_delay_alu instid0(VALU_DEP_1) | instskip(SKIP_1) | instid1(VALU_DEP_1)
	v_fmac_f32_e32 v3, v167, v127
	s_waitcnt vmcnt(1)
	v_fmac_f32_e32 v3, v168, v128
	s_waitcnt lgkmcnt(2)
	s_delay_alu instid0(VALU_DEP_1) | instskip(NEXT) | instid1(VALU_DEP_1)
	v_fmac_f32_e32 v3, v169, v129
	v_fmac_f32_e32 v3, v170, v130
	s_waitcnt lgkmcnt(1)
	s_delay_alu instid0(VALU_DEP_1) | instskip(SKIP_1) | instid1(VALU_DEP_1)
	v_fmac_f32_e32 v3, v171, v131
	s_waitcnt vmcnt(0)
	v_fmac_f32_e32 v3, v172, v132
	s_waitcnt lgkmcnt(0)
	s_delay_alu instid0(VALU_DEP_1) | instskip(NEXT) | instid1(VALU_DEP_1)
	v_fmac_f32_e32 v3, v173, v125
	v_sub_f32_e32 v3, v124, v3
	scratch_store_b32 off, v3, off offset:40
	v_cmpx_lt_u32_e32 9, v0
	s_cbranch_execz .LBB123_349
; %bb.348:
	scratch_load_b32 v3, off, off offset:36
	scratch_store_b32 off, v2, off offset:36
	s_waitcnt vmcnt(0)
	ds_store_b32 v1, v3
.LBB123_349:
	s_or_b32 exec_lo, exec_lo, s0
	s_waitcnt lgkmcnt(0)
	s_waitcnt_vscnt null, 0x0
	s_barrier
	buffer_gl0_inv
	s_clause 0xc
	scratch_load_b128 v[124:127], off, off offset:36
	scratch_load_b128 v[128:131], off, off offset:52
	;; [unrolled: 1-line block ×12, first 2 shown]
	scratch_load_b96 v[180:182], off, off offset:228
	ds_load_2addr_b64 v[172:175], v2 offset0:35 offset1:36
	ds_load_2addr_b64 v[176:179], v2 offset0:37 offset1:38
	s_mov_b32 s0, exec_lo
	s_waitcnt vmcnt(12) lgkmcnt(1)
	v_fma_f32 v172, v125, v172, 0
	s_delay_alu instid0(VALU_DEP_1) | instskip(NEXT) | instid1(VALU_DEP_1)
	v_fmac_f32_e32 v172, v126, v173
	v_fmac_f32_e32 v172, v127, v174
	s_waitcnt vmcnt(11)
	s_delay_alu instid0(VALU_DEP_1) | instskip(SKIP_3) | instid1(VALU_DEP_1)
	v_fmac_f32_e32 v172, v128, v175
	ds_load_2addr_b64 v[125:128], v2 offset0:39 offset1:40
	s_waitcnt lgkmcnt(1)
	v_fmac_f32_e32 v172, v129, v176
	v_fmac_f32_e32 v172, v130, v177
	s_delay_alu instid0(VALU_DEP_1) | instskip(SKIP_1) | instid1(VALU_DEP_1)
	v_fmac_f32_e32 v172, v131, v178
	s_waitcnt vmcnt(10)
	v_fmac_f32_e32 v172, v132, v179
	ds_load_2addr_b64 v[129:132], v2 offset0:41 offset1:42
	s_waitcnt lgkmcnt(1)
	v_fmac_f32_e32 v172, v133, v125
	s_delay_alu instid0(VALU_DEP_1) | instskip(NEXT) | instid1(VALU_DEP_1)
	v_fmac_f32_e32 v172, v134, v126
	v_fmac_f32_e32 v172, v135, v127
	s_waitcnt vmcnt(9)
	s_delay_alu instid0(VALU_DEP_1) | instskip(SKIP_3) | instid1(VALU_DEP_1)
	v_fmac_f32_e32 v172, v136, v128
	ds_load_2addr_b64 v[125:128], v2 offset0:43 offset1:44
	s_waitcnt lgkmcnt(1)
	v_fmac_f32_e32 v172, v137, v129
	v_fmac_f32_e32 v172, v138, v130
	s_delay_alu instid0(VALU_DEP_1) | instskip(SKIP_1) | instid1(VALU_DEP_1)
	v_fmac_f32_e32 v172, v139, v131
	s_waitcnt vmcnt(8)
	v_fmac_f32_e32 v172, v140, v132
	ds_load_2addr_b64 v[129:132], v2 offset0:45 offset1:46
	s_waitcnt lgkmcnt(1)
	v_fmac_f32_e32 v172, v141, v125
	;; [unrolled: 17-line block ×4, first 2 shown]
	s_delay_alu instid0(VALU_DEP_1) | instskip(NEXT) | instid1(VALU_DEP_1)
	v_fmac_f32_e32 v172, v158, v126
	v_fmac_f32_e32 v172, v159, v127
	s_waitcnt vmcnt(3)
	s_delay_alu instid0(VALU_DEP_1) | instskip(SKIP_3) | instid1(VALU_DEP_1)
	v_fmac_f32_e32 v172, v160, v128
	ds_load_2addr_b64 v[125:128], v2 offset0:55 offset1:56
	s_waitcnt lgkmcnt(1)
	v_fmac_f32_e32 v172, v161, v129
	v_fmac_f32_e32 v172, v162, v130
	s_delay_alu instid0(VALU_DEP_1) | instskip(SKIP_1) | instid1(VALU_DEP_1)
	v_fmac_f32_e32 v172, v163, v131
	s_waitcnt vmcnt(2)
	v_fmac_f32_e32 v172, v164, v132
	ds_load_2addr_b64 v[129:132], v2 offset0:57 offset1:58
	ds_load_b64 v[2:3], v2 offset:472
	s_waitcnt lgkmcnt(2)
	v_fmac_f32_e32 v172, v165, v125
	s_delay_alu instid0(VALU_DEP_1) | instskip(NEXT) | instid1(VALU_DEP_1)
	v_fmac_f32_e32 v172, v166, v126
	v_fmac_f32_e32 v172, v167, v127
	s_waitcnt vmcnt(1)
	s_delay_alu instid0(VALU_DEP_1) | instskip(SKIP_1) | instid1(VALU_DEP_1)
	v_fmac_f32_e32 v172, v168, v128
	s_waitcnt lgkmcnt(1)
	v_fmac_f32_e32 v172, v169, v129
	s_delay_alu instid0(VALU_DEP_1) | instskip(NEXT) | instid1(VALU_DEP_1)
	v_fmac_f32_e32 v172, v170, v130
	v_fmac_f32_e32 v172, v171, v131
	s_waitcnt vmcnt(0)
	s_delay_alu instid0(VALU_DEP_1) | instskip(SKIP_1) | instid1(VALU_DEP_1)
	v_fmac_f32_e32 v172, v180, v132
	s_waitcnt lgkmcnt(0)
	v_fmac_f32_e32 v172, v181, v2
	s_delay_alu instid0(VALU_DEP_1) | instskip(NEXT) | instid1(VALU_DEP_1)
	v_fmac_f32_e32 v172, v182, v3
	v_sub_f32_e32 v2, v124, v172
	scratch_store_b32 off, v2, off offset:36
	v_cmpx_lt_u32_e32 8, v0
	s_cbranch_execz .LBB123_351
; %bb.350:
	scratch_load_b32 v2, off, off offset:32
	v_mov_b32_e32 v3, 0
	scratch_store_b32 off, v3, off offset:32
	s_waitcnt vmcnt(0)
	ds_store_b32 v1, v2
.LBB123_351:
	s_or_b32 exec_lo, exec_lo, s0
	s_waitcnt lgkmcnt(0)
	s_waitcnt_vscnt null, 0x0
	s_barrier
	buffer_gl0_inv
	s_clause 0xc
	scratch_load_b128 v[124:127], off, off offset:32
	scratch_load_b128 v[128:131], off, off offset:48
	;; [unrolled: 1-line block ×13, first 2 shown]
	v_mov_b32_e32 v2, 0
	ds_load_2addr_b32 v[176:177], v2 offset0:69 offset1:70
	ds_load_2addr_b32 v[178:179], v2 offset0:71 offset1:72
	;; [unrolled: 1-line block ×4, first 2 shown]
	s_mov_b32 s0, exec_lo
	s_waitcnt vmcnt(12) lgkmcnt(3)
	v_fma_f32 v3, v125, v176, 0
	s_delay_alu instid0(VALU_DEP_1) | instskip(SKIP_4) | instid1(VALU_DEP_1)
	v_fmac_f32_e32 v3, v126, v177
	ds_load_2addr_b32 v[125:126], v2 offset0:77 offset1:78
	s_waitcnt lgkmcnt(3)
	v_fmac_f32_e32 v3, v127, v178
	s_waitcnt vmcnt(11)
	v_fmac_f32_e32 v3, v128, v179
	ds_load_2addr_b32 v[127:128], v2 offset0:79 offset1:80
	s_waitcnt lgkmcnt(3)
	v_fmac_f32_e32 v3, v129, v180
	s_delay_alu instid0(VALU_DEP_1) | instskip(SKIP_1) | instid1(VALU_DEP_1)
	v_fmac_f32_e32 v3, v130, v181
	s_waitcnt lgkmcnt(2)
	v_fmac_f32_e32 v3, v131, v182
	s_waitcnt vmcnt(10)
	s_delay_alu instid0(VALU_DEP_1) | instskip(SKIP_4) | instid1(VALU_DEP_1)
	v_fmac_f32_e32 v3, v132, v183
	ds_load_2addr_b32 v[129:130], v2 offset0:81 offset1:82
	ds_load_2addr_b32 v[131:132], v2 offset0:83 offset1:84
	s_waitcnt lgkmcnt(3)
	v_fmac_f32_e32 v3, v133, v125
	v_fmac_f32_e32 v3, v134, v126
	ds_load_2addr_b32 v[125:126], v2 offset0:85 offset1:86
	s_waitcnt lgkmcnt(3)
	v_fmac_f32_e32 v3, v135, v127
	s_waitcnt vmcnt(9)
	s_delay_alu instid0(VALU_DEP_1) | instskip(SKIP_3) | instid1(VALU_DEP_1)
	v_fmac_f32_e32 v3, v136, v128
	ds_load_2addr_b32 v[127:128], v2 offset0:87 offset1:88
	s_waitcnt lgkmcnt(3)
	v_fmac_f32_e32 v3, v137, v129
	v_fmac_f32_e32 v3, v138, v130
	s_waitcnt lgkmcnt(2)
	s_delay_alu instid0(VALU_DEP_1) | instskip(SKIP_1) | instid1(VALU_DEP_1)
	v_fmac_f32_e32 v3, v139, v131
	s_waitcnt vmcnt(8)
	v_fmac_f32_e32 v3, v140, v132
	ds_load_2addr_b32 v[129:130], v2 offset0:89 offset1:90
	ds_load_2addr_b32 v[131:132], v2 offset0:91 offset1:92
	s_waitcnt lgkmcnt(3)
	v_fmac_f32_e32 v3, v141, v125
	s_delay_alu instid0(VALU_DEP_1) | instskip(SKIP_4) | instid1(VALU_DEP_1)
	v_fmac_f32_e32 v3, v142, v126
	ds_load_2addr_b32 v[125:126], v2 offset0:93 offset1:94
	s_waitcnt lgkmcnt(3)
	v_fmac_f32_e32 v3, v143, v127
	s_waitcnt vmcnt(7)
	v_fmac_f32_e32 v3, v144, v128
	ds_load_2addr_b32 v[127:128], v2 offset0:95 offset1:96
	s_waitcnt lgkmcnt(3)
	v_fmac_f32_e32 v3, v145, v129
	s_delay_alu instid0(VALU_DEP_1) | instskip(SKIP_1) | instid1(VALU_DEP_1)
	v_fmac_f32_e32 v3, v146, v130
	s_waitcnt lgkmcnt(2)
	v_fmac_f32_e32 v3, v147, v131
	s_waitcnt vmcnt(6)
	s_delay_alu instid0(VALU_DEP_1) | instskip(SKIP_4) | instid1(VALU_DEP_1)
	v_fmac_f32_e32 v3, v148, v132
	ds_load_2addr_b32 v[129:130], v2 offset0:97 offset1:98
	ds_load_2addr_b32 v[131:132], v2 offset0:99 offset1:100
	s_waitcnt lgkmcnt(3)
	v_fmac_f32_e32 v3, v149, v125
	v_fmac_f32_e32 v3, v150, v126
	ds_load_2addr_b32 v[125:126], v2 offset0:101 offset1:102
	s_waitcnt lgkmcnt(3)
	v_fmac_f32_e32 v3, v151, v127
	s_waitcnt vmcnt(5)
	s_delay_alu instid0(VALU_DEP_1) | instskip(SKIP_3) | instid1(VALU_DEP_1)
	v_fmac_f32_e32 v3, v152, v128
	ds_load_2addr_b32 v[127:128], v2 offset0:103 offset1:104
	s_waitcnt lgkmcnt(3)
	v_fmac_f32_e32 v3, v153, v129
	v_fmac_f32_e32 v3, v154, v130
	s_waitcnt lgkmcnt(2)
	s_delay_alu instid0(VALU_DEP_1) | instskip(SKIP_1) | instid1(VALU_DEP_1)
	v_fmac_f32_e32 v3, v155, v131
	s_waitcnt vmcnt(4)
	v_fmac_f32_e32 v3, v156, v132
	ds_load_2addr_b32 v[129:130], v2 offset0:105 offset1:106
	ds_load_2addr_b32 v[131:132], v2 offset0:107 offset1:108
	s_waitcnt lgkmcnt(3)
	v_fmac_f32_e32 v3, v157, v125
	s_delay_alu instid0(VALU_DEP_1) | instskip(SKIP_4) | instid1(VALU_DEP_1)
	v_fmac_f32_e32 v3, v158, v126
	ds_load_2addr_b32 v[125:126], v2 offset0:109 offset1:110
	s_waitcnt lgkmcnt(3)
	v_fmac_f32_e32 v3, v159, v127
	s_waitcnt vmcnt(3)
	v_fmac_f32_e32 v3, v160, v128
	ds_load_2addr_b32 v[127:128], v2 offset0:111 offset1:112
	s_waitcnt lgkmcnt(3)
	v_fmac_f32_e32 v3, v161, v129
	s_delay_alu instid0(VALU_DEP_1) | instskip(SKIP_1) | instid1(VALU_DEP_1)
	v_fmac_f32_e32 v3, v162, v130
	s_waitcnt lgkmcnt(2)
	v_fmac_f32_e32 v3, v163, v131
	s_waitcnt vmcnt(2)
	s_delay_alu instid0(VALU_DEP_1) | instskip(SKIP_4) | instid1(VALU_DEP_1)
	v_fmac_f32_e32 v3, v164, v132
	ds_load_2addr_b32 v[129:130], v2 offset0:113 offset1:114
	ds_load_2addr_b32 v[131:132], v2 offset0:115 offset1:116
	s_waitcnt lgkmcnt(3)
	v_fmac_f32_e32 v3, v165, v125
	v_fmac_f32_e32 v3, v166, v126
	ds_load_2addr_b32 v[125:126], v2 offset0:117 offset1:118
	s_waitcnt lgkmcnt(3)
	v_fmac_f32_e32 v3, v167, v127
	ds_load_b32 v127, v2 offset:476
	s_waitcnt vmcnt(1)
	v_fmac_f32_e32 v3, v168, v128
	s_waitcnt lgkmcnt(3)
	s_delay_alu instid0(VALU_DEP_1) | instskip(NEXT) | instid1(VALU_DEP_1)
	v_fmac_f32_e32 v3, v169, v129
	v_fmac_f32_e32 v3, v170, v130
	s_waitcnt lgkmcnt(2)
	s_delay_alu instid0(VALU_DEP_1) | instskip(SKIP_1) | instid1(VALU_DEP_1)
	v_fmac_f32_e32 v3, v171, v131
	s_waitcnt vmcnt(0)
	v_fmac_f32_e32 v3, v172, v132
	s_waitcnt lgkmcnt(1)
	s_delay_alu instid0(VALU_DEP_1) | instskip(NEXT) | instid1(VALU_DEP_1)
	v_fmac_f32_e32 v3, v173, v125
	v_fmac_f32_e32 v3, v174, v126
	s_waitcnt lgkmcnt(0)
	s_delay_alu instid0(VALU_DEP_1) | instskip(NEXT) | instid1(VALU_DEP_1)
	v_fmac_f32_e32 v3, v175, v127
	v_sub_f32_e32 v3, v124, v3
	scratch_store_b32 off, v3, off offset:32
	v_cmpx_lt_u32_e32 7, v0
	s_cbranch_execz .LBB123_353
; %bb.352:
	scratch_load_b32 v3, off, off offset:28
	scratch_store_b32 off, v2, off offset:28
	s_waitcnt vmcnt(0)
	ds_store_b32 v1, v3
.LBB123_353:
	s_or_b32 exec_lo, exec_lo, s0
	s_waitcnt lgkmcnt(0)
	s_waitcnt_vscnt null, 0x0
	s_barrier
	buffer_gl0_inv
	s_clause 0xd
	scratch_load_b128 v[124:127], off, off offset:28
	scratch_load_b128 v[128:131], off, off offset:44
	;; [unrolled: 1-line block ×13, first 2 shown]
	scratch_load_b32 v3, off, off offset:236
	ds_load_b128 v[176:179], v2 offset:272
	ds_load_b128 v[180:183], v2 offset:288
	s_mov_b32 s0, exec_lo
	s_waitcnt vmcnt(13) lgkmcnt(1)
	v_fma_f32 v176, v125, v176, 0
	s_delay_alu instid0(VALU_DEP_1) | instskip(NEXT) | instid1(VALU_DEP_1)
	v_fmac_f32_e32 v176, v126, v177
	v_fmac_f32_e32 v176, v127, v178
	s_waitcnt vmcnt(12)
	s_delay_alu instid0(VALU_DEP_1) | instskip(SKIP_3) | instid1(VALU_DEP_1)
	v_fmac_f32_e32 v176, v128, v179
	ds_load_b128 v[125:128], v2 offset:304
	s_waitcnt lgkmcnt(1)
	v_fmac_f32_e32 v176, v129, v180
	v_fmac_f32_e32 v176, v130, v181
	s_delay_alu instid0(VALU_DEP_1) | instskip(SKIP_1) | instid1(VALU_DEP_1)
	v_fmac_f32_e32 v176, v131, v182
	s_waitcnt vmcnt(11)
	v_fmac_f32_e32 v176, v132, v183
	ds_load_b128 v[129:132], v2 offset:320
	s_waitcnt lgkmcnt(1)
	v_fmac_f32_e32 v176, v133, v125
	s_delay_alu instid0(VALU_DEP_1) | instskip(NEXT) | instid1(VALU_DEP_1)
	v_fmac_f32_e32 v176, v134, v126
	v_fmac_f32_e32 v176, v135, v127
	s_waitcnt vmcnt(10)
	s_delay_alu instid0(VALU_DEP_1) | instskip(SKIP_3) | instid1(VALU_DEP_1)
	v_fmac_f32_e32 v176, v136, v128
	ds_load_b128 v[125:128], v2 offset:336
	s_waitcnt lgkmcnt(1)
	v_fmac_f32_e32 v176, v137, v129
	v_fmac_f32_e32 v176, v138, v130
	s_delay_alu instid0(VALU_DEP_1) | instskip(SKIP_1) | instid1(VALU_DEP_1)
	v_fmac_f32_e32 v176, v139, v131
	s_waitcnt vmcnt(9)
	v_fmac_f32_e32 v176, v140, v132
	ds_load_b128 v[129:132], v2 offset:352
	s_waitcnt lgkmcnt(1)
	v_fmac_f32_e32 v176, v141, v125
	s_delay_alu instid0(VALU_DEP_1) | instskip(NEXT) | instid1(VALU_DEP_1)
	v_fmac_f32_e32 v176, v142, v126
	v_fmac_f32_e32 v176, v143, v127
	s_waitcnt vmcnt(8)
	s_delay_alu instid0(VALU_DEP_1) | instskip(SKIP_3) | instid1(VALU_DEP_1)
	v_fmac_f32_e32 v176, v144, v128
	ds_load_b128 v[125:128], v2 offset:368
	s_waitcnt lgkmcnt(1)
	v_fmac_f32_e32 v176, v145, v129
	v_fmac_f32_e32 v176, v146, v130
	s_delay_alu instid0(VALU_DEP_1) | instskip(SKIP_1) | instid1(VALU_DEP_1)
	v_fmac_f32_e32 v176, v147, v131
	s_waitcnt vmcnt(7)
	v_fmac_f32_e32 v176, v148, v132
	ds_load_b128 v[129:132], v2 offset:384
	s_waitcnt lgkmcnt(1)
	v_fmac_f32_e32 v176, v149, v125
	s_delay_alu instid0(VALU_DEP_1) | instskip(NEXT) | instid1(VALU_DEP_1)
	v_fmac_f32_e32 v176, v150, v126
	v_fmac_f32_e32 v176, v151, v127
	s_waitcnt vmcnt(6)
	s_delay_alu instid0(VALU_DEP_1) | instskip(SKIP_3) | instid1(VALU_DEP_1)
	v_fmac_f32_e32 v176, v152, v128
	ds_load_b128 v[125:128], v2 offset:400
	s_waitcnt lgkmcnt(1)
	v_fmac_f32_e32 v176, v153, v129
	v_fmac_f32_e32 v176, v154, v130
	s_delay_alu instid0(VALU_DEP_1) | instskip(SKIP_1) | instid1(VALU_DEP_1)
	v_fmac_f32_e32 v176, v155, v131
	s_waitcnt vmcnt(5)
	v_fmac_f32_e32 v176, v156, v132
	ds_load_b128 v[129:132], v2 offset:416
	s_waitcnt lgkmcnt(1)
	v_fmac_f32_e32 v176, v157, v125
	s_delay_alu instid0(VALU_DEP_1) | instskip(NEXT) | instid1(VALU_DEP_1)
	v_fmac_f32_e32 v176, v158, v126
	v_fmac_f32_e32 v176, v159, v127
	s_waitcnt vmcnt(4)
	s_delay_alu instid0(VALU_DEP_1) | instskip(SKIP_3) | instid1(VALU_DEP_1)
	v_fmac_f32_e32 v176, v160, v128
	ds_load_b128 v[125:128], v2 offset:432
	s_waitcnt lgkmcnt(1)
	v_fmac_f32_e32 v176, v161, v129
	v_fmac_f32_e32 v176, v162, v130
	s_delay_alu instid0(VALU_DEP_1) | instskip(SKIP_1) | instid1(VALU_DEP_1)
	v_fmac_f32_e32 v176, v163, v131
	s_waitcnt vmcnt(3)
	v_fmac_f32_e32 v176, v164, v132
	ds_load_b128 v[129:132], v2 offset:448
	s_waitcnt lgkmcnt(1)
	v_fmac_f32_e32 v176, v165, v125
	s_delay_alu instid0(VALU_DEP_1) | instskip(NEXT) | instid1(VALU_DEP_1)
	v_fmac_f32_e32 v176, v166, v126
	v_fmac_f32_e32 v176, v167, v127
	s_waitcnt vmcnt(2)
	s_delay_alu instid0(VALU_DEP_1) | instskip(SKIP_3) | instid1(VALU_DEP_1)
	v_fmac_f32_e32 v176, v168, v128
	ds_load_b128 v[125:128], v2 offset:464
	s_waitcnt lgkmcnt(1)
	v_fmac_f32_e32 v176, v169, v129
	v_fmac_f32_e32 v176, v170, v130
	s_delay_alu instid0(VALU_DEP_1) | instskip(SKIP_1) | instid1(VALU_DEP_1)
	v_fmac_f32_e32 v176, v171, v131
	s_waitcnt vmcnt(1)
	v_fmac_f32_e32 v176, v172, v132
	s_waitcnt lgkmcnt(0)
	s_delay_alu instid0(VALU_DEP_1) | instskip(NEXT) | instid1(VALU_DEP_1)
	v_fmac_f32_e32 v176, v173, v125
	v_fmac_f32_e32 v176, v174, v126
	s_delay_alu instid0(VALU_DEP_1) | instskip(SKIP_1) | instid1(VALU_DEP_1)
	v_fmac_f32_e32 v176, v175, v127
	s_waitcnt vmcnt(0)
	v_fmac_f32_e32 v176, v3, v128
	s_delay_alu instid0(VALU_DEP_1)
	v_sub_f32_e32 v2, v124, v176
	scratch_store_b32 off, v2, off offset:28
	v_cmpx_lt_u32_e32 6, v0
	s_cbranch_execz .LBB123_355
; %bb.354:
	scratch_load_b32 v2, off, off offset:24
	v_mov_b32_e32 v3, 0
	scratch_store_b32 off, v3, off offset:24
	s_waitcnt vmcnt(0)
	ds_store_b32 v1, v2
.LBB123_355:
	s_or_b32 exec_lo, exec_lo, s0
	s_waitcnt lgkmcnt(0)
	s_waitcnt_vscnt null, 0x0
	s_barrier
	buffer_gl0_inv
	s_clause 0xd
	scratch_load_b128 v[124:127], off, off offset:24
	scratch_load_b128 v[128:131], off, off offset:40
	;; [unrolled: 1-line block ×13, first 2 shown]
	scratch_load_b64 v[176:177], off, off offset:232
	v_mov_b32_e32 v2, 0
	ds_load_2addr_b32 v[178:179], v2 offset0:67 offset1:68
	ds_load_2addr_b32 v[180:181], v2 offset0:69 offset1:70
	;; [unrolled: 1-line block ×4, first 2 shown]
	s_mov_b32 s0, exec_lo
	s_waitcnt vmcnt(13) lgkmcnt(3)
	v_fma_f32 v3, v125, v178, 0
	s_delay_alu instid0(VALU_DEP_1) | instskip(SKIP_4) | instid1(VALU_DEP_1)
	v_fmac_f32_e32 v3, v126, v179
	ds_load_2addr_b32 v[125:126], v2 offset0:75 offset1:76
	s_waitcnt lgkmcnt(3)
	v_fmac_f32_e32 v3, v127, v180
	s_waitcnt vmcnt(12)
	v_fmac_f32_e32 v3, v128, v181
	ds_load_2addr_b32 v[127:128], v2 offset0:77 offset1:78
	s_waitcnt lgkmcnt(3)
	v_fmac_f32_e32 v3, v129, v182
	s_delay_alu instid0(VALU_DEP_1) | instskip(SKIP_1) | instid1(VALU_DEP_1)
	v_fmac_f32_e32 v3, v130, v183
	s_waitcnt lgkmcnt(2)
	v_fmac_f32_e32 v3, v131, v184
	s_waitcnt vmcnt(11)
	s_delay_alu instid0(VALU_DEP_1) | instskip(SKIP_4) | instid1(VALU_DEP_1)
	v_fmac_f32_e32 v3, v132, v185
	ds_load_2addr_b32 v[129:130], v2 offset0:79 offset1:80
	ds_load_2addr_b32 v[131:132], v2 offset0:81 offset1:82
	s_waitcnt lgkmcnt(3)
	v_fmac_f32_e32 v3, v133, v125
	v_fmac_f32_e32 v3, v134, v126
	ds_load_2addr_b32 v[125:126], v2 offset0:83 offset1:84
	s_waitcnt lgkmcnt(3)
	v_fmac_f32_e32 v3, v135, v127
	s_waitcnt vmcnt(10)
	s_delay_alu instid0(VALU_DEP_1) | instskip(SKIP_3) | instid1(VALU_DEP_1)
	v_fmac_f32_e32 v3, v136, v128
	ds_load_2addr_b32 v[127:128], v2 offset0:85 offset1:86
	s_waitcnt lgkmcnt(3)
	v_fmac_f32_e32 v3, v137, v129
	v_fmac_f32_e32 v3, v138, v130
	s_waitcnt lgkmcnt(2)
	s_delay_alu instid0(VALU_DEP_1) | instskip(SKIP_1) | instid1(VALU_DEP_1)
	v_fmac_f32_e32 v3, v139, v131
	s_waitcnt vmcnt(9)
	v_fmac_f32_e32 v3, v140, v132
	ds_load_2addr_b32 v[129:130], v2 offset0:87 offset1:88
	ds_load_2addr_b32 v[131:132], v2 offset0:89 offset1:90
	s_waitcnt lgkmcnt(3)
	v_fmac_f32_e32 v3, v141, v125
	s_delay_alu instid0(VALU_DEP_1) | instskip(SKIP_4) | instid1(VALU_DEP_1)
	v_fmac_f32_e32 v3, v142, v126
	ds_load_2addr_b32 v[125:126], v2 offset0:91 offset1:92
	s_waitcnt lgkmcnt(3)
	v_fmac_f32_e32 v3, v143, v127
	s_waitcnt vmcnt(8)
	v_fmac_f32_e32 v3, v144, v128
	ds_load_2addr_b32 v[127:128], v2 offset0:93 offset1:94
	s_waitcnt lgkmcnt(3)
	v_fmac_f32_e32 v3, v145, v129
	s_delay_alu instid0(VALU_DEP_1) | instskip(SKIP_1) | instid1(VALU_DEP_1)
	v_fmac_f32_e32 v3, v146, v130
	s_waitcnt lgkmcnt(2)
	v_fmac_f32_e32 v3, v147, v131
	s_waitcnt vmcnt(7)
	s_delay_alu instid0(VALU_DEP_1) | instskip(SKIP_4) | instid1(VALU_DEP_1)
	v_fmac_f32_e32 v3, v148, v132
	ds_load_2addr_b32 v[129:130], v2 offset0:95 offset1:96
	ds_load_2addr_b32 v[131:132], v2 offset0:97 offset1:98
	s_waitcnt lgkmcnt(3)
	v_fmac_f32_e32 v3, v149, v125
	v_fmac_f32_e32 v3, v150, v126
	ds_load_2addr_b32 v[125:126], v2 offset0:99 offset1:100
	s_waitcnt lgkmcnt(3)
	v_fmac_f32_e32 v3, v151, v127
	s_waitcnt vmcnt(6)
	s_delay_alu instid0(VALU_DEP_1) | instskip(SKIP_3) | instid1(VALU_DEP_1)
	v_fmac_f32_e32 v3, v152, v128
	ds_load_2addr_b32 v[127:128], v2 offset0:101 offset1:102
	s_waitcnt lgkmcnt(3)
	v_fmac_f32_e32 v3, v153, v129
	v_fmac_f32_e32 v3, v154, v130
	s_waitcnt lgkmcnt(2)
	s_delay_alu instid0(VALU_DEP_1) | instskip(SKIP_1) | instid1(VALU_DEP_1)
	v_fmac_f32_e32 v3, v155, v131
	s_waitcnt vmcnt(5)
	v_fmac_f32_e32 v3, v156, v132
	ds_load_2addr_b32 v[129:130], v2 offset0:103 offset1:104
	ds_load_2addr_b32 v[131:132], v2 offset0:105 offset1:106
	s_waitcnt lgkmcnt(3)
	v_fmac_f32_e32 v3, v157, v125
	s_delay_alu instid0(VALU_DEP_1) | instskip(SKIP_4) | instid1(VALU_DEP_1)
	v_fmac_f32_e32 v3, v158, v126
	ds_load_2addr_b32 v[125:126], v2 offset0:107 offset1:108
	s_waitcnt lgkmcnt(3)
	v_fmac_f32_e32 v3, v159, v127
	s_waitcnt vmcnt(4)
	v_fmac_f32_e32 v3, v160, v128
	ds_load_2addr_b32 v[127:128], v2 offset0:109 offset1:110
	s_waitcnt lgkmcnt(3)
	v_fmac_f32_e32 v3, v161, v129
	s_delay_alu instid0(VALU_DEP_1) | instskip(SKIP_1) | instid1(VALU_DEP_1)
	v_fmac_f32_e32 v3, v162, v130
	s_waitcnt lgkmcnt(2)
	v_fmac_f32_e32 v3, v163, v131
	s_waitcnt vmcnt(3)
	s_delay_alu instid0(VALU_DEP_1) | instskip(SKIP_4) | instid1(VALU_DEP_1)
	v_fmac_f32_e32 v3, v164, v132
	ds_load_2addr_b32 v[129:130], v2 offset0:111 offset1:112
	ds_load_2addr_b32 v[131:132], v2 offset0:113 offset1:114
	s_waitcnt lgkmcnt(3)
	v_fmac_f32_e32 v3, v165, v125
	v_fmac_f32_e32 v3, v166, v126
	ds_load_2addr_b32 v[125:126], v2 offset0:115 offset1:116
	s_waitcnt lgkmcnt(3)
	v_fmac_f32_e32 v3, v167, v127
	s_waitcnt vmcnt(2)
	s_delay_alu instid0(VALU_DEP_1)
	v_fmac_f32_e32 v3, v168, v128
	ds_load_2addr_b32 v[127:128], v2 offset0:117 offset1:118
	s_waitcnt lgkmcnt(3)
	v_fmac_f32_e32 v3, v169, v129
	ds_load_b32 v129, v2 offset:476
	v_fmac_f32_e32 v3, v170, v130
	s_waitcnt lgkmcnt(3)
	s_delay_alu instid0(VALU_DEP_1) | instskip(SKIP_1) | instid1(VALU_DEP_1)
	v_fmac_f32_e32 v3, v171, v131
	s_waitcnt vmcnt(1)
	v_fmac_f32_e32 v3, v172, v132
	s_waitcnt lgkmcnt(2)
	s_delay_alu instid0(VALU_DEP_1) | instskip(NEXT) | instid1(VALU_DEP_1)
	v_fmac_f32_e32 v3, v173, v125
	v_fmac_f32_e32 v3, v174, v126
	s_waitcnt lgkmcnt(1)
	s_delay_alu instid0(VALU_DEP_1) | instskip(SKIP_1) | instid1(VALU_DEP_1)
	v_fmac_f32_e32 v3, v175, v127
	s_waitcnt vmcnt(0)
	v_fmac_f32_e32 v3, v176, v128
	s_waitcnt lgkmcnt(0)
	s_delay_alu instid0(VALU_DEP_1) | instskip(NEXT) | instid1(VALU_DEP_1)
	v_fmac_f32_e32 v3, v177, v129
	v_sub_f32_e32 v3, v124, v3
	scratch_store_b32 off, v3, off offset:24
	v_cmpx_lt_u32_e32 5, v0
	s_cbranch_execz .LBB123_357
; %bb.356:
	scratch_load_b32 v3, off, off offset:20
	scratch_store_b32 off, v2, off offset:20
	s_waitcnt vmcnt(0)
	ds_store_b32 v1, v3
.LBB123_357:
	s_or_b32 exec_lo, exec_lo, s0
	s_waitcnt lgkmcnt(0)
	s_waitcnt_vscnt null, 0x0
	s_barrier
	buffer_gl0_inv
	s_clause 0xd
	scratch_load_b128 v[124:127], off, off offset:20
	scratch_load_b128 v[128:131], off, off offset:36
	scratch_load_b128 v[132:135], off, off offset:52
	scratch_load_b128 v[136:139], off, off offset:68
	scratch_load_b128 v[140:143], off, off offset:84
	scratch_load_b128 v[144:147], off, off offset:100
	scratch_load_b128 v[148:151], off, off offset:116
	scratch_load_b128 v[152:155], off, off offset:132
	scratch_load_b128 v[156:159], off, off offset:148
	scratch_load_b128 v[160:163], off, off offset:164
	scratch_load_b128 v[164:167], off, off offset:180
	scratch_load_b128 v[168:171], off, off offset:196
	scratch_load_b128 v[172:175], off, off offset:212
	scratch_load_b96 v[184:186], off, off offset:228
	ds_load_2addr_b64 v[176:179], v2 offset0:33 offset1:34
	ds_load_2addr_b64 v[180:183], v2 offset0:35 offset1:36
	s_mov_b32 s0, exec_lo
	s_waitcnt vmcnt(13) lgkmcnt(1)
	v_fma_f32 v176, v125, v176, 0
	s_delay_alu instid0(VALU_DEP_1) | instskip(NEXT) | instid1(VALU_DEP_1)
	v_fmac_f32_e32 v176, v126, v177
	v_fmac_f32_e32 v176, v127, v178
	s_waitcnt vmcnt(12)
	s_delay_alu instid0(VALU_DEP_1) | instskip(SKIP_3) | instid1(VALU_DEP_1)
	v_fmac_f32_e32 v176, v128, v179
	ds_load_2addr_b64 v[125:128], v2 offset0:37 offset1:38
	s_waitcnt lgkmcnt(1)
	v_fmac_f32_e32 v176, v129, v180
	v_fmac_f32_e32 v176, v130, v181
	s_delay_alu instid0(VALU_DEP_1) | instskip(SKIP_1) | instid1(VALU_DEP_1)
	v_fmac_f32_e32 v176, v131, v182
	s_waitcnt vmcnt(11)
	v_fmac_f32_e32 v176, v132, v183
	ds_load_2addr_b64 v[129:132], v2 offset0:39 offset1:40
	s_waitcnt lgkmcnt(1)
	v_fmac_f32_e32 v176, v133, v125
	s_delay_alu instid0(VALU_DEP_1) | instskip(NEXT) | instid1(VALU_DEP_1)
	v_fmac_f32_e32 v176, v134, v126
	v_fmac_f32_e32 v176, v135, v127
	s_waitcnt vmcnt(10)
	s_delay_alu instid0(VALU_DEP_1) | instskip(SKIP_3) | instid1(VALU_DEP_1)
	v_fmac_f32_e32 v176, v136, v128
	ds_load_2addr_b64 v[125:128], v2 offset0:41 offset1:42
	s_waitcnt lgkmcnt(1)
	v_fmac_f32_e32 v176, v137, v129
	v_fmac_f32_e32 v176, v138, v130
	s_delay_alu instid0(VALU_DEP_1) | instskip(SKIP_1) | instid1(VALU_DEP_1)
	v_fmac_f32_e32 v176, v139, v131
	s_waitcnt vmcnt(9)
	v_fmac_f32_e32 v176, v140, v132
	ds_load_2addr_b64 v[129:132], v2 offset0:43 offset1:44
	s_waitcnt lgkmcnt(1)
	v_fmac_f32_e32 v176, v141, v125
	;; [unrolled: 17-line block ×5, first 2 shown]
	s_delay_alu instid0(VALU_DEP_1) | instskip(NEXT) | instid1(VALU_DEP_1)
	v_fmac_f32_e32 v176, v166, v126
	v_fmac_f32_e32 v176, v167, v127
	s_waitcnt vmcnt(2)
	s_delay_alu instid0(VALU_DEP_1) | instskip(SKIP_4) | instid1(VALU_DEP_1)
	v_fmac_f32_e32 v176, v168, v128
	ds_load_2addr_b64 v[125:128], v2 offset0:57 offset1:58
	ds_load_b64 v[2:3], v2 offset:472
	s_waitcnt lgkmcnt(2)
	v_fmac_f32_e32 v176, v169, v129
	v_fmac_f32_e32 v176, v170, v130
	s_delay_alu instid0(VALU_DEP_1) | instskip(SKIP_1) | instid1(VALU_DEP_1)
	v_fmac_f32_e32 v176, v171, v131
	s_waitcnt vmcnt(1)
	v_fmac_f32_e32 v176, v172, v132
	s_waitcnt lgkmcnt(1)
	s_delay_alu instid0(VALU_DEP_1) | instskip(NEXT) | instid1(VALU_DEP_1)
	v_fmac_f32_e32 v176, v173, v125
	v_fmac_f32_e32 v176, v174, v126
	s_delay_alu instid0(VALU_DEP_1) | instskip(SKIP_1) | instid1(VALU_DEP_1)
	v_fmac_f32_e32 v176, v175, v127
	s_waitcnt vmcnt(0)
	v_fmac_f32_e32 v176, v184, v128
	s_waitcnt lgkmcnt(0)
	s_delay_alu instid0(VALU_DEP_1) | instskip(NEXT) | instid1(VALU_DEP_1)
	v_fmac_f32_e32 v176, v185, v2
	v_fmac_f32_e32 v176, v186, v3
	s_delay_alu instid0(VALU_DEP_1)
	v_sub_f32_e32 v2, v124, v176
	scratch_store_b32 off, v2, off offset:20
	v_cmpx_lt_u32_e32 4, v0
	s_cbranch_execz .LBB123_359
; %bb.358:
	scratch_load_b32 v2, off, off offset:16
	v_mov_b32_e32 v3, 0
	scratch_store_b32 off, v3, off offset:16
	s_waitcnt vmcnt(0)
	ds_store_b32 v1, v2
.LBB123_359:
	s_or_b32 exec_lo, exec_lo, s0
	s_waitcnt lgkmcnt(0)
	s_waitcnt_vscnt null, 0x0
	s_barrier
	buffer_gl0_inv
	s_clause 0xd
	scratch_load_b128 v[124:127], off, off offset:16
	scratch_load_b128 v[128:131], off, off offset:32
	;; [unrolled: 1-line block ×14, first 2 shown]
	v_mov_b32_e32 v2, 0
	ds_load_2addr_b32 v[180:181], v2 offset0:65 offset1:66
	ds_load_2addr_b32 v[182:183], v2 offset0:67 offset1:68
	;; [unrolled: 1-line block ×4, first 2 shown]
	s_mov_b32 s0, exec_lo
	s_waitcnt vmcnt(13) lgkmcnt(3)
	v_fma_f32 v3, v125, v180, 0
	s_delay_alu instid0(VALU_DEP_1) | instskip(SKIP_4) | instid1(VALU_DEP_1)
	v_fmac_f32_e32 v3, v126, v181
	ds_load_2addr_b32 v[125:126], v2 offset0:73 offset1:74
	s_waitcnt lgkmcnt(3)
	v_fmac_f32_e32 v3, v127, v182
	s_waitcnt vmcnt(12)
	v_fmac_f32_e32 v3, v128, v183
	ds_load_2addr_b32 v[127:128], v2 offset0:75 offset1:76
	s_waitcnt lgkmcnt(3)
	v_fmac_f32_e32 v3, v129, v184
	s_delay_alu instid0(VALU_DEP_1) | instskip(SKIP_1) | instid1(VALU_DEP_1)
	v_fmac_f32_e32 v3, v130, v185
	s_waitcnt lgkmcnt(2)
	v_fmac_f32_e32 v3, v131, v186
	s_waitcnt vmcnt(11)
	s_delay_alu instid0(VALU_DEP_1) | instskip(SKIP_4) | instid1(VALU_DEP_1)
	v_fmac_f32_e32 v3, v132, v187
	ds_load_2addr_b32 v[129:130], v2 offset0:77 offset1:78
	ds_load_2addr_b32 v[131:132], v2 offset0:79 offset1:80
	s_waitcnt lgkmcnt(3)
	v_fmac_f32_e32 v3, v133, v125
	v_fmac_f32_e32 v3, v134, v126
	ds_load_2addr_b32 v[125:126], v2 offset0:81 offset1:82
	s_waitcnt lgkmcnt(3)
	v_fmac_f32_e32 v3, v135, v127
	s_waitcnt vmcnt(10)
	s_delay_alu instid0(VALU_DEP_1) | instskip(SKIP_3) | instid1(VALU_DEP_1)
	v_fmac_f32_e32 v3, v136, v128
	ds_load_2addr_b32 v[127:128], v2 offset0:83 offset1:84
	s_waitcnt lgkmcnt(3)
	v_fmac_f32_e32 v3, v137, v129
	v_fmac_f32_e32 v3, v138, v130
	s_waitcnt lgkmcnt(2)
	s_delay_alu instid0(VALU_DEP_1) | instskip(SKIP_1) | instid1(VALU_DEP_1)
	v_fmac_f32_e32 v3, v139, v131
	s_waitcnt vmcnt(9)
	v_fmac_f32_e32 v3, v140, v132
	ds_load_2addr_b32 v[129:130], v2 offset0:85 offset1:86
	ds_load_2addr_b32 v[131:132], v2 offset0:87 offset1:88
	s_waitcnt lgkmcnt(3)
	v_fmac_f32_e32 v3, v141, v125
	s_delay_alu instid0(VALU_DEP_1) | instskip(SKIP_4) | instid1(VALU_DEP_1)
	v_fmac_f32_e32 v3, v142, v126
	ds_load_2addr_b32 v[125:126], v2 offset0:89 offset1:90
	s_waitcnt lgkmcnt(3)
	v_fmac_f32_e32 v3, v143, v127
	s_waitcnt vmcnt(8)
	v_fmac_f32_e32 v3, v144, v128
	ds_load_2addr_b32 v[127:128], v2 offset0:91 offset1:92
	s_waitcnt lgkmcnt(3)
	v_fmac_f32_e32 v3, v145, v129
	s_delay_alu instid0(VALU_DEP_1) | instskip(SKIP_1) | instid1(VALU_DEP_1)
	v_fmac_f32_e32 v3, v146, v130
	s_waitcnt lgkmcnt(2)
	v_fmac_f32_e32 v3, v147, v131
	s_waitcnt vmcnt(7)
	s_delay_alu instid0(VALU_DEP_1) | instskip(SKIP_4) | instid1(VALU_DEP_1)
	v_fmac_f32_e32 v3, v148, v132
	ds_load_2addr_b32 v[129:130], v2 offset0:93 offset1:94
	ds_load_2addr_b32 v[131:132], v2 offset0:95 offset1:96
	s_waitcnt lgkmcnt(3)
	v_fmac_f32_e32 v3, v149, v125
	v_fmac_f32_e32 v3, v150, v126
	ds_load_2addr_b32 v[125:126], v2 offset0:97 offset1:98
	s_waitcnt lgkmcnt(3)
	v_fmac_f32_e32 v3, v151, v127
	s_waitcnt vmcnt(6)
	s_delay_alu instid0(VALU_DEP_1) | instskip(SKIP_3) | instid1(VALU_DEP_1)
	v_fmac_f32_e32 v3, v152, v128
	ds_load_2addr_b32 v[127:128], v2 offset0:99 offset1:100
	s_waitcnt lgkmcnt(3)
	v_fmac_f32_e32 v3, v153, v129
	v_fmac_f32_e32 v3, v154, v130
	s_waitcnt lgkmcnt(2)
	s_delay_alu instid0(VALU_DEP_1) | instskip(SKIP_1) | instid1(VALU_DEP_1)
	v_fmac_f32_e32 v3, v155, v131
	s_waitcnt vmcnt(5)
	v_fmac_f32_e32 v3, v156, v132
	ds_load_2addr_b32 v[129:130], v2 offset0:101 offset1:102
	ds_load_2addr_b32 v[131:132], v2 offset0:103 offset1:104
	s_waitcnt lgkmcnt(3)
	v_fmac_f32_e32 v3, v157, v125
	s_delay_alu instid0(VALU_DEP_1) | instskip(SKIP_4) | instid1(VALU_DEP_1)
	v_fmac_f32_e32 v3, v158, v126
	ds_load_2addr_b32 v[125:126], v2 offset0:105 offset1:106
	s_waitcnt lgkmcnt(3)
	v_fmac_f32_e32 v3, v159, v127
	s_waitcnt vmcnt(4)
	v_fmac_f32_e32 v3, v160, v128
	ds_load_2addr_b32 v[127:128], v2 offset0:107 offset1:108
	s_waitcnt lgkmcnt(3)
	v_fmac_f32_e32 v3, v161, v129
	s_delay_alu instid0(VALU_DEP_1) | instskip(SKIP_1) | instid1(VALU_DEP_1)
	v_fmac_f32_e32 v3, v162, v130
	s_waitcnt lgkmcnt(2)
	v_fmac_f32_e32 v3, v163, v131
	s_waitcnt vmcnt(3)
	s_delay_alu instid0(VALU_DEP_1) | instskip(SKIP_4) | instid1(VALU_DEP_1)
	v_fmac_f32_e32 v3, v164, v132
	ds_load_2addr_b32 v[129:130], v2 offset0:109 offset1:110
	ds_load_2addr_b32 v[131:132], v2 offset0:111 offset1:112
	s_waitcnt lgkmcnt(3)
	v_fmac_f32_e32 v3, v165, v125
	v_fmac_f32_e32 v3, v166, v126
	ds_load_2addr_b32 v[125:126], v2 offset0:113 offset1:114
	s_waitcnt lgkmcnt(3)
	v_fmac_f32_e32 v3, v167, v127
	s_waitcnt vmcnt(2)
	s_delay_alu instid0(VALU_DEP_1) | instskip(SKIP_3) | instid1(VALU_DEP_1)
	v_fmac_f32_e32 v3, v168, v128
	ds_load_2addr_b32 v[127:128], v2 offset0:115 offset1:116
	s_waitcnt lgkmcnt(3)
	v_fmac_f32_e32 v3, v169, v129
	v_fmac_f32_e32 v3, v170, v130
	s_waitcnt lgkmcnt(2)
	s_delay_alu instid0(VALU_DEP_1)
	v_fmac_f32_e32 v3, v171, v131
	ds_load_2addr_b32 v[129:130], v2 offset0:117 offset1:118
	ds_load_b32 v131, v2 offset:476
	s_waitcnt vmcnt(1)
	v_fmac_f32_e32 v3, v172, v132
	s_waitcnt lgkmcnt(3)
	s_delay_alu instid0(VALU_DEP_1) | instskip(NEXT) | instid1(VALU_DEP_1)
	v_fmac_f32_e32 v3, v173, v125
	v_fmac_f32_e32 v3, v174, v126
	s_waitcnt lgkmcnt(2)
	s_delay_alu instid0(VALU_DEP_1) | instskip(SKIP_1) | instid1(VALU_DEP_1)
	v_fmac_f32_e32 v3, v175, v127
	s_waitcnt vmcnt(0)
	v_fmac_f32_e32 v3, v176, v128
	s_waitcnt lgkmcnt(1)
	s_delay_alu instid0(VALU_DEP_1) | instskip(NEXT) | instid1(VALU_DEP_1)
	v_fmac_f32_e32 v3, v177, v129
	v_fmac_f32_e32 v3, v178, v130
	s_waitcnt lgkmcnt(0)
	s_delay_alu instid0(VALU_DEP_1) | instskip(NEXT) | instid1(VALU_DEP_1)
	v_fmac_f32_e32 v3, v179, v131
	v_sub_f32_e32 v3, v124, v3
	scratch_store_b32 off, v3, off offset:16
	v_cmpx_lt_u32_e32 3, v0
	s_cbranch_execz .LBB123_361
; %bb.360:
	scratch_load_b32 v3, off, off offset:12
	scratch_store_b32 off, v2, off offset:12
	s_waitcnt vmcnt(0)
	ds_store_b32 v1, v3
.LBB123_361:
	s_or_b32 exec_lo, exec_lo, s0
	s_waitcnt lgkmcnt(0)
	s_waitcnt_vscnt null, 0x0
	s_barrier
	buffer_gl0_inv
	s_clause 0xe
	scratch_load_b128 v[124:127], off, off offset:12
	scratch_load_b128 v[128:131], off, off offset:28
	;; [unrolled: 1-line block ×14, first 2 shown]
	scratch_load_b32 v3, off, off offset:236
	ds_load_b128 v[180:183], v2 offset:256
	ds_load_b128 v[184:187], v2 offset:272
	s_mov_b32 s0, exec_lo
	s_waitcnt vmcnt(14) lgkmcnt(1)
	v_fma_f32 v180, v125, v180, 0
	s_delay_alu instid0(VALU_DEP_1) | instskip(NEXT) | instid1(VALU_DEP_1)
	v_fmac_f32_e32 v180, v126, v181
	v_fmac_f32_e32 v180, v127, v182
	s_waitcnt vmcnt(13)
	s_delay_alu instid0(VALU_DEP_1) | instskip(SKIP_3) | instid1(VALU_DEP_1)
	v_fmac_f32_e32 v180, v128, v183
	ds_load_b128 v[125:128], v2 offset:288
	s_waitcnt lgkmcnt(1)
	v_fmac_f32_e32 v180, v129, v184
	v_fmac_f32_e32 v180, v130, v185
	s_delay_alu instid0(VALU_DEP_1) | instskip(SKIP_1) | instid1(VALU_DEP_1)
	v_fmac_f32_e32 v180, v131, v186
	s_waitcnt vmcnt(12)
	v_fmac_f32_e32 v180, v132, v187
	ds_load_b128 v[129:132], v2 offset:304
	s_waitcnt lgkmcnt(1)
	v_fmac_f32_e32 v180, v133, v125
	s_delay_alu instid0(VALU_DEP_1) | instskip(NEXT) | instid1(VALU_DEP_1)
	v_fmac_f32_e32 v180, v134, v126
	v_fmac_f32_e32 v180, v135, v127
	s_waitcnt vmcnt(11)
	s_delay_alu instid0(VALU_DEP_1) | instskip(SKIP_3) | instid1(VALU_DEP_1)
	v_fmac_f32_e32 v180, v136, v128
	ds_load_b128 v[125:128], v2 offset:320
	s_waitcnt lgkmcnt(1)
	v_fmac_f32_e32 v180, v137, v129
	v_fmac_f32_e32 v180, v138, v130
	s_delay_alu instid0(VALU_DEP_1) | instskip(SKIP_1) | instid1(VALU_DEP_1)
	v_fmac_f32_e32 v180, v139, v131
	s_waitcnt vmcnt(10)
	v_fmac_f32_e32 v180, v140, v132
	ds_load_b128 v[129:132], v2 offset:336
	s_waitcnt lgkmcnt(1)
	v_fmac_f32_e32 v180, v141, v125
	;; [unrolled: 17-line block ×6, first 2 shown]
	s_delay_alu instid0(VALU_DEP_1) | instskip(NEXT) | instid1(VALU_DEP_1)
	v_fmac_f32_e32 v180, v174, v126
	v_fmac_f32_e32 v180, v175, v127
	s_waitcnt vmcnt(1)
	s_delay_alu instid0(VALU_DEP_1) | instskip(SKIP_1) | instid1(VALU_DEP_1)
	v_fmac_f32_e32 v180, v176, v128
	s_waitcnt lgkmcnt(0)
	v_fmac_f32_e32 v180, v177, v129
	s_delay_alu instid0(VALU_DEP_1) | instskip(NEXT) | instid1(VALU_DEP_1)
	v_fmac_f32_e32 v180, v178, v130
	v_fmac_f32_e32 v180, v179, v131
	s_waitcnt vmcnt(0)
	s_delay_alu instid0(VALU_DEP_1) | instskip(NEXT) | instid1(VALU_DEP_1)
	v_fmac_f32_e32 v180, v3, v132
	v_sub_f32_e32 v2, v124, v180
	scratch_store_b32 off, v2, off offset:12
	v_cmpx_lt_u32_e32 2, v0
	s_cbranch_execz .LBB123_363
; %bb.362:
	scratch_load_b32 v2, off, off offset:8
	v_mov_b32_e32 v3, 0
	scratch_store_b32 off, v3, off offset:8
	s_waitcnt vmcnt(0)
	ds_store_b32 v1, v2
.LBB123_363:
	s_or_b32 exec_lo, exec_lo, s0
	s_waitcnt lgkmcnt(0)
	s_waitcnt_vscnt null, 0x0
	s_barrier
	buffer_gl0_inv
	s_clause 0xe
	scratch_load_b128 v[124:127], off, off offset:8
	scratch_load_b128 v[128:131], off, off offset:24
	;; [unrolled: 1-line block ×14, first 2 shown]
	scratch_load_b64 v[180:181], off, off offset:232
	v_mov_b32_e32 v2, 0
	ds_load_2addr_b32 v[182:183], v2 offset0:63 offset1:64
	ds_load_2addr_b32 v[184:185], v2 offset0:65 offset1:66
	ds_load_2addr_b32 v[186:187], v2 offset0:67 offset1:68
	ds_load_2addr_b32 v[188:189], v2 offset0:69 offset1:70
	s_mov_b32 s0, exec_lo
	s_waitcnt vmcnt(14) lgkmcnt(3)
	v_fma_f32 v3, v125, v182, 0
	s_delay_alu instid0(VALU_DEP_1) | instskip(SKIP_4) | instid1(VALU_DEP_1)
	v_fmac_f32_e32 v3, v126, v183
	ds_load_2addr_b32 v[125:126], v2 offset0:71 offset1:72
	s_waitcnt lgkmcnt(3)
	v_fmac_f32_e32 v3, v127, v184
	s_waitcnt vmcnt(13)
	v_fmac_f32_e32 v3, v128, v185
	ds_load_2addr_b32 v[127:128], v2 offset0:73 offset1:74
	s_waitcnt lgkmcnt(3)
	v_fmac_f32_e32 v3, v129, v186
	s_delay_alu instid0(VALU_DEP_1) | instskip(SKIP_1) | instid1(VALU_DEP_1)
	v_fmac_f32_e32 v3, v130, v187
	s_waitcnt lgkmcnt(2)
	v_fmac_f32_e32 v3, v131, v188
	s_waitcnt vmcnt(12)
	s_delay_alu instid0(VALU_DEP_1) | instskip(SKIP_4) | instid1(VALU_DEP_1)
	v_fmac_f32_e32 v3, v132, v189
	ds_load_2addr_b32 v[129:130], v2 offset0:75 offset1:76
	ds_load_2addr_b32 v[131:132], v2 offset0:77 offset1:78
	s_waitcnt lgkmcnt(3)
	v_fmac_f32_e32 v3, v133, v125
	v_fmac_f32_e32 v3, v134, v126
	ds_load_2addr_b32 v[125:126], v2 offset0:79 offset1:80
	s_waitcnt lgkmcnt(3)
	v_fmac_f32_e32 v3, v135, v127
	s_waitcnt vmcnt(11)
	s_delay_alu instid0(VALU_DEP_1) | instskip(SKIP_3) | instid1(VALU_DEP_1)
	v_fmac_f32_e32 v3, v136, v128
	ds_load_2addr_b32 v[127:128], v2 offset0:81 offset1:82
	s_waitcnt lgkmcnt(3)
	v_fmac_f32_e32 v3, v137, v129
	v_fmac_f32_e32 v3, v138, v130
	s_waitcnt lgkmcnt(2)
	s_delay_alu instid0(VALU_DEP_1) | instskip(SKIP_1) | instid1(VALU_DEP_1)
	v_fmac_f32_e32 v3, v139, v131
	s_waitcnt vmcnt(10)
	v_fmac_f32_e32 v3, v140, v132
	ds_load_2addr_b32 v[129:130], v2 offset0:83 offset1:84
	ds_load_2addr_b32 v[131:132], v2 offset0:85 offset1:86
	s_waitcnt lgkmcnt(3)
	v_fmac_f32_e32 v3, v141, v125
	s_delay_alu instid0(VALU_DEP_1) | instskip(SKIP_4) | instid1(VALU_DEP_1)
	v_fmac_f32_e32 v3, v142, v126
	ds_load_2addr_b32 v[125:126], v2 offset0:87 offset1:88
	s_waitcnt lgkmcnt(3)
	v_fmac_f32_e32 v3, v143, v127
	s_waitcnt vmcnt(9)
	v_fmac_f32_e32 v3, v144, v128
	ds_load_2addr_b32 v[127:128], v2 offset0:89 offset1:90
	s_waitcnt lgkmcnt(3)
	v_fmac_f32_e32 v3, v145, v129
	s_delay_alu instid0(VALU_DEP_1) | instskip(SKIP_1) | instid1(VALU_DEP_1)
	v_fmac_f32_e32 v3, v146, v130
	s_waitcnt lgkmcnt(2)
	v_fmac_f32_e32 v3, v147, v131
	s_waitcnt vmcnt(8)
	s_delay_alu instid0(VALU_DEP_1) | instskip(SKIP_4) | instid1(VALU_DEP_1)
	v_fmac_f32_e32 v3, v148, v132
	ds_load_2addr_b32 v[129:130], v2 offset0:91 offset1:92
	ds_load_2addr_b32 v[131:132], v2 offset0:93 offset1:94
	s_waitcnt lgkmcnt(3)
	v_fmac_f32_e32 v3, v149, v125
	v_fmac_f32_e32 v3, v150, v126
	ds_load_2addr_b32 v[125:126], v2 offset0:95 offset1:96
	s_waitcnt lgkmcnt(3)
	v_fmac_f32_e32 v3, v151, v127
	s_waitcnt vmcnt(7)
	s_delay_alu instid0(VALU_DEP_1) | instskip(SKIP_3) | instid1(VALU_DEP_1)
	v_fmac_f32_e32 v3, v152, v128
	ds_load_2addr_b32 v[127:128], v2 offset0:97 offset1:98
	s_waitcnt lgkmcnt(3)
	v_fmac_f32_e32 v3, v153, v129
	v_fmac_f32_e32 v3, v154, v130
	s_waitcnt lgkmcnt(2)
	s_delay_alu instid0(VALU_DEP_1) | instskip(SKIP_1) | instid1(VALU_DEP_1)
	v_fmac_f32_e32 v3, v155, v131
	s_waitcnt vmcnt(6)
	v_fmac_f32_e32 v3, v156, v132
	ds_load_2addr_b32 v[129:130], v2 offset0:99 offset1:100
	ds_load_2addr_b32 v[131:132], v2 offset0:101 offset1:102
	s_waitcnt lgkmcnt(3)
	v_fmac_f32_e32 v3, v157, v125
	;; [unrolled: 41-line block ×3, first 2 shown]
	ds_load_b32 v125, v2 offset:476
	v_fmac_f32_e32 v3, v174, v126
	s_waitcnt lgkmcnt(3)
	s_delay_alu instid0(VALU_DEP_1) | instskip(SKIP_1) | instid1(VALU_DEP_1)
	v_fmac_f32_e32 v3, v175, v127
	s_waitcnt vmcnt(1)
	v_fmac_f32_e32 v3, v176, v128
	s_waitcnt lgkmcnt(2)
	s_delay_alu instid0(VALU_DEP_1) | instskip(NEXT) | instid1(VALU_DEP_1)
	v_fmac_f32_e32 v3, v177, v129
	v_fmac_f32_e32 v3, v178, v130
	s_waitcnt lgkmcnt(1)
	s_delay_alu instid0(VALU_DEP_1) | instskip(SKIP_1) | instid1(VALU_DEP_1)
	v_fmac_f32_e32 v3, v179, v131
	s_waitcnt vmcnt(0)
	v_fmac_f32_e32 v3, v180, v132
	s_waitcnt lgkmcnt(0)
	s_delay_alu instid0(VALU_DEP_1) | instskip(NEXT) | instid1(VALU_DEP_1)
	v_fmac_f32_e32 v3, v181, v125
	v_sub_f32_e32 v3, v124, v3
	scratch_store_b32 off, v3, off offset:8
	v_cmpx_lt_u32_e32 1, v0
	s_cbranch_execz .LBB123_365
; %bb.364:
	scratch_load_b32 v3, off, off offset:4
	scratch_store_b32 off, v2, off offset:4
	s_waitcnt vmcnt(0)
	ds_store_b32 v1, v3
.LBB123_365:
	s_or_b32 exec_lo, exec_lo, s0
	s_waitcnt lgkmcnt(0)
	s_waitcnt_vscnt null, 0x0
	s_barrier
	buffer_gl0_inv
	s_clause 0xe
	scratch_load_b128 v[124:127], off, off offset:4
	scratch_load_b128 v[128:131], off, off offset:20
	;; [unrolled: 1-line block ×14, first 2 shown]
	scratch_load_b96 v[188:190], off, off offset:228
	ds_load_2addr_b64 v[180:183], v2 offset0:31 offset1:32
	ds_load_2addr_b64 v[184:187], v2 offset0:33 offset1:34
	s_mov_b32 s0, exec_lo
	s_waitcnt vmcnt(14) lgkmcnt(1)
	v_fma_f32 v180, v125, v180, 0
	s_delay_alu instid0(VALU_DEP_1) | instskip(NEXT) | instid1(VALU_DEP_1)
	v_fmac_f32_e32 v180, v126, v181
	v_fmac_f32_e32 v180, v127, v182
	s_waitcnt vmcnt(13)
	s_delay_alu instid0(VALU_DEP_1) | instskip(SKIP_3) | instid1(VALU_DEP_1)
	v_fmac_f32_e32 v180, v128, v183
	ds_load_2addr_b64 v[125:128], v2 offset0:35 offset1:36
	s_waitcnt lgkmcnt(1)
	v_fmac_f32_e32 v180, v129, v184
	v_fmac_f32_e32 v180, v130, v185
	s_delay_alu instid0(VALU_DEP_1) | instskip(SKIP_1) | instid1(VALU_DEP_1)
	v_fmac_f32_e32 v180, v131, v186
	s_waitcnt vmcnt(12)
	v_fmac_f32_e32 v180, v132, v187
	ds_load_2addr_b64 v[129:132], v2 offset0:37 offset1:38
	s_waitcnt lgkmcnt(1)
	v_fmac_f32_e32 v180, v133, v125
	s_delay_alu instid0(VALU_DEP_1) | instskip(NEXT) | instid1(VALU_DEP_1)
	v_fmac_f32_e32 v180, v134, v126
	v_fmac_f32_e32 v180, v135, v127
	s_waitcnt vmcnt(11)
	s_delay_alu instid0(VALU_DEP_1) | instskip(SKIP_3) | instid1(VALU_DEP_1)
	v_fmac_f32_e32 v180, v136, v128
	ds_load_2addr_b64 v[125:128], v2 offset0:39 offset1:40
	s_waitcnt lgkmcnt(1)
	v_fmac_f32_e32 v180, v137, v129
	v_fmac_f32_e32 v180, v138, v130
	s_delay_alu instid0(VALU_DEP_1) | instskip(SKIP_1) | instid1(VALU_DEP_1)
	v_fmac_f32_e32 v180, v139, v131
	s_waitcnt vmcnt(10)
	v_fmac_f32_e32 v180, v140, v132
	ds_load_2addr_b64 v[129:132], v2 offset0:41 offset1:42
	s_waitcnt lgkmcnt(1)
	v_fmac_f32_e32 v180, v141, v125
	;; [unrolled: 17-line block ×5, first 2 shown]
	s_delay_alu instid0(VALU_DEP_1) | instskip(NEXT) | instid1(VALU_DEP_1)
	v_fmac_f32_e32 v180, v166, v126
	v_fmac_f32_e32 v180, v167, v127
	s_waitcnt vmcnt(3)
	s_delay_alu instid0(VALU_DEP_1) | instskip(SKIP_3) | instid1(VALU_DEP_1)
	v_fmac_f32_e32 v180, v168, v128
	ds_load_2addr_b64 v[125:128], v2 offset0:55 offset1:56
	s_waitcnt lgkmcnt(1)
	v_fmac_f32_e32 v180, v169, v129
	v_fmac_f32_e32 v180, v170, v130
	s_delay_alu instid0(VALU_DEP_1) | instskip(SKIP_1) | instid1(VALU_DEP_1)
	v_fmac_f32_e32 v180, v171, v131
	s_waitcnt vmcnt(2)
	v_fmac_f32_e32 v180, v172, v132
	ds_load_2addr_b64 v[129:132], v2 offset0:57 offset1:58
	ds_load_b64 v[2:3], v2 offset:472
	s_waitcnt lgkmcnt(2)
	v_fmac_f32_e32 v180, v173, v125
	s_delay_alu instid0(VALU_DEP_1) | instskip(NEXT) | instid1(VALU_DEP_1)
	v_fmac_f32_e32 v180, v174, v126
	v_fmac_f32_e32 v180, v175, v127
	s_waitcnt vmcnt(1)
	s_delay_alu instid0(VALU_DEP_1) | instskip(SKIP_1) | instid1(VALU_DEP_1)
	v_fmac_f32_e32 v180, v176, v128
	s_waitcnt lgkmcnt(1)
	v_fmac_f32_e32 v180, v177, v129
	s_delay_alu instid0(VALU_DEP_1) | instskip(NEXT) | instid1(VALU_DEP_1)
	v_fmac_f32_e32 v180, v178, v130
	v_fmac_f32_e32 v180, v179, v131
	s_waitcnt vmcnt(0)
	s_delay_alu instid0(VALU_DEP_1) | instskip(SKIP_1) | instid1(VALU_DEP_1)
	v_fmac_f32_e32 v180, v188, v132
	s_waitcnt lgkmcnt(0)
	v_fmac_f32_e32 v180, v189, v2
	s_delay_alu instid0(VALU_DEP_1) | instskip(NEXT) | instid1(VALU_DEP_1)
	v_fmac_f32_e32 v180, v190, v3
	v_sub_f32_e32 v2, v124, v180
	scratch_store_b32 off, v2, off offset:4
	v_cmpx_ne_u32_e32 0, v0
	s_cbranch_execz .LBB123_367
; %bb.366:
	scratch_load_b32 v0, off, off
	v_mov_b32_e32 v2, 0
	scratch_store_b32 off, v2, off
	s_waitcnt vmcnt(0)
	ds_store_b32 v1, v0
.LBB123_367:
	s_or_b32 exec_lo, exec_lo, s0
	s_waitcnt lgkmcnt(0)
	s_waitcnt_vscnt null, 0x0
	s_barrier
	buffer_gl0_inv
	s_clause 0xe
	scratch_load_b128 v[124:127], off, off
	scratch_load_b128 v[128:131], off, off offset:16
	scratch_load_b128 v[132:135], off, off offset:32
	;; [unrolled: 1-line block ×14, first 2 shown]
	v_mov_b32_e32 v188, 0
	ds_load_2addr_b32 v[180:181], v188 offset0:61 offset1:62
	ds_load_2addr_b32 v[182:183], v188 offset0:63 offset1:64
	;; [unrolled: 1-line block ×4, first 2 shown]
	s_and_b32 vcc_lo, exec_lo, s12
	s_waitcnt vmcnt(14) lgkmcnt(3)
	v_fma_f32 v180, v125, v180, 0
	s_delay_alu instid0(VALU_DEP_1) | instskip(SKIP_4) | instid1(VALU_DEP_1)
	v_fmac_f32_e32 v180, v126, v181
	ds_load_2addr_b32 v[125:126], v188 offset0:69 offset1:70
	s_waitcnt lgkmcnt(3)
	v_fmac_f32_e32 v180, v127, v182
	s_waitcnt vmcnt(13)
	v_fmac_f32_e32 v180, v128, v183
	ds_load_2addr_b32 v[127:128], v188 offset0:71 offset1:72
	s_waitcnt lgkmcnt(3)
	v_fmac_f32_e32 v180, v129, v184
	s_delay_alu instid0(VALU_DEP_1) | instskip(SKIP_1) | instid1(VALU_DEP_1)
	v_fmac_f32_e32 v180, v130, v185
	s_waitcnt lgkmcnt(2)
	v_fmac_f32_e32 v180, v131, v186
	s_waitcnt vmcnt(12)
	s_delay_alu instid0(VALU_DEP_1) | instskip(SKIP_4) | instid1(VALU_DEP_1)
	v_fmac_f32_e32 v180, v132, v187
	ds_load_2addr_b32 v[129:130], v188 offset0:73 offset1:74
	ds_load_2addr_b32 v[131:132], v188 offset0:75 offset1:76
	s_waitcnt lgkmcnt(3)
	v_fmac_f32_e32 v180, v133, v125
	v_fmac_f32_e32 v180, v134, v126
	ds_load_2addr_b32 v[125:126], v188 offset0:77 offset1:78
	s_waitcnt lgkmcnt(3)
	v_fmac_f32_e32 v180, v135, v127
	s_waitcnt vmcnt(11)
	s_delay_alu instid0(VALU_DEP_1) | instskip(SKIP_3) | instid1(VALU_DEP_1)
	v_fmac_f32_e32 v180, v136, v128
	ds_load_2addr_b32 v[127:128], v188 offset0:79 offset1:80
	s_waitcnt lgkmcnt(3)
	v_fmac_f32_e32 v180, v137, v129
	v_fmac_f32_e32 v180, v138, v130
	s_waitcnt lgkmcnt(2)
	s_delay_alu instid0(VALU_DEP_1) | instskip(SKIP_1) | instid1(VALU_DEP_1)
	v_fmac_f32_e32 v180, v139, v131
	s_waitcnt vmcnt(10)
	v_fmac_f32_e32 v180, v140, v132
	ds_load_2addr_b32 v[129:130], v188 offset0:81 offset1:82
	ds_load_2addr_b32 v[131:132], v188 offset0:83 offset1:84
	s_waitcnt lgkmcnt(3)
	v_fmac_f32_e32 v180, v141, v125
	s_delay_alu instid0(VALU_DEP_1) | instskip(SKIP_4) | instid1(VALU_DEP_1)
	v_fmac_f32_e32 v180, v142, v126
	ds_load_2addr_b32 v[125:126], v188 offset0:85 offset1:86
	s_waitcnt lgkmcnt(3)
	v_fmac_f32_e32 v180, v143, v127
	s_waitcnt vmcnt(9)
	v_fmac_f32_e32 v180, v144, v128
	ds_load_2addr_b32 v[127:128], v188 offset0:87 offset1:88
	s_waitcnt lgkmcnt(3)
	v_fmac_f32_e32 v180, v145, v129
	s_delay_alu instid0(VALU_DEP_1) | instskip(SKIP_1) | instid1(VALU_DEP_1)
	v_fmac_f32_e32 v180, v146, v130
	s_waitcnt lgkmcnt(2)
	v_fmac_f32_e32 v180, v147, v131
	s_waitcnt vmcnt(8)
	s_delay_alu instid0(VALU_DEP_1) | instskip(SKIP_4) | instid1(VALU_DEP_1)
	v_fmac_f32_e32 v180, v148, v132
	ds_load_2addr_b32 v[129:130], v188 offset0:89 offset1:90
	ds_load_2addr_b32 v[131:132], v188 offset0:91 offset1:92
	s_waitcnt lgkmcnt(3)
	v_fmac_f32_e32 v180, v149, v125
	v_fmac_f32_e32 v180, v150, v126
	ds_load_2addr_b32 v[125:126], v188 offset0:93 offset1:94
	s_waitcnt lgkmcnt(3)
	v_fmac_f32_e32 v180, v151, v127
	s_waitcnt vmcnt(7)
	s_delay_alu instid0(VALU_DEP_1) | instskip(SKIP_3) | instid1(VALU_DEP_1)
	v_fmac_f32_e32 v180, v152, v128
	ds_load_2addr_b32 v[127:128], v188 offset0:95 offset1:96
	s_waitcnt lgkmcnt(3)
	v_fmac_f32_e32 v180, v153, v129
	v_fmac_f32_e32 v180, v154, v130
	s_waitcnt lgkmcnt(2)
	s_delay_alu instid0(VALU_DEP_1) | instskip(SKIP_1) | instid1(VALU_DEP_1)
	v_fmac_f32_e32 v180, v155, v131
	s_waitcnt vmcnt(6)
	v_fmac_f32_e32 v180, v156, v132
	ds_load_2addr_b32 v[129:130], v188 offset0:97 offset1:98
	ds_load_2addr_b32 v[131:132], v188 offset0:99 offset1:100
	s_waitcnt lgkmcnt(3)
	v_fmac_f32_e32 v180, v157, v125
	;; [unrolled: 41-line block ×3, first 2 shown]
	s_delay_alu instid0(VALU_DEP_1)
	v_fmac_f32_e32 v180, v174, v126
	ds_load_2addr_b32 v[125:126], v188 offset0:117 offset1:118
	s_waitcnt lgkmcnt(3)
	v_fmac_f32_e32 v180, v175, v127
	ds_load_b32 v127, v188 offset:476
	s_waitcnt vmcnt(1)
	v_fmac_f32_e32 v180, v176, v128
	s_waitcnt lgkmcnt(3)
	s_delay_alu instid0(VALU_DEP_1) | instskip(NEXT) | instid1(VALU_DEP_1)
	v_fmac_f32_e32 v180, v177, v129
	v_fmac_f32_e32 v180, v178, v130
	s_waitcnt lgkmcnt(2)
	s_delay_alu instid0(VALU_DEP_1) | instskip(SKIP_1) | instid1(VALU_DEP_1)
	v_fmac_f32_e32 v180, v179, v131
	s_waitcnt vmcnt(0)
	v_fmac_f32_e32 v180, v0, v132
	s_waitcnt lgkmcnt(1)
	s_delay_alu instid0(VALU_DEP_1) | instskip(NEXT) | instid1(VALU_DEP_1)
	v_fmac_f32_e32 v180, v1, v125
	v_fmac_f32_e32 v180, v2, v126
	s_waitcnt lgkmcnt(0)
	s_delay_alu instid0(VALU_DEP_1) | instskip(NEXT) | instid1(VALU_DEP_1)
	v_fmac_f32_e32 v180, v3, v127
	v_sub_f32_e32 v0, v124, v180
	scratch_store_b32 off, v0, off
	s_cbranch_vccz .LBB123_487
; %bb.368:
	v_dual_mov_b32 v0, s2 :: v_dual_mov_b32 v1, s3
	s_mov_b32 s0, exec_lo
	flat_load_b32 v0, v[0:1] offset:232
	s_waitcnt vmcnt(0) lgkmcnt(0)
	v_cmpx_ne_u32_e32 59, v0
	s_cbranch_execz .LBB123_370
; %bb.369:
	v_lshl_add_u32 v0, v0, 2, 0
	scratch_load_b32 v1, v0, off offset:-4
	s_waitcnt vmcnt(0)
	scratch_store_b32 off, v1, off offset:232
	scratch_store_b32 v0, v2, off offset:-4
.LBB123_370:
	s_or_b32 exec_lo, exec_lo, s0
	v_dual_mov_b32 v0, s2 :: v_dual_mov_b32 v1, s3
	s_mov_b32 s0, exec_lo
	flat_load_b32 v0, v[0:1] offset:228
	s_waitcnt vmcnt(0) lgkmcnt(0)
	v_cmpx_ne_u32_e32 58, v0
	s_cbranch_execz .LBB123_372
; %bb.371:
	v_lshl_add_u32 v0, v0, 2, 0
	scratch_load_b32 v1, v0, off offset:-4
	scratch_load_b32 v2, off, off offset:228
	s_waitcnt vmcnt(1)
	scratch_store_b32 off, v1, off offset:228
	s_waitcnt vmcnt(0)
	scratch_store_b32 v0, v2, off offset:-4
.LBB123_372:
	s_or_b32 exec_lo, exec_lo, s0
	v_dual_mov_b32 v0, s2 :: v_dual_mov_b32 v1, s3
	s_mov_b32 s0, exec_lo
	flat_load_b32 v0, v[0:1] offset:224
	s_waitcnt vmcnt(0) lgkmcnt(0)
	v_cmpx_ne_u32_e32 57, v0
	s_cbranch_execz .LBB123_374
; %bb.373:
	v_lshl_add_u32 v0, v0, 2, 0
	scratch_load_b32 v1, v0, off offset:-4
	scratch_load_b32 v2, off, off offset:224
	s_waitcnt vmcnt(1)
	scratch_store_b32 off, v1, off offset:224
	s_waitcnt vmcnt(0)
	scratch_store_b32 v0, v2, off offset:-4
.LBB123_374:
	;; [unrolled: 16-line block ×57, first 2 shown]
	s_or_b32 exec_lo, exec_lo, s0
	v_dual_mov_b32 v0, s2 :: v_dual_mov_b32 v1, s3
	s_mov_b32 s0, exec_lo
	flat_load_b32 v1, v[0:1]
	scratch_load_b32 v0, off, off
	s_waitcnt vmcnt(1) lgkmcnt(0)
	v_cmpx_ne_u32_e32 1, v1
	s_cbranch_execz .LBB123_486
; %bb.485:
	v_lshl_add_u32 v1, v1, 2, 0
	scratch_load_b32 v2, v1, off offset:-4
	s_waitcnt vmcnt(0)
	scratch_store_b32 off, v2, off
	scratch_store_b32 v1, v0, off offset:-4
	scratch_load_b32 v0, off, off
.LBB123_486:
	s_or_b32 exec_lo, exec_lo, s0
.LBB123_487:
	s_clause 0xe
	scratch_load_b128 v[124:127], off, off offset:4
	scratch_load_b128 v[128:131], off, off offset:20
	;; [unrolled: 1-line block ×14, first 2 shown]
	scratch_load_b96 v[1:3], off, off offset:228
	s_waitcnt vmcnt(15)
	global_store_b32 v[4:5], v0, off
	s_waitcnt vmcnt(14)
	s_clause 0x3
	global_store_b32 v[6:7], v124, off
	global_store_b32 v[8:9], v125, off
	global_store_b32 v[10:11], v126, off
	global_store_b32 v[12:13], v127, off
	s_waitcnt vmcnt(13)
	s_clause 0x3
	global_store_b32 v[14:15], v128, off
	global_store_b32 v[16:17], v129, off
	global_store_b32 v[18:19], v130, off
	;; [unrolled: 6-line block ×15, first 2 shown]
	s_endpgm
	.section	.rodata,"a",@progbits
	.p2align	6, 0x0
	.amdhsa_kernel _ZN9rocsolver6v33100L18getri_kernel_smallILi60EfPKPfEEvT1_iilPiilS6_bb
		.amdhsa_group_segment_fixed_size 484
		.amdhsa_private_segment_fixed_size 256
		.amdhsa_kernarg_size 60
		.amdhsa_user_sgpr_count 15
		.amdhsa_user_sgpr_dispatch_ptr 0
		.amdhsa_user_sgpr_queue_ptr 0
		.amdhsa_user_sgpr_kernarg_segment_ptr 1
		.amdhsa_user_sgpr_dispatch_id 0
		.amdhsa_user_sgpr_private_segment_size 0
		.amdhsa_wavefront_size32 1
		.amdhsa_uses_dynamic_stack 0
		.amdhsa_enable_private_segment 1
		.amdhsa_system_sgpr_workgroup_id_x 1
		.amdhsa_system_sgpr_workgroup_id_y 0
		.amdhsa_system_sgpr_workgroup_id_z 0
		.amdhsa_system_sgpr_workgroup_info 0
		.amdhsa_system_vgpr_workitem_id 0
		.amdhsa_next_free_vgpr 191
		.amdhsa_next_free_sgpr 17
		.amdhsa_reserve_vcc 1
		.amdhsa_float_round_mode_32 0
		.amdhsa_float_round_mode_16_64 0
		.amdhsa_float_denorm_mode_32 3
		.amdhsa_float_denorm_mode_16_64 3
		.amdhsa_dx10_clamp 1
		.amdhsa_ieee_mode 1
		.amdhsa_fp16_overflow 0
		.amdhsa_workgroup_processor_mode 1
		.amdhsa_memory_ordered 1
		.amdhsa_forward_progress 0
		.amdhsa_shared_vgpr_count 0
		.amdhsa_exception_fp_ieee_invalid_op 0
		.amdhsa_exception_fp_denorm_src 0
		.amdhsa_exception_fp_ieee_div_zero 0
		.amdhsa_exception_fp_ieee_overflow 0
		.amdhsa_exception_fp_ieee_underflow 0
		.amdhsa_exception_fp_ieee_inexact 0
		.amdhsa_exception_int_div_zero 0
	.end_amdhsa_kernel
	.section	.text._ZN9rocsolver6v33100L18getri_kernel_smallILi60EfPKPfEEvT1_iilPiilS6_bb,"axG",@progbits,_ZN9rocsolver6v33100L18getri_kernel_smallILi60EfPKPfEEvT1_iilPiilS6_bb,comdat
.Lfunc_end123:
	.size	_ZN9rocsolver6v33100L18getri_kernel_smallILi60EfPKPfEEvT1_iilPiilS6_bb, .Lfunc_end123-_ZN9rocsolver6v33100L18getri_kernel_smallILi60EfPKPfEEvT1_iilPiilS6_bb
                                        ; -- End function
	.section	.AMDGPU.csdata,"",@progbits
; Kernel info:
; codeLenInByte = 48208
; NumSgprs: 19
; NumVgprs: 191
; ScratchSize: 256
; MemoryBound: 0
; FloatMode: 240
; IeeeMode: 1
; LDSByteSize: 484 bytes/workgroup (compile time only)
; SGPRBlocks: 2
; VGPRBlocks: 23
; NumSGPRsForWavesPerEU: 19
; NumVGPRsForWavesPerEU: 191
; Occupancy: 8
; WaveLimiterHint : 1
; COMPUTE_PGM_RSRC2:SCRATCH_EN: 1
; COMPUTE_PGM_RSRC2:USER_SGPR: 15
; COMPUTE_PGM_RSRC2:TRAP_HANDLER: 0
; COMPUTE_PGM_RSRC2:TGID_X_EN: 1
; COMPUTE_PGM_RSRC2:TGID_Y_EN: 0
; COMPUTE_PGM_RSRC2:TGID_Z_EN: 0
; COMPUTE_PGM_RSRC2:TIDIG_COMP_CNT: 0
	.section	.text._ZN9rocsolver6v33100L18getri_kernel_smallILi61EfPKPfEEvT1_iilPiilS6_bb,"axG",@progbits,_ZN9rocsolver6v33100L18getri_kernel_smallILi61EfPKPfEEvT1_iilPiilS6_bb,comdat
	.globl	_ZN9rocsolver6v33100L18getri_kernel_smallILi61EfPKPfEEvT1_iilPiilS6_bb ; -- Begin function _ZN9rocsolver6v33100L18getri_kernel_smallILi61EfPKPfEEvT1_iilPiilS6_bb
	.p2align	8
	.type	_ZN9rocsolver6v33100L18getri_kernel_smallILi61EfPKPfEEvT1_iilPiilS6_bb,@function
_ZN9rocsolver6v33100L18getri_kernel_smallILi61EfPKPfEEvT1_iilPiilS6_bb: ; @_ZN9rocsolver6v33100L18getri_kernel_smallILi61EfPKPfEEvT1_iilPiilS6_bb
; %bb.0:
	s_mov_b32 s2, exec_lo
	v_cmpx_gt_u32_e32 61, v0
	s_cbranch_execz .LBB124_252
; %bb.1:
	s_clause 0x1
	s_load_b32 s13, s[0:1], 0x38
	s_load_b64 s[2:3], s[0:1], 0x0
	s_mov_b32 s8, s15
	s_load_b128 s[4:7], s[0:1], 0x28
	s_waitcnt lgkmcnt(0)
	s_bitcmp1_b32 s13, 8
	s_cselect_b32 s12, -1, 0
	s_ashr_i32 s9, s15, 31
	s_delay_alu instid0(SALU_CYCLE_1) | instskip(NEXT) | instid1(SALU_CYCLE_1)
	s_lshl_b64 s[10:11], s[8:9], 3
	s_add_u32 s2, s2, s10
	s_addc_u32 s3, s3, s11
	s_load_b64 s[10:11], s[2:3], 0x0
	s_bfe_u32 s2, s13, 0x10008
	s_delay_alu instid0(SALU_CYCLE_1)
	s_cmp_eq_u32 s2, 0
                                        ; implicit-def: $sgpr2_sgpr3
	s_cbranch_scc1 .LBB124_3
; %bb.2:
	s_clause 0x1
	s_load_b32 s2, s[0:1], 0x20
	s_load_b64 s[14:15], s[0:1], 0x18
	s_mul_i32 s3, s8, s5
	s_mul_hi_u32 s5, s8, s4
	s_mul_i32 s16, s9, s4
	s_add_i32 s3, s5, s3
	s_mul_i32 s4, s8, s4
	s_add_i32 s5, s3, s16
	s_delay_alu instid0(SALU_CYCLE_1)
	s_lshl_b64 s[4:5], s[4:5], 2
	s_waitcnt lgkmcnt(0)
	s_ashr_i32 s3, s2, 31
	s_add_u32 s4, s14, s4
	s_addc_u32 s5, s15, s5
	s_lshl_b64 s[2:3], s[2:3], 2
	s_delay_alu instid0(SALU_CYCLE_1)
	s_add_u32 s2, s4, s2
	s_addc_u32 s3, s5, s3
.LBB124_3:
	s_load_b64 s[0:1], s[0:1], 0x8
	v_lshlrev_b32_e32 v127, 2, v0
	s_waitcnt lgkmcnt(0)
	v_add3_u32 v2, s1, s1, v0
	s_ashr_i32 s5, s0, 31
	s_mov_b32 s4, s0
	s_mov_b32 s14, s1
	s_lshl_b64 s[4:5], s[4:5], 2
	v_add_nc_u32_e32 v9, s1, v2
	v_ashrrev_i32_e32 v3, 31, v2
	s_add_u32 s4, s10, s4
	s_addc_u32 s5, s11, s5
	v_add_co_u32 v5, s0, s4, v127
	v_add_nc_u32_e32 v11, s1, v9
	v_ashrrev_i32_e32 v10, 31, v9
	s_ashr_i32 s15, s1, 31
	v_add_co_ci_u32_e64 v6, null, s5, 0, s0
	s_delay_alu instid0(VALU_DEP_3)
	v_add_nc_u32_e32 v13, s1, v11
	v_lshlrev_b64 v[2:3], 2, v[2:3]
	s_lshl_b64 s[10:11], s[14:15], 2
	v_lshlrev_b64 v[52:53], 2, v[9:10]
	v_add_co_u32 v7, vcc_lo, v5, s10
	v_add_nc_u32_e32 v15, s1, v13
	v_ashrrev_i32_e32 v12, 31, v11
	v_add_co_ci_u32_e32 v8, vcc_lo, s11, v6, vcc_lo
	v_add_co_u32 v9, vcc_lo, s4, v2
	s_delay_alu instid0(VALU_DEP_4) | instskip(SKIP_3) | instid1(VALU_DEP_4)
	v_add_nc_u32_e32 v17, s1, v15
	v_ashrrev_i32_e32 v14, 31, v13
	v_add_co_ci_u32_e32 v10, vcc_lo, s5, v3, vcc_lo
	v_lshlrev_b64 v[2:3], 2, v[11:12]
	v_add_nc_u32_e32 v19, s1, v17
	v_add_co_u32 v11, vcc_lo, s4, v52
	v_add_co_ci_u32_e32 v12, vcc_lo, s5, v53, vcc_lo
	s_delay_alu instid0(VALU_DEP_3) | instskip(SKIP_3) | instid1(VALU_DEP_4)
	v_add_nc_u32_e32 v21, s1, v19
	v_lshlrev_b64 v[52:53], 2, v[13:14]
	v_ashrrev_i32_e32 v16, 31, v15
	v_add_co_u32 v13, vcc_lo, s4, v2
	v_add_nc_u32_e32 v23, s1, v21
	v_ashrrev_i32_e32 v18, 31, v17
	v_add_co_ci_u32_e32 v14, vcc_lo, s5, v3, vcc_lo
	v_lshlrev_b64 v[2:3], 2, v[15:16]
	s_delay_alu instid0(VALU_DEP_4) | instskip(SKIP_2) | instid1(VALU_DEP_3)
	v_add_nc_u32_e32 v25, s1, v23
	v_add_co_u32 v15, vcc_lo, s4, v52
	v_add_co_ci_u32_e32 v16, vcc_lo, s5, v53, vcc_lo
	v_add_nc_u32_e32 v27, s1, v25
	v_lshlrev_b64 v[52:53], 2, v[17:18]
	v_ashrrev_i32_e32 v20, 31, v19
	v_add_co_u32 v17, vcc_lo, s4, v2
	s_delay_alu instid0(VALU_DEP_4) | instskip(SKIP_3) | instid1(VALU_DEP_4)
	v_add_nc_u32_e32 v29, s1, v27
	v_ashrrev_i32_e32 v22, 31, v21
	v_add_co_ci_u32_e32 v18, vcc_lo, s5, v3, vcc_lo
	v_lshlrev_b64 v[2:3], 2, v[19:20]
	v_add_nc_u32_e32 v31, s1, v29
	v_add_co_u32 v19, vcc_lo, s4, v52
	v_ashrrev_i32_e32 v24, 31, v23
	v_add_co_ci_u32_e32 v20, vcc_lo, s5, v53, vcc_lo
	s_delay_alu instid0(VALU_DEP_4) | instskip(SKIP_3) | instid1(VALU_DEP_4)
	v_add_nc_u32_e32 v33, s1, v31
	v_lshlrev_b64 v[52:53], 2, v[21:22]
	v_add_co_u32 v21, vcc_lo, s4, v2
	v_lshlrev_b64 v[67:68], 2, v[23:24]
	v_add_nc_u32_e32 v35, s1, v33
	v_ashrrev_i32_e32 v26, 31, v25
	v_add_co_ci_u32_e32 v22, vcc_lo, s5, v3, vcc_lo
	v_add_co_u32 v23, vcc_lo, s4, v52
	s_delay_alu instid0(VALU_DEP_4) | instskip(SKIP_3) | instid1(VALU_DEP_4)
	v_add_nc_u32_e32 v37, s1, v35
	v_ashrrev_i32_e32 v28, 31, v27
	v_add_co_ci_u32_e32 v24, vcc_lo, s5, v53, vcc_lo
	v_lshlrev_b64 v[52:53], 2, v[25:26]
	v_add_nc_u32_e32 v39, s1, v37
	v_add_co_u32 v25, vcc_lo, s4, v67
	v_add_co_ci_u32_e32 v26, vcc_lo, s5, v68, vcc_lo
	s_delay_alu instid0(VALU_DEP_3) | instskip(SKIP_3) | instid1(VALU_DEP_4)
	v_add_nc_u32_e32 v41, s1, v39
	v_lshlrev_b64 v[67:68], 2, v[27:28]
	v_ashrrev_i32_e32 v30, 31, v29
	v_add_co_u32 v27, vcc_lo, s4, v52
	v_add_nc_u32_e32 v43, s1, v41
	v_ashrrev_i32_e32 v32, 31, v31
	v_add_co_ci_u32_e32 v28, vcc_lo, s5, v53, vcc_lo
	v_lshlrev_b64 v[52:53], 2, v[29:30]
	s_delay_alu instid0(VALU_DEP_4) | instskip(SKIP_2) | instid1(VALU_DEP_3)
	v_add_nc_u32_e32 v45, s1, v43
	v_add_co_u32 v29, vcc_lo, s4, v67
	v_add_co_ci_u32_e32 v30, vcc_lo, s5, v68, vcc_lo
	v_add_nc_u32_e32 v47, s1, v45
	v_lshlrev_b64 v[67:68], 2, v[31:32]
	v_ashrrev_i32_e32 v34, 31, v33
	v_add_co_u32 v31, vcc_lo, s4, v52
	s_delay_alu instid0(VALU_DEP_4) | instskip(SKIP_3) | instid1(VALU_DEP_4)
	v_add_nc_u32_e32 v49, s1, v47
	v_ashrrev_i32_e32 v36, 31, v35
	v_add_co_ci_u32_e32 v32, vcc_lo, s5, v53, vcc_lo
	v_lshlrev_b64 v[52:53], 2, v[33:34]
	v_add_nc_u32_e32 v51, s1, v49
	v_add_co_u32 v33, vcc_lo, s4, v67
	v_add_co_ci_u32_e32 v34, vcc_lo, s5, v68, vcc_lo
	s_delay_alu instid0(VALU_DEP_3) | instskip(SKIP_3) | instid1(VALU_DEP_4)
	v_add_nc_u32_e32 v54, s1, v51
	v_lshlrev_b64 v[67:68], 2, v[35:36]
	v_ashrrev_i32_e32 v38, 31, v37
	v_add_co_u32 v35, vcc_lo, s4, v52
	v_add_nc_u32_e32 v56, s1, v54
	v_ashrrev_i32_e32 v40, 31, v39
	v_add_co_ci_u32_e32 v36, vcc_lo, s5, v53, vcc_lo
	v_lshlrev_b64 v[52:53], 2, v[37:38]
	s_delay_alu instid0(VALU_DEP_4) | instskip(SKIP_2) | instid1(VALU_DEP_3)
	v_add_nc_u32_e32 v58, s1, v56
	v_add_co_u32 v37, vcc_lo, s4, v67
	v_add_co_ci_u32_e32 v38, vcc_lo, s5, v68, vcc_lo
	v_add_nc_u32_e32 v60, s1, v58
	v_lshlrev_b64 v[67:68], 2, v[39:40]
	v_ashrrev_i32_e32 v42, 31, v41
	;; [unrolled: 25-line block ×4, first 2 shown]
	v_add_co_u32 v55, vcc_lo, s4, v86
	s_delay_alu instid0(VALU_DEP_4) | instskip(SKIP_3) | instid1(VALU_DEP_4)
	v_add_nc_u32_e32 v89, s1, v85
	v_ashrrev_i32_e32 v61, 31, v60
	v_add_co_ci_u32_e32 v56, vcc_lo, s5, v87, vcc_lo
	v_lshlrev_b64 v[86:87], 2, v[58:59]
	v_add_nc_u32_e32 v91, s1, v89
	v_add_co_u32 v57, vcc_lo, s4, v67
	v_add_co_ci_u32_e32 v58, vcc_lo, s5, v68, vcc_lo
	s_delay_alu instid0(VALU_DEP_3) | instskip(SKIP_3) | instid1(VALU_DEP_4)
	v_add_nc_u32_e32 v93, s1, v91
	v_lshlrev_b64 v[67:68], 2, v[60:61]
	v_ashrrev_i32_e32 v63, 31, v62
	v_add_co_u32 v59, vcc_lo, s4, v86
	v_add_nc_u32_e32 v95, s1, v93
	v_ashrrev_i32_e32 v65, 31, v64
	v_add_co_ci_u32_e32 v60, vcc_lo, s5, v87, vcc_lo
	v_lshlrev_b64 v[86:87], 2, v[62:63]
	s_delay_alu instid0(VALU_DEP_4) | instskip(SKIP_3) | instid1(VALU_DEP_4)
	v_add_nc_u32_e32 v97, s1, v95
	v_add_co_u32 v61, vcc_lo, s4, v67
	v_ashrrev_i32_e32 v67, 31, v66
	v_lshlrev_b64 v[116:117], 2, v[64:65]
	v_add_nc_u32_e32 v99, s1, v97
	v_ashrrev_i32_e32 v70, 31, v69
	v_add_co_ci_u32_e32 v62, vcc_lo, s5, v68, vcc_lo
	v_add_co_u32 v63, vcc_lo, s4, v86
	s_delay_alu instid0(VALU_DEP_4) | instskip(SKIP_3) | instid1(VALU_DEP_4)
	v_add_nc_u32_e32 v101, s1, v99
	v_lshlrev_b64 v[67:68], 2, v[66:67]
	v_ashrrev_i32_e32 v72, 31, v71
	v_add_co_ci_u32_e32 v64, vcc_lo, s5, v87, vcc_lo
	v_add_nc_u32_e32 v103, s1, v101
	v_add_co_u32 v65, vcc_lo, s4, v116
	v_lshlrev_b64 v[69:70], 2, v[69:70]
	v_add_co_ci_u32_e32 v66, vcc_lo, s5, v117, vcc_lo
	s_delay_alu instid0(VALU_DEP_4) | instskip(SKIP_3) | instid1(VALU_DEP_4)
	v_add_nc_u32_e32 v105, s1, v103
	v_add_co_u32 v67, vcc_lo, s4, v67
	v_lshlrev_b64 v[71:72], 2, v[71:72]
	v_ashrrev_i32_e32 v74, 31, v73
	v_add_nc_u32_e32 v107, s1, v105
	v_add_co_ci_u32_e32 v68, vcc_lo, s5, v68, vcc_lo
	v_add_co_u32 v69, vcc_lo, s4, v69
	s_delay_alu instid0(VALU_DEP_3) | instskip(SKIP_3) | instid1(VALU_DEP_4)
	v_add_nc_u32_e32 v109, s1, v107
	v_ashrrev_i32_e32 v76, 31, v75
	v_add_co_ci_u32_e32 v70, vcc_lo, s5, v70, vcc_lo
	v_lshlrev_b64 v[86:87], 2, v[73:74]
	v_add_nc_u32_e32 v111, s1, v109
	v_add_co_u32 v73, vcc_lo, s4, v71
	v_add_co_ci_u32_e32 v74, vcc_lo, s5, v72, vcc_lo
	s_delay_alu instid0(VALU_DEP_3) | instskip(SKIP_3) | instid1(VALU_DEP_4)
	v_add_nc_u32_e32 v113, s1, v111
	v_lshlrev_b64 v[71:72], 2, v[75:76]
	v_ashrrev_i32_e32 v78, 31, v77
	v_add_co_u32 v75, vcc_lo, s4, v86
	v_add_nc_u32_e32 v115, s1, v113
	v_add_co_ci_u32_e32 v76, vcc_lo, s5, v87, vcc_lo
	s_delay_alu instid0(VALU_DEP_4) | instskip(SKIP_1) | instid1(VALU_DEP_4)
	v_lshlrev_b64 v[86:87], 2, v[77:78]
	v_ashrrev_i32_e32 v80, 31, v79
	v_add_nc_u32_e32 v118, s1, v115
	v_add_co_u32 v77, vcc_lo, s4, v71
	v_add_co_ci_u32_e32 v78, vcc_lo, s5, v72, vcc_lo
	s_delay_alu instid0(VALU_DEP_3)
	v_add_nc_u32_e32 v120, s1, v118
	v_ashrrev_i32_e32 v82, 31, v81
	v_lshlrev_b64 v[125:126], 2, v[79:80]
	v_ashrrev_i32_e32 v84, 31, v83
	v_ashrrev_i32_e32 v90, 31, v89
	v_add_nc_u32_e32 v122, s1, v120
	v_ashrrev_i32_e32 v92, 31, v91
	v_ashrrev_i32_e32 v94, 31, v93
	;; [unrolled: 1-line block ×3, first 2 shown]
	v_lshlrev_b64 v[89:90], 2, v[89:90]
	v_add_nc_u32_e32 v124, s1, v122
	v_lshlrev_b64 v[91:92], 2, v[91:92]
	v_lshlrev_b64 v[93:94], 2, v[93:94]
	v_ashrrev_i32_e32 v98, 31, v97
	v_lshlrev_b64 v[95:96], 2, v[95:96]
	v_add_nc_u32_e32 v173, s1, v124
	v_ashrrev_i32_e32 v100, 31, v99
	v_ashrrev_i32_e32 v102, 31, v101
	v_lshlrev_b64 v[97:98], 2, v[97:98]
	v_ashrrev_i32_e32 v104, 31, v103
	v_add_nc_u32_e32 v116, s1, v173
	v_lshlrev_b64 v[99:100], 2, v[99:100]
	v_lshlrev_b64 v[101:102], 2, v[101:102]
	v_ashrrev_i32_e32 v106, 31, v105
	v_lshlrev_b64 v[103:104], 2, v[103:104]
	v_ashrrev_i32_e32 v117, 31, v116
	v_ashrrev_i32_e32 v108, 31, v107
	v_ashrrev_i32_e32 v110, 31, v109
	v_lshlrev_b64 v[105:106], 2, v[105:106]
	v_ashrrev_i32_e32 v112, 31, v111
	v_lshlrev_b64 v[116:117], 2, v[116:117]
	v_lshlrev_b64 v[107:108], 2, v[107:108]
	;; [unrolled: 1-line block ×3, first 2 shown]
	v_ashrrev_i32_e32 v114, 31, v113
	v_lshlrev_b64 v[111:112], 2, v[111:112]
	v_ashrrev_i32_e32 v119, 31, v118
	v_add_co_u32 v71, vcc_lo, s4, v116
	v_add_co_ci_u32_e32 v72, vcc_lo, s5, v117, vcc_lo
	v_add_co_u32 v79, vcc_lo, s4, v86
	v_add_co_ci_u32_e32 v80, vcc_lo, s5, v87, vcc_lo
	v_lshlrev_b64 v[87:88], 2, v[81:82]
	v_add_co_u32 v81, vcc_lo, s4, v125
	v_ashrrev_i32_e32 v86, 31, v85
	v_add_co_ci_u32_e32 v82, vcc_lo, s5, v126, vcc_lo
	v_lshlrev_b64 v[116:117], 2, v[83:84]
	v_add_co_u32 v83, vcc_lo, s4, v87
	v_add_co_ci_u32_e32 v84, vcc_lo, s5, v88, vcc_lo
	v_lshlrev_b64 v[87:88], 2, v[85:86]
	s_delay_alu instid0(VALU_DEP_4) | instskip(SKIP_2) | instid1(VALU_DEP_4)
	v_add_co_u32 v85, vcc_lo, s4, v116
	v_add_co_ci_u32_e32 v86, vcc_lo, s5, v117, vcc_lo
	v_ashrrev_i32_e32 v116, 31, v115
	v_add_co_u32 v87, vcc_lo, s4, v87
	v_add_co_ci_u32_e32 v88, vcc_lo, s5, v88, vcc_lo
	v_add_co_u32 v89, vcc_lo, s4, v89
	v_add_co_ci_u32_e32 v90, vcc_lo, s5, v90, vcc_lo
	;; [unrolled: 2-line block ×11, first 2 shown]
	v_add_co_u32 v109, vcc_lo, s4, v109
	v_lshlrev_b64 v[113:114], 2, v[113:114]
	v_add_co_ci_u32_e32 v110, vcc_lo, s5, v110, vcc_lo
	v_add_co_u32 v111, vcc_lo, s4, v111
	v_lshlrev_b64 v[115:116], 2, v[115:116]
	v_ashrrev_i32_e32 v121, 31, v120
	v_add_co_ci_u32_e32 v112, vcc_lo, s5, v112, vcc_lo
	v_add_co_u32 v113, vcc_lo, s4, v113
	v_lshlrev_b64 v[117:118], 2, v[118:119]
	v_ashrrev_i32_e32 v123, 31, v122
	;; [unrolled: 4-line block ×4, first 2 shown]
	v_add_co_ci_u32_e32 v118, vcc_lo, s5, v118, vcc_lo
	v_add_co_u32 v119, vcc_lo, s4, v119
	v_lshlrev_b64 v[123:124], 2, v[124:125]
	v_add_co_ci_u32_e32 v120, vcc_lo, s5, v120, vcc_lo
	v_add_co_u32 v121, vcc_lo, s4, v121
	v_lshlrev_b64 v[125:126], 2, v[173:174]
	v_add_co_ci_u32_e32 v122, vcc_lo, s5, v122, vcc_lo
	v_add_co_u32 v123, vcc_lo, s4, v123
	v_add_co_ci_u32_e32 v124, vcc_lo, s5, v124, vcc_lo
	s_delay_alu instid0(VALU_DEP_4)
	v_add_co_u32 v125, vcc_lo, s4, v125
	s_clause 0x1f
	global_load_b32 v1, v127, s[4:5]
	global_load_b32 v2, v[7:8], off
	global_load_b32 v3, v[9:10], off
	;; [unrolled: 1-line block ×31, first 2 shown]
	s_clause 0x10
	global_load_b32 v156, v[69:70], off
	global_load_b32 v157, v[73:74], off
	;; [unrolled: 1-line block ×17, first 2 shown]
	v_add_co_ci_u32_e32 v126, vcc_lo, s5, v126, vcc_lo
	s_clause 0xb
	global_load_b32 v173, v[105:106], off
	global_load_b32 v174, v[107:108], off
	;; [unrolled: 1-line block ×12, first 2 shown]
	s_mov_b32 s1, -1
	s_bitcmp0_b32 s13, 0
	s_waitcnt vmcnt(57)
	scratch_store_b128 off, v[1:4], off
	s_waitcnt vmcnt(53)
	scratch_store_b128 off, v[128:131], off offset:16
	s_waitcnt vmcnt(49)
	scratch_store_b128 off, v[132:135], off offset:32
	;; [unrolled: 2-line block ×14, first 2 shown]
	s_waitcnt vmcnt(0)
	scratch_store_b32 off, v184, off offset:240
	s_cbranch_scc1 .LBB124_250
; %bb.4:
	v_cmp_eq_u32_e64 s0, 0, v0
	s_delay_alu instid0(VALU_DEP_1)
	s_and_saveexec_b32 s1, s0
	s_cbranch_execz .LBB124_6
; %bb.5:
	v_mov_b32_e32 v1, 0
	ds_store_b32 v1, v1 offset:244
.LBB124_6:
	s_or_b32 exec_lo, exec_lo, s1
	s_waitcnt lgkmcnt(0)
	s_waitcnt_vscnt null, 0x0
	s_barrier
	buffer_gl0_inv
	scratch_load_b32 v1, v127, off
	s_mov_b32 s4, exec_lo
	s_waitcnt vmcnt(0)
	v_cmpx_eq_f32_e32 0, v1
	s_cbranch_execz .LBB124_10
; %bb.7:
	v_mov_b32_e32 v1, 0
	s_mov_b32 s5, 0
	ds_load_b32 v2, v1 offset:244
	s_waitcnt lgkmcnt(0)
	v_readfirstlane_b32 s1, v2
	v_add_nc_u32_e32 v2, 1, v0
	s_delay_alu instid0(VALU_DEP_2) | instskip(NEXT) | instid1(VALU_DEP_1)
	s_cmp_eq_u32 s1, 0
	v_cmp_gt_i32_e32 vcc_lo, s1, v2
	s_cselect_b32 s10, -1, 0
	s_delay_alu instid0(SALU_CYCLE_1) | instskip(NEXT) | instid1(SALU_CYCLE_1)
	s_or_b32 s10, s10, vcc_lo
	s_and_b32 exec_lo, exec_lo, s10
	s_cbranch_execz .LBB124_10
; %bb.8:
	v_mov_b32_e32 v3, s1
.LBB124_9:                              ; =>This Inner Loop Header: Depth=1
	ds_cmpstore_rtn_b32 v3, v1, v2, v3 offset:244
	s_waitcnt lgkmcnt(0)
	v_cmp_ne_u32_e32 vcc_lo, 0, v3
	v_cmp_le_i32_e64 s1, v3, v2
	s_delay_alu instid0(VALU_DEP_1) | instskip(NEXT) | instid1(SALU_CYCLE_1)
	s_and_b32 s1, vcc_lo, s1
	s_and_b32 s1, exec_lo, s1
	s_delay_alu instid0(SALU_CYCLE_1) | instskip(NEXT) | instid1(SALU_CYCLE_1)
	s_or_b32 s5, s1, s5
	s_and_not1_b32 exec_lo, exec_lo, s5
	s_cbranch_execnz .LBB124_9
.LBB124_10:
	s_or_b32 exec_lo, exec_lo, s4
	v_mov_b32_e32 v1, 0
	s_barrier
	buffer_gl0_inv
	ds_load_b32 v2, v1 offset:244
	s_and_saveexec_b32 s1, s0
	s_cbranch_execz .LBB124_12
; %bb.11:
	s_lshl_b64 s[4:5], s[8:9], 2
	s_delay_alu instid0(SALU_CYCLE_1)
	s_add_u32 s4, s6, s4
	s_addc_u32 s5, s7, s5
	s_waitcnt lgkmcnt(0)
	global_store_b32 v1, v2, s[4:5]
.LBB124_12:
	s_or_b32 exec_lo, exec_lo, s1
	s_waitcnt lgkmcnt(0)
	v_cmp_ne_u32_e32 vcc_lo, 0, v2
	s_mov_b32 s1, 0
	s_cbranch_vccnz .LBB124_250
; %bb.13:
	v_add_nc_u32_e32 v1, 0, v127
	scratch_load_b32 v2, v1, off
	s_waitcnt vmcnt(0)
	v_div_scale_f32 v3, null, v2, v2, 1.0
	v_div_scale_f32 v129, vcc_lo, 1.0, v2, 1.0
	s_delay_alu instid0(VALU_DEP_2) | instskip(SKIP_2) | instid1(VALU_DEP_1)
	v_rcp_f32_e32 v4, v3
	s_waitcnt_depctr 0xfff
	v_fma_f32 v128, -v3, v4, 1.0
	v_fmac_f32_e32 v4, v128, v4
	s_delay_alu instid0(VALU_DEP_1) | instskip(NEXT) | instid1(VALU_DEP_1)
	v_mul_f32_e32 v128, v129, v4
	v_fma_f32 v130, -v3, v128, v129
	s_delay_alu instid0(VALU_DEP_1) | instskip(NEXT) | instid1(VALU_DEP_1)
	v_fmac_f32_e32 v128, v130, v4
	v_fma_f32 v3, -v3, v128, v129
	s_delay_alu instid0(VALU_DEP_1) | instskip(NEXT) | instid1(VALU_DEP_1)
	v_div_fmas_f32 v3, v3, v4, v128
	v_div_fixup_f32 v2, v3, v2, 1.0
	scratch_store_b32 v1, v2, off
	scratch_load_b32 v3, off, off offset:4
	v_xor_b32_e32 v4, 0x80000000, v2
	v_or_b32_e32 v2, 0x100, v127
	s_waitcnt vmcnt(0)
	ds_store_2addr_stride64_b32 v127, v4, v3 offset1:1
	s_waitcnt lgkmcnt(0)
	s_waitcnt_vscnt null, 0x0
	s_barrier
	buffer_gl0_inv
	s_and_saveexec_b32 s1, s0
	s_cbranch_execz .LBB124_15
; %bb.14:
	scratch_load_b32 v3, v1, off
	ds_load_b32 v4, v2
	v_mov_b32_e32 v128, 0
	ds_load_b32 v128, v128 offset:4
	s_waitcnt vmcnt(0) lgkmcnt(1)
	v_fma_f32 v3, v3, v4, 0
	s_waitcnt lgkmcnt(0)
	s_delay_alu instid0(VALU_DEP_1)
	v_mul_f32_e32 v3, v3, v128
	scratch_store_b32 off, v3, off offset:4
.LBB124_15:
	s_or_b32 exec_lo, exec_lo, s1
	s_waitcnt_vscnt null, 0x0
	s_barrier
	buffer_gl0_inv
	scratch_load_b32 v3, off, off offset:8
	s_mov_b32 s1, exec_lo
	s_waitcnt vmcnt(0)
	ds_store_b32 v2, v3
	s_waitcnt lgkmcnt(0)
	s_barrier
	buffer_gl0_inv
	v_cmpx_gt_u32_e32 2, v0
	s_cbranch_execz .LBB124_17
; %bb.16:
	scratch_load_b32 v128, v1, off
	scratch_load_b32 v129, off, off offset:4
	ds_load_b32 v130, v2
	v_mov_b32_e32 v3, 0
	ds_load_2addr_b32 v[3:4], v3 offset0:2 offset1:65
	s_waitcnt vmcnt(1) lgkmcnt(1)
	v_fma_f32 v128, v128, v130, 0
	s_waitcnt vmcnt(0) lgkmcnt(0)
	s_delay_alu instid0(VALU_DEP_1) | instskip(NEXT) | instid1(VALU_DEP_1)
	v_fma_f32 v4, v129, v4, v128
	v_cndmask_b32_e64 v4, v128, v4, s0
	s_delay_alu instid0(VALU_DEP_1)
	v_mul_f32_e32 v3, v4, v3
	scratch_store_b32 off, v3, off offset:8
.LBB124_17:
	s_or_b32 exec_lo, exec_lo, s1
	s_waitcnt_vscnt null, 0x0
	s_barrier
	buffer_gl0_inv
	scratch_load_b32 v4, off, off offset:12
	v_add_nc_u32_e32 v3, -1, v0
	s_mov_b32 s0, exec_lo
	s_waitcnt vmcnt(0)
	ds_store_b32 v2, v4
	s_waitcnt lgkmcnt(0)
	s_barrier
	buffer_gl0_inv
	v_cmpx_gt_u32_e32 3, v0
	s_cbranch_execz .LBB124_21
; %bb.18:
	v_add_nc_u32_e32 v128, -1, v0
	v_or_b32_e32 v129, 0x100, v127
	v_add_nc_u32_e32 v130, 0, v127
	v_mov_b32_e32 v4, 0
	s_mov_b32 s1, 0
.LBB124_19:                             ; =>This Inner Loop Header: Depth=1
	scratch_load_b32 v131, v130, off
	ds_load_b32 v132, v129
	v_add_nc_u32_e32 v128, 1, v128
	v_add_nc_u32_e32 v129, 4, v129
	v_add_nc_u32_e32 v130, 4, v130
	s_delay_alu instid0(VALU_DEP_3)
	v_cmp_lt_u32_e32 vcc_lo, 1, v128
	s_or_b32 s1, vcc_lo, s1
	s_waitcnt vmcnt(0) lgkmcnt(0)
	v_fmac_f32_e32 v4, v131, v132
	s_and_not1_b32 exec_lo, exec_lo, s1
	s_cbranch_execnz .LBB124_19
; %bb.20:
	s_or_b32 exec_lo, exec_lo, s1
	v_mov_b32_e32 v128, 0
	ds_load_b32 v128, v128 offset:12
	s_waitcnt lgkmcnt(0)
	v_mul_f32_e32 v4, v4, v128
	scratch_store_b32 off, v4, off offset:12
.LBB124_21:
	s_or_b32 exec_lo, exec_lo, s0
	s_waitcnt_vscnt null, 0x0
	s_barrier
	buffer_gl0_inv
	scratch_load_b32 v4, off, off offset:16
	s_mov_b32 s0, exec_lo
	s_waitcnt vmcnt(0)
	ds_store_b32 v2, v4
	s_waitcnt lgkmcnt(0)
	s_barrier
	buffer_gl0_inv
	v_cmpx_gt_u32_e32 4, v0
	s_cbranch_execz .LBB124_25
; %bb.22:
	v_add_nc_u32_e32 v128, -1, v0
	v_or_b32_e32 v129, 0x100, v127
	v_add_nc_u32_e32 v130, 0, v127
	v_mov_b32_e32 v4, 0
	s_mov_b32 s1, 0
.LBB124_23:                             ; =>This Inner Loop Header: Depth=1
	scratch_load_b32 v131, v130, off
	ds_load_b32 v132, v129
	v_add_nc_u32_e32 v128, 1, v128
	v_add_nc_u32_e32 v129, 4, v129
	v_add_nc_u32_e32 v130, 4, v130
	s_delay_alu instid0(VALU_DEP_3)
	v_cmp_lt_u32_e32 vcc_lo, 2, v128
	s_or_b32 s1, vcc_lo, s1
	s_waitcnt vmcnt(0) lgkmcnt(0)
	v_fmac_f32_e32 v4, v131, v132
	s_and_not1_b32 exec_lo, exec_lo, s1
	s_cbranch_execnz .LBB124_23
; %bb.24:
	s_or_b32 exec_lo, exec_lo, s1
	v_mov_b32_e32 v128, 0
	ds_load_b32 v128, v128 offset:16
	s_waitcnt lgkmcnt(0)
	v_mul_f32_e32 v4, v4, v128
	scratch_store_b32 off, v4, off offset:16
.LBB124_25:
	s_or_b32 exec_lo, exec_lo, s0
	s_waitcnt_vscnt null, 0x0
	s_barrier
	buffer_gl0_inv
	scratch_load_b32 v4, off, off offset:20
	s_mov_b32 s0, exec_lo
	s_waitcnt vmcnt(0)
	ds_store_b32 v2, v4
	s_waitcnt lgkmcnt(0)
	s_barrier
	buffer_gl0_inv
	v_cmpx_gt_u32_e32 5, v0
	s_cbranch_execz .LBB124_29
; %bb.26:
	v_add_nc_u32_e32 v128, -1, v0
	v_or_b32_e32 v129, 0x100, v127
	v_add_nc_u32_e32 v130, 0, v127
	v_mov_b32_e32 v4, 0
	s_mov_b32 s1, 0
.LBB124_27:                             ; =>This Inner Loop Header: Depth=1
	scratch_load_b32 v131, v130, off
	ds_load_b32 v132, v129
	v_add_nc_u32_e32 v128, 1, v128
	v_add_nc_u32_e32 v129, 4, v129
	v_add_nc_u32_e32 v130, 4, v130
	s_delay_alu instid0(VALU_DEP_3)
	v_cmp_lt_u32_e32 vcc_lo, 3, v128
	s_or_b32 s1, vcc_lo, s1
	s_waitcnt vmcnt(0) lgkmcnt(0)
	v_fmac_f32_e32 v4, v131, v132
	s_and_not1_b32 exec_lo, exec_lo, s1
	s_cbranch_execnz .LBB124_27
; %bb.28:
	s_or_b32 exec_lo, exec_lo, s1
	v_mov_b32_e32 v128, 0
	ds_load_b32 v128, v128 offset:20
	s_waitcnt lgkmcnt(0)
	v_mul_f32_e32 v4, v4, v128
	scratch_store_b32 off, v4, off offset:20
.LBB124_29:
	s_or_b32 exec_lo, exec_lo, s0
	s_waitcnt_vscnt null, 0x0
	s_barrier
	buffer_gl0_inv
	scratch_load_b32 v4, off, off offset:24
	s_mov_b32 s0, exec_lo
	s_waitcnt vmcnt(0)
	ds_store_b32 v2, v4
	s_waitcnt lgkmcnt(0)
	s_barrier
	buffer_gl0_inv
	v_cmpx_gt_u32_e32 6, v0
	s_cbranch_execz .LBB124_33
; %bb.30:
	v_add_nc_u32_e32 v128, -1, v0
	v_or_b32_e32 v129, 0x100, v127
	v_add_nc_u32_e32 v130, 0, v127
	v_mov_b32_e32 v4, 0
	s_mov_b32 s1, 0
.LBB124_31:                             ; =>This Inner Loop Header: Depth=1
	scratch_load_b32 v131, v130, off
	ds_load_b32 v132, v129
	v_add_nc_u32_e32 v128, 1, v128
	v_add_nc_u32_e32 v129, 4, v129
	v_add_nc_u32_e32 v130, 4, v130
	s_delay_alu instid0(VALU_DEP_3)
	v_cmp_lt_u32_e32 vcc_lo, 4, v128
	s_or_b32 s1, vcc_lo, s1
	s_waitcnt vmcnt(0) lgkmcnt(0)
	v_fmac_f32_e32 v4, v131, v132
	s_and_not1_b32 exec_lo, exec_lo, s1
	s_cbranch_execnz .LBB124_31
; %bb.32:
	s_or_b32 exec_lo, exec_lo, s1
	v_mov_b32_e32 v128, 0
	ds_load_b32 v128, v128 offset:24
	s_waitcnt lgkmcnt(0)
	v_mul_f32_e32 v4, v4, v128
	scratch_store_b32 off, v4, off offset:24
.LBB124_33:
	s_or_b32 exec_lo, exec_lo, s0
	s_waitcnt_vscnt null, 0x0
	s_barrier
	buffer_gl0_inv
	scratch_load_b32 v4, off, off offset:28
	s_mov_b32 s0, exec_lo
	s_waitcnt vmcnt(0)
	ds_store_b32 v2, v4
	s_waitcnt lgkmcnt(0)
	s_barrier
	buffer_gl0_inv
	v_cmpx_gt_u32_e32 7, v0
	s_cbranch_execz .LBB124_37
; %bb.34:
	v_add_nc_u32_e32 v128, -1, v0
	v_or_b32_e32 v129, 0x100, v127
	v_add_nc_u32_e32 v130, 0, v127
	v_mov_b32_e32 v4, 0
	s_mov_b32 s1, 0
.LBB124_35:                             ; =>This Inner Loop Header: Depth=1
	scratch_load_b32 v131, v130, off
	ds_load_b32 v132, v129
	v_add_nc_u32_e32 v128, 1, v128
	v_add_nc_u32_e32 v129, 4, v129
	v_add_nc_u32_e32 v130, 4, v130
	s_delay_alu instid0(VALU_DEP_3)
	v_cmp_lt_u32_e32 vcc_lo, 5, v128
	s_or_b32 s1, vcc_lo, s1
	s_waitcnt vmcnt(0) lgkmcnt(0)
	v_fmac_f32_e32 v4, v131, v132
	s_and_not1_b32 exec_lo, exec_lo, s1
	s_cbranch_execnz .LBB124_35
; %bb.36:
	s_or_b32 exec_lo, exec_lo, s1
	v_mov_b32_e32 v128, 0
	ds_load_b32 v128, v128 offset:28
	s_waitcnt lgkmcnt(0)
	v_mul_f32_e32 v4, v4, v128
	scratch_store_b32 off, v4, off offset:28
.LBB124_37:
	s_or_b32 exec_lo, exec_lo, s0
	s_waitcnt_vscnt null, 0x0
	s_barrier
	buffer_gl0_inv
	scratch_load_b32 v4, off, off offset:32
	s_mov_b32 s0, exec_lo
	s_waitcnt vmcnt(0)
	ds_store_b32 v2, v4
	s_waitcnt lgkmcnt(0)
	s_barrier
	buffer_gl0_inv
	v_cmpx_gt_u32_e32 8, v0
	s_cbranch_execz .LBB124_41
; %bb.38:
	v_add_nc_u32_e32 v128, -1, v0
	v_or_b32_e32 v129, 0x100, v127
	v_add_nc_u32_e32 v130, 0, v127
	v_mov_b32_e32 v4, 0
	s_mov_b32 s1, 0
.LBB124_39:                             ; =>This Inner Loop Header: Depth=1
	scratch_load_b32 v131, v130, off
	ds_load_b32 v132, v129
	v_add_nc_u32_e32 v128, 1, v128
	v_add_nc_u32_e32 v129, 4, v129
	v_add_nc_u32_e32 v130, 4, v130
	s_delay_alu instid0(VALU_DEP_3)
	v_cmp_lt_u32_e32 vcc_lo, 6, v128
	s_or_b32 s1, vcc_lo, s1
	s_waitcnt vmcnt(0) lgkmcnt(0)
	v_fmac_f32_e32 v4, v131, v132
	s_and_not1_b32 exec_lo, exec_lo, s1
	s_cbranch_execnz .LBB124_39
; %bb.40:
	s_or_b32 exec_lo, exec_lo, s1
	v_mov_b32_e32 v128, 0
	ds_load_b32 v128, v128 offset:32
	s_waitcnt lgkmcnt(0)
	v_mul_f32_e32 v4, v4, v128
	scratch_store_b32 off, v4, off offset:32
.LBB124_41:
	s_or_b32 exec_lo, exec_lo, s0
	s_waitcnt_vscnt null, 0x0
	s_barrier
	buffer_gl0_inv
	scratch_load_b32 v4, off, off offset:36
	s_mov_b32 s0, exec_lo
	s_waitcnt vmcnt(0)
	ds_store_b32 v2, v4
	s_waitcnt lgkmcnt(0)
	s_barrier
	buffer_gl0_inv
	v_cmpx_gt_u32_e32 9, v0
	s_cbranch_execz .LBB124_45
; %bb.42:
	v_add_nc_u32_e32 v128, -1, v0
	v_or_b32_e32 v129, 0x100, v127
	v_add_nc_u32_e32 v130, 0, v127
	v_mov_b32_e32 v4, 0
	s_mov_b32 s1, 0
.LBB124_43:                             ; =>This Inner Loop Header: Depth=1
	scratch_load_b32 v131, v130, off
	ds_load_b32 v132, v129
	v_add_nc_u32_e32 v128, 1, v128
	v_add_nc_u32_e32 v129, 4, v129
	v_add_nc_u32_e32 v130, 4, v130
	s_delay_alu instid0(VALU_DEP_3)
	v_cmp_lt_u32_e32 vcc_lo, 7, v128
	s_or_b32 s1, vcc_lo, s1
	s_waitcnt vmcnt(0) lgkmcnt(0)
	v_fmac_f32_e32 v4, v131, v132
	s_and_not1_b32 exec_lo, exec_lo, s1
	s_cbranch_execnz .LBB124_43
; %bb.44:
	s_or_b32 exec_lo, exec_lo, s1
	v_mov_b32_e32 v128, 0
	ds_load_b32 v128, v128 offset:36
	s_waitcnt lgkmcnt(0)
	v_mul_f32_e32 v4, v4, v128
	scratch_store_b32 off, v4, off offset:36
.LBB124_45:
	s_or_b32 exec_lo, exec_lo, s0
	s_waitcnt_vscnt null, 0x0
	s_barrier
	buffer_gl0_inv
	scratch_load_b32 v4, off, off offset:40
	s_mov_b32 s0, exec_lo
	s_waitcnt vmcnt(0)
	ds_store_b32 v2, v4
	s_waitcnt lgkmcnt(0)
	s_barrier
	buffer_gl0_inv
	v_cmpx_gt_u32_e32 10, v0
	s_cbranch_execz .LBB124_49
; %bb.46:
	v_add_nc_u32_e32 v128, -1, v0
	v_or_b32_e32 v129, 0x100, v127
	v_add_nc_u32_e32 v130, 0, v127
	v_mov_b32_e32 v4, 0
	s_mov_b32 s1, 0
.LBB124_47:                             ; =>This Inner Loop Header: Depth=1
	scratch_load_b32 v131, v130, off
	ds_load_b32 v132, v129
	v_add_nc_u32_e32 v128, 1, v128
	v_add_nc_u32_e32 v129, 4, v129
	v_add_nc_u32_e32 v130, 4, v130
	s_delay_alu instid0(VALU_DEP_3)
	v_cmp_lt_u32_e32 vcc_lo, 8, v128
	s_or_b32 s1, vcc_lo, s1
	s_waitcnt vmcnt(0) lgkmcnt(0)
	v_fmac_f32_e32 v4, v131, v132
	s_and_not1_b32 exec_lo, exec_lo, s1
	s_cbranch_execnz .LBB124_47
; %bb.48:
	s_or_b32 exec_lo, exec_lo, s1
	v_mov_b32_e32 v128, 0
	ds_load_b32 v128, v128 offset:40
	s_waitcnt lgkmcnt(0)
	v_mul_f32_e32 v4, v4, v128
	scratch_store_b32 off, v4, off offset:40
.LBB124_49:
	s_or_b32 exec_lo, exec_lo, s0
	s_waitcnt_vscnt null, 0x0
	s_barrier
	buffer_gl0_inv
	scratch_load_b32 v4, off, off offset:44
	s_mov_b32 s0, exec_lo
	s_waitcnt vmcnt(0)
	ds_store_b32 v2, v4
	s_waitcnt lgkmcnt(0)
	s_barrier
	buffer_gl0_inv
	v_cmpx_gt_u32_e32 11, v0
	s_cbranch_execz .LBB124_53
; %bb.50:
	v_add_nc_u32_e32 v128, -1, v0
	v_or_b32_e32 v129, 0x100, v127
	v_add_nc_u32_e32 v130, 0, v127
	v_mov_b32_e32 v4, 0
	s_mov_b32 s1, 0
.LBB124_51:                             ; =>This Inner Loop Header: Depth=1
	scratch_load_b32 v131, v130, off
	ds_load_b32 v132, v129
	v_add_nc_u32_e32 v128, 1, v128
	v_add_nc_u32_e32 v129, 4, v129
	v_add_nc_u32_e32 v130, 4, v130
	s_delay_alu instid0(VALU_DEP_3)
	v_cmp_lt_u32_e32 vcc_lo, 9, v128
	s_or_b32 s1, vcc_lo, s1
	s_waitcnt vmcnt(0) lgkmcnt(0)
	v_fmac_f32_e32 v4, v131, v132
	s_and_not1_b32 exec_lo, exec_lo, s1
	s_cbranch_execnz .LBB124_51
; %bb.52:
	s_or_b32 exec_lo, exec_lo, s1
	v_mov_b32_e32 v128, 0
	ds_load_b32 v128, v128 offset:44
	s_waitcnt lgkmcnt(0)
	v_mul_f32_e32 v4, v4, v128
	scratch_store_b32 off, v4, off offset:44
.LBB124_53:
	s_or_b32 exec_lo, exec_lo, s0
	s_waitcnt_vscnt null, 0x0
	s_barrier
	buffer_gl0_inv
	scratch_load_b32 v4, off, off offset:48
	s_mov_b32 s0, exec_lo
	s_waitcnt vmcnt(0)
	ds_store_b32 v2, v4
	s_waitcnt lgkmcnt(0)
	s_barrier
	buffer_gl0_inv
	v_cmpx_gt_u32_e32 12, v0
	s_cbranch_execz .LBB124_57
; %bb.54:
	v_add_nc_u32_e32 v128, -1, v0
	v_or_b32_e32 v129, 0x100, v127
	v_add_nc_u32_e32 v130, 0, v127
	v_mov_b32_e32 v4, 0
	s_mov_b32 s1, 0
.LBB124_55:                             ; =>This Inner Loop Header: Depth=1
	scratch_load_b32 v131, v130, off
	ds_load_b32 v132, v129
	v_add_nc_u32_e32 v128, 1, v128
	v_add_nc_u32_e32 v129, 4, v129
	v_add_nc_u32_e32 v130, 4, v130
	s_delay_alu instid0(VALU_DEP_3)
	v_cmp_lt_u32_e32 vcc_lo, 10, v128
	s_or_b32 s1, vcc_lo, s1
	s_waitcnt vmcnt(0) lgkmcnt(0)
	v_fmac_f32_e32 v4, v131, v132
	s_and_not1_b32 exec_lo, exec_lo, s1
	s_cbranch_execnz .LBB124_55
; %bb.56:
	s_or_b32 exec_lo, exec_lo, s1
	v_mov_b32_e32 v128, 0
	ds_load_b32 v128, v128 offset:48
	s_waitcnt lgkmcnt(0)
	v_mul_f32_e32 v4, v4, v128
	scratch_store_b32 off, v4, off offset:48
.LBB124_57:
	s_or_b32 exec_lo, exec_lo, s0
	s_waitcnt_vscnt null, 0x0
	s_barrier
	buffer_gl0_inv
	scratch_load_b32 v4, off, off offset:52
	s_mov_b32 s0, exec_lo
	s_waitcnt vmcnt(0)
	ds_store_b32 v2, v4
	s_waitcnt lgkmcnt(0)
	s_barrier
	buffer_gl0_inv
	v_cmpx_gt_u32_e32 13, v0
	s_cbranch_execz .LBB124_61
; %bb.58:
	v_add_nc_u32_e32 v128, -1, v0
	v_or_b32_e32 v129, 0x100, v127
	v_add_nc_u32_e32 v130, 0, v127
	v_mov_b32_e32 v4, 0
	s_mov_b32 s1, 0
.LBB124_59:                             ; =>This Inner Loop Header: Depth=1
	scratch_load_b32 v131, v130, off
	ds_load_b32 v132, v129
	v_add_nc_u32_e32 v128, 1, v128
	v_add_nc_u32_e32 v129, 4, v129
	v_add_nc_u32_e32 v130, 4, v130
	s_delay_alu instid0(VALU_DEP_3)
	v_cmp_lt_u32_e32 vcc_lo, 11, v128
	s_or_b32 s1, vcc_lo, s1
	s_waitcnt vmcnt(0) lgkmcnt(0)
	v_fmac_f32_e32 v4, v131, v132
	s_and_not1_b32 exec_lo, exec_lo, s1
	s_cbranch_execnz .LBB124_59
; %bb.60:
	s_or_b32 exec_lo, exec_lo, s1
	v_mov_b32_e32 v128, 0
	ds_load_b32 v128, v128 offset:52
	s_waitcnt lgkmcnt(0)
	v_mul_f32_e32 v4, v4, v128
	scratch_store_b32 off, v4, off offset:52
.LBB124_61:
	s_or_b32 exec_lo, exec_lo, s0
	s_waitcnt_vscnt null, 0x0
	s_barrier
	buffer_gl0_inv
	scratch_load_b32 v4, off, off offset:56
	s_mov_b32 s0, exec_lo
	s_waitcnt vmcnt(0)
	ds_store_b32 v2, v4
	s_waitcnt lgkmcnt(0)
	s_barrier
	buffer_gl0_inv
	v_cmpx_gt_u32_e32 14, v0
	s_cbranch_execz .LBB124_65
; %bb.62:
	v_add_nc_u32_e32 v128, -1, v0
	v_or_b32_e32 v129, 0x100, v127
	v_add_nc_u32_e32 v130, 0, v127
	v_mov_b32_e32 v4, 0
	s_mov_b32 s1, 0
.LBB124_63:                             ; =>This Inner Loop Header: Depth=1
	scratch_load_b32 v131, v130, off
	ds_load_b32 v132, v129
	v_add_nc_u32_e32 v128, 1, v128
	v_add_nc_u32_e32 v129, 4, v129
	v_add_nc_u32_e32 v130, 4, v130
	s_delay_alu instid0(VALU_DEP_3)
	v_cmp_lt_u32_e32 vcc_lo, 12, v128
	s_or_b32 s1, vcc_lo, s1
	s_waitcnt vmcnt(0) lgkmcnt(0)
	v_fmac_f32_e32 v4, v131, v132
	s_and_not1_b32 exec_lo, exec_lo, s1
	s_cbranch_execnz .LBB124_63
; %bb.64:
	s_or_b32 exec_lo, exec_lo, s1
	v_mov_b32_e32 v128, 0
	ds_load_b32 v128, v128 offset:56
	s_waitcnt lgkmcnt(0)
	v_mul_f32_e32 v4, v4, v128
	scratch_store_b32 off, v4, off offset:56
.LBB124_65:
	s_or_b32 exec_lo, exec_lo, s0
	s_waitcnt_vscnt null, 0x0
	s_barrier
	buffer_gl0_inv
	scratch_load_b32 v4, off, off offset:60
	s_mov_b32 s0, exec_lo
	s_waitcnt vmcnt(0)
	ds_store_b32 v2, v4
	s_waitcnt lgkmcnt(0)
	s_barrier
	buffer_gl0_inv
	v_cmpx_gt_u32_e32 15, v0
	s_cbranch_execz .LBB124_69
; %bb.66:
	v_add_nc_u32_e32 v128, -1, v0
	v_or_b32_e32 v129, 0x100, v127
	v_add_nc_u32_e32 v130, 0, v127
	v_mov_b32_e32 v4, 0
	s_mov_b32 s1, 0
.LBB124_67:                             ; =>This Inner Loop Header: Depth=1
	scratch_load_b32 v131, v130, off
	ds_load_b32 v132, v129
	v_add_nc_u32_e32 v128, 1, v128
	v_add_nc_u32_e32 v129, 4, v129
	v_add_nc_u32_e32 v130, 4, v130
	s_delay_alu instid0(VALU_DEP_3)
	v_cmp_lt_u32_e32 vcc_lo, 13, v128
	s_or_b32 s1, vcc_lo, s1
	s_waitcnt vmcnt(0) lgkmcnt(0)
	v_fmac_f32_e32 v4, v131, v132
	s_and_not1_b32 exec_lo, exec_lo, s1
	s_cbranch_execnz .LBB124_67
; %bb.68:
	s_or_b32 exec_lo, exec_lo, s1
	v_mov_b32_e32 v128, 0
	ds_load_b32 v128, v128 offset:60
	s_waitcnt lgkmcnt(0)
	v_mul_f32_e32 v4, v4, v128
	scratch_store_b32 off, v4, off offset:60
.LBB124_69:
	s_or_b32 exec_lo, exec_lo, s0
	s_waitcnt_vscnt null, 0x0
	s_barrier
	buffer_gl0_inv
	scratch_load_b32 v4, off, off offset:64
	s_mov_b32 s0, exec_lo
	s_waitcnt vmcnt(0)
	ds_store_b32 v2, v4
	s_waitcnt lgkmcnt(0)
	s_barrier
	buffer_gl0_inv
	v_cmpx_gt_u32_e32 16, v0
	s_cbranch_execz .LBB124_73
; %bb.70:
	v_add_nc_u32_e32 v128, -1, v0
	v_or_b32_e32 v129, 0x100, v127
	v_add_nc_u32_e32 v130, 0, v127
	v_mov_b32_e32 v4, 0
	s_mov_b32 s1, 0
.LBB124_71:                             ; =>This Inner Loop Header: Depth=1
	scratch_load_b32 v131, v130, off
	ds_load_b32 v132, v129
	v_add_nc_u32_e32 v128, 1, v128
	v_add_nc_u32_e32 v129, 4, v129
	v_add_nc_u32_e32 v130, 4, v130
	s_delay_alu instid0(VALU_DEP_3)
	v_cmp_lt_u32_e32 vcc_lo, 14, v128
	s_or_b32 s1, vcc_lo, s1
	s_waitcnt vmcnt(0) lgkmcnt(0)
	v_fmac_f32_e32 v4, v131, v132
	s_and_not1_b32 exec_lo, exec_lo, s1
	s_cbranch_execnz .LBB124_71
; %bb.72:
	s_or_b32 exec_lo, exec_lo, s1
	v_mov_b32_e32 v128, 0
	ds_load_b32 v128, v128 offset:64
	s_waitcnt lgkmcnt(0)
	v_mul_f32_e32 v4, v4, v128
	scratch_store_b32 off, v4, off offset:64
.LBB124_73:
	s_or_b32 exec_lo, exec_lo, s0
	s_waitcnt_vscnt null, 0x0
	s_barrier
	buffer_gl0_inv
	scratch_load_b32 v4, off, off offset:68
	s_mov_b32 s0, exec_lo
	s_waitcnt vmcnt(0)
	ds_store_b32 v2, v4
	s_waitcnt lgkmcnt(0)
	s_barrier
	buffer_gl0_inv
	v_cmpx_gt_u32_e32 17, v0
	s_cbranch_execz .LBB124_77
; %bb.74:
	v_add_nc_u32_e32 v128, -1, v0
	v_or_b32_e32 v129, 0x100, v127
	v_add_nc_u32_e32 v130, 0, v127
	v_mov_b32_e32 v4, 0
	s_mov_b32 s1, 0
.LBB124_75:                             ; =>This Inner Loop Header: Depth=1
	scratch_load_b32 v131, v130, off
	ds_load_b32 v132, v129
	v_add_nc_u32_e32 v128, 1, v128
	v_add_nc_u32_e32 v129, 4, v129
	v_add_nc_u32_e32 v130, 4, v130
	s_delay_alu instid0(VALU_DEP_3)
	v_cmp_lt_u32_e32 vcc_lo, 15, v128
	s_or_b32 s1, vcc_lo, s1
	s_waitcnt vmcnt(0) lgkmcnt(0)
	v_fmac_f32_e32 v4, v131, v132
	s_and_not1_b32 exec_lo, exec_lo, s1
	s_cbranch_execnz .LBB124_75
; %bb.76:
	s_or_b32 exec_lo, exec_lo, s1
	v_mov_b32_e32 v128, 0
	ds_load_b32 v128, v128 offset:68
	s_waitcnt lgkmcnt(0)
	v_mul_f32_e32 v4, v4, v128
	scratch_store_b32 off, v4, off offset:68
.LBB124_77:
	s_or_b32 exec_lo, exec_lo, s0
	s_waitcnt_vscnt null, 0x0
	s_barrier
	buffer_gl0_inv
	scratch_load_b32 v4, off, off offset:72
	s_mov_b32 s0, exec_lo
	s_waitcnt vmcnt(0)
	ds_store_b32 v2, v4
	s_waitcnt lgkmcnt(0)
	s_barrier
	buffer_gl0_inv
	v_cmpx_gt_u32_e32 18, v0
	s_cbranch_execz .LBB124_81
; %bb.78:
	v_add_nc_u32_e32 v128, -1, v0
	v_or_b32_e32 v129, 0x100, v127
	v_add_nc_u32_e32 v130, 0, v127
	v_mov_b32_e32 v4, 0
	s_mov_b32 s1, 0
.LBB124_79:                             ; =>This Inner Loop Header: Depth=1
	scratch_load_b32 v131, v130, off
	ds_load_b32 v132, v129
	v_add_nc_u32_e32 v128, 1, v128
	v_add_nc_u32_e32 v129, 4, v129
	v_add_nc_u32_e32 v130, 4, v130
	s_delay_alu instid0(VALU_DEP_3)
	v_cmp_lt_u32_e32 vcc_lo, 16, v128
	s_or_b32 s1, vcc_lo, s1
	s_waitcnt vmcnt(0) lgkmcnt(0)
	v_fmac_f32_e32 v4, v131, v132
	s_and_not1_b32 exec_lo, exec_lo, s1
	s_cbranch_execnz .LBB124_79
; %bb.80:
	s_or_b32 exec_lo, exec_lo, s1
	v_mov_b32_e32 v128, 0
	ds_load_b32 v128, v128 offset:72
	s_waitcnt lgkmcnt(0)
	v_mul_f32_e32 v4, v4, v128
	scratch_store_b32 off, v4, off offset:72
.LBB124_81:
	s_or_b32 exec_lo, exec_lo, s0
	s_waitcnt_vscnt null, 0x0
	s_barrier
	buffer_gl0_inv
	scratch_load_b32 v4, off, off offset:76
	s_mov_b32 s0, exec_lo
	s_waitcnt vmcnt(0)
	ds_store_b32 v2, v4
	s_waitcnt lgkmcnt(0)
	s_barrier
	buffer_gl0_inv
	v_cmpx_gt_u32_e32 19, v0
	s_cbranch_execz .LBB124_85
; %bb.82:
	v_add_nc_u32_e32 v128, -1, v0
	v_or_b32_e32 v129, 0x100, v127
	v_add_nc_u32_e32 v130, 0, v127
	v_mov_b32_e32 v4, 0
	s_mov_b32 s1, 0
.LBB124_83:                             ; =>This Inner Loop Header: Depth=1
	scratch_load_b32 v131, v130, off
	ds_load_b32 v132, v129
	v_add_nc_u32_e32 v128, 1, v128
	v_add_nc_u32_e32 v129, 4, v129
	v_add_nc_u32_e32 v130, 4, v130
	s_delay_alu instid0(VALU_DEP_3)
	v_cmp_lt_u32_e32 vcc_lo, 17, v128
	s_or_b32 s1, vcc_lo, s1
	s_waitcnt vmcnt(0) lgkmcnt(0)
	v_fmac_f32_e32 v4, v131, v132
	s_and_not1_b32 exec_lo, exec_lo, s1
	s_cbranch_execnz .LBB124_83
; %bb.84:
	s_or_b32 exec_lo, exec_lo, s1
	v_mov_b32_e32 v128, 0
	ds_load_b32 v128, v128 offset:76
	s_waitcnt lgkmcnt(0)
	v_mul_f32_e32 v4, v4, v128
	scratch_store_b32 off, v4, off offset:76
.LBB124_85:
	s_or_b32 exec_lo, exec_lo, s0
	s_waitcnt_vscnt null, 0x0
	s_barrier
	buffer_gl0_inv
	scratch_load_b32 v4, off, off offset:80
	s_mov_b32 s0, exec_lo
	s_waitcnt vmcnt(0)
	ds_store_b32 v2, v4
	s_waitcnt lgkmcnt(0)
	s_barrier
	buffer_gl0_inv
	v_cmpx_gt_u32_e32 20, v0
	s_cbranch_execz .LBB124_89
; %bb.86:
	v_add_nc_u32_e32 v128, -1, v0
	v_or_b32_e32 v129, 0x100, v127
	v_add_nc_u32_e32 v130, 0, v127
	v_mov_b32_e32 v4, 0
	s_mov_b32 s1, 0
.LBB124_87:                             ; =>This Inner Loop Header: Depth=1
	scratch_load_b32 v131, v130, off
	ds_load_b32 v132, v129
	v_add_nc_u32_e32 v128, 1, v128
	v_add_nc_u32_e32 v129, 4, v129
	v_add_nc_u32_e32 v130, 4, v130
	s_delay_alu instid0(VALU_DEP_3)
	v_cmp_lt_u32_e32 vcc_lo, 18, v128
	s_or_b32 s1, vcc_lo, s1
	s_waitcnt vmcnt(0) lgkmcnt(0)
	v_fmac_f32_e32 v4, v131, v132
	s_and_not1_b32 exec_lo, exec_lo, s1
	s_cbranch_execnz .LBB124_87
; %bb.88:
	s_or_b32 exec_lo, exec_lo, s1
	v_mov_b32_e32 v128, 0
	ds_load_b32 v128, v128 offset:80
	s_waitcnt lgkmcnt(0)
	v_mul_f32_e32 v4, v4, v128
	scratch_store_b32 off, v4, off offset:80
.LBB124_89:
	s_or_b32 exec_lo, exec_lo, s0
	s_waitcnt_vscnt null, 0x0
	s_barrier
	buffer_gl0_inv
	scratch_load_b32 v4, off, off offset:84
	s_mov_b32 s0, exec_lo
	s_waitcnt vmcnt(0)
	ds_store_b32 v2, v4
	s_waitcnt lgkmcnt(0)
	s_barrier
	buffer_gl0_inv
	v_cmpx_gt_u32_e32 21, v0
	s_cbranch_execz .LBB124_93
; %bb.90:
	v_add_nc_u32_e32 v128, -1, v0
	v_or_b32_e32 v129, 0x100, v127
	v_add_nc_u32_e32 v130, 0, v127
	v_mov_b32_e32 v4, 0
	s_mov_b32 s1, 0
.LBB124_91:                             ; =>This Inner Loop Header: Depth=1
	scratch_load_b32 v131, v130, off
	ds_load_b32 v132, v129
	v_add_nc_u32_e32 v128, 1, v128
	v_add_nc_u32_e32 v129, 4, v129
	v_add_nc_u32_e32 v130, 4, v130
	s_delay_alu instid0(VALU_DEP_3)
	v_cmp_lt_u32_e32 vcc_lo, 19, v128
	s_or_b32 s1, vcc_lo, s1
	s_waitcnt vmcnt(0) lgkmcnt(0)
	v_fmac_f32_e32 v4, v131, v132
	s_and_not1_b32 exec_lo, exec_lo, s1
	s_cbranch_execnz .LBB124_91
; %bb.92:
	s_or_b32 exec_lo, exec_lo, s1
	v_mov_b32_e32 v128, 0
	ds_load_b32 v128, v128 offset:84
	s_waitcnt lgkmcnt(0)
	v_mul_f32_e32 v4, v4, v128
	scratch_store_b32 off, v4, off offset:84
.LBB124_93:
	s_or_b32 exec_lo, exec_lo, s0
	s_waitcnt_vscnt null, 0x0
	s_barrier
	buffer_gl0_inv
	scratch_load_b32 v4, off, off offset:88
	s_mov_b32 s0, exec_lo
	s_waitcnt vmcnt(0)
	ds_store_b32 v2, v4
	s_waitcnt lgkmcnt(0)
	s_barrier
	buffer_gl0_inv
	v_cmpx_gt_u32_e32 22, v0
	s_cbranch_execz .LBB124_97
; %bb.94:
	v_add_nc_u32_e32 v128, -1, v0
	v_or_b32_e32 v129, 0x100, v127
	v_add_nc_u32_e32 v130, 0, v127
	v_mov_b32_e32 v4, 0
	s_mov_b32 s1, 0
.LBB124_95:                             ; =>This Inner Loop Header: Depth=1
	scratch_load_b32 v131, v130, off
	ds_load_b32 v132, v129
	v_add_nc_u32_e32 v128, 1, v128
	v_add_nc_u32_e32 v129, 4, v129
	v_add_nc_u32_e32 v130, 4, v130
	s_delay_alu instid0(VALU_DEP_3)
	v_cmp_lt_u32_e32 vcc_lo, 20, v128
	s_or_b32 s1, vcc_lo, s1
	s_waitcnt vmcnt(0) lgkmcnt(0)
	v_fmac_f32_e32 v4, v131, v132
	s_and_not1_b32 exec_lo, exec_lo, s1
	s_cbranch_execnz .LBB124_95
; %bb.96:
	s_or_b32 exec_lo, exec_lo, s1
	v_mov_b32_e32 v128, 0
	ds_load_b32 v128, v128 offset:88
	s_waitcnt lgkmcnt(0)
	v_mul_f32_e32 v4, v4, v128
	scratch_store_b32 off, v4, off offset:88
.LBB124_97:
	s_or_b32 exec_lo, exec_lo, s0
	s_waitcnt_vscnt null, 0x0
	s_barrier
	buffer_gl0_inv
	scratch_load_b32 v4, off, off offset:92
	s_mov_b32 s0, exec_lo
	s_waitcnt vmcnt(0)
	ds_store_b32 v2, v4
	s_waitcnt lgkmcnt(0)
	s_barrier
	buffer_gl0_inv
	v_cmpx_gt_u32_e32 23, v0
	s_cbranch_execz .LBB124_101
; %bb.98:
	v_add_nc_u32_e32 v128, -1, v0
	v_or_b32_e32 v129, 0x100, v127
	v_add_nc_u32_e32 v130, 0, v127
	v_mov_b32_e32 v4, 0
	s_mov_b32 s1, 0
.LBB124_99:                             ; =>This Inner Loop Header: Depth=1
	scratch_load_b32 v131, v130, off
	ds_load_b32 v132, v129
	v_add_nc_u32_e32 v128, 1, v128
	v_add_nc_u32_e32 v129, 4, v129
	v_add_nc_u32_e32 v130, 4, v130
	s_delay_alu instid0(VALU_DEP_3)
	v_cmp_lt_u32_e32 vcc_lo, 21, v128
	s_or_b32 s1, vcc_lo, s1
	s_waitcnt vmcnt(0) lgkmcnt(0)
	v_fmac_f32_e32 v4, v131, v132
	s_and_not1_b32 exec_lo, exec_lo, s1
	s_cbranch_execnz .LBB124_99
; %bb.100:
	s_or_b32 exec_lo, exec_lo, s1
	v_mov_b32_e32 v128, 0
	ds_load_b32 v128, v128 offset:92
	s_waitcnt lgkmcnt(0)
	v_mul_f32_e32 v4, v4, v128
	scratch_store_b32 off, v4, off offset:92
.LBB124_101:
	s_or_b32 exec_lo, exec_lo, s0
	s_waitcnt_vscnt null, 0x0
	s_barrier
	buffer_gl0_inv
	scratch_load_b32 v4, off, off offset:96
	s_mov_b32 s0, exec_lo
	s_waitcnt vmcnt(0)
	ds_store_b32 v2, v4
	s_waitcnt lgkmcnt(0)
	s_barrier
	buffer_gl0_inv
	v_cmpx_gt_u32_e32 24, v0
	s_cbranch_execz .LBB124_105
; %bb.102:
	v_add_nc_u32_e32 v128, -1, v0
	v_or_b32_e32 v129, 0x100, v127
	v_add_nc_u32_e32 v130, 0, v127
	v_mov_b32_e32 v4, 0
	s_mov_b32 s1, 0
.LBB124_103:                            ; =>This Inner Loop Header: Depth=1
	scratch_load_b32 v131, v130, off
	ds_load_b32 v132, v129
	v_add_nc_u32_e32 v128, 1, v128
	v_add_nc_u32_e32 v129, 4, v129
	v_add_nc_u32_e32 v130, 4, v130
	s_delay_alu instid0(VALU_DEP_3)
	v_cmp_lt_u32_e32 vcc_lo, 22, v128
	s_or_b32 s1, vcc_lo, s1
	s_waitcnt vmcnt(0) lgkmcnt(0)
	v_fmac_f32_e32 v4, v131, v132
	s_and_not1_b32 exec_lo, exec_lo, s1
	s_cbranch_execnz .LBB124_103
; %bb.104:
	s_or_b32 exec_lo, exec_lo, s1
	v_mov_b32_e32 v128, 0
	ds_load_b32 v128, v128 offset:96
	s_waitcnt lgkmcnt(0)
	v_mul_f32_e32 v4, v4, v128
	scratch_store_b32 off, v4, off offset:96
.LBB124_105:
	s_or_b32 exec_lo, exec_lo, s0
	s_waitcnt_vscnt null, 0x0
	s_barrier
	buffer_gl0_inv
	scratch_load_b32 v4, off, off offset:100
	s_mov_b32 s0, exec_lo
	s_waitcnt vmcnt(0)
	ds_store_b32 v2, v4
	s_waitcnt lgkmcnt(0)
	s_barrier
	buffer_gl0_inv
	v_cmpx_gt_u32_e32 25, v0
	s_cbranch_execz .LBB124_109
; %bb.106:
	v_add_nc_u32_e32 v128, -1, v0
	v_or_b32_e32 v129, 0x100, v127
	v_add_nc_u32_e32 v130, 0, v127
	v_mov_b32_e32 v4, 0
	s_mov_b32 s1, 0
.LBB124_107:                            ; =>This Inner Loop Header: Depth=1
	scratch_load_b32 v131, v130, off
	ds_load_b32 v132, v129
	v_add_nc_u32_e32 v128, 1, v128
	v_add_nc_u32_e32 v129, 4, v129
	v_add_nc_u32_e32 v130, 4, v130
	s_delay_alu instid0(VALU_DEP_3)
	v_cmp_lt_u32_e32 vcc_lo, 23, v128
	s_or_b32 s1, vcc_lo, s1
	s_waitcnt vmcnt(0) lgkmcnt(0)
	v_fmac_f32_e32 v4, v131, v132
	s_and_not1_b32 exec_lo, exec_lo, s1
	s_cbranch_execnz .LBB124_107
; %bb.108:
	s_or_b32 exec_lo, exec_lo, s1
	v_mov_b32_e32 v128, 0
	ds_load_b32 v128, v128 offset:100
	s_waitcnt lgkmcnt(0)
	v_mul_f32_e32 v4, v4, v128
	scratch_store_b32 off, v4, off offset:100
.LBB124_109:
	s_or_b32 exec_lo, exec_lo, s0
	s_waitcnt_vscnt null, 0x0
	s_barrier
	buffer_gl0_inv
	scratch_load_b32 v4, off, off offset:104
	;; [unrolled: 40-line block ×35, first 2 shown]
	s_mov_b32 s0, exec_lo
	s_waitcnt vmcnt(0)
	ds_store_b32 v2, v4
	s_waitcnt lgkmcnt(0)
	s_barrier
	buffer_gl0_inv
	v_cmpx_gt_u32_e32 59, v0
	s_cbranch_execz .LBB124_245
; %bb.242:
	v_add_nc_u32_e32 v128, -1, v0
	v_or_b32_e32 v129, 0x100, v127
	v_dual_mov_b32 v4, 0 :: v_dual_add_nc_u32 v127, 0, v127
	s_mov_b32 s1, 0
.LBB124_243:                            ; =>This Inner Loop Header: Depth=1
	scratch_load_b32 v130, v127, off
	ds_load_b32 v131, v129
	v_add_nc_u32_e32 v128, 1, v128
	v_add_nc_u32_e32 v129, 4, v129
	;; [unrolled: 1-line block ×3, first 2 shown]
	s_delay_alu instid0(VALU_DEP_3)
	v_cmp_lt_u32_e32 vcc_lo, 57, v128
	s_or_b32 s1, vcc_lo, s1
	s_waitcnt vmcnt(0) lgkmcnt(0)
	v_fmac_f32_e32 v4, v130, v131
	s_and_not1_b32 exec_lo, exec_lo, s1
	s_cbranch_execnz .LBB124_243
; %bb.244:
	s_or_b32 exec_lo, exec_lo, s1
	v_mov_b32_e32 v127, 0
	ds_load_b32 v127, v127 offset:236
	s_waitcnt lgkmcnt(0)
	v_mul_f32_e32 v4, v4, v127
	scratch_store_b32 off, v4, off offset:236
.LBB124_245:
	s_or_b32 exec_lo, exec_lo, s0
	s_waitcnt_vscnt null, 0x0
	s_barrier
	buffer_gl0_inv
	scratch_load_b32 v4, off, off offset:240
	s_mov_b32 s0, exec_lo
	s_waitcnt vmcnt(0)
	ds_store_b32 v2, v4
	s_waitcnt lgkmcnt(0)
	s_barrier
	buffer_gl0_inv
	v_cmpx_ne_u32_e32 60, v0
	s_cbranch_execz .LBB124_249
; %bb.246:
	v_mov_b32_e32 v4, 0
	s_mov_b32 s1, 0
.LBB124_247:                            ; =>This Inner Loop Header: Depth=1
	scratch_load_b32 v127, v1, off
	ds_load_b32 v128, v2
	v_add_nc_u32_e32 v3, 1, v3
	v_add_nc_u32_e32 v2, 4, v2
	s_waitcnt vmcnt(0) lgkmcnt(0)
	v_dual_fmac_f32 v4, v127, v128 :: v_dual_add_nc_u32 v1, 4, v1
	s_delay_alu instid0(VALU_DEP_3) | instskip(SKIP_1) | instid1(SALU_CYCLE_1)
	v_cmp_lt_u32_e32 vcc_lo, 58, v3
	s_or_b32 s1, vcc_lo, s1
	s_and_not1_b32 exec_lo, exec_lo, s1
	s_cbranch_execnz .LBB124_247
; %bb.248:
	s_or_b32 exec_lo, exec_lo, s1
	v_mov_b32_e32 v1, 0
	ds_load_b32 v1, v1 offset:240
	s_waitcnt lgkmcnt(0)
	v_mul_f32_e32 v1, v4, v1
	scratch_store_b32 off, v1, off offset:240
.LBB124_249:
	s_or_b32 exec_lo, exec_lo, s0
	s_mov_b32 s1, -1
	s_waitcnt_vscnt null, 0x0
	s_barrier
	buffer_gl0_inv
.LBB124_250:
	s_and_b32 vcc_lo, exec_lo, s1
	s_cbranch_vccz .LBB124_252
; %bb.251:
	s_lshl_b64 s[0:1], s[8:9], 2
	v_mov_b32_e32 v1, 0
	s_add_u32 s0, s6, s0
	s_addc_u32 s1, s7, s1
	global_load_b32 v1, v1, s[0:1]
	s_waitcnt vmcnt(0)
	v_cmp_ne_u32_e32 vcc_lo, 0, v1
	s_cbranch_vccz .LBB124_253
.LBB124_252:
	s_endpgm
.LBB124_253:
	v_lshl_or_b32 v1, v0, 2, 0x100
	s_mov_b32 s0, exec_lo
	v_cmpx_eq_u32_e32 60, v0
	s_cbranch_execz .LBB124_255
; %bb.254:
	scratch_load_b32 v2, off, off offset:236
	v_mov_b32_e32 v3, 0
	scratch_store_b32 off, v3, off offset:236
	s_waitcnt vmcnt(0)
	ds_store_b32 v1, v2
.LBB124_255:
	s_or_b32 exec_lo, exec_lo, s0
	s_waitcnt lgkmcnt(0)
	s_waitcnt_vscnt null, 0x0
	s_barrier
	buffer_gl0_inv
	scratch_load_b64 v[3:4], off, off offset:236
	v_mov_b32_e32 v2, 0
	s_mov_b32 s0, exec_lo
	ds_load_b32 v127, v2 offset:496
	s_waitcnt vmcnt(0) lgkmcnt(0)
	v_fma_f32 v4, v4, v127, 0
	s_delay_alu instid0(VALU_DEP_1)
	v_sub_f32_e32 v3, v3, v4
	scratch_store_b32 off, v3, off offset:236
	v_cmpx_lt_u32_e32 58, v0
	s_cbranch_execz .LBB124_257
; %bb.256:
	scratch_load_b32 v3, off, off offset:232
	scratch_store_b32 off, v2, off offset:232
	s_waitcnt vmcnt(0)
	ds_store_b32 v1, v3
.LBB124_257:
	s_or_b32 exec_lo, exec_lo, s0
	s_waitcnt lgkmcnt(0)
	s_waitcnt_vscnt null, 0x0
	s_barrier
	buffer_gl0_inv
	scratch_load_b96 v[127:129], off, off offset:232
	ds_load_2addr_b32 v[2:3], v2 offset0:123 offset1:124
	s_mov_b32 s0, exec_lo
	s_waitcnt vmcnt(0) lgkmcnt(0)
	v_fma_f32 v2, v128, v2, 0
	s_delay_alu instid0(VALU_DEP_1) | instskip(NEXT) | instid1(VALU_DEP_1)
	v_fmac_f32_e32 v2, v129, v3
	v_sub_f32_e32 v2, v127, v2
	scratch_store_b32 off, v2, off offset:232
	v_cmpx_lt_u32_e32 57, v0
	s_cbranch_execz .LBB124_259
; %bb.258:
	scratch_load_b32 v2, off, off offset:228
	v_mov_b32_e32 v3, 0
	scratch_store_b32 off, v3, off offset:228
	s_waitcnt vmcnt(0)
	ds_store_b32 v1, v2
.LBB124_259:
	s_or_b32 exec_lo, exec_lo, s0
	s_waitcnt lgkmcnt(0)
	s_waitcnt_vscnt null, 0x0
	s_barrier
	buffer_gl0_inv
	scratch_load_b128 v[127:130], off, off offset:228
	v_mov_b32_e32 v2, 0
	ds_load_b64 v[3:4], v2 offset:488
	ds_load_b32 v131, v2 offset:496
	s_mov_b32 s0, exec_lo
	s_waitcnt vmcnt(0) lgkmcnt(1)
	v_fma_f32 v3, v128, v3, 0
	s_delay_alu instid0(VALU_DEP_1) | instskip(SKIP_1) | instid1(VALU_DEP_1)
	v_fmac_f32_e32 v3, v129, v4
	s_waitcnt lgkmcnt(0)
	v_fmac_f32_e32 v3, v130, v131
	s_delay_alu instid0(VALU_DEP_1)
	v_sub_f32_e32 v3, v127, v3
	scratch_store_b32 off, v3, off offset:228
	v_cmpx_lt_u32_e32 56, v0
	s_cbranch_execz .LBB124_261
; %bb.260:
	scratch_load_b32 v3, off, off offset:224
	scratch_store_b32 off, v2, off offset:224
	s_waitcnt vmcnt(0)
	ds_store_b32 v1, v3
.LBB124_261:
	s_or_b32 exec_lo, exec_lo, s0
	s_waitcnt lgkmcnt(0)
	s_waitcnt_vscnt null, 0x0
	s_barrier
	buffer_gl0_inv
	s_clause 0x1
	scratch_load_b128 v[127:130], off, off offset:224
	scratch_load_b32 v133, off, off offset:240
	ds_load_2addr_b32 v[3:4], v2 offset0:121 offset1:122
	ds_load_2addr_b32 v[131:132], v2 offset0:123 offset1:124
	s_mov_b32 s0, exec_lo
	s_waitcnt vmcnt(1) lgkmcnt(1)
	v_fma_f32 v2, v128, v3, 0
	s_delay_alu instid0(VALU_DEP_1) | instskip(SKIP_1) | instid1(VALU_DEP_1)
	v_fmac_f32_e32 v2, v129, v4
	s_waitcnt lgkmcnt(0)
	v_fmac_f32_e32 v2, v130, v131
	s_waitcnt vmcnt(0)
	s_delay_alu instid0(VALU_DEP_1) | instskip(NEXT) | instid1(VALU_DEP_1)
	v_fmac_f32_e32 v2, v133, v132
	v_sub_f32_e32 v2, v127, v2
	scratch_store_b32 off, v2, off offset:224
	v_cmpx_lt_u32_e32 55, v0
	s_cbranch_execz .LBB124_263
; %bb.262:
	scratch_load_b32 v2, off, off offset:220
	v_mov_b32_e32 v3, 0
	scratch_store_b32 off, v3, off offset:220
	s_waitcnt vmcnt(0)
	ds_store_b32 v1, v2
.LBB124_263:
	s_or_b32 exec_lo, exec_lo, s0
	s_waitcnt lgkmcnt(0)
	s_waitcnt_vscnt null, 0x0
	s_barrier
	buffer_gl0_inv
	s_clause 0x1
	scratch_load_b128 v[127:130], off, off offset:220
	scratch_load_b64 v[3:4], off, off offset:236
	v_mov_b32_e32 v2, 0
	ds_load_b128 v[131:134], v2 offset:480
	ds_load_b32 v135, v2 offset:496
	s_mov_b32 s0, exec_lo
	s_waitcnt vmcnt(1) lgkmcnt(1)
	v_fma_f32 v128, v128, v131, 0
	s_delay_alu instid0(VALU_DEP_1) | instskip(NEXT) | instid1(VALU_DEP_1)
	v_fmac_f32_e32 v128, v129, v132
	v_fmac_f32_e32 v128, v130, v133
	s_waitcnt vmcnt(0)
	s_delay_alu instid0(VALU_DEP_1) | instskip(SKIP_1) | instid1(VALU_DEP_1)
	v_fmac_f32_e32 v128, v3, v134
	s_waitcnt lgkmcnt(0)
	v_fmac_f32_e32 v128, v4, v135
	s_delay_alu instid0(VALU_DEP_1)
	v_sub_f32_e32 v3, v127, v128
	scratch_store_b32 off, v3, off offset:220
	v_cmpx_lt_u32_e32 54, v0
	s_cbranch_execz .LBB124_265
; %bb.264:
	scratch_load_b32 v3, off, off offset:216
	scratch_store_b32 off, v2, off offset:216
	s_waitcnt vmcnt(0)
	ds_store_b32 v1, v3
.LBB124_265:
	s_or_b32 exec_lo, exec_lo, s0
	s_waitcnt lgkmcnt(0)
	s_waitcnt_vscnt null, 0x0
	s_barrier
	buffer_gl0_inv
	s_clause 0x1
	scratch_load_b128 v[127:130], off, off offset:216
	scratch_load_b96 v[131:133], off, off offset:232
	ds_load_2addr_b32 v[3:4], v2 offset0:119 offset1:120
	ds_load_2addr_b32 v[134:135], v2 offset0:121 offset1:122
	;; [unrolled: 1-line block ×3, first 2 shown]
	s_mov_b32 s0, exec_lo
	s_waitcnt vmcnt(1) lgkmcnt(2)
	v_fma_f32 v2, v128, v3, 0
	s_delay_alu instid0(VALU_DEP_1) | instskip(SKIP_1) | instid1(VALU_DEP_1)
	v_fmac_f32_e32 v2, v129, v4
	s_waitcnt lgkmcnt(1)
	v_fmac_f32_e32 v2, v130, v134
	s_waitcnt vmcnt(0)
	s_delay_alu instid0(VALU_DEP_1) | instskip(SKIP_1) | instid1(VALU_DEP_1)
	v_fmac_f32_e32 v2, v131, v135
	s_waitcnt lgkmcnt(0)
	v_fmac_f32_e32 v2, v132, v136
	s_delay_alu instid0(VALU_DEP_1) | instskip(NEXT) | instid1(VALU_DEP_1)
	v_fmac_f32_e32 v2, v133, v137
	v_sub_f32_e32 v2, v127, v2
	scratch_store_b32 off, v2, off offset:216
	v_cmpx_lt_u32_e32 53, v0
	s_cbranch_execz .LBB124_267
; %bb.266:
	scratch_load_b32 v2, off, off offset:212
	v_mov_b32_e32 v3, 0
	scratch_store_b32 off, v3, off offset:212
	s_waitcnt vmcnt(0)
	ds_store_b32 v1, v2
.LBB124_267:
	s_or_b32 exec_lo, exec_lo, s0
	s_waitcnt lgkmcnt(0)
	s_waitcnt_vscnt null, 0x0
	s_barrier
	buffer_gl0_inv
	s_clause 0x1
	scratch_load_b128 v[127:130], off, off offset:212
	scratch_load_b128 v[131:134], off, off offset:228
	v_mov_b32_e32 v2, 0
	ds_load_2addr_b64 v[135:138], v2 offset0:59 offset1:60
	ds_load_b64 v[3:4], v2 offset:488
	s_mov_b32 s0, exec_lo
	s_waitcnt vmcnt(1) lgkmcnt(1)
	v_fma_f32 v128, v128, v135, 0
	s_delay_alu instid0(VALU_DEP_1) | instskip(SKIP_3) | instid1(VALU_DEP_1)
	v_fmac_f32_e32 v128, v129, v136
	ds_load_b32 v129, v2 offset:496
	v_fmac_f32_e32 v128, v130, v137
	s_waitcnt vmcnt(0)
	v_fmac_f32_e32 v128, v131, v138
	s_waitcnt lgkmcnt(1)
	s_delay_alu instid0(VALU_DEP_1) | instskip(NEXT) | instid1(VALU_DEP_1)
	v_fmac_f32_e32 v128, v132, v3
	v_fmac_f32_e32 v128, v133, v4
	s_waitcnt lgkmcnt(0)
	s_delay_alu instid0(VALU_DEP_1) | instskip(NEXT) | instid1(VALU_DEP_1)
	v_fmac_f32_e32 v128, v134, v129
	v_sub_f32_e32 v3, v127, v128
	scratch_store_b32 off, v3, off offset:212
	v_cmpx_lt_u32_e32 52, v0
	s_cbranch_execz .LBB124_269
; %bb.268:
	scratch_load_b32 v3, off, off offset:208
	scratch_store_b32 off, v2, off offset:208
	s_waitcnt vmcnt(0)
	ds_store_b32 v1, v3
.LBB124_269:
	s_or_b32 exec_lo, exec_lo, s0
	s_waitcnt lgkmcnt(0)
	s_waitcnt_vscnt null, 0x0
	s_barrier
	buffer_gl0_inv
	s_clause 0x2
	scratch_load_b128 v[127:130], off, off offset:208
	scratch_load_b128 v[131:134], off, off offset:224
	scratch_load_b32 v141, off, off offset:240
	ds_load_2addr_b32 v[3:4], v2 offset0:117 offset1:118
	ds_load_2addr_b32 v[135:136], v2 offset0:119 offset1:120
	;; [unrolled: 1-line block ×4, first 2 shown]
	s_mov_b32 s0, exec_lo
	s_waitcnt vmcnt(2) lgkmcnt(3)
	v_fma_f32 v2, v128, v3, 0
	s_delay_alu instid0(VALU_DEP_1) | instskip(SKIP_1) | instid1(VALU_DEP_1)
	v_fmac_f32_e32 v2, v129, v4
	s_waitcnt lgkmcnt(2)
	v_fmac_f32_e32 v2, v130, v135
	s_waitcnt vmcnt(1)
	s_delay_alu instid0(VALU_DEP_1) | instskip(SKIP_1) | instid1(VALU_DEP_1)
	v_fmac_f32_e32 v2, v131, v136
	s_waitcnt lgkmcnt(1)
	v_fmac_f32_e32 v2, v132, v137
	s_delay_alu instid0(VALU_DEP_1) | instskip(SKIP_1) | instid1(VALU_DEP_1)
	v_fmac_f32_e32 v2, v133, v138
	s_waitcnt lgkmcnt(0)
	v_fmac_f32_e32 v2, v134, v139
	s_waitcnt vmcnt(0)
	s_delay_alu instid0(VALU_DEP_1) | instskip(NEXT) | instid1(VALU_DEP_1)
	v_fmac_f32_e32 v2, v141, v140
	v_sub_f32_e32 v2, v127, v2
	scratch_store_b32 off, v2, off offset:208
	v_cmpx_lt_u32_e32 51, v0
	s_cbranch_execz .LBB124_271
; %bb.270:
	scratch_load_b32 v2, off, off offset:204
	v_mov_b32_e32 v3, 0
	scratch_store_b32 off, v3, off offset:204
	s_waitcnt vmcnt(0)
	ds_store_b32 v1, v2
.LBB124_271:
	s_or_b32 exec_lo, exec_lo, s0
	s_waitcnt lgkmcnt(0)
	s_waitcnt_vscnt null, 0x0
	s_barrier
	buffer_gl0_inv
	s_clause 0x2
	scratch_load_b128 v[127:130], off, off offset:204
	scratch_load_b128 v[131:134], off, off offset:220
	scratch_load_b64 v[3:4], off, off offset:236
	v_mov_b32_e32 v2, 0
	ds_load_b128 v[135:138], v2 offset:464
	ds_load_b128 v[139:142], v2 offset:480
	s_mov_b32 s0, exec_lo
	s_waitcnt vmcnt(2) lgkmcnt(1)
	v_fma_f32 v128, v128, v135, 0
	s_delay_alu instid0(VALU_DEP_1) | instskip(SKIP_3) | instid1(VALU_DEP_1)
	v_fmac_f32_e32 v128, v129, v136
	ds_load_b32 v129, v2 offset:496
	v_fmac_f32_e32 v128, v130, v137
	s_waitcnt vmcnt(1)
	v_fmac_f32_e32 v128, v131, v138
	s_waitcnt lgkmcnt(1)
	s_delay_alu instid0(VALU_DEP_1) | instskip(NEXT) | instid1(VALU_DEP_1)
	v_fmac_f32_e32 v128, v132, v139
	v_fmac_f32_e32 v128, v133, v140
	s_delay_alu instid0(VALU_DEP_1) | instskip(SKIP_1) | instid1(VALU_DEP_1)
	v_fmac_f32_e32 v128, v134, v141
	s_waitcnt vmcnt(0)
	v_fmac_f32_e32 v128, v3, v142
	s_waitcnt lgkmcnt(0)
	s_delay_alu instid0(VALU_DEP_1) | instskip(NEXT) | instid1(VALU_DEP_1)
	v_fmac_f32_e32 v128, v4, v129
	v_sub_f32_e32 v3, v127, v128
	scratch_store_b32 off, v3, off offset:204
	v_cmpx_lt_u32_e32 50, v0
	s_cbranch_execz .LBB124_273
; %bb.272:
	scratch_load_b32 v3, off, off offset:200
	scratch_store_b32 off, v2, off offset:200
	s_waitcnt vmcnt(0)
	ds_store_b32 v1, v3
.LBB124_273:
	s_or_b32 exec_lo, exec_lo, s0
	s_waitcnt lgkmcnt(0)
	s_waitcnt_vscnt null, 0x0
	s_barrier
	buffer_gl0_inv
	s_clause 0x2
	scratch_load_b128 v[127:130], off, off offset:200
	scratch_load_b128 v[131:134], off, off offset:216
	scratch_load_b96 v[135:137], off, off offset:232
	ds_load_2addr_b32 v[3:4], v2 offset0:115 offset1:116
	ds_load_2addr_b32 v[138:139], v2 offset0:117 offset1:118
	;; [unrolled: 1-line block ×4, first 2 shown]
	s_mov_b32 s0, exec_lo
	s_waitcnt vmcnt(2) lgkmcnt(3)
	v_fma_f32 v128, v128, v3, 0
	ds_load_2addr_b32 v[2:3], v2 offset0:123 offset1:124
	v_fmac_f32_e32 v128, v129, v4
	s_waitcnt lgkmcnt(3)
	s_delay_alu instid0(VALU_DEP_1) | instskip(SKIP_1) | instid1(VALU_DEP_1)
	v_fmac_f32_e32 v128, v130, v138
	s_waitcnt vmcnt(1)
	v_fmac_f32_e32 v128, v131, v139
	s_waitcnt lgkmcnt(2)
	s_delay_alu instid0(VALU_DEP_1) | instskip(NEXT) | instid1(VALU_DEP_1)
	v_fmac_f32_e32 v128, v132, v140
	v_fmac_f32_e32 v128, v133, v141
	s_waitcnt lgkmcnt(1)
	s_delay_alu instid0(VALU_DEP_1) | instskip(SKIP_1) | instid1(VALU_DEP_1)
	v_fmac_f32_e32 v128, v134, v142
	s_waitcnt vmcnt(0)
	v_fmac_f32_e32 v128, v135, v143
	s_waitcnt lgkmcnt(0)
	s_delay_alu instid0(VALU_DEP_1) | instskip(NEXT) | instid1(VALU_DEP_1)
	v_fmac_f32_e32 v128, v136, v2
	v_fmac_f32_e32 v128, v137, v3
	s_delay_alu instid0(VALU_DEP_1)
	v_sub_f32_e32 v2, v127, v128
	scratch_store_b32 off, v2, off offset:200
	v_cmpx_lt_u32_e32 49, v0
	s_cbranch_execz .LBB124_275
; %bb.274:
	scratch_load_b32 v2, off, off offset:196
	v_mov_b32_e32 v3, 0
	scratch_store_b32 off, v3, off offset:196
	s_waitcnt vmcnt(0)
	ds_store_b32 v1, v2
.LBB124_275:
	s_or_b32 exec_lo, exec_lo, s0
	s_waitcnt lgkmcnt(0)
	s_waitcnt_vscnt null, 0x0
	s_barrier
	buffer_gl0_inv
	s_clause 0x2
	scratch_load_b128 v[127:130], off, off offset:196
	scratch_load_b128 v[131:134], off, off offset:212
	;; [unrolled: 1-line block ×3, first 2 shown]
	v_mov_b32_e32 v2, 0
	ds_load_2addr_b64 v[139:142], v2 offset0:57 offset1:58
	ds_load_2addr_b64 v[143:146], v2 offset0:59 offset1:60
	ds_load_b64 v[3:4], v2 offset:488
	s_mov_b32 s0, exec_lo
	s_waitcnt vmcnt(2) lgkmcnt(2)
	v_fma_f32 v128, v128, v139, 0
	s_delay_alu instid0(VALU_DEP_1) | instskip(SKIP_3) | instid1(VALU_DEP_1)
	v_fmac_f32_e32 v128, v129, v140
	ds_load_b32 v129, v2 offset:496
	v_fmac_f32_e32 v128, v130, v141
	s_waitcnt vmcnt(1)
	v_fmac_f32_e32 v128, v131, v142
	s_waitcnt lgkmcnt(2)
	s_delay_alu instid0(VALU_DEP_1) | instskip(NEXT) | instid1(VALU_DEP_1)
	v_fmac_f32_e32 v128, v132, v143
	v_fmac_f32_e32 v128, v133, v144
	s_delay_alu instid0(VALU_DEP_1) | instskip(SKIP_1) | instid1(VALU_DEP_1)
	v_fmac_f32_e32 v128, v134, v145
	s_waitcnt vmcnt(0)
	v_fmac_f32_e32 v128, v135, v146
	s_waitcnt lgkmcnt(1)
	s_delay_alu instid0(VALU_DEP_1) | instskip(NEXT) | instid1(VALU_DEP_1)
	v_fmac_f32_e32 v128, v136, v3
	v_fmac_f32_e32 v128, v137, v4
	s_waitcnt lgkmcnt(0)
	s_delay_alu instid0(VALU_DEP_1) | instskip(NEXT) | instid1(VALU_DEP_1)
	v_fmac_f32_e32 v128, v138, v129
	v_sub_f32_e32 v3, v127, v128
	scratch_store_b32 off, v3, off offset:196
	v_cmpx_lt_u32_e32 48, v0
	s_cbranch_execz .LBB124_277
; %bb.276:
	scratch_load_b32 v3, off, off offset:192
	scratch_store_b32 off, v2, off offset:192
	s_waitcnt vmcnt(0)
	ds_store_b32 v1, v3
.LBB124_277:
	s_or_b32 exec_lo, exec_lo, s0
	s_waitcnt lgkmcnt(0)
	s_waitcnt_vscnt null, 0x0
	s_barrier
	buffer_gl0_inv
	s_clause 0x3
	scratch_load_b128 v[127:130], off, off offset:192
	scratch_load_b128 v[131:134], off, off offset:208
	;; [unrolled: 1-line block ×3, first 2 shown]
	scratch_load_b32 v145, off, off offset:240
	ds_load_2addr_b32 v[3:4], v2 offset0:113 offset1:114
	ds_load_2addr_b32 v[139:140], v2 offset0:115 offset1:116
	;; [unrolled: 1-line block ×4, first 2 shown]
	s_mov_b32 s0, exec_lo
	s_waitcnt vmcnt(3) lgkmcnt(3)
	v_fma_f32 v146, v128, v3, 0
	s_delay_alu instid0(VALU_DEP_1)
	v_fmac_f32_e32 v146, v129, v4
	ds_load_2addr_b32 v[3:4], v2 offset0:121 offset1:122
	ds_load_2addr_b32 v[128:129], v2 offset0:123 offset1:124
	s_waitcnt lgkmcnt(4)
	v_fmac_f32_e32 v146, v130, v139
	s_waitcnt vmcnt(2)
	s_delay_alu instid0(VALU_DEP_1) | instskip(SKIP_1) | instid1(VALU_DEP_1)
	v_fmac_f32_e32 v146, v131, v140
	s_waitcnt lgkmcnt(3)
	v_fmac_f32_e32 v146, v132, v141
	s_delay_alu instid0(VALU_DEP_1) | instskip(SKIP_1) | instid1(VALU_DEP_1)
	v_fmac_f32_e32 v146, v133, v142
	s_waitcnt lgkmcnt(2)
	v_fmac_f32_e32 v146, v134, v143
	s_waitcnt vmcnt(1)
	s_delay_alu instid0(VALU_DEP_1) | instskip(SKIP_1) | instid1(VALU_DEP_1)
	v_fmac_f32_e32 v146, v135, v144
	s_waitcnt lgkmcnt(1)
	v_fmac_f32_e32 v146, v136, v3
	s_delay_alu instid0(VALU_DEP_1) | instskip(SKIP_1) | instid1(VALU_DEP_1)
	v_fmac_f32_e32 v146, v137, v4
	s_waitcnt lgkmcnt(0)
	v_fmac_f32_e32 v146, v138, v128
	s_waitcnt vmcnt(0)
	s_delay_alu instid0(VALU_DEP_1) | instskip(NEXT) | instid1(VALU_DEP_1)
	v_fmac_f32_e32 v146, v145, v129
	v_sub_f32_e32 v2, v127, v146
	scratch_store_b32 off, v2, off offset:192
	v_cmpx_lt_u32_e32 47, v0
	s_cbranch_execz .LBB124_279
; %bb.278:
	scratch_load_b32 v2, off, off offset:188
	v_mov_b32_e32 v3, 0
	scratch_store_b32 off, v3, off offset:188
	s_waitcnt vmcnt(0)
	ds_store_b32 v1, v2
.LBB124_279:
	s_or_b32 exec_lo, exec_lo, s0
	s_waitcnt lgkmcnt(0)
	s_waitcnt_vscnt null, 0x0
	s_barrier
	buffer_gl0_inv
	s_clause 0x3
	scratch_load_b128 v[127:130], off, off offset:188
	scratch_load_b128 v[131:134], off, off offset:204
	;; [unrolled: 1-line block ×3, first 2 shown]
	scratch_load_b64 v[3:4], off, off offset:236
	v_mov_b32_e32 v2, 0
	ds_load_b128 v[139:142], v2 offset:448
	ds_load_b128 v[143:146], v2 offset:464
	s_mov_b32 s0, exec_lo
	s_waitcnt vmcnt(3) lgkmcnt(1)
	v_fma_f32 v139, v128, v139, 0
	s_delay_alu instid0(VALU_DEP_1) | instskip(NEXT) | instid1(VALU_DEP_1)
	v_fmac_f32_e32 v139, v129, v140
	v_fmac_f32_e32 v139, v130, v141
	s_waitcnt vmcnt(2)
	s_delay_alu instid0(VALU_DEP_1)
	v_fmac_f32_e32 v139, v131, v142
	ds_load_b128 v[128:131], v2 offset:480
	s_waitcnt lgkmcnt(1)
	v_fmac_f32_e32 v139, v132, v143
	ds_load_b32 v132, v2 offset:496
	v_fmac_f32_e32 v139, v133, v144
	s_delay_alu instid0(VALU_DEP_1) | instskip(SKIP_1) | instid1(VALU_DEP_1)
	v_fmac_f32_e32 v139, v134, v145
	s_waitcnt vmcnt(1)
	v_fmac_f32_e32 v139, v135, v146
	s_waitcnt lgkmcnt(1)
	s_delay_alu instid0(VALU_DEP_1) | instskip(NEXT) | instid1(VALU_DEP_1)
	v_fmac_f32_e32 v139, v136, v128
	v_fmac_f32_e32 v139, v137, v129
	s_delay_alu instid0(VALU_DEP_1) | instskip(SKIP_1) | instid1(VALU_DEP_1)
	v_fmac_f32_e32 v139, v138, v130
	s_waitcnt vmcnt(0)
	v_fmac_f32_e32 v139, v3, v131
	s_waitcnt lgkmcnt(0)
	s_delay_alu instid0(VALU_DEP_1) | instskip(NEXT) | instid1(VALU_DEP_1)
	v_fmac_f32_e32 v139, v4, v132
	v_sub_f32_e32 v3, v127, v139
	scratch_store_b32 off, v3, off offset:188
	v_cmpx_lt_u32_e32 46, v0
	s_cbranch_execz .LBB124_281
; %bb.280:
	scratch_load_b32 v3, off, off offset:184
	scratch_store_b32 off, v2, off offset:184
	s_waitcnt vmcnt(0)
	ds_store_b32 v1, v3
.LBB124_281:
	s_or_b32 exec_lo, exec_lo, s0
	s_waitcnt lgkmcnt(0)
	s_waitcnt_vscnt null, 0x0
	s_barrier
	buffer_gl0_inv
	s_clause 0x3
	scratch_load_b128 v[127:130], off, off offset:184
	scratch_load_b128 v[131:134], off, off offset:200
	;; [unrolled: 1-line block ×3, first 2 shown]
	scratch_load_b96 v[139:141], off, off offset:232
	ds_load_2addr_b32 v[3:4], v2 offset0:111 offset1:112
	ds_load_2addr_b32 v[142:143], v2 offset0:113 offset1:114
	;; [unrolled: 1-line block ×4, first 2 shown]
	s_mov_b32 s0, exec_lo
	s_waitcnt vmcnt(3) lgkmcnt(3)
	v_fma_f32 v148, v128, v3, 0
	s_delay_alu instid0(VALU_DEP_1)
	v_fmac_f32_e32 v148, v129, v4
	ds_load_2addr_b32 v[3:4], v2 offset0:119 offset1:120
	ds_load_2addr_b32 v[128:129], v2 offset0:121 offset1:122
	s_waitcnt lgkmcnt(4)
	v_fmac_f32_e32 v148, v130, v142
	s_waitcnt vmcnt(2)
	s_delay_alu instid0(VALU_DEP_1) | instskip(SKIP_3) | instid1(VALU_DEP_1)
	v_fmac_f32_e32 v148, v131, v143
	ds_load_2addr_b32 v[130:131], v2 offset0:123 offset1:124
	s_waitcnt lgkmcnt(4)
	v_fmac_f32_e32 v148, v132, v144
	v_fmac_f32_e32 v148, v133, v145
	s_waitcnt lgkmcnt(3)
	s_delay_alu instid0(VALU_DEP_1) | instskip(SKIP_1) | instid1(VALU_DEP_1)
	v_fmac_f32_e32 v148, v134, v146
	s_waitcnt vmcnt(1)
	v_fmac_f32_e32 v148, v135, v147
	s_waitcnt lgkmcnt(2)
	s_delay_alu instid0(VALU_DEP_1) | instskip(NEXT) | instid1(VALU_DEP_1)
	v_fmac_f32_e32 v148, v136, v3
	v_fmac_f32_e32 v148, v137, v4
	s_waitcnt lgkmcnt(1)
	s_delay_alu instid0(VALU_DEP_1) | instskip(SKIP_1) | instid1(VALU_DEP_1)
	v_fmac_f32_e32 v148, v138, v128
	s_waitcnt vmcnt(0)
	v_fmac_f32_e32 v148, v139, v129
	s_waitcnt lgkmcnt(0)
	s_delay_alu instid0(VALU_DEP_1) | instskip(NEXT) | instid1(VALU_DEP_1)
	v_fmac_f32_e32 v148, v140, v130
	v_fmac_f32_e32 v148, v141, v131
	s_delay_alu instid0(VALU_DEP_1)
	v_sub_f32_e32 v2, v127, v148
	scratch_store_b32 off, v2, off offset:184
	v_cmpx_lt_u32_e32 45, v0
	s_cbranch_execz .LBB124_283
; %bb.282:
	scratch_load_b32 v2, off, off offset:180
	v_mov_b32_e32 v3, 0
	scratch_store_b32 off, v3, off offset:180
	s_waitcnt vmcnt(0)
	ds_store_b32 v1, v2
.LBB124_283:
	s_or_b32 exec_lo, exec_lo, s0
	s_waitcnt lgkmcnt(0)
	s_waitcnt_vscnt null, 0x0
	s_barrier
	buffer_gl0_inv
	s_clause 0x3
	scratch_load_b128 v[127:130], off, off offset:180
	scratch_load_b128 v[131:134], off, off offset:196
	;; [unrolled: 1-line block ×4, first 2 shown]
	v_mov_b32_e32 v2, 0
	ds_load_2addr_b64 v[143:146], v2 offset0:55 offset1:56
	ds_load_2addr_b64 v[147:150], v2 offset0:57 offset1:58
	s_mov_b32 s0, exec_lo
	s_waitcnt vmcnt(3) lgkmcnt(1)
	v_fma_f32 v143, v128, v143, 0
	s_delay_alu instid0(VALU_DEP_1) | instskip(SKIP_3) | instid1(VALU_DEP_1)
	v_fmac_f32_e32 v143, v129, v144
	ds_load_b64 v[3:4], v2 offset:488
	v_fmac_f32_e32 v143, v130, v145
	s_waitcnt vmcnt(2)
	v_fmac_f32_e32 v143, v131, v146
	ds_load_2addr_b64 v[128:131], v2 offset0:59 offset1:60
	s_waitcnt lgkmcnt(2)
	v_fmac_f32_e32 v143, v132, v147
	s_delay_alu instid0(VALU_DEP_1) | instskip(NEXT) | instid1(VALU_DEP_1)
	v_fmac_f32_e32 v143, v133, v148
	v_fmac_f32_e32 v143, v134, v149
	s_waitcnt vmcnt(1)
	s_delay_alu instid0(VALU_DEP_1) | instskip(SKIP_1) | instid1(VALU_DEP_1)
	v_fmac_f32_e32 v143, v135, v150
	s_waitcnt lgkmcnt(0)
	v_fmac_f32_e32 v143, v136, v128
	ds_load_b32 v128, v2 offset:496
	v_fmac_f32_e32 v143, v137, v129
	s_delay_alu instid0(VALU_DEP_1) | instskip(SKIP_1) | instid1(VALU_DEP_1)
	v_fmac_f32_e32 v143, v138, v130
	s_waitcnt vmcnt(0)
	v_fmac_f32_e32 v143, v139, v131
	s_delay_alu instid0(VALU_DEP_1) | instskip(NEXT) | instid1(VALU_DEP_1)
	v_fmac_f32_e32 v143, v140, v3
	v_fmac_f32_e32 v143, v141, v4
	s_waitcnt lgkmcnt(0)
	s_delay_alu instid0(VALU_DEP_1) | instskip(NEXT) | instid1(VALU_DEP_1)
	v_fmac_f32_e32 v143, v142, v128
	v_sub_f32_e32 v3, v127, v143
	scratch_store_b32 off, v3, off offset:180
	v_cmpx_lt_u32_e32 44, v0
	s_cbranch_execz .LBB124_285
; %bb.284:
	scratch_load_b32 v3, off, off offset:176
	scratch_store_b32 off, v2, off offset:176
	s_waitcnt vmcnt(0)
	ds_store_b32 v1, v3
.LBB124_285:
	s_or_b32 exec_lo, exec_lo, s0
	s_waitcnt lgkmcnt(0)
	s_waitcnt_vscnt null, 0x0
	s_barrier
	buffer_gl0_inv
	s_clause 0x4
	scratch_load_b128 v[127:130], off, off offset:176
	scratch_load_b128 v[131:134], off, off offset:192
	;; [unrolled: 1-line block ×4, first 2 shown]
	scratch_load_b32 v149, off, off offset:240
	ds_load_2addr_b32 v[3:4], v2 offset0:109 offset1:110
	ds_load_2addr_b32 v[143:144], v2 offset0:111 offset1:112
	ds_load_2addr_b32 v[145:146], v2 offset0:113 offset1:114
	ds_load_2addr_b32 v[147:148], v2 offset0:115 offset1:116
	s_mov_b32 s0, exec_lo
	s_waitcnt vmcnt(4) lgkmcnt(3)
	v_fma_f32 v150, v128, v3, 0
	s_delay_alu instid0(VALU_DEP_1)
	v_fmac_f32_e32 v150, v129, v4
	ds_load_2addr_b32 v[3:4], v2 offset0:117 offset1:118
	ds_load_2addr_b32 v[128:129], v2 offset0:119 offset1:120
	s_waitcnt lgkmcnt(4)
	v_fmac_f32_e32 v150, v130, v143
	s_waitcnt vmcnt(3)
	s_delay_alu instid0(VALU_DEP_1) | instskip(SKIP_1) | instid1(VALU_DEP_1)
	v_fmac_f32_e32 v150, v131, v144
	s_waitcnt lgkmcnt(3)
	v_fmac_f32_e32 v150, v132, v145
	s_delay_alu instid0(VALU_DEP_1)
	v_fmac_f32_e32 v150, v133, v146
	ds_load_2addr_b32 v[130:131], v2 offset0:121 offset1:122
	ds_load_2addr_b32 v[132:133], v2 offset0:123 offset1:124
	s_waitcnt lgkmcnt(4)
	v_fmac_f32_e32 v150, v134, v147
	s_waitcnt vmcnt(2)
	s_delay_alu instid0(VALU_DEP_1) | instskip(SKIP_1) | instid1(VALU_DEP_1)
	v_fmac_f32_e32 v150, v135, v148
	s_waitcnt lgkmcnt(3)
	v_fmac_f32_e32 v150, v136, v3
	s_delay_alu instid0(VALU_DEP_1) | instskip(SKIP_1) | instid1(VALU_DEP_1)
	v_fmac_f32_e32 v150, v137, v4
	s_waitcnt lgkmcnt(2)
	v_fmac_f32_e32 v150, v138, v128
	s_waitcnt vmcnt(1)
	s_delay_alu instid0(VALU_DEP_1) | instskip(SKIP_1) | instid1(VALU_DEP_1)
	v_fmac_f32_e32 v150, v139, v129
	s_waitcnt lgkmcnt(1)
	v_fmac_f32_e32 v150, v140, v130
	s_delay_alu instid0(VALU_DEP_1) | instskip(SKIP_1) | instid1(VALU_DEP_1)
	v_fmac_f32_e32 v150, v141, v131
	s_waitcnt lgkmcnt(0)
	v_fmac_f32_e32 v150, v142, v132
	s_waitcnt vmcnt(0)
	s_delay_alu instid0(VALU_DEP_1) | instskip(NEXT) | instid1(VALU_DEP_1)
	v_fmac_f32_e32 v150, v149, v133
	v_sub_f32_e32 v2, v127, v150
	scratch_store_b32 off, v2, off offset:176
	v_cmpx_lt_u32_e32 43, v0
	s_cbranch_execz .LBB124_287
; %bb.286:
	scratch_load_b32 v2, off, off offset:172
	v_mov_b32_e32 v3, 0
	scratch_store_b32 off, v3, off offset:172
	s_waitcnt vmcnt(0)
	ds_store_b32 v1, v2
.LBB124_287:
	s_or_b32 exec_lo, exec_lo, s0
	s_waitcnt lgkmcnt(0)
	s_waitcnt_vscnt null, 0x0
	s_barrier
	buffer_gl0_inv
	s_clause 0x4
	scratch_load_b128 v[127:130], off, off offset:172
	scratch_load_b128 v[131:134], off, off offset:188
	;; [unrolled: 1-line block ×4, first 2 shown]
	scratch_load_b64 v[3:4], off, off offset:236
	v_mov_b32_e32 v2, 0
	ds_load_b128 v[143:146], v2 offset:432
	ds_load_b128 v[147:150], v2 offset:448
	s_mov_b32 s0, exec_lo
	s_waitcnt vmcnt(4) lgkmcnt(1)
	v_fma_f32 v143, v128, v143, 0
	s_delay_alu instid0(VALU_DEP_1) | instskip(NEXT) | instid1(VALU_DEP_1)
	v_fmac_f32_e32 v143, v129, v144
	v_fmac_f32_e32 v143, v130, v145
	s_waitcnt vmcnt(3)
	s_delay_alu instid0(VALU_DEP_1) | instskip(SKIP_3) | instid1(VALU_DEP_1)
	v_fmac_f32_e32 v143, v131, v146
	ds_load_b128 v[128:131], v2 offset:464
	s_waitcnt lgkmcnt(1)
	v_fmac_f32_e32 v143, v132, v147
	v_fmac_f32_e32 v143, v133, v148
	s_delay_alu instid0(VALU_DEP_1) | instskip(SKIP_1) | instid1(VALU_DEP_1)
	v_fmac_f32_e32 v143, v134, v149
	s_waitcnt vmcnt(2)
	v_fmac_f32_e32 v143, v135, v150
	ds_load_b128 v[132:135], v2 offset:480
	s_waitcnt lgkmcnt(1)
	v_fmac_f32_e32 v143, v136, v128
	ds_load_b32 v128, v2 offset:496
	v_fmac_f32_e32 v143, v137, v129
	s_delay_alu instid0(VALU_DEP_1) | instskip(SKIP_1) | instid1(VALU_DEP_1)
	v_fmac_f32_e32 v143, v138, v130
	s_waitcnt vmcnt(1)
	v_fmac_f32_e32 v143, v139, v131
	s_waitcnt lgkmcnt(1)
	s_delay_alu instid0(VALU_DEP_1) | instskip(NEXT) | instid1(VALU_DEP_1)
	v_fmac_f32_e32 v143, v140, v132
	v_fmac_f32_e32 v143, v141, v133
	s_delay_alu instid0(VALU_DEP_1) | instskip(SKIP_1) | instid1(VALU_DEP_1)
	v_fmac_f32_e32 v143, v142, v134
	s_waitcnt vmcnt(0)
	v_fmac_f32_e32 v143, v3, v135
	s_waitcnt lgkmcnt(0)
	s_delay_alu instid0(VALU_DEP_1) | instskip(NEXT) | instid1(VALU_DEP_1)
	v_fmac_f32_e32 v143, v4, v128
	v_sub_f32_e32 v3, v127, v143
	scratch_store_b32 off, v3, off offset:172
	v_cmpx_lt_u32_e32 42, v0
	s_cbranch_execz .LBB124_289
; %bb.288:
	scratch_load_b32 v3, off, off offset:168
	scratch_store_b32 off, v2, off offset:168
	s_waitcnt vmcnt(0)
	ds_store_b32 v1, v3
.LBB124_289:
	s_or_b32 exec_lo, exec_lo, s0
	s_waitcnt lgkmcnt(0)
	s_waitcnt_vscnt null, 0x0
	s_barrier
	buffer_gl0_inv
	s_clause 0x4
	scratch_load_b128 v[127:130], off, off offset:168
	scratch_load_b128 v[131:134], off, off offset:184
	;; [unrolled: 1-line block ×4, first 2 shown]
	scratch_load_b96 v[143:145], off, off offset:232
	ds_load_2addr_b32 v[3:4], v2 offset0:107 offset1:108
	ds_load_2addr_b32 v[146:147], v2 offset0:109 offset1:110
	;; [unrolled: 1-line block ×4, first 2 shown]
	s_mov_b32 s0, exec_lo
	s_waitcnt vmcnt(4) lgkmcnt(3)
	v_fma_f32 v152, v128, v3, 0
	s_delay_alu instid0(VALU_DEP_1)
	v_fmac_f32_e32 v152, v129, v4
	ds_load_2addr_b32 v[3:4], v2 offset0:115 offset1:116
	ds_load_2addr_b32 v[128:129], v2 offset0:117 offset1:118
	s_waitcnt lgkmcnt(4)
	v_fmac_f32_e32 v152, v130, v146
	s_waitcnt vmcnt(3)
	s_delay_alu instid0(VALU_DEP_1) | instskip(SKIP_1) | instid1(VALU_DEP_1)
	v_fmac_f32_e32 v152, v131, v147
	s_waitcnt lgkmcnt(3)
	v_fmac_f32_e32 v152, v132, v148
	s_delay_alu instid0(VALU_DEP_1)
	v_fmac_f32_e32 v152, v133, v149
	ds_load_2addr_b32 v[130:131], v2 offset0:119 offset1:120
	ds_load_2addr_b32 v[132:133], v2 offset0:121 offset1:122
	s_waitcnt lgkmcnt(4)
	v_fmac_f32_e32 v152, v134, v150
	s_waitcnt vmcnt(2)
	s_delay_alu instid0(VALU_DEP_1) | instskip(SKIP_1) | instid1(VALU_DEP_1)
	v_fmac_f32_e32 v152, v135, v151
	s_waitcnt lgkmcnt(3)
	v_fmac_f32_e32 v152, v136, v3
	ds_load_2addr_b32 v[2:3], v2 offset0:123 offset1:124
	v_fmac_f32_e32 v152, v137, v4
	s_waitcnt lgkmcnt(3)
	s_delay_alu instid0(VALU_DEP_1) | instskip(SKIP_1) | instid1(VALU_DEP_1)
	v_fmac_f32_e32 v152, v138, v128
	s_waitcnt vmcnt(1)
	v_fmac_f32_e32 v152, v139, v129
	s_waitcnt lgkmcnt(2)
	s_delay_alu instid0(VALU_DEP_1) | instskip(NEXT) | instid1(VALU_DEP_1)
	v_fmac_f32_e32 v152, v140, v130
	v_fmac_f32_e32 v152, v141, v131
	s_waitcnt lgkmcnt(1)
	s_delay_alu instid0(VALU_DEP_1) | instskip(SKIP_1) | instid1(VALU_DEP_1)
	v_fmac_f32_e32 v152, v142, v132
	s_waitcnt vmcnt(0)
	v_fmac_f32_e32 v152, v143, v133
	s_waitcnt lgkmcnt(0)
	s_delay_alu instid0(VALU_DEP_1) | instskip(NEXT) | instid1(VALU_DEP_1)
	v_fmac_f32_e32 v152, v144, v2
	v_fmac_f32_e32 v152, v145, v3
	s_delay_alu instid0(VALU_DEP_1)
	v_sub_f32_e32 v2, v127, v152
	scratch_store_b32 off, v2, off offset:168
	v_cmpx_lt_u32_e32 41, v0
	s_cbranch_execz .LBB124_291
; %bb.290:
	scratch_load_b32 v2, off, off offset:164
	v_mov_b32_e32 v3, 0
	scratch_store_b32 off, v3, off offset:164
	s_waitcnt vmcnt(0)
	ds_store_b32 v1, v2
.LBB124_291:
	s_or_b32 exec_lo, exec_lo, s0
	s_waitcnt lgkmcnt(0)
	s_waitcnt_vscnt null, 0x0
	s_barrier
	buffer_gl0_inv
	s_clause 0x4
	scratch_load_b128 v[127:130], off, off offset:164
	scratch_load_b128 v[131:134], off, off offset:180
	;; [unrolled: 1-line block ×5, first 2 shown]
	v_mov_b32_e32 v2, 0
	ds_load_2addr_b64 v[147:150], v2 offset0:53 offset1:54
	ds_load_2addr_b64 v[151:154], v2 offset0:55 offset1:56
	s_mov_b32 s0, exec_lo
	s_waitcnt vmcnt(4) lgkmcnt(1)
	v_fma_f32 v147, v128, v147, 0
	s_delay_alu instid0(VALU_DEP_1) | instskip(SKIP_3) | instid1(VALU_DEP_1)
	v_fmac_f32_e32 v147, v129, v148
	ds_load_b64 v[3:4], v2 offset:488
	v_fmac_f32_e32 v147, v130, v149
	s_waitcnt vmcnt(3)
	v_fmac_f32_e32 v147, v131, v150
	ds_load_2addr_b64 v[128:131], v2 offset0:57 offset1:58
	s_waitcnt lgkmcnt(2)
	v_fmac_f32_e32 v147, v132, v151
	s_delay_alu instid0(VALU_DEP_1) | instskip(NEXT) | instid1(VALU_DEP_1)
	v_fmac_f32_e32 v147, v133, v152
	v_fmac_f32_e32 v147, v134, v153
	s_waitcnt vmcnt(2)
	s_delay_alu instid0(VALU_DEP_1)
	v_fmac_f32_e32 v147, v135, v154
	ds_load_2addr_b64 v[132:135], v2 offset0:59 offset1:60
	s_waitcnt lgkmcnt(1)
	v_fmac_f32_e32 v147, v136, v128
	ds_load_b32 v128, v2 offset:496
	v_fmac_f32_e32 v147, v137, v129
	s_delay_alu instid0(VALU_DEP_1) | instskip(SKIP_1) | instid1(VALU_DEP_1)
	v_fmac_f32_e32 v147, v138, v130
	s_waitcnt vmcnt(1)
	v_fmac_f32_e32 v147, v139, v131
	s_waitcnt lgkmcnt(1)
	s_delay_alu instid0(VALU_DEP_1) | instskip(NEXT) | instid1(VALU_DEP_1)
	v_fmac_f32_e32 v147, v140, v132
	v_fmac_f32_e32 v147, v141, v133
	s_delay_alu instid0(VALU_DEP_1) | instskip(SKIP_1) | instid1(VALU_DEP_1)
	v_fmac_f32_e32 v147, v142, v134
	s_waitcnt vmcnt(0)
	v_fmac_f32_e32 v147, v143, v135
	s_delay_alu instid0(VALU_DEP_1) | instskip(NEXT) | instid1(VALU_DEP_1)
	v_fmac_f32_e32 v147, v144, v3
	v_fmac_f32_e32 v147, v145, v4
	s_waitcnt lgkmcnt(0)
	s_delay_alu instid0(VALU_DEP_1) | instskip(NEXT) | instid1(VALU_DEP_1)
	v_fmac_f32_e32 v147, v146, v128
	v_sub_f32_e32 v3, v127, v147
	scratch_store_b32 off, v3, off offset:164
	v_cmpx_lt_u32_e32 40, v0
	s_cbranch_execz .LBB124_293
; %bb.292:
	scratch_load_b32 v3, off, off offset:160
	scratch_store_b32 off, v2, off offset:160
	s_waitcnt vmcnt(0)
	ds_store_b32 v1, v3
.LBB124_293:
	s_or_b32 exec_lo, exec_lo, s0
	s_waitcnt lgkmcnt(0)
	s_waitcnt_vscnt null, 0x0
	s_barrier
	buffer_gl0_inv
	s_clause 0x5
	scratch_load_b128 v[127:130], off, off offset:160
	scratch_load_b128 v[131:134], off, off offset:176
	;; [unrolled: 1-line block ×5, first 2 shown]
	scratch_load_b32 v153, off, off offset:240
	ds_load_2addr_b32 v[3:4], v2 offset0:105 offset1:106
	ds_load_2addr_b32 v[147:148], v2 offset0:107 offset1:108
	;; [unrolled: 1-line block ×4, first 2 shown]
	s_mov_b32 s0, exec_lo
	s_waitcnt vmcnt(5) lgkmcnt(3)
	v_fma_f32 v154, v128, v3, 0
	s_delay_alu instid0(VALU_DEP_1)
	v_fmac_f32_e32 v154, v129, v4
	ds_load_2addr_b32 v[3:4], v2 offset0:113 offset1:114
	ds_load_2addr_b32 v[128:129], v2 offset0:115 offset1:116
	s_waitcnt lgkmcnt(4)
	v_fmac_f32_e32 v154, v130, v147
	s_waitcnt vmcnt(4)
	s_delay_alu instid0(VALU_DEP_1) | instskip(SKIP_1) | instid1(VALU_DEP_1)
	v_fmac_f32_e32 v154, v131, v148
	s_waitcnt lgkmcnt(3)
	v_fmac_f32_e32 v154, v132, v149
	s_delay_alu instid0(VALU_DEP_1)
	v_fmac_f32_e32 v154, v133, v150
	ds_load_2addr_b32 v[130:131], v2 offset0:117 offset1:118
	ds_load_2addr_b32 v[132:133], v2 offset0:119 offset1:120
	s_waitcnt lgkmcnt(4)
	v_fmac_f32_e32 v154, v134, v151
	s_waitcnt vmcnt(3)
	s_delay_alu instid0(VALU_DEP_1) | instskip(SKIP_1) | instid1(VALU_DEP_1)
	v_fmac_f32_e32 v154, v135, v152
	s_waitcnt lgkmcnt(3)
	v_fmac_f32_e32 v154, v136, v3
	s_delay_alu instid0(VALU_DEP_1) | instskip(SKIP_4) | instid1(VALU_DEP_1)
	v_fmac_f32_e32 v154, v137, v4
	ds_load_2addr_b32 v[3:4], v2 offset0:121 offset1:122
	s_waitcnt lgkmcnt(3)
	v_fmac_f32_e32 v154, v138, v128
	s_waitcnt vmcnt(2)
	v_fmac_f32_e32 v154, v139, v129
	ds_load_2addr_b32 v[128:129], v2 offset0:123 offset1:124
	s_waitcnt lgkmcnt(3)
	v_fmac_f32_e32 v154, v140, v130
	s_delay_alu instid0(VALU_DEP_1) | instskip(SKIP_1) | instid1(VALU_DEP_1)
	v_fmac_f32_e32 v154, v141, v131
	s_waitcnt lgkmcnt(2)
	v_fmac_f32_e32 v154, v142, v132
	s_waitcnt vmcnt(1)
	s_delay_alu instid0(VALU_DEP_1) | instskip(SKIP_1) | instid1(VALU_DEP_1)
	v_fmac_f32_e32 v154, v143, v133
	s_waitcnt lgkmcnt(1)
	v_fmac_f32_e32 v154, v144, v3
	s_delay_alu instid0(VALU_DEP_1) | instskip(SKIP_1) | instid1(VALU_DEP_1)
	v_fmac_f32_e32 v154, v145, v4
	s_waitcnt lgkmcnt(0)
	v_fmac_f32_e32 v154, v146, v128
	s_waitcnt vmcnt(0)
	s_delay_alu instid0(VALU_DEP_1) | instskip(NEXT) | instid1(VALU_DEP_1)
	v_fmac_f32_e32 v154, v153, v129
	v_sub_f32_e32 v2, v127, v154
	scratch_store_b32 off, v2, off offset:160
	v_cmpx_lt_u32_e32 39, v0
	s_cbranch_execz .LBB124_295
; %bb.294:
	scratch_load_b32 v2, off, off offset:156
	v_mov_b32_e32 v3, 0
	scratch_store_b32 off, v3, off offset:156
	s_waitcnt vmcnt(0)
	ds_store_b32 v1, v2
.LBB124_295:
	s_or_b32 exec_lo, exec_lo, s0
	s_waitcnt lgkmcnt(0)
	s_waitcnt_vscnt null, 0x0
	s_barrier
	buffer_gl0_inv
	s_clause 0x5
	scratch_load_b128 v[127:130], off, off offset:156
	scratch_load_b128 v[131:134], off, off offset:172
	;; [unrolled: 1-line block ×5, first 2 shown]
	scratch_load_b64 v[3:4], off, off offset:236
	v_mov_b32_e32 v2, 0
	ds_load_b128 v[147:150], v2 offset:416
	ds_load_b128 v[151:154], v2 offset:432
	s_mov_b32 s0, exec_lo
	s_waitcnt vmcnt(5) lgkmcnt(1)
	v_fma_f32 v147, v128, v147, 0
	s_delay_alu instid0(VALU_DEP_1) | instskip(NEXT) | instid1(VALU_DEP_1)
	v_fmac_f32_e32 v147, v129, v148
	v_fmac_f32_e32 v147, v130, v149
	s_waitcnt vmcnt(4)
	s_delay_alu instid0(VALU_DEP_1) | instskip(SKIP_3) | instid1(VALU_DEP_1)
	v_fmac_f32_e32 v147, v131, v150
	ds_load_b128 v[128:131], v2 offset:448
	s_waitcnt lgkmcnt(1)
	v_fmac_f32_e32 v147, v132, v151
	v_fmac_f32_e32 v147, v133, v152
	s_delay_alu instid0(VALU_DEP_1) | instskip(SKIP_1) | instid1(VALU_DEP_1)
	v_fmac_f32_e32 v147, v134, v153
	s_waitcnt vmcnt(3)
	v_fmac_f32_e32 v147, v135, v154
	ds_load_b128 v[132:135], v2 offset:464
	s_waitcnt lgkmcnt(1)
	v_fmac_f32_e32 v147, v136, v128
	s_delay_alu instid0(VALU_DEP_1) | instskip(NEXT) | instid1(VALU_DEP_1)
	v_fmac_f32_e32 v147, v137, v129
	v_fmac_f32_e32 v147, v138, v130
	s_waitcnt vmcnt(2)
	s_delay_alu instid0(VALU_DEP_1)
	v_fmac_f32_e32 v147, v139, v131
	ds_load_b128 v[128:131], v2 offset:480
	s_waitcnt lgkmcnt(1)
	v_fmac_f32_e32 v147, v140, v132
	ds_load_b32 v132, v2 offset:496
	v_fmac_f32_e32 v147, v141, v133
	s_delay_alu instid0(VALU_DEP_1) | instskip(SKIP_1) | instid1(VALU_DEP_1)
	v_fmac_f32_e32 v147, v142, v134
	s_waitcnt vmcnt(1)
	v_fmac_f32_e32 v147, v143, v135
	s_waitcnt lgkmcnt(1)
	s_delay_alu instid0(VALU_DEP_1) | instskip(NEXT) | instid1(VALU_DEP_1)
	v_fmac_f32_e32 v147, v144, v128
	v_fmac_f32_e32 v147, v145, v129
	s_delay_alu instid0(VALU_DEP_1) | instskip(SKIP_1) | instid1(VALU_DEP_1)
	v_fmac_f32_e32 v147, v146, v130
	s_waitcnt vmcnt(0)
	v_fmac_f32_e32 v147, v3, v131
	s_waitcnt lgkmcnt(0)
	s_delay_alu instid0(VALU_DEP_1) | instskip(NEXT) | instid1(VALU_DEP_1)
	v_fmac_f32_e32 v147, v4, v132
	v_sub_f32_e32 v3, v127, v147
	scratch_store_b32 off, v3, off offset:156
	v_cmpx_lt_u32_e32 38, v0
	s_cbranch_execz .LBB124_297
; %bb.296:
	scratch_load_b32 v3, off, off offset:152
	scratch_store_b32 off, v2, off offset:152
	s_waitcnt vmcnt(0)
	ds_store_b32 v1, v3
.LBB124_297:
	s_or_b32 exec_lo, exec_lo, s0
	s_waitcnt lgkmcnt(0)
	s_waitcnt_vscnt null, 0x0
	s_barrier
	buffer_gl0_inv
	s_clause 0x5
	scratch_load_b128 v[127:130], off, off offset:152
	scratch_load_b128 v[131:134], off, off offset:168
	;; [unrolled: 1-line block ×5, first 2 shown]
	scratch_load_b96 v[147:149], off, off offset:232
	ds_load_2addr_b32 v[3:4], v2 offset0:103 offset1:104
	ds_load_2addr_b32 v[150:151], v2 offset0:105 offset1:106
	;; [unrolled: 1-line block ×4, first 2 shown]
	s_mov_b32 s0, exec_lo
	s_waitcnt vmcnt(5) lgkmcnt(3)
	v_fma_f32 v156, v128, v3, 0
	s_delay_alu instid0(VALU_DEP_1)
	v_fmac_f32_e32 v156, v129, v4
	ds_load_2addr_b32 v[3:4], v2 offset0:111 offset1:112
	ds_load_2addr_b32 v[128:129], v2 offset0:113 offset1:114
	s_waitcnt lgkmcnt(4)
	v_fmac_f32_e32 v156, v130, v150
	s_waitcnt vmcnt(4)
	s_delay_alu instid0(VALU_DEP_1) | instskip(SKIP_1) | instid1(VALU_DEP_1)
	v_fmac_f32_e32 v156, v131, v151
	s_waitcnt lgkmcnt(3)
	v_fmac_f32_e32 v156, v132, v152
	s_delay_alu instid0(VALU_DEP_1)
	v_fmac_f32_e32 v156, v133, v153
	ds_load_2addr_b32 v[130:131], v2 offset0:115 offset1:116
	ds_load_2addr_b32 v[132:133], v2 offset0:117 offset1:118
	s_waitcnt lgkmcnt(4)
	v_fmac_f32_e32 v156, v134, v154
	s_waitcnt vmcnt(3)
	s_delay_alu instid0(VALU_DEP_1) | instskip(SKIP_1) | instid1(VALU_DEP_1)
	v_fmac_f32_e32 v156, v135, v155
	s_waitcnt lgkmcnt(3)
	v_fmac_f32_e32 v156, v136, v3
	s_delay_alu instid0(VALU_DEP_1) | instskip(SKIP_4) | instid1(VALU_DEP_1)
	v_fmac_f32_e32 v156, v137, v4
	ds_load_2addr_b32 v[3:4], v2 offset0:119 offset1:120
	s_waitcnt lgkmcnt(3)
	v_fmac_f32_e32 v156, v138, v128
	s_waitcnt vmcnt(2)
	v_fmac_f32_e32 v156, v139, v129
	ds_load_2addr_b32 v[128:129], v2 offset0:121 offset1:122
	s_waitcnt lgkmcnt(3)
	v_fmac_f32_e32 v156, v140, v130
	s_delay_alu instid0(VALU_DEP_1) | instskip(SKIP_4) | instid1(VALU_DEP_1)
	v_fmac_f32_e32 v156, v141, v131
	ds_load_2addr_b32 v[130:131], v2 offset0:123 offset1:124
	s_waitcnt lgkmcnt(3)
	v_fmac_f32_e32 v156, v142, v132
	s_waitcnt vmcnt(1)
	v_fmac_f32_e32 v156, v143, v133
	s_waitcnt lgkmcnt(2)
	s_delay_alu instid0(VALU_DEP_1) | instskip(NEXT) | instid1(VALU_DEP_1)
	v_fmac_f32_e32 v156, v144, v3
	v_fmac_f32_e32 v156, v145, v4
	s_waitcnt lgkmcnt(1)
	s_delay_alu instid0(VALU_DEP_1) | instskip(SKIP_1) | instid1(VALU_DEP_1)
	v_fmac_f32_e32 v156, v146, v128
	s_waitcnt vmcnt(0)
	v_fmac_f32_e32 v156, v147, v129
	s_waitcnt lgkmcnt(0)
	s_delay_alu instid0(VALU_DEP_1) | instskip(NEXT) | instid1(VALU_DEP_1)
	v_fmac_f32_e32 v156, v148, v130
	v_fmac_f32_e32 v156, v149, v131
	s_delay_alu instid0(VALU_DEP_1)
	v_sub_f32_e32 v2, v127, v156
	scratch_store_b32 off, v2, off offset:152
	v_cmpx_lt_u32_e32 37, v0
	s_cbranch_execz .LBB124_299
; %bb.298:
	scratch_load_b32 v2, off, off offset:148
	v_mov_b32_e32 v3, 0
	scratch_store_b32 off, v3, off offset:148
	s_waitcnt vmcnt(0)
	ds_store_b32 v1, v2
.LBB124_299:
	s_or_b32 exec_lo, exec_lo, s0
	s_waitcnt lgkmcnt(0)
	s_waitcnt_vscnt null, 0x0
	s_barrier
	buffer_gl0_inv
	s_clause 0x5
	scratch_load_b128 v[127:130], off, off offset:148
	scratch_load_b128 v[131:134], off, off offset:164
	;; [unrolled: 1-line block ×6, first 2 shown]
	v_mov_b32_e32 v2, 0
	ds_load_2addr_b64 v[151:154], v2 offset0:51 offset1:52
	ds_load_2addr_b64 v[155:158], v2 offset0:53 offset1:54
	s_mov_b32 s0, exec_lo
	s_waitcnt vmcnt(5) lgkmcnt(1)
	v_fma_f32 v151, v128, v151, 0
	s_delay_alu instid0(VALU_DEP_1) | instskip(SKIP_3) | instid1(VALU_DEP_1)
	v_fmac_f32_e32 v151, v129, v152
	ds_load_b64 v[3:4], v2 offset:488
	v_fmac_f32_e32 v151, v130, v153
	s_waitcnt vmcnt(4)
	v_fmac_f32_e32 v151, v131, v154
	ds_load_2addr_b64 v[128:131], v2 offset0:55 offset1:56
	s_waitcnt lgkmcnt(2)
	v_fmac_f32_e32 v151, v132, v155
	s_delay_alu instid0(VALU_DEP_1) | instskip(NEXT) | instid1(VALU_DEP_1)
	v_fmac_f32_e32 v151, v133, v156
	v_fmac_f32_e32 v151, v134, v157
	s_waitcnt vmcnt(3)
	s_delay_alu instid0(VALU_DEP_1) | instskip(SKIP_3) | instid1(VALU_DEP_1)
	v_fmac_f32_e32 v151, v135, v158
	ds_load_2addr_b64 v[132:135], v2 offset0:57 offset1:58
	s_waitcnt lgkmcnt(1)
	v_fmac_f32_e32 v151, v136, v128
	v_fmac_f32_e32 v151, v137, v129
	s_delay_alu instid0(VALU_DEP_1) | instskip(SKIP_1) | instid1(VALU_DEP_1)
	v_fmac_f32_e32 v151, v138, v130
	s_waitcnt vmcnt(2)
	v_fmac_f32_e32 v151, v139, v131
	ds_load_2addr_b64 v[128:131], v2 offset0:59 offset1:60
	s_waitcnt lgkmcnt(1)
	v_fmac_f32_e32 v151, v140, v132
	s_delay_alu instid0(VALU_DEP_1) | instskip(NEXT) | instid1(VALU_DEP_1)
	v_fmac_f32_e32 v151, v141, v133
	v_fmac_f32_e32 v151, v142, v134
	s_waitcnt vmcnt(1)
	s_delay_alu instid0(VALU_DEP_1) | instskip(SKIP_1) | instid1(VALU_DEP_1)
	v_fmac_f32_e32 v151, v143, v135
	s_waitcnt lgkmcnt(0)
	v_fmac_f32_e32 v151, v144, v128
	ds_load_b32 v128, v2 offset:496
	v_fmac_f32_e32 v151, v145, v129
	s_delay_alu instid0(VALU_DEP_1) | instskip(SKIP_1) | instid1(VALU_DEP_1)
	v_fmac_f32_e32 v151, v146, v130
	s_waitcnt vmcnt(0)
	v_fmac_f32_e32 v151, v147, v131
	s_delay_alu instid0(VALU_DEP_1) | instskip(NEXT) | instid1(VALU_DEP_1)
	v_fmac_f32_e32 v151, v148, v3
	v_fmac_f32_e32 v151, v149, v4
	s_waitcnt lgkmcnt(0)
	s_delay_alu instid0(VALU_DEP_1) | instskip(NEXT) | instid1(VALU_DEP_1)
	v_fmac_f32_e32 v151, v150, v128
	v_sub_f32_e32 v3, v127, v151
	scratch_store_b32 off, v3, off offset:148
	v_cmpx_lt_u32_e32 36, v0
	s_cbranch_execz .LBB124_301
; %bb.300:
	scratch_load_b32 v3, off, off offset:144
	scratch_store_b32 off, v2, off offset:144
	s_waitcnt vmcnt(0)
	ds_store_b32 v1, v3
.LBB124_301:
	s_or_b32 exec_lo, exec_lo, s0
	s_waitcnt lgkmcnt(0)
	s_waitcnt_vscnt null, 0x0
	s_barrier
	buffer_gl0_inv
	s_clause 0x6
	scratch_load_b128 v[127:130], off, off offset:144
	scratch_load_b128 v[131:134], off, off offset:160
	;; [unrolled: 1-line block ×6, first 2 shown]
	scratch_load_b32 v157, off, off offset:240
	ds_load_2addr_b32 v[3:4], v2 offset0:101 offset1:102
	ds_load_2addr_b32 v[151:152], v2 offset0:103 offset1:104
	;; [unrolled: 1-line block ×4, first 2 shown]
	s_mov_b32 s0, exec_lo
	s_waitcnt vmcnt(6) lgkmcnt(3)
	v_fma_f32 v158, v128, v3, 0
	s_delay_alu instid0(VALU_DEP_1)
	v_fmac_f32_e32 v158, v129, v4
	ds_load_2addr_b32 v[3:4], v2 offset0:109 offset1:110
	ds_load_2addr_b32 v[128:129], v2 offset0:111 offset1:112
	s_waitcnt lgkmcnt(4)
	v_fmac_f32_e32 v158, v130, v151
	s_waitcnt vmcnt(5)
	s_delay_alu instid0(VALU_DEP_1) | instskip(SKIP_1) | instid1(VALU_DEP_1)
	v_fmac_f32_e32 v158, v131, v152
	s_waitcnt lgkmcnt(3)
	v_fmac_f32_e32 v158, v132, v153
	s_delay_alu instid0(VALU_DEP_1)
	v_fmac_f32_e32 v158, v133, v154
	ds_load_2addr_b32 v[130:131], v2 offset0:113 offset1:114
	ds_load_2addr_b32 v[132:133], v2 offset0:115 offset1:116
	s_waitcnt lgkmcnt(4)
	v_fmac_f32_e32 v158, v134, v155
	s_waitcnt vmcnt(4)
	s_delay_alu instid0(VALU_DEP_1) | instskip(SKIP_1) | instid1(VALU_DEP_1)
	v_fmac_f32_e32 v158, v135, v156
	s_waitcnt lgkmcnt(3)
	v_fmac_f32_e32 v158, v136, v3
	s_delay_alu instid0(VALU_DEP_1) | instskip(SKIP_4) | instid1(VALU_DEP_1)
	v_fmac_f32_e32 v158, v137, v4
	ds_load_2addr_b32 v[3:4], v2 offset0:117 offset1:118
	s_waitcnt lgkmcnt(3)
	v_fmac_f32_e32 v158, v138, v128
	s_waitcnt vmcnt(3)
	v_fmac_f32_e32 v158, v139, v129
	ds_load_2addr_b32 v[128:129], v2 offset0:119 offset1:120
	s_waitcnt lgkmcnt(3)
	v_fmac_f32_e32 v158, v140, v130
	s_delay_alu instid0(VALU_DEP_1) | instskip(SKIP_1) | instid1(VALU_DEP_1)
	v_fmac_f32_e32 v158, v141, v131
	s_waitcnt lgkmcnt(2)
	v_fmac_f32_e32 v158, v142, v132
	s_waitcnt vmcnt(2)
	s_delay_alu instid0(VALU_DEP_1) | instskip(SKIP_4) | instid1(VALU_DEP_1)
	v_fmac_f32_e32 v158, v143, v133
	ds_load_2addr_b32 v[130:131], v2 offset0:121 offset1:122
	ds_load_2addr_b32 v[132:133], v2 offset0:123 offset1:124
	s_waitcnt lgkmcnt(3)
	v_fmac_f32_e32 v158, v144, v3
	v_fmac_f32_e32 v158, v145, v4
	s_waitcnt lgkmcnt(2)
	s_delay_alu instid0(VALU_DEP_1) | instskip(SKIP_1) | instid1(VALU_DEP_1)
	v_fmac_f32_e32 v158, v146, v128
	s_waitcnt vmcnt(1)
	v_fmac_f32_e32 v158, v147, v129
	s_waitcnt lgkmcnt(1)
	s_delay_alu instid0(VALU_DEP_1) | instskip(NEXT) | instid1(VALU_DEP_1)
	v_fmac_f32_e32 v158, v148, v130
	v_fmac_f32_e32 v158, v149, v131
	s_waitcnt lgkmcnt(0)
	s_delay_alu instid0(VALU_DEP_1) | instskip(SKIP_1) | instid1(VALU_DEP_1)
	v_fmac_f32_e32 v158, v150, v132
	s_waitcnt vmcnt(0)
	v_fmac_f32_e32 v158, v157, v133
	s_delay_alu instid0(VALU_DEP_1)
	v_sub_f32_e32 v2, v127, v158
	scratch_store_b32 off, v2, off offset:144
	v_cmpx_lt_u32_e32 35, v0
	s_cbranch_execz .LBB124_303
; %bb.302:
	scratch_load_b32 v2, off, off offset:140
	v_mov_b32_e32 v3, 0
	scratch_store_b32 off, v3, off offset:140
	s_waitcnt vmcnt(0)
	ds_store_b32 v1, v2
.LBB124_303:
	s_or_b32 exec_lo, exec_lo, s0
	s_waitcnt lgkmcnt(0)
	s_waitcnt_vscnt null, 0x0
	s_barrier
	buffer_gl0_inv
	s_clause 0x6
	scratch_load_b128 v[127:130], off, off offset:140
	scratch_load_b128 v[131:134], off, off offset:156
	;; [unrolled: 1-line block ×6, first 2 shown]
	scratch_load_b64 v[3:4], off, off offset:236
	v_mov_b32_e32 v2, 0
	ds_load_b128 v[151:154], v2 offset:400
	ds_load_b128 v[155:158], v2 offset:416
	s_mov_b32 s0, exec_lo
	s_waitcnt vmcnt(6) lgkmcnt(1)
	v_fma_f32 v151, v128, v151, 0
	s_delay_alu instid0(VALU_DEP_1) | instskip(NEXT) | instid1(VALU_DEP_1)
	v_fmac_f32_e32 v151, v129, v152
	v_fmac_f32_e32 v151, v130, v153
	s_waitcnt vmcnt(5)
	s_delay_alu instid0(VALU_DEP_1) | instskip(SKIP_3) | instid1(VALU_DEP_1)
	v_fmac_f32_e32 v151, v131, v154
	ds_load_b128 v[128:131], v2 offset:432
	s_waitcnt lgkmcnt(1)
	v_fmac_f32_e32 v151, v132, v155
	v_fmac_f32_e32 v151, v133, v156
	s_delay_alu instid0(VALU_DEP_1) | instskip(SKIP_1) | instid1(VALU_DEP_1)
	v_fmac_f32_e32 v151, v134, v157
	s_waitcnt vmcnt(4)
	v_fmac_f32_e32 v151, v135, v158
	ds_load_b128 v[132:135], v2 offset:448
	s_waitcnt lgkmcnt(1)
	v_fmac_f32_e32 v151, v136, v128
	s_delay_alu instid0(VALU_DEP_1) | instskip(NEXT) | instid1(VALU_DEP_1)
	v_fmac_f32_e32 v151, v137, v129
	v_fmac_f32_e32 v151, v138, v130
	s_waitcnt vmcnt(3)
	s_delay_alu instid0(VALU_DEP_1) | instskip(SKIP_3) | instid1(VALU_DEP_1)
	v_fmac_f32_e32 v151, v139, v131
	ds_load_b128 v[128:131], v2 offset:464
	s_waitcnt lgkmcnt(1)
	v_fmac_f32_e32 v151, v140, v132
	v_fmac_f32_e32 v151, v141, v133
	s_delay_alu instid0(VALU_DEP_1) | instskip(SKIP_1) | instid1(VALU_DEP_1)
	v_fmac_f32_e32 v151, v142, v134
	s_waitcnt vmcnt(2)
	v_fmac_f32_e32 v151, v143, v135
	ds_load_b128 v[132:135], v2 offset:480
	s_waitcnt lgkmcnt(1)
	v_fmac_f32_e32 v151, v144, v128
	ds_load_b32 v128, v2 offset:496
	v_fmac_f32_e32 v151, v145, v129
	s_delay_alu instid0(VALU_DEP_1) | instskip(SKIP_1) | instid1(VALU_DEP_1)
	v_fmac_f32_e32 v151, v146, v130
	s_waitcnt vmcnt(1)
	v_fmac_f32_e32 v151, v147, v131
	s_waitcnt lgkmcnt(1)
	s_delay_alu instid0(VALU_DEP_1) | instskip(NEXT) | instid1(VALU_DEP_1)
	v_fmac_f32_e32 v151, v148, v132
	v_fmac_f32_e32 v151, v149, v133
	s_delay_alu instid0(VALU_DEP_1) | instskip(SKIP_1) | instid1(VALU_DEP_1)
	v_fmac_f32_e32 v151, v150, v134
	s_waitcnt vmcnt(0)
	v_fmac_f32_e32 v151, v3, v135
	s_waitcnt lgkmcnt(0)
	s_delay_alu instid0(VALU_DEP_1) | instskip(NEXT) | instid1(VALU_DEP_1)
	v_fmac_f32_e32 v151, v4, v128
	v_sub_f32_e32 v3, v127, v151
	scratch_store_b32 off, v3, off offset:140
	v_cmpx_lt_u32_e32 34, v0
	s_cbranch_execz .LBB124_305
; %bb.304:
	scratch_load_b32 v3, off, off offset:136
	scratch_store_b32 off, v2, off offset:136
	s_waitcnt vmcnt(0)
	ds_store_b32 v1, v3
.LBB124_305:
	s_or_b32 exec_lo, exec_lo, s0
	s_waitcnt lgkmcnt(0)
	s_waitcnt_vscnt null, 0x0
	s_barrier
	buffer_gl0_inv
	s_clause 0x6
	scratch_load_b128 v[127:130], off, off offset:136
	scratch_load_b128 v[131:134], off, off offset:152
	;; [unrolled: 1-line block ×6, first 2 shown]
	scratch_load_b96 v[151:153], off, off offset:232
	ds_load_2addr_b32 v[3:4], v2 offset0:99 offset1:100
	ds_load_2addr_b32 v[154:155], v2 offset0:101 offset1:102
	;; [unrolled: 1-line block ×4, first 2 shown]
	s_mov_b32 s0, exec_lo
	s_waitcnt vmcnt(6) lgkmcnt(3)
	v_fma_f32 v160, v128, v3, 0
	s_delay_alu instid0(VALU_DEP_1)
	v_fmac_f32_e32 v160, v129, v4
	ds_load_2addr_b32 v[3:4], v2 offset0:107 offset1:108
	ds_load_2addr_b32 v[128:129], v2 offset0:109 offset1:110
	s_waitcnt lgkmcnt(4)
	v_fmac_f32_e32 v160, v130, v154
	s_waitcnt vmcnt(5)
	s_delay_alu instid0(VALU_DEP_1) | instskip(SKIP_1) | instid1(VALU_DEP_1)
	v_fmac_f32_e32 v160, v131, v155
	s_waitcnt lgkmcnt(3)
	v_fmac_f32_e32 v160, v132, v156
	s_delay_alu instid0(VALU_DEP_1)
	v_fmac_f32_e32 v160, v133, v157
	ds_load_2addr_b32 v[130:131], v2 offset0:111 offset1:112
	ds_load_2addr_b32 v[132:133], v2 offset0:113 offset1:114
	s_waitcnt lgkmcnt(4)
	v_fmac_f32_e32 v160, v134, v158
	s_waitcnt vmcnt(4)
	s_delay_alu instid0(VALU_DEP_1) | instskip(SKIP_1) | instid1(VALU_DEP_1)
	v_fmac_f32_e32 v160, v135, v159
	s_waitcnt lgkmcnt(3)
	v_fmac_f32_e32 v160, v136, v3
	s_delay_alu instid0(VALU_DEP_1) | instskip(SKIP_4) | instid1(VALU_DEP_1)
	v_fmac_f32_e32 v160, v137, v4
	ds_load_2addr_b32 v[3:4], v2 offset0:115 offset1:116
	s_waitcnt lgkmcnt(3)
	v_fmac_f32_e32 v160, v138, v128
	s_waitcnt vmcnt(3)
	v_fmac_f32_e32 v160, v139, v129
	ds_load_2addr_b32 v[128:129], v2 offset0:117 offset1:118
	s_waitcnt lgkmcnt(3)
	v_fmac_f32_e32 v160, v140, v130
	s_delay_alu instid0(VALU_DEP_1) | instskip(SKIP_1) | instid1(VALU_DEP_1)
	v_fmac_f32_e32 v160, v141, v131
	s_waitcnt lgkmcnt(2)
	v_fmac_f32_e32 v160, v142, v132
	s_waitcnt vmcnt(2)
	s_delay_alu instid0(VALU_DEP_1)
	v_fmac_f32_e32 v160, v143, v133
	ds_load_2addr_b32 v[130:131], v2 offset0:119 offset1:120
	ds_load_2addr_b32 v[132:133], v2 offset0:121 offset1:122
	s_waitcnt lgkmcnt(3)
	v_fmac_f32_e32 v160, v144, v3
	ds_load_2addr_b32 v[2:3], v2 offset0:123 offset1:124
	v_fmac_f32_e32 v160, v145, v4
	s_waitcnt lgkmcnt(3)
	s_delay_alu instid0(VALU_DEP_1) | instskip(SKIP_1) | instid1(VALU_DEP_1)
	v_fmac_f32_e32 v160, v146, v128
	s_waitcnt vmcnt(1)
	v_fmac_f32_e32 v160, v147, v129
	s_waitcnt lgkmcnt(2)
	s_delay_alu instid0(VALU_DEP_1) | instskip(NEXT) | instid1(VALU_DEP_1)
	v_fmac_f32_e32 v160, v148, v130
	v_fmac_f32_e32 v160, v149, v131
	s_waitcnt lgkmcnt(1)
	s_delay_alu instid0(VALU_DEP_1) | instskip(SKIP_1) | instid1(VALU_DEP_1)
	v_fmac_f32_e32 v160, v150, v132
	s_waitcnt vmcnt(0)
	v_fmac_f32_e32 v160, v151, v133
	s_waitcnt lgkmcnt(0)
	s_delay_alu instid0(VALU_DEP_1) | instskip(NEXT) | instid1(VALU_DEP_1)
	v_fmac_f32_e32 v160, v152, v2
	v_fmac_f32_e32 v160, v153, v3
	s_delay_alu instid0(VALU_DEP_1)
	v_sub_f32_e32 v2, v127, v160
	scratch_store_b32 off, v2, off offset:136
	v_cmpx_lt_u32_e32 33, v0
	s_cbranch_execz .LBB124_307
; %bb.306:
	scratch_load_b32 v2, off, off offset:132
	v_mov_b32_e32 v3, 0
	scratch_store_b32 off, v3, off offset:132
	s_waitcnt vmcnt(0)
	ds_store_b32 v1, v2
.LBB124_307:
	s_or_b32 exec_lo, exec_lo, s0
	s_waitcnt lgkmcnt(0)
	s_waitcnt_vscnt null, 0x0
	s_barrier
	buffer_gl0_inv
	s_clause 0x6
	scratch_load_b128 v[127:130], off, off offset:132
	scratch_load_b128 v[131:134], off, off offset:148
	;; [unrolled: 1-line block ×7, first 2 shown]
	v_mov_b32_e32 v2, 0
	ds_load_2addr_b64 v[155:158], v2 offset0:49 offset1:50
	ds_load_2addr_b64 v[159:162], v2 offset0:51 offset1:52
	s_mov_b32 s0, exec_lo
	s_waitcnt vmcnt(6) lgkmcnt(1)
	v_fma_f32 v155, v128, v155, 0
	s_delay_alu instid0(VALU_DEP_1) | instskip(SKIP_3) | instid1(VALU_DEP_1)
	v_fmac_f32_e32 v155, v129, v156
	ds_load_b64 v[3:4], v2 offset:488
	v_fmac_f32_e32 v155, v130, v157
	s_waitcnt vmcnt(5)
	v_fmac_f32_e32 v155, v131, v158
	ds_load_2addr_b64 v[128:131], v2 offset0:53 offset1:54
	s_waitcnt lgkmcnt(2)
	v_fmac_f32_e32 v155, v132, v159
	s_delay_alu instid0(VALU_DEP_1) | instskip(NEXT) | instid1(VALU_DEP_1)
	v_fmac_f32_e32 v155, v133, v160
	v_fmac_f32_e32 v155, v134, v161
	s_waitcnt vmcnt(4)
	s_delay_alu instid0(VALU_DEP_1) | instskip(SKIP_3) | instid1(VALU_DEP_1)
	v_fmac_f32_e32 v155, v135, v162
	ds_load_2addr_b64 v[132:135], v2 offset0:55 offset1:56
	s_waitcnt lgkmcnt(1)
	v_fmac_f32_e32 v155, v136, v128
	v_fmac_f32_e32 v155, v137, v129
	s_delay_alu instid0(VALU_DEP_1) | instskip(SKIP_1) | instid1(VALU_DEP_1)
	v_fmac_f32_e32 v155, v138, v130
	s_waitcnt vmcnt(3)
	v_fmac_f32_e32 v155, v139, v131
	ds_load_2addr_b64 v[128:131], v2 offset0:57 offset1:58
	s_waitcnt lgkmcnt(1)
	v_fmac_f32_e32 v155, v140, v132
	s_delay_alu instid0(VALU_DEP_1) | instskip(NEXT) | instid1(VALU_DEP_1)
	v_fmac_f32_e32 v155, v141, v133
	v_fmac_f32_e32 v155, v142, v134
	s_waitcnt vmcnt(2)
	s_delay_alu instid0(VALU_DEP_1)
	v_fmac_f32_e32 v155, v143, v135
	ds_load_2addr_b64 v[132:135], v2 offset0:59 offset1:60
	s_waitcnt lgkmcnt(1)
	v_fmac_f32_e32 v155, v144, v128
	ds_load_b32 v128, v2 offset:496
	v_fmac_f32_e32 v155, v145, v129
	s_delay_alu instid0(VALU_DEP_1) | instskip(SKIP_1) | instid1(VALU_DEP_1)
	v_fmac_f32_e32 v155, v146, v130
	s_waitcnt vmcnt(1)
	v_fmac_f32_e32 v155, v147, v131
	s_waitcnt lgkmcnt(1)
	s_delay_alu instid0(VALU_DEP_1) | instskip(NEXT) | instid1(VALU_DEP_1)
	v_fmac_f32_e32 v155, v148, v132
	v_fmac_f32_e32 v155, v149, v133
	s_delay_alu instid0(VALU_DEP_1) | instskip(SKIP_1) | instid1(VALU_DEP_1)
	v_fmac_f32_e32 v155, v150, v134
	s_waitcnt vmcnt(0)
	v_fmac_f32_e32 v155, v151, v135
	s_delay_alu instid0(VALU_DEP_1) | instskip(NEXT) | instid1(VALU_DEP_1)
	v_fmac_f32_e32 v155, v152, v3
	v_fmac_f32_e32 v155, v153, v4
	s_waitcnt lgkmcnt(0)
	s_delay_alu instid0(VALU_DEP_1) | instskip(NEXT) | instid1(VALU_DEP_1)
	v_fmac_f32_e32 v155, v154, v128
	v_sub_f32_e32 v3, v127, v155
	scratch_store_b32 off, v3, off offset:132
	v_cmpx_lt_u32_e32 32, v0
	s_cbranch_execz .LBB124_309
; %bb.308:
	scratch_load_b32 v3, off, off offset:128
	scratch_store_b32 off, v2, off offset:128
	s_waitcnt vmcnt(0)
	ds_store_b32 v1, v3
.LBB124_309:
	s_or_b32 exec_lo, exec_lo, s0
	s_waitcnt lgkmcnt(0)
	s_waitcnt_vscnt null, 0x0
	s_barrier
	buffer_gl0_inv
	s_clause 0x7
	scratch_load_b128 v[127:130], off, off offset:128
	scratch_load_b128 v[131:134], off, off offset:144
	;; [unrolled: 1-line block ×7, first 2 shown]
	scratch_load_b32 v161, off, off offset:240
	ds_load_2addr_b32 v[3:4], v2 offset0:97 offset1:98
	ds_load_2addr_b32 v[155:156], v2 offset0:99 offset1:100
	;; [unrolled: 1-line block ×4, first 2 shown]
	s_mov_b32 s0, exec_lo
	s_waitcnt vmcnt(7) lgkmcnt(3)
	v_fma_f32 v162, v128, v3, 0
	s_delay_alu instid0(VALU_DEP_1)
	v_fmac_f32_e32 v162, v129, v4
	ds_load_2addr_b32 v[3:4], v2 offset0:105 offset1:106
	ds_load_2addr_b32 v[128:129], v2 offset0:107 offset1:108
	s_waitcnt lgkmcnt(4)
	v_fmac_f32_e32 v162, v130, v155
	s_waitcnt vmcnt(6)
	s_delay_alu instid0(VALU_DEP_1) | instskip(SKIP_1) | instid1(VALU_DEP_1)
	v_fmac_f32_e32 v162, v131, v156
	s_waitcnt lgkmcnt(3)
	v_fmac_f32_e32 v162, v132, v157
	s_delay_alu instid0(VALU_DEP_1)
	v_fmac_f32_e32 v162, v133, v158
	ds_load_2addr_b32 v[130:131], v2 offset0:109 offset1:110
	ds_load_2addr_b32 v[132:133], v2 offset0:111 offset1:112
	s_waitcnt lgkmcnt(4)
	v_fmac_f32_e32 v162, v134, v159
	s_waitcnt vmcnt(5)
	s_delay_alu instid0(VALU_DEP_1) | instskip(SKIP_1) | instid1(VALU_DEP_1)
	v_fmac_f32_e32 v162, v135, v160
	s_waitcnt lgkmcnt(3)
	v_fmac_f32_e32 v162, v136, v3
	s_delay_alu instid0(VALU_DEP_1) | instskip(SKIP_4) | instid1(VALU_DEP_1)
	v_fmac_f32_e32 v162, v137, v4
	ds_load_2addr_b32 v[3:4], v2 offset0:113 offset1:114
	s_waitcnt lgkmcnt(3)
	v_fmac_f32_e32 v162, v138, v128
	s_waitcnt vmcnt(4)
	v_fmac_f32_e32 v162, v139, v129
	ds_load_2addr_b32 v[128:129], v2 offset0:115 offset1:116
	s_waitcnt lgkmcnt(3)
	v_fmac_f32_e32 v162, v140, v130
	s_delay_alu instid0(VALU_DEP_1) | instskip(SKIP_1) | instid1(VALU_DEP_1)
	v_fmac_f32_e32 v162, v141, v131
	s_waitcnt lgkmcnt(2)
	v_fmac_f32_e32 v162, v142, v132
	s_waitcnt vmcnt(3)
	s_delay_alu instid0(VALU_DEP_1) | instskip(SKIP_4) | instid1(VALU_DEP_1)
	v_fmac_f32_e32 v162, v143, v133
	ds_load_2addr_b32 v[130:131], v2 offset0:117 offset1:118
	ds_load_2addr_b32 v[132:133], v2 offset0:119 offset1:120
	s_waitcnt lgkmcnt(3)
	v_fmac_f32_e32 v162, v144, v3
	v_fmac_f32_e32 v162, v145, v4
	ds_load_2addr_b32 v[3:4], v2 offset0:121 offset1:122
	s_waitcnt lgkmcnt(3)
	v_fmac_f32_e32 v162, v146, v128
	s_waitcnt vmcnt(2)
	s_delay_alu instid0(VALU_DEP_1) | instskip(SKIP_3) | instid1(VALU_DEP_1)
	v_fmac_f32_e32 v162, v147, v129
	ds_load_2addr_b32 v[128:129], v2 offset0:123 offset1:124
	s_waitcnt lgkmcnt(3)
	v_fmac_f32_e32 v162, v148, v130
	v_fmac_f32_e32 v162, v149, v131
	s_waitcnt lgkmcnt(2)
	s_delay_alu instid0(VALU_DEP_1) | instskip(SKIP_1) | instid1(VALU_DEP_1)
	v_fmac_f32_e32 v162, v150, v132
	s_waitcnt vmcnt(1)
	v_fmac_f32_e32 v162, v151, v133
	s_waitcnt lgkmcnt(1)
	s_delay_alu instid0(VALU_DEP_1) | instskip(NEXT) | instid1(VALU_DEP_1)
	v_fmac_f32_e32 v162, v152, v3
	v_fmac_f32_e32 v162, v153, v4
	s_waitcnt lgkmcnt(0)
	s_delay_alu instid0(VALU_DEP_1) | instskip(SKIP_1) | instid1(VALU_DEP_1)
	v_fmac_f32_e32 v162, v154, v128
	s_waitcnt vmcnt(0)
	v_fmac_f32_e32 v162, v161, v129
	s_delay_alu instid0(VALU_DEP_1)
	v_sub_f32_e32 v2, v127, v162
	scratch_store_b32 off, v2, off offset:128
	v_cmpx_lt_u32_e32 31, v0
	s_cbranch_execz .LBB124_311
; %bb.310:
	scratch_load_b32 v2, off, off offset:124
	v_mov_b32_e32 v3, 0
	scratch_store_b32 off, v3, off offset:124
	s_waitcnt vmcnt(0)
	ds_store_b32 v1, v2
.LBB124_311:
	s_or_b32 exec_lo, exec_lo, s0
	s_waitcnt lgkmcnt(0)
	s_waitcnt_vscnt null, 0x0
	s_barrier
	buffer_gl0_inv
	s_clause 0x7
	scratch_load_b128 v[127:130], off, off offset:124
	scratch_load_b128 v[131:134], off, off offset:140
	;; [unrolled: 1-line block ×7, first 2 shown]
	scratch_load_b64 v[3:4], off, off offset:236
	v_mov_b32_e32 v2, 0
	ds_load_b128 v[155:158], v2 offset:384
	ds_load_b128 v[159:162], v2 offset:400
	s_mov_b32 s0, exec_lo
	s_waitcnt vmcnt(7) lgkmcnt(1)
	v_fma_f32 v155, v128, v155, 0
	s_delay_alu instid0(VALU_DEP_1) | instskip(NEXT) | instid1(VALU_DEP_1)
	v_fmac_f32_e32 v155, v129, v156
	v_fmac_f32_e32 v155, v130, v157
	s_waitcnt vmcnt(6)
	s_delay_alu instid0(VALU_DEP_1) | instskip(SKIP_3) | instid1(VALU_DEP_1)
	v_fmac_f32_e32 v155, v131, v158
	ds_load_b128 v[128:131], v2 offset:416
	s_waitcnt lgkmcnt(1)
	v_fmac_f32_e32 v155, v132, v159
	v_fmac_f32_e32 v155, v133, v160
	s_delay_alu instid0(VALU_DEP_1) | instskip(SKIP_1) | instid1(VALU_DEP_1)
	v_fmac_f32_e32 v155, v134, v161
	s_waitcnt vmcnt(5)
	v_fmac_f32_e32 v155, v135, v162
	ds_load_b128 v[132:135], v2 offset:432
	s_waitcnt lgkmcnt(1)
	v_fmac_f32_e32 v155, v136, v128
	s_delay_alu instid0(VALU_DEP_1) | instskip(NEXT) | instid1(VALU_DEP_1)
	v_fmac_f32_e32 v155, v137, v129
	v_fmac_f32_e32 v155, v138, v130
	s_waitcnt vmcnt(4)
	s_delay_alu instid0(VALU_DEP_1) | instskip(SKIP_3) | instid1(VALU_DEP_1)
	v_fmac_f32_e32 v155, v139, v131
	ds_load_b128 v[128:131], v2 offset:448
	s_waitcnt lgkmcnt(1)
	v_fmac_f32_e32 v155, v140, v132
	v_fmac_f32_e32 v155, v141, v133
	s_delay_alu instid0(VALU_DEP_1) | instskip(SKIP_1) | instid1(VALU_DEP_1)
	v_fmac_f32_e32 v155, v142, v134
	s_waitcnt vmcnt(3)
	v_fmac_f32_e32 v155, v143, v135
	ds_load_b128 v[132:135], v2 offset:464
	s_waitcnt lgkmcnt(1)
	v_fmac_f32_e32 v155, v144, v128
	s_delay_alu instid0(VALU_DEP_1) | instskip(NEXT) | instid1(VALU_DEP_1)
	v_fmac_f32_e32 v155, v145, v129
	v_fmac_f32_e32 v155, v146, v130
	s_waitcnt vmcnt(2)
	s_delay_alu instid0(VALU_DEP_1)
	v_fmac_f32_e32 v155, v147, v131
	ds_load_b128 v[128:131], v2 offset:480
	s_waitcnt lgkmcnt(1)
	v_fmac_f32_e32 v155, v148, v132
	ds_load_b32 v132, v2 offset:496
	v_fmac_f32_e32 v155, v149, v133
	s_delay_alu instid0(VALU_DEP_1) | instskip(SKIP_1) | instid1(VALU_DEP_1)
	v_fmac_f32_e32 v155, v150, v134
	s_waitcnt vmcnt(1)
	v_fmac_f32_e32 v155, v151, v135
	s_waitcnt lgkmcnt(1)
	s_delay_alu instid0(VALU_DEP_1) | instskip(NEXT) | instid1(VALU_DEP_1)
	v_fmac_f32_e32 v155, v152, v128
	v_fmac_f32_e32 v155, v153, v129
	s_delay_alu instid0(VALU_DEP_1) | instskip(SKIP_1) | instid1(VALU_DEP_1)
	v_fmac_f32_e32 v155, v154, v130
	s_waitcnt vmcnt(0)
	v_fmac_f32_e32 v155, v3, v131
	s_waitcnt lgkmcnt(0)
	s_delay_alu instid0(VALU_DEP_1) | instskip(NEXT) | instid1(VALU_DEP_1)
	v_fmac_f32_e32 v155, v4, v132
	v_sub_f32_e32 v3, v127, v155
	scratch_store_b32 off, v3, off offset:124
	v_cmpx_lt_u32_e32 30, v0
	s_cbranch_execz .LBB124_313
; %bb.312:
	scratch_load_b32 v3, off, off offset:120
	scratch_store_b32 off, v2, off offset:120
	s_waitcnt vmcnt(0)
	ds_store_b32 v1, v3
.LBB124_313:
	s_or_b32 exec_lo, exec_lo, s0
	s_waitcnt lgkmcnt(0)
	s_waitcnt_vscnt null, 0x0
	s_barrier
	buffer_gl0_inv
	s_clause 0x7
	scratch_load_b128 v[127:130], off, off offset:120
	scratch_load_b128 v[131:134], off, off offset:136
	;; [unrolled: 1-line block ×7, first 2 shown]
	scratch_load_b96 v[155:157], off, off offset:232
	ds_load_2addr_b32 v[3:4], v2 offset0:95 offset1:96
	ds_load_2addr_b32 v[158:159], v2 offset0:97 offset1:98
	;; [unrolled: 1-line block ×4, first 2 shown]
	s_mov_b32 s0, exec_lo
	s_waitcnt vmcnt(7) lgkmcnt(3)
	v_fma_f32 v164, v128, v3, 0
	s_delay_alu instid0(VALU_DEP_1)
	v_fmac_f32_e32 v164, v129, v4
	ds_load_2addr_b32 v[3:4], v2 offset0:103 offset1:104
	ds_load_2addr_b32 v[128:129], v2 offset0:105 offset1:106
	s_waitcnt lgkmcnt(4)
	v_fmac_f32_e32 v164, v130, v158
	s_waitcnt vmcnt(6)
	s_delay_alu instid0(VALU_DEP_1) | instskip(SKIP_1) | instid1(VALU_DEP_1)
	v_fmac_f32_e32 v164, v131, v159
	s_waitcnt lgkmcnt(3)
	v_fmac_f32_e32 v164, v132, v160
	s_delay_alu instid0(VALU_DEP_1)
	v_fmac_f32_e32 v164, v133, v161
	ds_load_2addr_b32 v[130:131], v2 offset0:107 offset1:108
	ds_load_2addr_b32 v[132:133], v2 offset0:109 offset1:110
	s_waitcnt lgkmcnt(4)
	v_fmac_f32_e32 v164, v134, v162
	s_waitcnt vmcnt(5)
	s_delay_alu instid0(VALU_DEP_1) | instskip(SKIP_1) | instid1(VALU_DEP_1)
	v_fmac_f32_e32 v164, v135, v163
	s_waitcnt lgkmcnt(3)
	v_fmac_f32_e32 v164, v136, v3
	s_delay_alu instid0(VALU_DEP_1) | instskip(SKIP_4) | instid1(VALU_DEP_1)
	v_fmac_f32_e32 v164, v137, v4
	ds_load_2addr_b32 v[3:4], v2 offset0:111 offset1:112
	s_waitcnt lgkmcnt(3)
	v_fmac_f32_e32 v164, v138, v128
	s_waitcnt vmcnt(4)
	v_fmac_f32_e32 v164, v139, v129
	ds_load_2addr_b32 v[128:129], v2 offset0:113 offset1:114
	s_waitcnt lgkmcnt(3)
	v_fmac_f32_e32 v164, v140, v130
	s_delay_alu instid0(VALU_DEP_1) | instskip(SKIP_1) | instid1(VALU_DEP_1)
	v_fmac_f32_e32 v164, v141, v131
	s_waitcnt lgkmcnt(2)
	v_fmac_f32_e32 v164, v142, v132
	s_waitcnt vmcnt(3)
	s_delay_alu instid0(VALU_DEP_1) | instskip(SKIP_4) | instid1(VALU_DEP_1)
	v_fmac_f32_e32 v164, v143, v133
	ds_load_2addr_b32 v[130:131], v2 offset0:115 offset1:116
	ds_load_2addr_b32 v[132:133], v2 offset0:117 offset1:118
	s_waitcnt lgkmcnt(3)
	v_fmac_f32_e32 v164, v144, v3
	v_fmac_f32_e32 v164, v145, v4
	ds_load_2addr_b32 v[3:4], v2 offset0:119 offset1:120
	s_waitcnt lgkmcnt(3)
	v_fmac_f32_e32 v164, v146, v128
	s_waitcnt vmcnt(2)
	s_delay_alu instid0(VALU_DEP_1) | instskip(SKIP_3) | instid1(VALU_DEP_1)
	v_fmac_f32_e32 v164, v147, v129
	ds_load_2addr_b32 v[128:129], v2 offset0:121 offset1:122
	s_waitcnt lgkmcnt(3)
	v_fmac_f32_e32 v164, v148, v130
	v_fmac_f32_e32 v164, v149, v131
	ds_load_2addr_b32 v[130:131], v2 offset0:123 offset1:124
	s_waitcnt lgkmcnt(3)
	v_fmac_f32_e32 v164, v150, v132
	s_waitcnt vmcnt(1)
	s_delay_alu instid0(VALU_DEP_1) | instskip(SKIP_1) | instid1(VALU_DEP_1)
	v_fmac_f32_e32 v164, v151, v133
	s_waitcnt lgkmcnt(2)
	v_fmac_f32_e32 v164, v152, v3
	s_delay_alu instid0(VALU_DEP_1) | instskip(SKIP_1) | instid1(VALU_DEP_1)
	v_fmac_f32_e32 v164, v153, v4
	s_waitcnt lgkmcnt(1)
	v_fmac_f32_e32 v164, v154, v128
	s_waitcnt vmcnt(0)
	s_delay_alu instid0(VALU_DEP_1) | instskip(SKIP_1) | instid1(VALU_DEP_1)
	v_fmac_f32_e32 v164, v155, v129
	s_waitcnt lgkmcnt(0)
	v_fmac_f32_e32 v164, v156, v130
	s_delay_alu instid0(VALU_DEP_1) | instskip(NEXT) | instid1(VALU_DEP_1)
	v_fmac_f32_e32 v164, v157, v131
	v_sub_f32_e32 v2, v127, v164
	scratch_store_b32 off, v2, off offset:120
	v_cmpx_lt_u32_e32 29, v0
	s_cbranch_execz .LBB124_315
; %bb.314:
	scratch_load_b32 v2, off, off offset:116
	v_mov_b32_e32 v3, 0
	scratch_store_b32 off, v3, off offset:116
	s_waitcnt vmcnt(0)
	ds_store_b32 v1, v2
.LBB124_315:
	s_or_b32 exec_lo, exec_lo, s0
	s_waitcnt lgkmcnt(0)
	s_waitcnt_vscnt null, 0x0
	s_barrier
	buffer_gl0_inv
	s_clause 0x7
	scratch_load_b128 v[127:130], off, off offset:116
	scratch_load_b128 v[131:134], off, off offset:132
	;; [unrolled: 1-line block ×8, first 2 shown]
	v_mov_b32_e32 v2, 0
	ds_load_2addr_b64 v[159:162], v2 offset0:47 offset1:48
	ds_load_2addr_b64 v[163:166], v2 offset0:49 offset1:50
	s_mov_b32 s0, exec_lo
	s_waitcnt vmcnt(7) lgkmcnt(1)
	v_fma_f32 v159, v128, v159, 0
	s_delay_alu instid0(VALU_DEP_1) | instskip(SKIP_3) | instid1(VALU_DEP_1)
	v_fmac_f32_e32 v159, v129, v160
	ds_load_b64 v[3:4], v2 offset:488
	v_fmac_f32_e32 v159, v130, v161
	s_waitcnt vmcnt(6)
	v_fmac_f32_e32 v159, v131, v162
	ds_load_2addr_b64 v[128:131], v2 offset0:51 offset1:52
	s_waitcnt lgkmcnt(2)
	v_fmac_f32_e32 v159, v132, v163
	s_delay_alu instid0(VALU_DEP_1) | instskip(NEXT) | instid1(VALU_DEP_1)
	v_fmac_f32_e32 v159, v133, v164
	v_fmac_f32_e32 v159, v134, v165
	s_waitcnt vmcnt(5)
	s_delay_alu instid0(VALU_DEP_1) | instskip(SKIP_3) | instid1(VALU_DEP_1)
	v_fmac_f32_e32 v159, v135, v166
	ds_load_2addr_b64 v[132:135], v2 offset0:53 offset1:54
	s_waitcnt lgkmcnt(1)
	v_fmac_f32_e32 v159, v136, v128
	v_fmac_f32_e32 v159, v137, v129
	s_delay_alu instid0(VALU_DEP_1) | instskip(SKIP_1) | instid1(VALU_DEP_1)
	v_fmac_f32_e32 v159, v138, v130
	s_waitcnt vmcnt(4)
	v_fmac_f32_e32 v159, v139, v131
	ds_load_2addr_b64 v[128:131], v2 offset0:55 offset1:56
	s_waitcnt lgkmcnt(1)
	v_fmac_f32_e32 v159, v140, v132
	s_delay_alu instid0(VALU_DEP_1) | instskip(NEXT) | instid1(VALU_DEP_1)
	v_fmac_f32_e32 v159, v141, v133
	v_fmac_f32_e32 v159, v142, v134
	s_waitcnt vmcnt(3)
	s_delay_alu instid0(VALU_DEP_1) | instskip(SKIP_3) | instid1(VALU_DEP_1)
	v_fmac_f32_e32 v159, v143, v135
	ds_load_2addr_b64 v[132:135], v2 offset0:57 offset1:58
	s_waitcnt lgkmcnt(1)
	v_fmac_f32_e32 v159, v144, v128
	v_fmac_f32_e32 v159, v145, v129
	s_delay_alu instid0(VALU_DEP_1) | instskip(SKIP_1) | instid1(VALU_DEP_1)
	v_fmac_f32_e32 v159, v146, v130
	s_waitcnt vmcnt(2)
	v_fmac_f32_e32 v159, v147, v131
	ds_load_2addr_b64 v[128:131], v2 offset0:59 offset1:60
	s_waitcnt lgkmcnt(1)
	v_fmac_f32_e32 v159, v148, v132
	s_delay_alu instid0(VALU_DEP_1) | instskip(NEXT) | instid1(VALU_DEP_1)
	v_fmac_f32_e32 v159, v149, v133
	v_fmac_f32_e32 v159, v150, v134
	s_waitcnt vmcnt(1)
	s_delay_alu instid0(VALU_DEP_1) | instskip(SKIP_1) | instid1(VALU_DEP_1)
	v_fmac_f32_e32 v159, v151, v135
	s_waitcnt lgkmcnt(0)
	v_fmac_f32_e32 v159, v152, v128
	ds_load_b32 v128, v2 offset:496
	v_fmac_f32_e32 v159, v153, v129
	s_delay_alu instid0(VALU_DEP_1) | instskip(SKIP_1) | instid1(VALU_DEP_1)
	v_fmac_f32_e32 v159, v154, v130
	s_waitcnt vmcnt(0)
	v_fmac_f32_e32 v159, v155, v131
	s_delay_alu instid0(VALU_DEP_1) | instskip(NEXT) | instid1(VALU_DEP_1)
	v_fmac_f32_e32 v159, v156, v3
	v_fmac_f32_e32 v159, v157, v4
	s_waitcnt lgkmcnt(0)
	s_delay_alu instid0(VALU_DEP_1) | instskip(NEXT) | instid1(VALU_DEP_1)
	v_fmac_f32_e32 v159, v158, v128
	v_sub_f32_e32 v3, v127, v159
	scratch_store_b32 off, v3, off offset:116
	v_cmpx_lt_u32_e32 28, v0
	s_cbranch_execz .LBB124_317
; %bb.316:
	scratch_load_b32 v3, off, off offset:112
	scratch_store_b32 off, v2, off offset:112
	s_waitcnt vmcnt(0)
	ds_store_b32 v1, v3
.LBB124_317:
	s_or_b32 exec_lo, exec_lo, s0
	s_waitcnt lgkmcnt(0)
	s_waitcnt_vscnt null, 0x0
	s_barrier
	buffer_gl0_inv
	s_clause 0x8
	scratch_load_b128 v[127:130], off, off offset:112
	scratch_load_b128 v[131:134], off, off offset:128
	;; [unrolled: 1-line block ×8, first 2 shown]
	scratch_load_b32 v165, off, off offset:240
	ds_load_2addr_b32 v[3:4], v2 offset0:93 offset1:94
	ds_load_2addr_b32 v[159:160], v2 offset0:95 offset1:96
	;; [unrolled: 1-line block ×4, first 2 shown]
	s_mov_b32 s0, exec_lo
	s_waitcnt vmcnt(8) lgkmcnt(3)
	v_fma_f32 v166, v128, v3, 0
	s_delay_alu instid0(VALU_DEP_1)
	v_fmac_f32_e32 v166, v129, v4
	ds_load_2addr_b32 v[3:4], v2 offset0:101 offset1:102
	ds_load_2addr_b32 v[128:129], v2 offset0:103 offset1:104
	s_waitcnt lgkmcnt(4)
	v_fmac_f32_e32 v166, v130, v159
	s_waitcnt vmcnt(7)
	s_delay_alu instid0(VALU_DEP_1) | instskip(SKIP_1) | instid1(VALU_DEP_1)
	v_fmac_f32_e32 v166, v131, v160
	s_waitcnt lgkmcnt(3)
	v_fmac_f32_e32 v166, v132, v161
	s_delay_alu instid0(VALU_DEP_1)
	v_fmac_f32_e32 v166, v133, v162
	ds_load_2addr_b32 v[130:131], v2 offset0:105 offset1:106
	ds_load_2addr_b32 v[132:133], v2 offset0:107 offset1:108
	s_waitcnt lgkmcnt(4)
	v_fmac_f32_e32 v166, v134, v163
	s_waitcnt vmcnt(6)
	s_delay_alu instid0(VALU_DEP_1) | instskip(SKIP_1) | instid1(VALU_DEP_1)
	v_fmac_f32_e32 v166, v135, v164
	s_waitcnt lgkmcnt(3)
	v_fmac_f32_e32 v166, v136, v3
	s_delay_alu instid0(VALU_DEP_1) | instskip(SKIP_4) | instid1(VALU_DEP_1)
	v_fmac_f32_e32 v166, v137, v4
	ds_load_2addr_b32 v[3:4], v2 offset0:109 offset1:110
	s_waitcnt lgkmcnt(3)
	v_fmac_f32_e32 v166, v138, v128
	s_waitcnt vmcnt(5)
	v_fmac_f32_e32 v166, v139, v129
	ds_load_2addr_b32 v[128:129], v2 offset0:111 offset1:112
	s_waitcnt lgkmcnt(3)
	v_fmac_f32_e32 v166, v140, v130
	s_delay_alu instid0(VALU_DEP_1) | instskip(SKIP_1) | instid1(VALU_DEP_1)
	v_fmac_f32_e32 v166, v141, v131
	s_waitcnt lgkmcnt(2)
	v_fmac_f32_e32 v166, v142, v132
	s_waitcnt vmcnt(4)
	s_delay_alu instid0(VALU_DEP_1) | instskip(SKIP_4) | instid1(VALU_DEP_1)
	v_fmac_f32_e32 v166, v143, v133
	ds_load_2addr_b32 v[130:131], v2 offset0:113 offset1:114
	ds_load_2addr_b32 v[132:133], v2 offset0:115 offset1:116
	s_waitcnt lgkmcnt(3)
	v_fmac_f32_e32 v166, v144, v3
	v_fmac_f32_e32 v166, v145, v4
	ds_load_2addr_b32 v[3:4], v2 offset0:117 offset1:118
	s_waitcnt lgkmcnt(3)
	v_fmac_f32_e32 v166, v146, v128
	s_waitcnt vmcnt(3)
	s_delay_alu instid0(VALU_DEP_1) | instskip(SKIP_3) | instid1(VALU_DEP_1)
	v_fmac_f32_e32 v166, v147, v129
	ds_load_2addr_b32 v[128:129], v2 offset0:119 offset1:120
	s_waitcnt lgkmcnt(3)
	v_fmac_f32_e32 v166, v148, v130
	v_fmac_f32_e32 v166, v149, v131
	s_waitcnt lgkmcnt(2)
	s_delay_alu instid0(VALU_DEP_1) | instskip(SKIP_1) | instid1(VALU_DEP_1)
	v_fmac_f32_e32 v166, v150, v132
	s_waitcnt vmcnt(2)
	v_fmac_f32_e32 v166, v151, v133
	ds_load_2addr_b32 v[130:131], v2 offset0:121 offset1:122
	ds_load_2addr_b32 v[132:133], v2 offset0:123 offset1:124
	s_waitcnt lgkmcnt(3)
	v_fmac_f32_e32 v166, v152, v3
	s_delay_alu instid0(VALU_DEP_1) | instskip(SKIP_1) | instid1(VALU_DEP_1)
	v_fmac_f32_e32 v166, v153, v4
	s_waitcnt lgkmcnt(2)
	v_fmac_f32_e32 v166, v154, v128
	s_waitcnt vmcnt(1)
	s_delay_alu instid0(VALU_DEP_1) | instskip(SKIP_1) | instid1(VALU_DEP_1)
	v_fmac_f32_e32 v166, v155, v129
	s_waitcnt lgkmcnt(1)
	v_fmac_f32_e32 v166, v156, v130
	s_delay_alu instid0(VALU_DEP_1) | instskip(SKIP_1) | instid1(VALU_DEP_1)
	v_fmac_f32_e32 v166, v157, v131
	s_waitcnt lgkmcnt(0)
	v_fmac_f32_e32 v166, v158, v132
	s_waitcnt vmcnt(0)
	s_delay_alu instid0(VALU_DEP_1) | instskip(NEXT) | instid1(VALU_DEP_1)
	v_fmac_f32_e32 v166, v165, v133
	v_sub_f32_e32 v2, v127, v166
	scratch_store_b32 off, v2, off offset:112
	v_cmpx_lt_u32_e32 27, v0
	s_cbranch_execz .LBB124_319
; %bb.318:
	scratch_load_b32 v2, off, off offset:108
	v_mov_b32_e32 v3, 0
	scratch_store_b32 off, v3, off offset:108
	s_waitcnt vmcnt(0)
	ds_store_b32 v1, v2
.LBB124_319:
	s_or_b32 exec_lo, exec_lo, s0
	s_waitcnt lgkmcnt(0)
	s_waitcnt_vscnt null, 0x0
	s_barrier
	buffer_gl0_inv
	s_clause 0x8
	scratch_load_b128 v[127:130], off, off offset:108
	scratch_load_b128 v[131:134], off, off offset:124
	;; [unrolled: 1-line block ×8, first 2 shown]
	scratch_load_b64 v[3:4], off, off offset:236
	v_mov_b32_e32 v2, 0
	ds_load_b128 v[159:162], v2 offset:368
	ds_load_b128 v[163:166], v2 offset:384
	s_mov_b32 s0, exec_lo
	s_waitcnt vmcnt(8) lgkmcnt(1)
	v_fma_f32 v159, v128, v159, 0
	s_delay_alu instid0(VALU_DEP_1) | instskip(NEXT) | instid1(VALU_DEP_1)
	v_fmac_f32_e32 v159, v129, v160
	v_fmac_f32_e32 v159, v130, v161
	s_waitcnt vmcnt(7)
	s_delay_alu instid0(VALU_DEP_1) | instskip(SKIP_3) | instid1(VALU_DEP_1)
	v_fmac_f32_e32 v159, v131, v162
	ds_load_b128 v[128:131], v2 offset:400
	s_waitcnt lgkmcnt(1)
	v_fmac_f32_e32 v159, v132, v163
	v_fmac_f32_e32 v159, v133, v164
	s_delay_alu instid0(VALU_DEP_1) | instskip(SKIP_1) | instid1(VALU_DEP_1)
	v_fmac_f32_e32 v159, v134, v165
	s_waitcnt vmcnt(6)
	v_fmac_f32_e32 v159, v135, v166
	ds_load_b128 v[132:135], v2 offset:416
	s_waitcnt lgkmcnt(1)
	v_fmac_f32_e32 v159, v136, v128
	s_delay_alu instid0(VALU_DEP_1) | instskip(NEXT) | instid1(VALU_DEP_1)
	v_fmac_f32_e32 v159, v137, v129
	v_fmac_f32_e32 v159, v138, v130
	s_waitcnt vmcnt(5)
	s_delay_alu instid0(VALU_DEP_1) | instskip(SKIP_3) | instid1(VALU_DEP_1)
	v_fmac_f32_e32 v159, v139, v131
	ds_load_b128 v[128:131], v2 offset:432
	s_waitcnt lgkmcnt(1)
	v_fmac_f32_e32 v159, v140, v132
	v_fmac_f32_e32 v159, v141, v133
	s_delay_alu instid0(VALU_DEP_1) | instskip(SKIP_1) | instid1(VALU_DEP_1)
	v_fmac_f32_e32 v159, v142, v134
	s_waitcnt vmcnt(4)
	v_fmac_f32_e32 v159, v143, v135
	ds_load_b128 v[132:135], v2 offset:448
	s_waitcnt lgkmcnt(1)
	v_fmac_f32_e32 v159, v144, v128
	;; [unrolled: 17-line block ×3, first 2 shown]
	ds_load_b32 v128, v2 offset:496
	v_fmac_f32_e32 v159, v153, v129
	s_delay_alu instid0(VALU_DEP_1) | instskip(SKIP_1) | instid1(VALU_DEP_1)
	v_fmac_f32_e32 v159, v154, v130
	s_waitcnt vmcnt(1)
	v_fmac_f32_e32 v159, v155, v131
	s_waitcnt lgkmcnt(1)
	s_delay_alu instid0(VALU_DEP_1) | instskip(NEXT) | instid1(VALU_DEP_1)
	v_fmac_f32_e32 v159, v156, v132
	v_fmac_f32_e32 v159, v157, v133
	s_delay_alu instid0(VALU_DEP_1) | instskip(SKIP_1) | instid1(VALU_DEP_1)
	v_fmac_f32_e32 v159, v158, v134
	s_waitcnt vmcnt(0)
	v_fmac_f32_e32 v159, v3, v135
	s_waitcnt lgkmcnt(0)
	s_delay_alu instid0(VALU_DEP_1) | instskip(NEXT) | instid1(VALU_DEP_1)
	v_fmac_f32_e32 v159, v4, v128
	v_sub_f32_e32 v3, v127, v159
	scratch_store_b32 off, v3, off offset:108
	v_cmpx_lt_u32_e32 26, v0
	s_cbranch_execz .LBB124_321
; %bb.320:
	scratch_load_b32 v3, off, off offset:104
	scratch_store_b32 off, v2, off offset:104
	s_waitcnt vmcnt(0)
	ds_store_b32 v1, v3
.LBB124_321:
	s_or_b32 exec_lo, exec_lo, s0
	s_waitcnt lgkmcnt(0)
	s_waitcnt_vscnt null, 0x0
	s_barrier
	buffer_gl0_inv
	s_clause 0x8
	scratch_load_b128 v[127:130], off, off offset:104
	scratch_load_b128 v[131:134], off, off offset:120
	;; [unrolled: 1-line block ×8, first 2 shown]
	scratch_load_b96 v[159:161], off, off offset:232
	ds_load_2addr_b32 v[3:4], v2 offset0:91 offset1:92
	ds_load_2addr_b32 v[162:163], v2 offset0:93 offset1:94
	;; [unrolled: 1-line block ×4, first 2 shown]
	s_mov_b32 s0, exec_lo
	s_waitcnt vmcnt(8) lgkmcnt(3)
	v_fma_f32 v168, v128, v3, 0
	s_delay_alu instid0(VALU_DEP_1)
	v_fmac_f32_e32 v168, v129, v4
	ds_load_2addr_b32 v[3:4], v2 offset0:99 offset1:100
	ds_load_2addr_b32 v[128:129], v2 offset0:101 offset1:102
	s_waitcnt lgkmcnt(4)
	v_fmac_f32_e32 v168, v130, v162
	s_waitcnt vmcnt(7)
	s_delay_alu instid0(VALU_DEP_1) | instskip(SKIP_1) | instid1(VALU_DEP_1)
	v_fmac_f32_e32 v168, v131, v163
	s_waitcnt lgkmcnt(3)
	v_fmac_f32_e32 v168, v132, v164
	s_delay_alu instid0(VALU_DEP_1)
	v_fmac_f32_e32 v168, v133, v165
	ds_load_2addr_b32 v[130:131], v2 offset0:103 offset1:104
	ds_load_2addr_b32 v[132:133], v2 offset0:105 offset1:106
	s_waitcnt lgkmcnt(4)
	v_fmac_f32_e32 v168, v134, v166
	s_waitcnt vmcnt(6)
	s_delay_alu instid0(VALU_DEP_1) | instskip(SKIP_1) | instid1(VALU_DEP_1)
	v_fmac_f32_e32 v168, v135, v167
	s_waitcnt lgkmcnt(3)
	v_fmac_f32_e32 v168, v136, v3
	s_delay_alu instid0(VALU_DEP_1) | instskip(SKIP_4) | instid1(VALU_DEP_1)
	v_fmac_f32_e32 v168, v137, v4
	ds_load_2addr_b32 v[3:4], v2 offset0:107 offset1:108
	s_waitcnt lgkmcnt(3)
	v_fmac_f32_e32 v168, v138, v128
	s_waitcnt vmcnt(5)
	v_fmac_f32_e32 v168, v139, v129
	ds_load_2addr_b32 v[128:129], v2 offset0:109 offset1:110
	s_waitcnt lgkmcnt(3)
	v_fmac_f32_e32 v168, v140, v130
	s_delay_alu instid0(VALU_DEP_1) | instskip(SKIP_1) | instid1(VALU_DEP_1)
	v_fmac_f32_e32 v168, v141, v131
	s_waitcnt lgkmcnt(2)
	v_fmac_f32_e32 v168, v142, v132
	s_waitcnt vmcnt(4)
	s_delay_alu instid0(VALU_DEP_1) | instskip(SKIP_4) | instid1(VALU_DEP_1)
	v_fmac_f32_e32 v168, v143, v133
	ds_load_2addr_b32 v[130:131], v2 offset0:111 offset1:112
	ds_load_2addr_b32 v[132:133], v2 offset0:113 offset1:114
	s_waitcnt lgkmcnt(3)
	v_fmac_f32_e32 v168, v144, v3
	v_fmac_f32_e32 v168, v145, v4
	ds_load_2addr_b32 v[3:4], v2 offset0:115 offset1:116
	s_waitcnt lgkmcnt(3)
	v_fmac_f32_e32 v168, v146, v128
	s_waitcnt vmcnt(3)
	s_delay_alu instid0(VALU_DEP_1) | instskip(SKIP_3) | instid1(VALU_DEP_1)
	v_fmac_f32_e32 v168, v147, v129
	ds_load_2addr_b32 v[128:129], v2 offset0:117 offset1:118
	s_waitcnt lgkmcnt(3)
	v_fmac_f32_e32 v168, v148, v130
	v_fmac_f32_e32 v168, v149, v131
	s_waitcnt lgkmcnt(2)
	s_delay_alu instid0(VALU_DEP_1) | instskip(SKIP_1) | instid1(VALU_DEP_1)
	v_fmac_f32_e32 v168, v150, v132
	s_waitcnt vmcnt(2)
	v_fmac_f32_e32 v168, v151, v133
	ds_load_2addr_b32 v[130:131], v2 offset0:119 offset1:120
	ds_load_2addr_b32 v[132:133], v2 offset0:121 offset1:122
	s_waitcnt lgkmcnt(3)
	v_fmac_f32_e32 v168, v152, v3
	ds_load_2addr_b32 v[2:3], v2 offset0:123 offset1:124
	v_fmac_f32_e32 v168, v153, v4
	s_waitcnt lgkmcnt(3)
	s_delay_alu instid0(VALU_DEP_1) | instskip(SKIP_1) | instid1(VALU_DEP_1)
	v_fmac_f32_e32 v168, v154, v128
	s_waitcnt vmcnt(1)
	v_fmac_f32_e32 v168, v155, v129
	s_waitcnt lgkmcnt(2)
	s_delay_alu instid0(VALU_DEP_1) | instskip(NEXT) | instid1(VALU_DEP_1)
	v_fmac_f32_e32 v168, v156, v130
	v_fmac_f32_e32 v168, v157, v131
	s_waitcnt lgkmcnt(1)
	s_delay_alu instid0(VALU_DEP_1) | instskip(SKIP_1) | instid1(VALU_DEP_1)
	v_fmac_f32_e32 v168, v158, v132
	s_waitcnt vmcnt(0)
	v_fmac_f32_e32 v168, v159, v133
	s_waitcnt lgkmcnt(0)
	s_delay_alu instid0(VALU_DEP_1) | instskip(NEXT) | instid1(VALU_DEP_1)
	v_fmac_f32_e32 v168, v160, v2
	v_fmac_f32_e32 v168, v161, v3
	s_delay_alu instid0(VALU_DEP_1)
	v_sub_f32_e32 v2, v127, v168
	scratch_store_b32 off, v2, off offset:104
	v_cmpx_lt_u32_e32 25, v0
	s_cbranch_execz .LBB124_323
; %bb.322:
	scratch_load_b32 v2, off, off offset:100
	v_mov_b32_e32 v3, 0
	scratch_store_b32 off, v3, off offset:100
	s_waitcnt vmcnt(0)
	ds_store_b32 v1, v2
.LBB124_323:
	s_or_b32 exec_lo, exec_lo, s0
	s_waitcnt lgkmcnt(0)
	s_waitcnt_vscnt null, 0x0
	s_barrier
	buffer_gl0_inv
	s_clause 0x8
	scratch_load_b128 v[127:130], off, off offset:100
	scratch_load_b128 v[131:134], off, off offset:116
	;; [unrolled: 1-line block ×9, first 2 shown]
	v_mov_b32_e32 v2, 0
	ds_load_2addr_b64 v[163:166], v2 offset0:45 offset1:46
	ds_load_2addr_b64 v[167:170], v2 offset0:47 offset1:48
	s_mov_b32 s0, exec_lo
	s_waitcnt vmcnt(8) lgkmcnt(1)
	v_fma_f32 v163, v128, v163, 0
	s_delay_alu instid0(VALU_DEP_1) | instskip(SKIP_3) | instid1(VALU_DEP_1)
	v_fmac_f32_e32 v163, v129, v164
	ds_load_b64 v[3:4], v2 offset:488
	v_fmac_f32_e32 v163, v130, v165
	s_waitcnt vmcnt(7)
	v_fmac_f32_e32 v163, v131, v166
	ds_load_2addr_b64 v[128:131], v2 offset0:49 offset1:50
	s_waitcnt lgkmcnt(2)
	v_fmac_f32_e32 v163, v132, v167
	s_delay_alu instid0(VALU_DEP_1) | instskip(NEXT) | instid1(VALU_DEP_1)
	v_fmac_f32_e32 v163, v133, v168
	v_fmac_f32_e32 v163, v134, v169
	s_waitcnt vmcnt(6)
	s_delay_alu instid0(VALU_DEP_1) | instskip(SKIP_3) | instid1(VALU_DEP_1)
	v_fmac_f32_e32 v163, v135, v170
	ds_load_2addr_b64 v[132:135], v2 offset0:51 offset1:52
	s_waitcnt lgkmcnt(1)
	v_fmac_f32_e32 v163, v136, v128
	v_fmac_f32_e32 v163, v137, v129
	s_delay_alu instid0(VALU_DEP_1) | instskip(SKIP_1) | instid1(VALU_DEP_1)
	v_fmac_f32_e32 v163, v138, v130
	s_waitcnt vmcnt(5)
	v_fmac_f32_e32 v163, v139, v131
	ds_load_2addr_b64 v[128:131], v2 offset0:53 offset1:54
	s_waitcnt lgkmcnt(1)
	v_fmac_f32_e32 v163, v140, v132
	s_delay_alu instid0(VALU_DEP_1) | instskip(NEXT) | instid1(VALU_DEP_1)
	v_fmac_f32_e32 v163, v141, v133
	v_fmac_f32_e32 v163, v142, v134
	s_waitcnt vmcnt(4)
	s_delay_alu instid0(VALU_DEP_1) | instskip(SKIP_3) | instid1(VALU_DEP_1)
	v_fmac_f32_e32 v163, v143, v135
	ds_load_2addr_b64 v[132:135], v2 offset0:55 offset1:56
	s_waitcnt lgkmcnt(1)
	v_fmac_f32_e32 v163, v144, v128
	v_fmac_f32_e32 v163, v145, v129
	s_delay_alu instid0(VALU_DEP_1) | instskip(SKIP_1) | instid1(VALU_DEP_1)
	v_fmac_f32_e32 v163, v146, v130
	s_waitcnt vmcnt(3)
	v_fmac_f32_e32 v163, v147, v131
	ds_load_2addr_b64 v[128:131], v2 offset0:57 offset1:58
	s_waitcnt lgkmcnt(1)
	v_fmac_f32_e32 v163, v148, v132
	s_delay_alu instid0(VALU_DEP_1) | instskip(NEXT) | instid1(VALU_DEP_1)
	v_fmac_f32_e32 v163, v149, v133
	v_fmac_f32_e32 v163, v150, v134
	s_waitcnt vmcnt(2)
	s_delay_alu instid0(VALU_DEP_1)
	v_fmac_f32_e32 v163, v151, v135
	ds_load_2addr_b64 v[132:135], v2 offset0:59 offset1:60
	s_waitcnt lgkmcnt(1)
	v_fmac_f32_e32 v163, v152, v128
	ds_load_b32 v128, v2 offset:496
	v_fmac_f32_e32 v163, v153, v129
	s_delay_alu instid0(VALU_DEP_1) | instskip(SKIP_1) | instid1(VALU_DEP_1)
	v_fmac_f32_e32 v163, v154, v130
	s_waitcnt vmcnt(1)
	v_fmac_f32_e32 v163, v155, v131
	s_waitcnt lgkmcnt(1)
	s_delay_alu instid0(VALU_DEP_1) | instskip(NEXT) | instid1(VALU_DEP_1)
	v_fmac_f32_e32 v163, v156, v132
	v_fmac_f32_e32 v163, v157, v133
	s_delay_alu instid0(VALU_DEP_1) | instskip(SKIP_1) | instid1(VALU_DEP_1)
	v_fmac_f32_e32 v163, v158, v134
	s_waitcnt vmcnt(0)
	v_fmac_f32_e32 v163, v159, v135
	s_delay_alu instid0(VALU_DEP_1) | instskip(NEXT) | instid1(VALU_DEP_1)
	v_fmac_f32_e32 v163, v160, v3
	v_fmac_f32_e32 v163, v161, v4
	s_waitcnt lgkmcnt(0)
	s_delay_alu instid0(VALU_DEP_1) | instskip(NEXT) | instid1(VALU_DEP_1)
	v_fmac_f32_e32 v163, v162, v128
	v_sub_f32_e32 v3, v127, v163
	scratch_store_b32 off, v3, off offset:100
	v_cmpx_lt_u32_e32 24, v0
	s_cbranch_execz .LBB124_325
; %bb.324:
	scratch_load_b32 v3, off, off offset:96
	scratch_store_b32 off, v2, off offset:96
	s_waitcnt vmcnt(0)
	ds_store_b32 v1, v3
.LBB124_325:
	s_or_b32 exec_lo, exec_lo, s0
	s_waitcnt lgkmcnt(0)
	s_waitcnt_vscnt null, 0x0
	s_barrier
	buffer_gl0_inv
	s_clause 0x9
	scratch_load_b128 v[127:130], off, off offset:96
	scratch_load_b128 v[131:134], off, off offset:112
	;; [unrolled: 1-line block ×9, first 2 shown]
	scratch_load_b32 v169, off, off offset:240
	ds_load_2addr_b32 v[3:4], v2 offset0:89 offset1:90
	ds_load_2addr_b32 v[163:164], v2 offset0:91 offset1:92
	;; [unrolled: 1-line block ×4, first 2 shown]
	s_mov_b32 s0, exec_lo
	s_waitcnt vmcnt(9) lgkmcnt(3)
	v_fma_f32 v170, v128, v3, 0
	s_delay_alu instid0(VALU_DEP_1)
	v_fmac_f32_e32 v170, v129, v4
	ds_load_2addr_b32 v[3:4], v2 offset0:97 offset1:98
	ds_load_2addr_b32 v[128:129], v2 offset0:99 offset1:100
	s_waitcnt lgkmcnt(4)
	v_fmac_f32_e32 v170, v130, v163
	s_waitcnt vmcnt(8)
	s_delay_alu instid0(VALU_DEP_1) | instskip(SKIP_1) | instid1(VALU_DEP_1)
	v_fmac_f32_e32 v170, v131, v164
	s_waitcnt lgkmcnt(3)
	v_fmac_f32_e32 v170, v132, v165
	s_delay_alu instid0(VALU_DEP_1)
	v_fmac_f32_e32 v170, v133, v166
	ds_load_2addr_b32 v[130:131], v2 offset0:101 offset1:102
	ds_load_2addr_b32 v[132:133], v2 offset0:103 offset1:104
	s_waitcnt lgkmcnt(4)
	v_fmac_f32_e32 v170, v134, v167
	s_waitcnt vmcnt(7)
	s_delay_alu instid0(VALU_DEP_1) | instskip(SKIP_1) | instid1(VALU_DEP_1)
	v_fmac_f32_e32 v170, v135, v168
	s_waitcnt lgkmcnt(3)
	v_fmac_f32_e32 v170, v136, v3
	s_delay_alu instid0(VALU_DEP_1) | instskip(SKIP_4) | instid1(VALU_DEP_1)
	v_fmac_f32_e32 v170, v137, v4
	ds_load_2addr_b32 v[3:4], v2 offset0:105 offset1:106
	s_waitcnt lgkmcnt(3)
	v_fmac_f32_e32 v170, v138, v128
	s_waitcnt vmcnt(6)
	v_fmac_f32_e32 v170, v139, v129
	ds_load_2addr_b32 v[128:129], v2 offset0:107 offset1:108
	s_waitcnt lgkmcnt(3)
	v_fmac_f32_e32 v170, v140, v130
	s_delay_alu instid0(VALU_DEP_1) | instskip(SKIP_1) | instid1(VALU_DEP_1)
	v_fmac_f32_e32 v170, v141, v131
	s_waitcnt lgkmcnt(2)
	v_fmac_f32_e32 v170, v142, v132
	s_waitcnt vmcnt(5)
	s_delay_alu instid0(VALU_DEP_1) | instskip(SKIP_4) | instid1(VALU_DEP_1)
	v_fmac_f32_e32 v170, v143, v133
	ds_load_2addr_b32 v[130:131], v2 offset0:109 offset1:110
	ds_load_2addr_b32 v[132:133], v2 offset0:111 offset1:112
	s_waitcnt lgkmcnt(3)
	v_fmac_f32_e32 v170, v144, v3
	v_fmac_f32_e32 v170, v145, v4
	ds_load_2addr_b32 v[3:4], v2 offset0:113 offset1:114
	s_waitcnt lgkmcnt(3)
	v_fmac_f32_e32 v170, v146, v128
	s_waitcnt vmcnt(4)
	s_delay_alu instid0(VALU_DEP_1) | instskip(SKIP_3) | instid1(VALU_DEP_1)
	v_fmac_f32_e32 v170, v147, v129
	ds_load_2addr_b32 v[128:129], v2 offset0:115 offset1:116
	s_waitcnt lgkmcnt(3)
	v_fmac_f32_e32 v170, v148, v130
	v_fmac_f32_e32 v170, v149, v131
	s_waitcnt lgkmcnt(2)
	s_delay_alu instid0(VALU_DEP_1) | instskip(SKIP_1) | instid1(VALU_DEP_1)
	v_fmac_f32_e32 v170, v150, v132
	s_waitcnt vmcnt(3)
	v_fmac_f32_e32 v170, v151, v133
	ds_load_2addr_b32 v[130:131], v2 offset0:117 offset1:118
	ds_load_2addr_b32 v[132:133], v2 offset0:119 offset1:120
	s_waitcnt lgkmcnt(3)
	v_fmac_f32_e32 v170, v152, v3
	s_delay_alu instid0(VALU_DEP_1) | instskip(SKIP_4) | instid1(VALU_DEP_1)
	v_fmac_f32_e32 v170, v153, v4
	ds_load_2addr_b32 v[3:4], v2 offset0:121 offset1:122
	s_waitcnt lgkmcnt(3)
	v_fmac_f32_e32 v170, v154, v128
	s_waitcnt vmcnt(2)
	v_fmac_f32_e32 v170, v155, v129
	ds_load_2addr_b32 v[128:129], v2 offset0:123 offset1:124
	s_waitcnt lgkmcnt(3)
	v_fmac_f32_e32 v170, v156, v130
	s_delay_alu instid0(VALU_DEP_1) | instskip(SKIP_1) | instid1(VALU_DEP_1)
	v_fmac_f32_e32 v170, v157, v131
	s_waitcnt lgkmcnt(2)
	v_fmac_f32_e32 v170, v158, v132
	s_waitcnt vmcnt(1)
	s_delay_alu instid0(VALU_DEP_1) | instskip(SKIP_1) | instid1(VALU_DEP_1)
	v_fmac_f32_e32 v170, v159, v133
	s_waitcnt lgkmcnt(1)
	v_fmac_f32_e32 v170, v160, v3
	s_delay_alu instid0(VALU_DEP_1) | instskip(SKIP_1) | instid1(VALU_DEP_1)
	v_fmac_f32_e32 v170, v161, v4
	s_waitcnt lgkmcnt(0)
	v_fmac_f32_e32 v170, v162, v128
	s_waitcnt vmcnt(0)
	s_delay_alu instid0(VALU_DEP_1) | instskip(NEXT) | instid1(VALU_DEP_1)
	v_fmac_f32_e32 v170, v169, v129
	v_sub_f32_e32 v2, v127, v170
	scratch_store_b32 off, v2, off offset:96
	v_cmpx_lt_u32_e32 23, v0
	s_cbranch_execz .LBB124_327
; %bb.326:
	scratch_load_b32 v2, off, off offset:92
	v_mov_b32_e32 v3, 0
	scratch_store_b32 off, v3, off offset:92
	s_waitcnt vmcnt(0)
	ds_store_b32 v1, v2
.LBB124_327:
	s_or_b32 exec_lo, exec_lo, s0
	s_waitcnt lgkmcnt(0)
	s_waitcnt_vscnt null, 0x0
	s_barrier
	buffer_gl0_inv
	s_clause 0x9
	scratch_load_b128 v[127:130], off, off offset:92
	scratch_load_b128 v[131:134], off, off offset:108
	;; [unrolled: 1-line block ×9, first 2 shown]
	scratch_load_b64 v[3:4], off, off offset:236
	v_mov_b32_e32 v2, 0
	ds_load_b128 v[163:166], v2 offset:352
	ds_load_b128 v[167:170], v2 offset:368
	s_mov_b32 s0, exec_lo
	s_waitcnt vmcnt(9) lgkmcnt(1)
	v_fma_f32 v163, v128, v163, 0
	s_delay_alu instid0(VALU_DEP_1) | instskip(NEXT) | instid1(VALU_DEP_1)
	v_fmac_f32_e32 v163, v129, v164
	v_fmac_f32_e32 v163, v130, v165
	s_waitcnt vmcnt(8)
	s_delay_alu instid0(VALU_DEP_1) | instskip(SKIP_3) | instid1(VALU_DEP_1)
	v_fmac_f32_e32 v163, v131, v166
	ds_load_b128 v[128:131], v2 offset:384
	s_waitcnt lgkmcnt(1)
	v_fmac_f32_e32 v163, v132, v167
	v_fmac_f32_e32 v163, v133, v168
	s_delay_alu instid0(VALU_DEP_1) | instskip(SKIP_1) | instid1(VALU_DEP_1)
	v_fmac_f32_e32 v163, v134, v169
	s_waitcnt vmcnt(7)
	v_fmac_f32_e32 v163, v135, v170
	ds_load_b128 v[132:135], v2 offset:400
	s_waitcnt lgkmcnt(1)
	v_fmac_f32_e32 v163, v136, v128
	s_delay_alu instid0(VALU_DEP_1) | instskip(NEXT) | instid1(VALU_DEP_1)
	v_fmac_f32_e32 v163, v137, v129
	v_fmac_f32_e32 v163, v138, v130
	s_waitcnt vmcnt(6)
	s_delay_alu instid0(VALU_DEP_1) | instskip(SKIP_3) | instid1(VALU_DEP_1)
	v_fmac_f32_e32 v163, v139, v131
	ds_load_b128 v[128:131], v2 offset:416
	s_waitcnt lgkmcnt(1)
	v_fmac_f32_e32 v163, v140, v132
	v_fmac_f32_e32 v163, v141, v133
	s_delay_alu instid0(VALU_DEP_1) | instskip(SKIP_1) | instid1(VALU_DEP_1)
	v_fmac_f32_e32 v163, v142, v134
	s_waitcnt vmcnt(5)
	v_fmac_f32_e32 v163, v143, v135
	ds_load_b128 v[132:135], v2 offset:432
	s_waitcnt lgkmcnt(1)
	v_fmac_f32_e32 v163, v144, v128
	;; [unrolled: 17-line block ×3, first 2 shown]
	s_delay_alu instid0(VALU_DEP_1) | instskip(NEXT) | instid1(VALU_DEP_1)
	v_fmac_f32_e32 v163, v153, v129
	v_fmac_f32_e32 v163, v154, v130
	s_waitcnt vmcnt(2)
	s_delay_alu instid0(VALU_DEP_1)
	v_fmac_f32_e32 v163, v155, v131
	ds_load_b128 v[128:131], v2 offset:480
	s_waitcnt lgkmcnt(1)
	v_fmac_f32_e32 v163, v156, v132
	ds_load_b32 v132, v2 offset:496
	v_fmac_f32_e32 v163, v157, v133
	s_delay_alu instid0(VALU_DEP_1) | instskip(SKIP_1) | instid1(VALU_DEP_1)
	v_fmac_f32_e32 v163, v158, v134
	s_waitcnt vmcnt(1)
	v_fmac_f32_e32 v163, v159, v135
	s_waitcnt lgkmcnt(1)
	s_delay_alu instid0(VALU_DEP_1) | instskip(NEXT) | instid1(VALU_DEP_1)
	v_fmac_f32_e32 v163, v160, v128
	v_fmac_f32_e32 v163, v161, v129
	s_delay_alu instid0(VALU_DEP_1) | instskip(SKIP_1) | instid1(VALU_DEP_1)
	v_fmac_f32_e32 v163, v162, v130
	s_waitcnt vmcnt(0)
	v_fmac_f32_e32 v163, v3, v131
	s_waitcnt lgkmcnt(0)
	s_delay_alu instid0(VALU_DEP_1) | instskip(NEXT) | instid1(VALU_DEP_1)
	v_fmac_f32_e32 v163, v4, v132
	v_sub_f32_e32 v3, v127, v163
	scratch_store_b32 off, v3, off offset:92
	v_cmpx_lt_u32_e32 22, v0
	s_cbranch_execz .LBB124_329
; %bb.328:
	scratch_load_b32 v3, off, off offset:88
	scratch_store_b32 off, v2, off offset:88
	s_waitcnt vmcnt(0)
	ds_store_b32 v1, v3
.LBB124_329:
	s_or_b32 exec_lo, exec_lo, s0
	s_waitcnt lgkmcnt(0)
	s_waitcnt_vscnt null, 0x0
	s_barrier
	buffer_gl0_inv
	s_clause 0x9
	scratch_load_b128 v[127:130], off, off offset:88
	scratch_load_b128 v[131:134], off, off offset:104
	;; [unrolled: 1-line block ×9, first 2 shown]
	scratch_load_b96 v[163:165], off, off offset:232
	ds_load_2addr_b32 v[3:4], v2 offset0:87 offset1:88
	ds_load_2addr_b32 v[166:167], v2 offset0:89 offset1:90
	;; [unrolled: 1-line block ×4, first 2 shown]
	s_mov_b32 s0, exec_lo
	s_waitcnt vmcnt(9) lgkmcnt(3)
	v_fma_f32 v172, v128, v3, 0
	s_delay_alu instid0(VALU_DEP_1)
	v_fmac_f32_e32 v172, v129, v4
	ds_load_2addr_b32 v[3:4], v2 offset0:95 offset1:96
	ds_load_2addr_b32 v[128:129], v2 offset0:97 offset1:98
	s_waitcnt lgkmcnt(4)
	v_fmac_f32_e32 v172, v130, v166
	s_waitcnt vmcnt(8)
	s_delay_alu instid0(VALU_DEP_1) | instskip(SKIP_1) | instid1(VALU_DEP_1)
	v_fmac_f32_e32 v172, v131, v167
	s_waitcnt lgkmcnt(3)
	v_fmac_f32_e32 v172, v132, v168
	s_delay_alu instid0(VALU_DEP_1)
	v_fmac_f32_e32 v172, v133, v169
	ds_load_2addr_b32 v[130:131], v2 offset0:99 offset1:100
	ds_load_2addr_b32 v[132:133], v2 offset0:101 offset1:102
	s_waitcnt lgkmcnt(4)
	v_fmac_f32_e32 v172, v134, v170
	s_waitcnt vmcnt(7)
	s_delay_alu instid0(VALU_DEP_1) | instskip(SKIP_1) | instid1(VALU_DEP_1)
	v_fmac_f32_e32 v172, v135, v171
	s_waitcnt lgkmcnt(3)
	v_fmac_f32_e32 v172, v136, v3
	s_delay_alu instid0(VALU_DEP_1) | instskip(SKIP_4) | instid1(VALU_DEP_1)
	v_fmac_f32_e32 v172, v137, v4
	ds_load_2addr_b32 v[3:4], v2 offset0:103 offset1:104
	s_waitcnt lgkmcnt(3)
	v_fmac_f32_e32 v172, v138, v128
	s_waitcnt vmcnt(6)
	v_fmac_f32_e32 v172, v139, v129
	ds_load_2addr_b32 v[128:129], v2 offset0:105 offset1:106
	s_waitcnt lgkmcnt(3)
	v_fmac_f32_e32 v172, v140, v130
	s_delay_alu instid0(VALU_DEP_1) | instskip(SKIP_1) | instid1(VALU_DEP_1)
	v_fmac_f32_e32 v172, v141, v131
	s_waitcnt lgkmcnt(2)
	v_fmac_f32_e32 v172, v142, v132
	s_waitcnt vmcnt(5)
	s_delay_alu instid0(VALU_DEP_1) | instskip(SKIP_4) | instid1(VALU_DEP_1)
	v_fmac_f32_e32 v172, v143, v133
	ds_load_2addr_b32 v[130:131], v2 offset0:107 offset1:108
	ds_load_2addr_b32 v[132:133], v2 offset0:109 offset1:110
	s_waitcnt lgkmcnt(3)
	v_fmac_f32_e32 v172, v144, v3
	v_fmac_f32_e32 v172, v145, v4
	ds_load_2addr_b32 v[3:4], v2 offset0:111 offset1:112
	s_waitcnt lgkmcnt(3)
	v_fmac_f32_e32 v172, v146, v128
	s_waitcnt vmcnt(4)
	s_delay_alu instid0(VALU_DEP_1) | instskip(SKIP_3) | instid1(VALU_DEP_1)
	v_fmac_f32_e32 v172, v147, v129
	ds_load_2addr_b32 v[128:129], v2 offset0:113 offset1:114
	s_waitcnt lgkmcnt(3)
	v_fmac_f32_e32 v172, v148, v130
	v_fmac_f32_e32 v172, v149, v131
	s_waitcnt lgkmcnt(2)
	s_delay_alu instid0(VALU_DEP_1) | instskip(SKIP_1) | instid1(VALU_DEP_1)
	v_fmac_f32_e32 v172, v150, v132
	s_waitcnt vmcnt(3)
	v_fmac_f32_e32 v172, v151, v133
	ds_load_2addr_b32 v[130:131], v2 offset0:115 offset1:116
	ds_load_2addr_b32 v[132:133], v2 offset0:117 offset1:118
	s_waitcnt lgkmcnt(3)
	v_fmac_f32_e32 v172, v152, v3
	s_delay_alu instid0(VALU_DEP_1) | instskip(SKIP_4) | instid1(VALU_DEP_1)
	v_fmac_f32_e32 v172, v153, v4
	ds_load_2addr_b32 v[3:4], v2 offset0:119 offset1:120
	s_waitcnt lgkmcnt(3)
	v_fmac_f32_e32 v172, v154, v128
	s_waitcnt vmcnt(2)
	v_fmac_f32_e32 v172, v155, v129
	ds_load_2addr_b32 v[128:129], v2 offset0:121 offset1:122
	s_waitcnt lgkmcnt(3)
	v_fmac_f32_e32 v172, v156, v130
	s_delay_alu instid0(VALU_DEP_1) | instskip(SKIP_4) | instid1(VALU_DEP_1)
	v_fmac_f32_e32 v172, v157, v131
	ds_load_2addr_b32 v[130:131], v2 offset0:123 offset1:124
	s_waitcnt lgkmcnt(3)
	v_fmac_f32_e32 v172, v158, v132
	s_waitcnt vmcnt(1)
	v_fmac_f32_e32 v172, v159, v133
	s_waitcnt lgkmcnt(2)
	s_delay_alu instid0(VALU_DEP_1) | instskip(NEXT) | instid1(VALU_DEP_1)
	v_fmac_f32_e32 v172, v160, v3
	v_fmac_f32_e32 v172, v161, v4
	s_waitcnt lgkmcnt(1)
	s_delay_alu instid0(VALU_DEP_1) | instskip(SKIP_1) | instid1(VALU_DEP_1)
	v_fmac_f32_e32 v172, v162, v128
	s_waitcnt vmcnt(0)
	v_fmac_f32_e32 v172, v163, v129
	s_waitcnt lgkmcnt(0)
	s_delay_alu instid0(VALU_DEP_1) | instskip(NEXT) | instid1(VALU_DEP_1)
	v_fmac_f32_e32 v172, v164, v130
	v_fmac_f32_e32 v172, v165, v131
	s_delay_alu instid0(VALU_DEP_1)
	v_sub_f32_e32 v2, v127, v172
	scratch_store_b32 off, v2, off offset:88
	v_cmpx_lt_u32_e32 21, v0
	s_cbranch_execz .LBB124_331
; %bb.330:
	scratch_load_b32 v2, off, off offset:84
	v_mov_b32_e32 v3, 0
	scratch_store_b32 off, v3, off offset:84
	s_waitcnt vmcnt(0)
	ds_store_b32 v1, v2
.LBB124_331:
	s_or_b32 exec_lo, exec_lo, s0
	s_waitcnt lgkmcnt(0)
	s_waitcnt_vscnt null, 0x0
	s_barrier
	buffer_gl0_inv
	s_clause 0x9
	scratch_load_b128 v[127:130], off, off offset:84
	scratch_load_b128 v[131:134], off, off offset:100
	;; [unrolled: 1-line block ×10, first 2 shown]
	v_mov_b32_e32 v2, 0
	ds_load_2addr_b64 v[167:170], v2 offset0:43 offset1:44
	ds_load_2addr_b64 v[171:174], v2 offset0:45 offset1:46
	s_mov_b32 s0, exec_lo
	s_waitcnt vmcnt(9) lgkmcnt(1)
	v_fma_f32 v167, v128, v167, 0
	s_delay_alu instid0(VALU_DEP_1) | instskip(SKIP_3) | instid1(VALU_DEP_1)
	v_fmac_f32_e32 v167, v129, v168
	ds_load_b64 v[3:4], v2 offset:488
	v_fmac_f32_e32 v167, v130, v169
	s_waitcnt vmcnt(8)
	v_fmac_f32_e32 v167, v131, v170
	ds_load_2addr_b64 v[128:131], v2 offset0:47 offset1:48
	s_waitcnt lgkmcnt(2)
	v_fmac_f32_e32 v167, v132, v171
	s_delay_alu instid0(VALU_DEP_1) | instskip(NEXT) | instid1(VALU_DEP_1)
	v_fmac_f32_e32 v167, v133, v172
	v_fmac_f32_e32 v167, v134, v173
	s_waitcnt vmcnt(7)
	s_delay_alu instid0(VALU_DEP_1) | instskip(SKIP_3) | instid1(VALU_DEP_1)
	v_fmac_f32_e32 v167, v135, v174
	ds_load_2addr_b64 v[132:135], v2 offset0:49 offset1:50
	s_waitcnt lgkmcnt(1)
	v_fmac_f32_e32 v167, v136, v128
	v_fmac_f32_e32 v167, v137, v129
	s_delay_alu instid0(VALU_DEP_1) | instskip(SKIP_1) | instid1(VALU_DEP_1)
	v_fmac_f32_e32 v167, v138, v130
	s_waitcnt vmcnt(6)
	v_fmac_f32_e32 v167, v139, v131
	ds_load_2addr_b64 v[128:131], v2 offset0:51 offset1:52
	s_waitcnt lgkmcnt(1)
	v_fmac_f32_e32 v167, v140, v132
	s_delay_alu instid0(VALU_DEP_1) | instskip(NEXT) | instid1(VALU_DEP_1)
	v_fmac_f32_e32 v167, v141, v133
	v_fmac_f32_e32 v167, v142, v134
	s_waitcnt vmcnt(5)
	s_delay_alu instid0(VALU_DEP_1) | instskip(SKIP_3) | instid1(VALU_DEP_1)
	v_fmac_f32_e32 v167, v143, v135
	ds_load_2addr_b64 v[132:135], v2 offset0:53 offset1:54
	s_waitcnt lgkmcnt(1)
	v_fmac_f32_e32 v167, v144, v128
	v_fmac_f32_e32 v167, v145, v129
	s_delay_alu instid0(VALU_DEP_1) | instskip(SKIP_1) | instid1(VALU_DEP_1)
	;; [unrolled: 17-line block ×3, first 2 shown]
	v_fmac_f32_e32 v167, v154, v130
	s_waitcnt vmcnt(2)
	v_fmac_f32_e32 v167, v155, v131
	ds_load_2addr_b64 v[128:131], v2 offset0:59 offset1:60
	s_waitcnt lgkmcnt(1)
	v_fmac_f32_e32 v167, v156, v132
	s_delay_alu instid0(VALU_DEP_1) | instskip(NEXT) | instid1(VALU_DEP_1)
	v_fmac_f32_e32 v167, v157, v133
	v_fmac_f32_e32 v167, v158, v134
	s_waitcnt vmcnt(1)
	s_delay_alu instid0(VALU_DEP_1) | instskip(SKIP_1) | instid1(VALU_DEP_1)
	v_fmac_f32_e32 v167, v159, v135
	s_waitcnt lgkmcnt(0)
	v_fmac_f32_e32 v167, v160, v128
	ds_load_b32 v128, v2 offset:496
	v_fmac_f32_e32 v167, v161, v129
	s_delay_alu instid0(VALU_DEP_1) | instskip(SKIP_1) | instid1(VALU_DEP_1)
	v_fmac_f32_e32 v167, v162, v130
	s_waitcnt vmcnt(0)
	v_fmac_f32_e32 v167, v163, v131
	s_delay_alu instid0(VALU_DEP_1) | instskip(NEXT) | instid1(VALU_DEP_1)
	v_fmac_f32_e32 v167, v164, v3
	v_fmac_f32_e32 v167, v165, v4
	s_waitcnt lgkmcnt(0)
	s_delay_alu instid0(VALU_DEP_1) | instskip(NEXT) | instid1(VALU_DEP_1)
	v_fmac_f32_e32 v167, v166, v128
	v_sub_f32_e32 v3, v127, v167
	scratch_store_b32 off, v3, off offset:84
	v_cmpx_lt_u32_e32 20, v0
	s_cbranch_execz .LBB124_333
; %bb.332:
	scratch_load_b32 v3, off, off offset:80
	scratch_store_b32 off, v2, off offset:80
	s_waitcnt vmcnt(0)
	ds_store_b32 v1, v3
.LBB124_333:
	s_or_b32 exec_lo, exec_lo, s0
	s_waitcnt lgkmcnt(0)
	s_waitcnt_vscnt null, 0x0
	s_barrier
	buffer_gl0_inv
	s_clause 0xa
	scratch_load_b128 v[127:130], off, off offset:80
	scratch_load_b128 v[131:134], off, off offset:96
	scratch_load_b128 v[135:138], off, off offset:112
	scratch_load_b128 v[139:142], off, off offset:128
	scratch_load_b128 v[143:146], off, off offset:144
	scratch_load_b128 v[147:150], off, off offset:160
	scratch_load_b128 v[151:154], off, off offset:176
	scratch_load_b128 v[155:158], off, off offset:192
	scratch_load_b128 v[159:162], off, off offset:208
	scratch_load_b128 v[163:166], off, off offset:224
	scratch_load_b32 v173, off, off offset:240
	ds_load_2addr_b32 v[3:4], v2 offset0:85 offset1:86
	ds_load_2addr_b32 v[167:168], v2 offset0:87 offset1:88
	;; [unrolled: 1-line block ×4, first 2 shown]
	s_mov_b32 s0, exec_lo
	s_waitcnt vmcnt(10) lgkmcnt(3)
	v_fma_f32 v174, v128, v3, 0
	s_delay_alu instid0(VALU_DEP_1)
	v_fmac_f32_e32 v174, v129, v4
	ds_load_2addr_b32 v[3:4], v2 offset0:93 offset1:94
	ds_load_2addr_b32 v[128:129], v2 offset0:95 offset1:96
	s_waitcnt lgkmcnt(4)
	v_fmac_f32_e32 v174, v130, v167
	s_waitcnt vmcnt(9)
	s_delay_alu instid0(VALU_DEP_1) | instskip(SKIP_1) | instid1(VALU_DEP_1)
	v_fmac_f32_e32 v174, v131, v168
	s_waitcnt lgkmcnt(3)
	v_fmac_f32_e32 v174, v132, v169
	s_delay_alu instid0(VALU_DEP_1)
	v_fmac_f32_e32 v174, v133, v170
	ds_load_2addr_b32 v[130:131], v2 offset0:97 offset1:98
	ds_load_2addr_b32 v[132:133], v2 offset0:99 offset1:100
	s_waitcnt lgkmcnt(4)
	v_fmac_f32_e32 v174, v134, v171
	s_waitcnt vmcnt(8)
	s_delay_alu instid0(VALU_DEP_1) | instskip(SKIP_1) | instid1(VALU_DEP_1)
	v_fmac_f32_e32 v174, v135, v172
	s_waitcnt lgkmcnt(3)
	v_fmac_f32_e32 v174, v136, v3
	s_delay_alu instid0(VALU_DEP_1) | instskip(SKIP_4) | instid1(VALU_DEP_1)
	v_fmac_f32_e32 v174, v137, v4
	ds_load_2addr_b32 v[3:4], v2 offset0:101 offset1:102
	s_waitcnt lgkmcnt(3)
	v_fmac_f32_e32 v174, v138, v128
	s_waitcnt vmcnt(7)
	v_fmac_f32_e32 v174, v139, v129
	ds_load_2addr_b32 v[128:129], v2 offset0:103 offset1:104
	s_waitcnt lgkmcnt(3)
	v_fmac_f32_e32 v174, v140, v130
	s_delay_alu instid0(VALU_DEP_1) | instskip(SKIP_1) | instid1(VALU_DEP_1)
	v_fmac_f32_e32 v174, v141, v131
	s_waitcnt lgkmcnt(2)
	v_fmac_f32_e32 v174, v142, v132
	s_waitcnt vmcnt(6)
	s_delay_alu instid0(VALU_DEP_1) | instskip(SKIP_4) | instid1(VALU_DEP_1)
	v_fmac_f32_e32 v174, v143, v133
	ds_load_2addr_b32 v[130:131], v2 offset0:105 offset1:106
	ds_load_2addr_b32 v[132:133], v2 offset0:107 offset1:108
	s_waitcnt lgkmcnt(3)
	v_fmac_f32_e32 v174, v144, v3
	v_fmac_f32_e32 v174, v145, v4
	ds_load_2addr_b32 v[3:4], v2 offset0:109 offset1:110
	s_waitcnt lgkmcnt(3)
	v_fmac_f32_e32 v174, v146, v128
	s_waitcnt vmcnt(5)
	s_delay_alu instid0(VALU_DEP_1) | instskip(SKIP_3) | instid1(VALU_DEP_1)
	v_fmac_f32_e32 v174, v147, v129
	ds_load_2addr_b32 v[128:129], v2 offset0:111 offset1:112
	s_waitcnt lgkmcnt(3)
	v_fmac_f32_e32 v174, v148, v130
	v_fmac_f32_e32 v174, v149, v131
	s_waitcnt lgkmcnt(2)
	s_delay_alu instid0(VALU_DEP_1) | instskip(SKIP_1) | instid1(VALU_DEP_1)
	v_fmac_f32_e32 v174, v150, v132
	s_waitcnt vmcnt(4)
	v_fmac_f32_e32 v174, v151, v133
	ds_load_2addr_b32 v[130:131], v2 offset0:113 offset1:114
	ds_load_2addr_b32 v[132:133], v2 offset0:115 offset1:116
	s_waitcnt lgkmcnt(3)
	v_fmac_f32_e32 v174, v152, v3
	s_delay_alu instid0(VALU_DEP_1) | instskip(SKIP_4) | instid1(VALU_DEP_1)
	v_fmac_f32_e32 v174, v153, v4
	ds_load_2addr_b32 v[3:4], v2 offset0:117 offset1:118
	s_waitcnt lgkmcnt(3)
	v_fmac_f32_e32 v174, v154, v128
	s_waitcnt vmcnt(3)
	v_fmac_f32_e32 v174, v155, v129
	ds_load_2addr_b32 v[128:129], v2 offset0:119 offset1:120
	s_waitcnt lgkmcnt(3)
	v_fmac_f32_e32 v174, v156, v130
	s_delay_alu instid0(VALU_DEP_1) | instskip(SKIP_1) | instid1(VALU_DEP_1)
	v_fmac_f32_e32 v174, v157, v131
	s_waitcnt lgkmcnt(2)
	v_fmac_f32_e32 v174, v158, v132
	s_waitcnt vmcnt(2)
	s_delay_alu instid0(VALU_DEP_1) | instskip(SKIP_4) | instid1(VALU_DEP_1)
	v_fmac_f32_e32 v174, v159, v133
	ds_load_2addr_b32 v[130:131], v2 offset0:121 offset1:122
	ds_load_2addr_b32 v[132:133], v2 offset0:123 offset1:124
	s_waitcnt lgkmcnt(3)
	v_fmac_f32_e32 v174, v160, v3
	v_fmac_f32_e32 v174, v161, v4
	s_waitcnt lgkmcnt(2)
	s_delay_alu instid0(VALU_DEP_1) | instskip(SKIP_1) | instid1(VALU_DEP_1)
	v_fmac_f32_e32 v174, v162, v128
	s_waitcnt vmcnt(1)
	v_fmac_f32_e32 v174, v163, v129
	s_waitcnt lgkmcnt(1)
	s_delay_alu instid0(VALU_DEP_1) | instskip(NEXT) | instid1(VALU_DEP_1)
	v_fmac_f32_e32 v174, v164, v130
	v_fmac_f32_e32 v174, v165, v131
	s_waitcnt lgkmcnt(0)
	s_delay_alu instid0(VALU_DEP_1) | instskip(SKIP_1) | instid1(VALU_DEP_1)
	v_fmac_f32_e32 v174, v166, v132
	s_waitcnt vmcnt(0)
	v_fmac_f32_e32 v174, v173, v133
	s_delay_alu instid0(VALU_DEP_1)
	v_sub_f32_e32 v2, v127, v174
	scratch_store_b32 off, v2, off offset:80
	v_cmpx_lt_u32_e32 19, v0
	s_cbranch_execz .LBB124_335
; %bb.334:
	scratch_load_b32 v2, off, off offset:76
	v_mov_b32_e32 v3, 0
	scratch_store_b32 off, v3, off offset:76
	s_waitcnt vmcnt(0)
	ds_store_b32 v1, v2
.LBB124_335:
	s_or_b32 exec_lo, exec_lo, s0
	s_waitcnt lgkmcnt(0)
	s_waitcnt_vscnt null, 0x0
	s_barrier
	buffer_gl0_inv
	s_clause 0xa
	scratch_load_b128 v[127:130], off, off offset:76
	scratch_load_b128 v[131:134], off, off offset:92
	;; [unrolled: 1-line block ×10, first 2 shown]
	scratch_load_b64 v[3:4], off, off offset:236
	v_mov_b32_e32 v2, 0
	ds_load_b128 v[167:170], v2 offset:336
	ds_load_b128 v[171:174], v2 offset:352
	s_mov_b32 s0, exec_lo
	s_waitcnt vmcnt(10) lgkmcnt(1)
	v_fma_f32 v167, v128, v167, 0
	s_delay_alu instid0(VALU_DEP_1) | instskip(NEXT) | instid1(VALU_DEP_1)
	v_fmac_f32_e32 v167, v129, v168
	v_fmac_f32_e32 v167, v130, v169
	s_waitcnt vmcnt(9)
	s_delay_alu instid0(VALU_DEP_1) | instskip(SKIP_3) | instid1(VALU_DEP_1)
	v_fmac_f32_e32 v167, v131, v170
	ds_load_b128 v[128:131], v2 offset:368
	s_waitcnt lgkmcnt(1)
	v_fmac_f32_e32 v167, v132, v171
	v_fmac_f32_e32 v167, v133, v172
	s_delay_alu instid0(VALU_DEP_1) | instskip(SKIP_1) | instid1(VALU_DEP_1)
	v_fmac_f32_e32 v167, v134, v173
	s_waitcnt vmcnt(8)
	v_fmac_f32_e32 v167, v135, v174
	ds_load_b128 v[132:135], v2 offset:384
	s_waitcnt lgkmcnt(1)
	v_fmac_f32_e32 v167, v136, v128
	s_delay_alu instid0(VALU_DEP_1) | instskip(NEXT) | instid1(VALU_DEP_1)
	v_fmac_f32_e32 v167, v137, v129
	v_fmac_f32_e32 v167, v138, v130
	s_waitcnt vmcnt(7)
	s_delay_alu instid0(VALU_DEP_1) | instskip(SKIP_3) | instid1(VALU_DEP_1)
	v_fmac_f32_e32 v167, v139, v131
	ds_load_b128 v[128:131], v2 offset:400
	s_waitcnt lgkmcnt(1)
	v_fmac_f32_e32 v167, v140, v132
	v_fmac_f32_e32 v167, v141, v133
	s_delay_alu instid0(VALU_DEP_1) | instskip(SKIP_1) | instid1(VALU_DEP_1)
	v_fmac_f32_e32 v167, v142, v134
	s_waitcnt vmcnt(6)
	v_fmac_f32_e32 v167, v143, v135
	ds_load_b128 v[132:135], v2 offset:416
	s_waitcnt lgkmcnt(1)
	v_fmac_f32_e32 v167, v144, v128
	;; [unrolled: 17-line block ×4, first 2 shown]
	ds_load_b32 v128, v2 offset:496
	v_fmac_f32_e32 v167, v161, v129
	s_delay_alu instid0(VALU_DEP_1) | instskip(SKIP_1) | instid1(VALU_DEP_1)
	v_fmac_f32_e32 v167, v162, v130
	s_waitcnt vmcnt(1)
	v_fmac_f32_e32 v167, v163, v131
	s_waitcnt lgkmcnt(1)
	s_delay_alu instid0(VALU_DEP_1) | instskip(NEXT) | instid1(VALU_DEP_1)
	v_fmac_f32_e32 v167, v164, v132
	v_fmac_f32_e32 v167, v165, v133
	s_delay_alu instid0(VALU_DEP_1) | instskip(SKIP_1) | instid1(VALU_DEP_1)
	v_fmac_f32_e32 v167, v166, v134
	s_waitcnt vmcnt(0)
	v_fmac_f32_e32 v167, v3, v135
	s_waitcnt lgkmcnt(0)
	s_delay_alu instid0(VALU_DEP_1) | instskip(NEXT) | instid1(VALU_DEP_1)
	v_fmac_f32_e32 v167, v4, v128
	v_sub_f32_e32 v3, v127, v167
	scratch_store_b32 off, v3, off offset:76
	v_cmpx_lt_u32_e32 18, v0
	s_cbranch_execz .LBB124_337
; %bb.336:
	scratch_load_b32 v3, off, off offset:72
	scratch_store_b32 off, v2, off offset:72
	s_waitcnt vmcnt(0)
	ds_store_b32 v1, v3
.LBB124_337:
	s_or_b32 exec_lo, exec_lo, s0
	s_waitcnt lgkmcnt(0)
	s_waitcnt_vscnt null, 0x0
	s_barrier
	buffer_gl0_inv
	s_clause 0xa
	scratch_load_b128 v[127:130], off, off offset:72
	scratch_load_b128 v[131:134], off, off offset:88
	;; [unrolled: 1-line block ×10, first 2 shown]
	scratch_load_b96 v[167:169], off, off offset:232
	ds_load_2addr_b32 v[3:4], v2 offset0:83 offset1:84
	ds_load_2addr_b32 v[170:171], v2 offset0:85 offset1:86
	ds_load_2addr_b32 v[172:173], v2 offset0:87 offset1:88
	ds_load_2addr_b32 v[174:175], v2 offset0:89 offset1:90
	s_mov_b32 s0, exec_lo
	s_waitcnt vmcnt(10) lgkmcnt(3)
	v_fma_f32 v176, v128, v3, 0
	s_delay_alu instid0(VALU_DEP_1)
	v_fmac_f32_e32 v176, v129, v4
	ds_load_2addr_b32 v[3:4], v2 offset0:91 offset1:92
	ds_load_2addr_b32 v[128:129], v2 offset0:93 offset1:94
	s_waitcnt lgkmcnt(4)
	v_fmac_f32_e32 v176, v130, v170
	s_waitcnt vmcnt(9)
	s_delay_alu instid0(VALU_DEP_1) | instskip(SKIP_1) | instid1(VALU_DEP_1)
	v_fmac_f32_e32 v176, v131, v171
	s_waitcnt lgkmcnt(3)
	v_fmac_f32_e32 v176, v132, v172
	s_delay_alu instid0(VALU_DEP_1)
	v_fmac_f32_e32 v176, v133, v173
	ds_load_2addr_b32 v[130:131], v2 offset0:95 offset1:96
	ds_load_2addr_b32 v[132:133], v2 offset0:97 offset1:98
	s_waitcnt lgkmcnt(4)
	v_fmac_f32_e32 v176, v134, v174
	s_waitcnt vmcnt(8)
	s_delay_alu instid0(VALU_DEP_1) | instskip(SKIP_1) | instid1(VALU_DEP_1)
	v_fmac_f32_e32 v176, v135, v175
	s_waitcnt lgkmcnt(3)
	v_fmac_f32_e32 v176, v136, v3
	s_delay_alu instid0(VALU_DEP_1) | instskip(SKIP_4) | instid1(VALU_DEP_1)
	v_fmac_f32_e32 v176, v137, v4
	ds_load_2addr_b32 v[3:4], v2 offset0:99 offset1:100
	s_waitcnt lgkmcnt(3)
	v_fmac_f32_e32 v176, v138, v128
	s_waitcnt vmcnt(7)
	v_fmac_f32_e32 v176, v139, v129
	ds_load_2addr_b32 v[128:129], v2 offset0:101 offset1:102
	s_waitcnt lgkmcnt(3)
	v_fmac_f32_e32 v176, v140, v130
	s_delay_alu instid0(VALU_DEP_1) | instskip(SKIP_1) | instid1(VALU_DEP_1)
	v_fmac_f32_e32 v176, v141, v131
	s_waitcnt lgkmcnt(2)
	v_fmac_f32_e32 v176, v142, v132
	s_waitcnt vmcnt(6)
	s_delay_alu instid0(VALU_DEP_1) | instskip(SKIP_4) | instid1(VALU_DEP_1)
	v_fmac_f32_e32 v176, v143, v133
	ds_load_2addr_b32 v[130:131], v2 offset0:103 offset1:104
	ds_load_2addr_b32 v[132:133], v2 offset0:105 offset1:106
	s_waitcnt lgkmcnt(3)
	v_fmac_f32_e32 v176, v144, v3
	v_fmac_f32_e32 v176, v145, v4
	ds_load_2addr_b32 v[3:4], v2 offset0:107 offset1:108
	s_waitcnt lgkmcnt(3)
	v_fmac_f32_e32 v176, v146, v128
	s_waitcnt vmcnt(5)
	s_delay_alu instid0(VALU_DEP_1) | instskip(SKIP_3) | instid1(VALU_DEP_1)
	v_fmac_f32_e32 v176, v147, v129
	ds_load_2addr_b32 v[128:129], v2 offset0:109 offset1:110
	s_waitcnt lgkmcnt(3)
	v_fmac_f32_e32 v176, v148, v130
	v_fmac_f32_e32 v176, v149, v131
	s_waitcnt lgkmcnt(2)
	s_delay_alu instid0(VALU_DEP_1) | instskip(SKIP_1) | instid1(VALU_DEP_1)
	v_fmac_f32_e32 v176, v150, v132
	s_waitcnt vmcnt(4)
	v_fmac_f32_e32 v176, v151, v133
	ds_load_2addr_b32 v[130:131], v2 offset0:111 offset1:112
	ds_load_2addr_b32 v[132:133], v2 offset0:113 offset1:114
	s_waitcnt lgkmcnt(3)
	v_fmac_f32_e32 v176, v152, v3
	s_delay_alu instid0(VALU_DEP_1) | instskip(SKIP_4) | instid1(VALU_DEP_1)
	v_fmac_f32_e32 v176, v153, v4
	ds_load_2addr_b32 v[3:4], v2 offset0:115 offset1:116
	s_waitcnt lgkmcnt(3)
	v_fmac_f32_e32 v176, v154, v128
	s_waitcnt vmcnt(3)
	v_fmac_f32_e32 v176, v155, v129
	ds_load_2addr_b32 v[128:129], v2 offset0:117 offset1:118
	s_waitcnt lgkmcnt(3)
	v_fmac_f32_e32 v176, v156, v130
	s_delay_alu instid0(VALU_DEP_1) | instskip(SKIP_1) | instid1(VALU_DEP_1)
	v_fmac_f32_e32 v176, v157, v131
	s_waitcnt lgkmcnt(2)
	v_fmac_f32_e32 v176, v158, v132
	s_waitcnt vmcnt(2)
	s_delay_alu instid0(VALU_DEP_1)
	v_fmac_f32_e32 v176, v159, v133
	ds_load_2addr_b32 v[130:131], v2 offset0:119 offset1:120
	ds_load_2addr_b32 v[132:133], v2 offset0:121 offset1:122
	s_waitcnt lgkmcnt(3)
	v_fmac_f32_e32 v176, v160, v3
	ds_load_2addr_b32 v[2:3], v2 offset0:123 offset1:124
	v_fmac_f32_e32 v176, v161, v4
	s_waitcnt lgkmcnt(3)
	s_delay_alu instid0(VALU_DEP_1) | instskip(SKIP_1) | instid1(VALU_DEP_1)
	v_fmac_f32_e32 v176, v162, v128
	s_waitcnt vmcnt(1)
	v_fmac_f32_e32 v176, v163, v129
	s_waitcnt lgkmcnt(2)
	s_delay_alu instid0(VALU_DEP_1) | instskip(NEXT) | instid1(VALU_DEP_1)
	v_fmac_f32_e32 v176, v164, v130
	v_fmac_f32_e32 v176, v165, v131
	s_waitcnt lgkmcnt(1)
	s_delay_alu instid0(VALU_DEP_1) | instskip(SKIP_1) | instid1(VALU_DEP_1)
	v_fmac_f32_e32 v176, v166, v132
	s_waitcnt vmcnt(0)
	v_fmac_f32_e32 v176, v167, v133
	s_waitcnt lgkmcnt(0)
	s_delay_alu instid0(VALU_DEP_1) | instskip(NEXT) | instid1(VALU_DEP_1)
	v_fmac_f32_e32 v176, v168, v2
	v_fmac_f32_e32 v176, v169, v3
	s_delay_alu instid0(VALU_DEP_1)
	v_sub_f32_e32 v2, v127, v176
	scratch_store_b32 off, v2, off offset:72
	v_cmpx_lt_u32_e32 17, v0
	s_cbranch_execz .LBB124_339
; %bb.338:
	scratch_load_b32 v2, off, off offset:68
	v_mov_b32_e32 v3, 0
	scratch_store_b32 off, v3, off offset:68
	s_waitcnt vmcnt(0)
	ds_store_b32 v1, v2
.LBB124_339:
	s_or_b32 exec_lo, exec_lo, s0
	s_waitcnt lgkmcnt(0)
	s_waitcnt_vscnt null, 0x0
	s_barrier
	buffer_gl0_inv
	s_clause 0xa
	scratch_load_b128 v[127:130], off, off offset:68
	scratch_load_b128 v[131:134], off, off offset:84
	;; [unrolled: 1-line block ×11, first 2 shown]
	v_mov_b32_e32 v2, 0
	ds_load_2addr_b64 v[171:174], v2 offset0:41 offset1:42
	ds_load_2addr_b64 v[175:178], v2 offset0:43 offset1:44
	s_mov_b32 s0, exec_lo
	s_waitcnt vmcnt(10) lgkmcnt(1)
	v_fma_f32 v171, v128, v171, 0
	s_delay_alu instid0(VALU_DEP_1) | instskip(SKIP_3) | instid1(VALU_DEP_1)
	v_fmac_f32_e32 v171, v129, v172
	ds_load_b64 v[3:4], v2 offset:488
	v_fmac_f32_e32 v171, v130, v173
	s_waitcnt vmcnt(9)
	v_fmac_f32_e32 v171, v131, v174
	ds_load_2addr_b64 v[128:131], v2 offset0:45 offset1:46
	s_waitcnt lgkmcnt(2)
	v_fmac_f32_e32 v171, v132, v175
	s_delay_alu instid0(VALU_DEP_1) | instskip(NEXT) | instid1(VALU_DEP_1)
	v_fmac_f32_e32 v171, v133, v176
	v_fmac_f32_e32 v171, v134, v177
	s_waitcnt vmcnt(8)
	s_delay_alu instid0(VALU_DEP_1) | instskip(SKIP_3) | instid1(VALU_DEP_1)
	v_fmac_f32_e32 v171, v135, v178
	ds_load_2addr_b64 v[132:135], v2 offset0:47 offset1:48
	s_waitcnt lgkmcnt(1)
	v_fmac_f32_e32 v171, v136, v128
	v_fmac_f32_e32 v171, v137, v129
	s_delay_alu instid0(VALU_DEP_1) | instskip(SKIP_1) | instid1(VALU_DEP_1)
	v_fmac_f32_e32 v171, v138, v130
	s_waitcnt vmcnt(7)
	v_fmac_f32_e32 v171, v139, v131
	ds_load_2addr_b64 v[128:131], v2 offset0:49 offset1:50
	s_waitcnt lgkmcnt(1)
	v_fmac_f32_e32 v171, v140, v132
	s_delay_alu instid0(VALU_DEP_1) | instskip(NEXT) | instid1(VALU_DEP_1)
	v_fmac_f32_e32 v171, v141, v133
	v_fmac_f32_e32 v171, v142, v134
	s_waitcnt vmcnt(6)
	s_delay_alu instid0(VALU_DEP_1) | instskip(SKIP_3) | instid1(VALU_DEP_1)
	v_fmac_f32_e32 v171, v143, v135
	ds_load_2addr_b64 v[132:135], v2 offset0:51 offset1:52
	s_waitcnt lgkmcnt(1)
	v_fmac_f32_e32 v171, v144, v128
	v_fmac_f32_e32 v171, v145, v129
	s_delay_alu instid0(VALU_DEP_1) | instskip(SKIP_1) | instid1(VALU_DEP_1)
	;; [unrolled: 17-line block ×3, first 2 shown]
	v_fmac_f32_e32 v171, v154, v130
	s_waitcnt vmcnt(3)
	v_fmac_f32_e32 v171, v155, v131
	ds_load_2addr_b64 v[128:131], v2 offset0:57 offset1:58
	s_waitcnt lgkmcnt(1)
	v_fmac_f32_e32 v171, v156, v132
	s_delay_alu instid0(VALU_DEP_1) | instskip(NEXT) | instid1(VALU_DEP_1)
	v_fmac_f32_e32 v171, v157, v133
	v_fmac_f32_e32 v171, v158, v134
	s_waitcnt vmcnt(2)
	s_delay_alu instid0(VALU_DEP_1)
	v_fmac_f32_e32 v171, v159, v135
	ds_load_2addr_b64 v[132:135], v2 offset0:59 offset1:60
	s_waitcnt lgkmcnt(1)
	v_fmac_f32_e32 v171, v160, v128
	ds_load_b32 v128, v2 offset:496
	v_fmac_f32_e32 v171, v161, v129
	s_delay_alu instid0(VALU_DEP_1) | instskip(SKIP_1) | instid1(VALU_DEP_1)
	v_fmac_f32_e32 v171, v162, v130
	s_waitcnt vmcnt(1)
	v_fmac_f32_e32 v171, v163, v131
	s_waitcnt lgkmcnt(1)
	s_delay_alu instid0(VALU_DEP_1) | instskip(NEXT) | instid1(VALU_DEP_1)
	v_fmac_f32_e32 v171, v164, v132
	v_fmac_f32_e32 v171, v165, v133
	s_delay_alu instid0(VALU_DEP_1) | instskip(SKIP_1) | instid1(VALU_DEP_1)
	v_fmac_f32_e32 v171, v166, v134
	s_waitcnt vmcnt(0)
	v_fmac_f32_e32 v171, v167, v135
	s_delay_alu instid0(VALU_DEP_1) | instskip(NEXT) | instid1(VALU_DEP_1)
	v_fmac_f32_e32 v171, v168, v3
	v_fmac_f32_e32 v171, v169, v4
	s_waitcnt lgkmcnt(0)
	s_delay_alu instid0(VALU_DEP_1) | instskip(NEXT) | instid1(VALU_DEP_1)
	v_fmac_f32_e32 v171, v170, v128
	v_sub_f32_e32 v3, v127, v171
	scratch_store_b32 off, v3, off offset:68
	v_cmpx_lt_u32_e32 16, v0
	s_cbranch_execz .LBB124_341
; %bb.340:
	scratch_load_b32 v3, off, off offset:64
	scratch_store_b32 off, v2, off offset:64
	s_waitcnt vmcnt(0)
	ds_store_b32 v1, v3
.LBB124_341:
	s_or_b32 exec_lo, exec_lo, s0
	s_waitcnt lgkmcnt(0)
	s_waitcnt_vscnt null, 0x0
	s_barrier
	buffer_gl0_inv
	s_clause 0xb
	scratch_load_b128 v[127:130], off, off offset:64
	scratch_load_b128 v[131:134], off, off offset:80
	;; [unrolled: 1-line block ×11, first 2 shown]
	scratch_load_b32 v177, off, off offset:240
	ds_load_2addr_b32 v[3:4], v2 offset0:81 offset1:82
	ds_load_2addr_b32 v[171:172], v2 offset0:83 offset1:84
	;; [unrolled: 1-line block ×4, first 2 shown]
	s_mov_b32 s0, exec_lo
	s_waitcnt vmcnt(11) lgkmcnt(3)
	v_fma_f32 v178, v128, v3, 0
	s_delay_alu instid0(VALU_DEP_1)
	v_fmac_f32_e32 v178, v129, v4
	ds_load_2addr_b32 v[3:4], v2 offset0:89 offset1:90
	ds_load_2addr_b32 v[128:129], v2 offset0:91 offset1:92
	s_waitcnt lgkmcnt(4)
	v_fmac_f32_e32 v178, v130, v171
	s_waitcnt vmcnt(10)
	s_delay_alu instid0(VALU_DEP_1) | instskip(SKIP_1) | instid1(VALU_DEP_1)
	v_fmac_f32_e32 v178, v131, v172
	s_waitcnt lgkmcnt(3)
	v_fmac_f32_e32 v178, v132, v173
	s_delay_alu instid0(VALU_DEP_1)
	v_fmac_f32_e32 v178, v133, v174
	ds_load_2addr_b32 v[130:131], v2 offset0:93 offset1:94
	ds_load_2addr_b32 v[132:133], v2 offset0:95 offset1:96
	s_waitcnt lgkmcnt(4)
	v_fmac_f32_e32 v178, v134, v175
	s_waitcnt vmcnt(9)
	s_delay_alu instid0(VALU_DEP_1) | instskip(SKIP_1) | instid1(VALU_DEP_1)
	v_fmac_f32_e32 v178, v135, v176
	s_waitcnt lgkmcnt(3)
	v_fmac_f32_e32 v178, v136, v3
	s_delay_alu instid0(VALU_DEP_1) | instskip(SKIP_4) | instid1(VALU_DEP_1)
	v_fmac_f32_e32 v178, v137, v4
	ds_load_2addr_b32 v[3:4], v2 offset0:97 offset1:98
	s_waitcnt lgkmcnt(3)
	v_fmac_f32_e32 v178, v138, v128
	s_waitcnt vmcnt(8)
	v_fmac_f32_e32 v178, v139, v129
	ds_load_2addr_b32 v[128:129], v2 offset0:99 offset1:100
	s_waitcnt lgkmcnt(3)
	v_fmac_f32_e32 v178, v140, v130
	s_delay_alu instid0(VALU_DEP_1) | instskip(SKIP_1) | instid1(VALU_DEP_1)
	v_fmac_f32_e32 v178, v141, v131
	s_waitcnt lgkmcnt(2)
	v_fmac_f32_e32 v178, v142, v132
	s_waitcnt vmcnt(7)
	s_delay_alu instid0(VALU_DEP_1) | instskip(SKIP_4) | instid1(VALU_DEP_1)
	v_fmac_f32_e32 v178, v143, v133
	ds_load_2addr_b32 v[130:131], v2 offset0:101 offset1:102
	ds_load_2addr_b32 v[132:133], v2 offset0:103 offset1:104
	s_waitcnt lgkmcnt(3)
	v_fmac_f32_e32 v178, v144, v3
	v_fmac_f32_e32 v178, v145, v4
	ds_load_2addr_b32 v[3:4], v2 offset0:105 offset1:106
	s_waitcnt lgkmcnt(3)
	v_fmac_f32_e32 v178, v146, v128
	s_waitcnt vmcnt(6)
	s_delay_alu instid0(VALU_DEP_1) | instskip(SKIP_3) | instid1(VALU_DEP_1)
	v_fmac_f32_e32 v178, v147, v129
	ds_load_2addr_b32 v[128:129], v2 offset0:107 offset1:108
	s_waitcnt lgkmcnt(3)
	v_fmac_f32_e32 v178, v148, v130
	v_fmac_f32_e32 v178, v149, v131
	s_waitcnt lgkmcnt(2)
	s_delay_alu instid0(VALU_DEP_1) | instskip(SKIP_1) | instid1(VALU_DEP_1)
	v_fmac_f32_e32 v178, v150, v132
	s_waitcnt vmcnt(5)
	v_fmac_f32_e32 v178, v151, v133
	ds_load_2addr_b32 v[130:131], v2 offset0:109 offset1:110
	ds_load_2addr_b32 v[132:133], v2 offset0:111 offset1:112
	s_waitcnt lgkmcnt(3)
	v_fmac_f32_e32 v178, v152, v3
	s_delay_alu instid0(VALU_DEP_1) | instskip(SKIP_4) | instid1(VALU_DEP_1)
	v_fmac_f32_e32 v178, v153, v4
	ds_load_2addr_b32 v[3:4], v2 offset0:113 offset1:114
	s_waitcnt lgkmcnt(3)
	v_fmac_f32_e32 v178, v154, v128
	s_waitcnt vmcnt(4)
	v_fmac_f32_e32 v178, v155, v129
	ds_load_2addr_b32 v[128:129], v2 offset0:115 offset1:116
	s_waitcnt lgkmcnt(3)
	v_fmac_f32_e32 v178, v156, v130
	s_delay_alu instid0(VALU_DEP_1) | instskip(SKIP_1) | instid1(VALU_DEP_1)
	v_fmac_f32_e32 v178, v157, v131
	s_waitcnt lgkmcnt(2)
	v_fmac_f32_e32 v178, v158, v132
	s_waitcnt vmcnt(3)
	s_delay_alu instid0(VALU_DEP_1) | instskip(SKIP_4) | instid1(VALU_DEP_1)
	v_fmac_f32_e32 v178, v159, v133
	ds_load_2addr_b32 v[130:131], v2 offset0:117 offset1:118
	ds_load_2addr_b32 v[132:133], v2 offset0:119 offset1:120
	s_waitcnt lgkmcnt(3)
	v_fmac_f32_e32 v178, v160, v3
	v_fmac_f32_e32 v178, v161, v4
	ds_load_2addr_b32 v[3:4], v2 offset0:121 offset1:122
	s_waitcnt lgkmcnt(3)
	v_fmac_f32_e32 v178, v162, v128
	s_waitcnt vmcnt(2)
	s_delay_alu instid0(VALU_DEP_1) | instskip(SKIP_3) | instid1(VALU_DEP_1)
	v_fmac_f32_e32 v178, v163, v129
	ds_load_2addr_b32 v[128:129], v2 offset0:123 offset1:124
	s_waitcnt lgkmcnt(3)
	v_fmac_f32_e32 v178, v164, v130
	v_fmac_f32_e32 v178, v165, v131
	s_waitcnt lgkmcnt(2)
	s_delay_alu instid0(VALU_DEP_1) | instskip(SKIP_1) | instid1(VALU_DEP_1)
	v_fmac_f32_e32 v178, v166, v132
	s_waitcnt vmcnt(1)
	v_fmac_f32_e32 v178, v167, v133
	s_waitcnt lgkmcnt(1)
	s_delay_alu instid0(VALU_DEP_1) | instskip(NEXT) | instid1(VALU_DEP_1)
	v_fmac_f32_e32 v178, v168, v3
	v_fmac_f32_e32 v178, v169, v4
	s_waitcnt lgkmcnt(0)
	s_delay_alu instid0(VALU_DEP_1) | instskip(SKIP_1) | instid1(VALU_DEP_1)
	v_fmac_f32_e32 v178, v170, v128
	s_waitcnt vmcnt(0)
	v_fmac_f32_e32 v178, v177, v129
	s_delay_alu instid0(VALU_DEP_1)
	v_sub_f32_e32 v2, v127, v178
	scratch_store_b32 off, v2, off offset:64
	v_cmpx_lt_u32_e32 15, v0
	s_cbranch_execz .LBB124_343
; %bb.342:
	scratch_load_b32 v2, off, off offset:60
	v_mov_b32_e32 v3, 0
	scratch_store_b32 off, v3, off offset:60
	s_waitcnt vmcnt(0)
	ds_store_b32 v1, v2
.LBB124_343:
	s_or_b32 exec_lo, exec_lo, s0
	s_waitcnt lgkmcnt(0)
	s_waitcnt_vscnt null, 0x0
	s_barrier
	buffer_gl0_inv
	s_clause 0xb
	scratch_load_b128 v[127:130], off, off offset:60
	scratch_load_b128 v[131:134], off, off offset:76
	;; [unrolled: 1-line block ×11, first 2 shown]
	scratch_load_b64 v[3:4], off, off offset:236
	v_mov_b32_e32 v2, 0
	ds_load_b128 v[171:174], v2 offset:320
	ds_load_b128 v[175:178], v2 offset:336
	s_mov_b32 s0, exec_lo
	s_waitcnt vmcnt(11) lgkmcnt(1)
	v_fma_f32 v171, v128, v171, 0
	s_delay_alu instid0(VALU_DEP_1) | instskip(NEXT) | instid1(VALU_DEP_1)
	v_fmac_f32_e32 v171, v129, v172
	v_fmac_f32_e32 v171, v130, v173
	s_waitcnt vmcnt(10)
	s_delay_alu instid0(VALU_DEP_1) | instskip(SKIP_3) | instid1(VALU_DEP_1)
	v_fmac_f32_e32 v171, v131, v174
	ds_load_b128 v[128:131], v2 offset:352
	s_waitcnt lgkmcnt(1)
	v_fmac_f32_e32 v171, v132, v175
	v_fmac_f32_e32 v171, v133, v176
	s_delay_alu instid0(VALU_DEP_1) | instskip(SKIP_1) | instid1(VALU_DEP_1)
	v_fmac_f32_e32 v171, v134, v177
	s_waitcnt vmcnt(9)
	v_fmac_f32_e32 v171, v135, v178
	ds_load_b128 v[132:135], v2 offset:368
	s_waitcnt lgkmcnt(1)
	v_fmac_f32_e32 v171, v136, v128
	s_delay_alu instid0(VALU_DEP_1) | instskip(NEXT) | instid1(VALU_DEP_1)
	v_fmac_f32_e32 v171, v137, v129
	v_fmac_f32_e32 v171, v138, v130
	s_waitcnt vmcnt(8)
	s_delay_alu instid0(VALU_DEP_1) | instskip(SKIP_3) | instid1(VALU_DEP_1)
	v_fmac_f32_e32 v171, v139, v131
	ds_load_b128 v[128:131], v2 offset:384
	s_waitcnt lgkmcnt(1)
	v_fmac_f32_e32 v171, v140, v132
	v_fmac_f32_e32 v171, v141, v133
	s_delay_alu instid0(VALU_DEP_1) | instskip(SKIP_1) | instid1(VALU_DEP_1)
	v_fmac_f32_e32 v171, v142, v134
	s_waitcnt vmcnt(7)
	v_fmac_f32_e32 v171, v143, v135
	ds_load_b128 v[132:135], v2 offset:400
	s_waitcnt lgkmcnt(1)
	v_fmac_f32_e32 v171, v144, v128
	;; [unrolled: 17-line block ×4, first 2 shown]
	s_delay_alu instid0(VALU_DEP_1) | instskip(NEXT) | instid1(VALU_DEP_1)
	v_fmac_f32_e32 v171, v161, v129
	v_fmac_f32_e32 v171, v162, v130
	s_waitcnt vmcnt(2)
	s_delay_alu instid0(VALU_DEP_1)
	v_fmac_f32_e32 v171, v163, v131
	ds_load_b128 v[128:131], v2 offset:480
	s_waitcnt lgkmcnt(1)
	v_fmac_f32_e32 v171, v164, v132
	ds_load_b32 v132, v2 offset:496
	v_fmac_f32_e32 v171, v165, v133
	s_delay_alu instid0(VALU_DEP_1) | instskip(SKIP_1) | instid1(VALU_DEP_1)
	v_fmac_f32_e32 v171, v166, v134
	s_waitcnt vmcnt(1)
	v_fmac_f32_e32 v171, v167, v135
	s_waitcnt lgkmcnt(1)
	s_delay_alu instid0(VALU_DEP_1) | instskip(NEXT) | instid1(VALU_DEP_1)
	v_fmac_f32_e32 v171, v168, v128
	v_fmac_f32_e32 v171, v169, v129
	s_delay_alu instid0(VALU_DEP_1) | instskip(SKIP_1) | instid1(VALU_DEP_1)
	v_fmac_f32_e32 v171, v170, v130
	s_waitcnt vmcnt(0)
	v_fmac_f32_e32 v171, v3, v131
	s_waitcnt lgkmcnt(0)
	s_delay_alu instid0(VALU_DEP_1) | instskip(NEXT) | instid1(VALU_DEP_1)
	v_fmac_f32_e32 v171, v4, v132
	v_sub_f32_e32 v3, v127, v171
	scratch_store_b32 off, v3, off offset:60
	v_cmpx_lt_u32_e32 14, v0
	s_cbranch_execz .LBB124_345
; %bb.344:
	scratch_load_b32 v3, off, off offset:56
	scratch_store_b32 off, v2, off offset:56
	s_waitcnt vmcnt(0)
	ds_store_b32 v1, v3
.LBB124_345:
	s_or_b32 exec_lo, exec_lo, s0
	s_waitcnt lgkmcnt(0)
	s_waitcnt_vscnt null, 0x0
	s_barrier
	buffer_gl0_inv
	s_clause 0xb
	scratch_load_b128 v[127:130], off, off offset:56
	scratch_load_b128 v[131:134], off, off offset:72
	scratch_load_b128 v[135:138], off, off offset:88
	scratch_load_b128 v[139:142], off, off offset:104
	scratch_load_b128 v[143:146], off, off offset:120
	scratch_load_b128 v[147:150], off, off offset:136
	scratch_load_b128 v[151:154], off, off offset:152
	scratch_load_b128 v[155:158], off, off offset:168
	scratch_load_b128 v[159:162], off, off offset:184
	scratch_load_b128 v[163:166], off, off offset:200
	scratch_load_b128 v[167:170], off, off offset:216
	scratch_load_b96 v[171:173], off, off offset:232
	ds_load_2addr_b32 v[3:4], v2 offset0:79 offset1:80
	ds_load_2addr_b32 v[174:175], v2 offset0:81 offset1:82
	;; [unrolled: 1-line block ×4, first 2 shown]
	s_mov_b32 s0, exec_lo
	s_waitcnt vmcnt(11) lgkmcnt(3)
	v_fma_f32 v180, v128, v3, 0
	s_delay_alu instid0(VALU_DEP_1)
	v_fmac_f32_e32 v180, v129, v4
	ds_load_2addr_b32 v[3:4], v2 offset0:87 offset1:88
	ds_load_2addr_b32 v[128:129], v2 offset0:89 offset1:90
	s_waitcnt lgkmcnt(4)
	v_fmac_f32_e32 v180, v130, v174
	s_waitcnt vmcnt(10)
	s_delay_alu instid0(VALU_DEP_1) | instskip(SKIP_1) | instid1(VALU_DEP_1)
	v_fmac_f32_e32 v180, v131, v175
	s_waitcnt lgkmcnt(3)
	v_fmac_f32_e32 v180, v132, v176
	s_delay_alu instid0(VALU_DEP_1)
	v_fmac_f32_e32 v180, v133, v177
	ds_load_2addr_b32 v[130:131], v2 offset0:91 offset1:92
	ds_load_2addr_b32 v[132:133], v2 offset0:93 offset1:94
	s_waitcnt lgkmcnt(4)
	v_fmac_f32_e32 v180, v134, v178
	s_waitcnt vmcnt(9)
	s_delay_alu instid0(VALU_DEP_1) | instskip(SKIP_1) | instid1(VALU_DEP_1)
	v_fmac_f32_e32 v180, v135, v179
	s_waitcnt lgkmcnt(3)
	v_fmac_f32_e32 v180, v136, v3
	s_delay_alu instid0(VALU_DEP_1) | instskip(SKIP_4) | instid1(VALU_DEP_1)
	v_fmac_f32_e32 v180, v137, v4
	ds_load_2addr_b32 v[3:4], v2 offset0:95 offset1:96
	s_waitcnt lgkmcnt(3)
	v_fmac_f32_e32 v180, v138, v128
	s_waitcnt vmcnt(8)
	v_fmac_f32_e32 v180, v139, v129
	ds_load_2addr_b32 v[128:129], v2 offset0:97 offset1:98
	s_waitcnt lgkmcnt(3)
	v_fmac_f32_e32 v180, v140, v130
	s_delay_alu instid0(VALU_DEP_1) | instskip(SKIP_1) | instid1(VALU_DEP_1)
	v_fmac_f32_e32 v180, v141, v131
	s_waitcnt lgkmcnt(2)
	v_fmac_f32_e32 v180, v142, v132
	s_waitcnt vmcnt(7)
	s_delay_alu instid0(VALU_DEP_1) | instskip(SKIP_4) | instid1(VALU_DEP_1)
	v_fmac_f32_e32 v180, v143, v133
	ds_load_2addr_b32 v[130:131], v2 offset0:99 offset1:100
	ds_load_2addr_b32 v[132:133], v2 offset0:101 offset1:102
	s_waitcnt lgkmcnt(3)
	v_fmac_f32_e32 v180, v144, v3
	v_fmac_f32_e32 v180, v145, v4
	ds_load_2addr_b32 v[3:4], v2 offset0:103 offset1:104
	s_waitcnt lgkmcnt(3)
	v_fmac_f32_e32 v180, v146, v128
	s_waitcnt vmcnt(6)
	s_delay_alu instid0(VALU_DEP_1) | instskip(SKIP_3) | instid1(VALU_DEP_1)
	v_fmac_f32_e32 v180, v147, v129
	ds_load_2addr_b32 v[128:129], v2 offset0:105 offset1:106
	s_waitcnt lgkmcnt(3)
	v_fmac_f32_e32 v180, v148, v130
	v_fmac_f32_e32 v180, v149, v131
	s_waitcnt lgkmcnt(2)
	s_delay_alu instid0(VALU_DEP_1) | instskip(SKIP_1) | instid1(VALU_DEP_1)
	v_fmac_f32_e32 v180, v150, v132
	s_waitcnt vmcnt(5)
	v_fmac_f32_e32 v180, v151, v133
	ds_load_2addr_b32 v[130:131], v2 offset0:107 offset1:108
	ds_load_2addr_b32 v[132:133], v2 offset0:109 offset1:110
	s_waitcnt lgkmcnt(3)
	v_fmac_f32_e32 v180, v152, v3
	s_delay_alu instid0(VALU_DEP_1) | instskip(SKIP_4) | instid1(VALU_DEP_1)
	v_fmac_f32_e32 v180, v153, v4
	ds_load_2addr_b32 v[3:4], v2 offset0:111 offset1:112
	s_waitcnt lgkmcnt(3)
	v_fmac_f32_e32 v180, v154, v128
	s_waitcnt vmcnt(4)
	v_fmac_f32_e32 v180, v155, v129
	ds_load_2addr_b32 v[128:129], v2 offset0:113 offset1:114
	s_waitcnt lgkmcnt(3)
	v_fmac_f32_e32 v180, v156, v130
	s_delay_alu instid0(VALU_DEP_1) | instskip(SKIP_1) | instid1(VALU_DEP_1)
	v_fmac_f32_e32 v180, v157, v131
	s_waitcnt lgkmcnt(2)
	v_fmac_f32_e32 v180, v158, v132
	s_waitcnt vmcnt(3)
	s_delay_alu instid0(VALU_DEP_1) | instskip(SKIP_4) | instid1(VALU_DEP_1)
	v_fmac_f32_e32 v180, v159, v133
	ds_load_2addr_b32 v[130:131], v2 offset0:115 offset1:116
	ds_load_2addr_b32 v[132:133], v2 offset0:117 offset1:118
	s_waitcnt lgkmcnt(3)
	v_fmac_f32_e32 v180, v160, v3
	v_fmac_f32_e32 v180, v161, v4
	ds_load_2addr_b32 v[3:4], v2 offset0:119 offset1:120
	s_waitcnt lgkmcnt(3)
	v_fmac_f32_e32 v180, v162, v128
	s_waitcnt vmcnt(2)
	s_delay_alu instid0(VALU_DEP_1) | instskip(SKIP_3) | instid1(VALU_DEP_1)
	v_fmac_f32_e32 v180, v163, v129
	ds_load_2addr_b32 v[128:129], v2 offset0:121 offset1:122
	s_waitcnt lgkmcnt(3)
	v_fmac_f32_e32 v180, v164, v130
	v_fmac_f32_e32 v180, v165, v131
	ds_load_2addr_b32 v[130:131], v2 offset0:123 offset1:124
	s_waitcnt lgkmcnt(3)
	v_fmac_f32_e32 v180, v166, v132
	s_waitcnt vmcnt(1)
	s_delay_alu instid0(VALU_DEP_1) | instskip(SKIP_1) | instid1(VALU_DEP_1)
	v_fmac_f32_e32 v180, v167, v133
	s_waitcnt lgkmcnt(2)
	v_fmac_f32_e32 v180, v168, v3
	s_delay_alu instid0(VALU_DEP_1) | instskip(SKIP_1) | instid1(VALU_DEP_1)
	v_fmac_f32_e32 v180, v169, v4
	s_waitcnt lgkmcnt(1)
	v_fmac_f32_e32 v180, v170, v128
	s_waitcnt vmcnt(0)
	s_delay_alu instid0(VALU_DEP_1) | instskip(SKIP_1) | instid1(VALU_DEP_1)
	v_fmac_f32_e32 v180, v171, v129
	s_waitcnt lgkmcnt(0)
	v_fmac_f32_e32 v180, v172, v130
	s_delay_alu instid0(VALU_DEP_1) | instskip(NEXT) | instid1(VALU_DEP_1)
	v_fmac_f32_e32 v180, v173, v131
	v_sub_f32_e32 v2, v127, v180
	scratch_store_b32 off, v2, off offset:56
	v_cmpx_lt_u32_e32 13, v0
	s_cbranch_execz .LBB124_347
; %bb.346:
	scratch_load_b32 v2, off, off offset:52
	v_mov_b32_e32 v3, 0
	scratch_store_b32 off, v3, off offset:52
	s_waitcnt vmcnt(0)
	ds_store_b32 v1, v2
.LBB124_347:
	s_or_b32 exec_lo, exec_lo, s0
	s_waitcnt lgkmcnt(0)
	s_waitcnt_vscnt null, 0x0
	s_barrier
	buffer_gl0_inv
	s_clause 0xb
	scratch_load_b128 v[127:130], off, off offset:52
	scratch_load_b128 v[131:134], off, off offset:68
	;; [unrolled: 1-line block ×12, first 2 shown]
	v_mov_b32_e32 v2, 0
	ds_load_2addr_b64 v[175:178], v2 offset0:39 offset1:40
	ds_load_2addr_b64 v[179:182], v2 offset0:41 offset1:42
	s_mov_b32 s0, exec_lo
	s_waitcnt vmcnt(11) lgkmcnt(1)
	v_fma_f32 v175, v128, v175, 0
	s_delay_alu instid0(VALU_DEP_1) | instskip(SKIP_3) | instid1(VALU_DEP_1)
	v_fmac_f32_e32 v175, v129, v176
	ds_load_b64 v[3:4], v2 offset:488
	v_fmac_f32_e32 v175, v130, v177
	s_waitcnt vmcnt(10)
	v_fmac_f32_e32 v175, v131, v178
	ds_load_2addr_b64 v[128:131], v2 offset0:43 offset1:44
	s_waitcnt lgkmcnt(2)
	v_fmac_f32_e32 v175, v132, v179
	s_delay_alu instid0(VALU_DEP_1) | instskip(NEXT) | instid1(VALU_DEP_1)
	v_fmac_f32_e32 v175, v133, v180
	v_fmac_f32_e32 v175, v134, v181
	s_waitcnt vmcnt(9)
	s_delay_alu instid0(VALU_DEP_1) | instskip(SKIP_3) | instid1(VALU_DEP_1)
	v_fmac_f32_e32 v175, v135, v182
	ds_load_2addr_b64 v[132:135], v2 offset0:45 offset1:46
	s_waitcnt lgkmcnt(1)
	v_fmac_f32_e32 v175, v136, v128
	v_fmac_f32_e32 v175, v137, v129
	s_delay_alu instid0(VALU_DEP_1) | instskip(SKIP_1) | instid1(VALU_DEP_1)
	v_fmac_f32_e32 v175, v138, v130
	s_waitcnt vmcnt(8)
	v_fmac_f32_e32 v175, v139, v131
	ds_load_2addr_b64 v[128:131], v2 offset0:47 offset1:48
	s_waitcnt lgkmcnt(1)
	v_fmac_f32_e32 v175, v140, v132
	s_delay_alu instid0(VALU_DEP_1) | instskip(NEXT) | instid1(VALU_DEP_1)
	v_fmac_f32_e32 v175, v141, v133
	v_fmac_f32_e32 v175, v142, v134
	s_waitcnt vmcnt(7)
	s_delay_alu instid0(VALU_DEP_1) | instskip(SKIP_3) | instid1(VALU_DEP_1)
	v_fmac_f32_e32 v175, v143, v135
	ds_load_2addr_b64 v[132:135], v2 offset0:49 offset1:50
	s_waitcnt lgkmcnt(1)
	v_fmac_f32_e32 v175, v144, v128
	v_fmac_f32_e32 v175, v145, v129
	s_delay_alu instid0(VALU_DEP_1) | instskip(SKIP_1) | instid1(VALU_DEP_1)
	;; [unrolled: 17-line block ×4, first 2 shown]
	v_fmac_f32_e32 v175, v162, v130
	s_waitcnt vmcnt(2)
	v_fmac_f32_e32 v175, v163, v131
	ds_load_2addr_b64 v[128:131], v2 offset0:59 offset1:60
	s_waitcnt lgkmcnt(1)
	v_fmac_f32_e32 v175, v164, v132
	s_delay_alu instid0(VALU_DEP_1) | instskip(NEXT) | instid1(VALU_DEP_1)
	v_fmac_f32_e32 v175, v165, v133
	v_fmac_f32_e32 v175, v166, v134
	s_waitcnt vmcnt(1)
	s_delay_alu instid0(VALU_DEP_1) | instskip(SKIP_1) | instid1(VALU_DEP_1)
	v_fmac_f32_e32 v175, v167, v135
	s_waitcnt lgkmcnt(0)
	v_fmac_f32_e32 v175, v168, v128
	ds_load_b32 v128, v2 offset:496
	v_fmac_f32_e32 v175, v169, v129
	s_delay_alu instid0(VALU_DEP_1) | instskip(SKIP_1) | instid1(VALU_DEP_1)
	v_fmac_f32_e32 v175, v170, v130
	s_waitcnt vmcnt(0)
	v_fmac_f32_e32 v175, v171, v131
	s_delay_alu instid0(VALU_DEP_1) | instskip(NEXT) | instid1(VALU_DEP_1)
	v_fmac_f32_e32 v175, v172, v3
	v_fmac_f32_e32 v175, v173, v4
	s_waitcnt lgkmcnt(0)
	s_delay_alu instid0(VALU_DEP_1) | instskip(NEXT) | instid1(VALU_DEP_1)
	v_fmac_f32_e32 v175, v174, v128
	v_sub_f32_e32 v3, v127, v175
	scratch_store_b32 off, v3, off offset:52
	v_cmpx_lt_u32_e32 12, v0
	s_cbranch_execz .LBB124_349
; %bb.348:
	scratch_load_b32 v3, off, off offset:48
	scratch_store_b32 off, v2, off offset:48
	s_waitcnt vmcnt(0)
	ds_store_b32 v1, v3
.LBB124_349:
	s_or_b32 exec_lo, exec_lo, s0
	s_waitcnt lgkmcnt(0)
	s_waitcnt_vscnt null, 0x0
	s_barrier
	buffer_gl0_inv
	s_clause 0xc
	scratch_load_b128 v[127:130], off, off offset:48
	scratch_load_b128 v[131:134], off, off offset:64
	;; [unrolled: 1-line block ×12, first 2 shown]
	scratch_load_b32 v181, off, off offset:240
	ds_load_2addr_b32 v[3:4], v2 offset0:77 offset1:78
	ds_load_2addr_b32 v[175:176], v2 offset0:79 offset1:80
	;; [unrolled: 1-line block ×4, first 2 shown]
	s_mov_b32 s0, exec_lo
	s_waitcnt vmcnt(12) lgkmcnt(3)
	v_fma_f32 v182, v128, v3, 0
	s_delay_alu instid0(VALU_DEP_1)
	v_fmac_f32_e32 v182, v129, v4
	ds_load_2addr_b32 v[3:4], v2 offset0:85 offset1:86
	ds_load_2addr_b32 v[128:129], v2 offset0:87 offset1:88
	s_waitcnt lgkmcnt(4)
	v_fmac_f32_e32 v182, v130, v175
	s_waitcnt vmcnt(11)
	s_delay_alu instid0(VALU_DEP_1) | instskip(SKIP_1) | instid1(VALU_DEP_1)
	v_fmac_f32_e32 v182, v131, v176
	s_waitcnt lgkmcnt(3)
	v_fmac_f32_e32 v182, v132, v177
	s_delay_alu instid0(VALU_DEP_1)
	v_fmac_f32_e32 v182, v133, v178
	ds_load_2addr_b32 v[130:131], v2 offset0:89 offset1:90
	ds_load_2addr_b32 v[132:133], v2 offset0:91 offset1:92
	s_waitcnt lgkmcnt(4)
	v_fmac_f32_e32 v182, v134, v179
	s_waitcnt vmcnt(10)
	s_delay_alu instid0(VALU_DEP_1) | instskip(SKIP_1) | instid1(VALU_DEP_1)
	v_fmac_f32_e32 v182, v135, v180
	s_waitcnt lgkmcnt(3)
	v_fmac_f32_e32 v182, v136, v3
	s_delay_alu instid0(VALU_DEP_1) | instskip(SKIP_4) | instid1(VALU_DEP_1)
	v_fmac_f32_e32 v182, v137, v4
	ds_load_2addr_b32 v[3:4], v2 offset0:93 offset1:94
	s_waitcnt lgkmcnt(3)
	v_fmac_f32_e32 v182, v138, v128
	s_waitcnt vmcnt(9)
	v_fmac_f32_e32 v182, v139, v129
	ds_load_2addr_b32 v[128:129], v2 offset0:95 offset1:96
	s_waitcnt lgkmcnt(3)
	v_fmac_f32_e32 v182, v140, v130
	s_delay_alu instid0(VALU_DEP_1) | instskip(SKIP_1) | instid1(VALU_DEP_1)
	v_fmac_f32_e32 v182, v141, v131
	s_waitcnt lgkmcnt(2)
	v_fmac_f32_e32 v182, v142, v132
	s_waitcnt vmcnt(8)
	s_delay_alu instid0(VALU_DEP_1) | instskip(SKIP_4) | instid1(VALU_DEP_1)
	v_fmac_f32_e32 v182, v143, v133
	ds_load_2addr_b32 v[130:131], v2 offset0:97 offset1:98
	ds_load_2addr_b32 v[132:133], v2 offset0:99 offset1:100
	s_waitcnt lgkmcnt(3)
	v_fmac_f32_e32 v182, v144, v3
	v_fmac_f32_e32 v182, v145, v4
	ds_load_2addr_b32 v[3:4], v2 offset0:101 offset1:102
	s_waitcnt lgkmcnt(3)
	v_fmac_f32_e32 v182, v146, v128
	s_waitcnt vmcnt(7)
	s_delay_alu instid0(VALU_DEP_1) | instskip(SKIP_3) | instid1(VALU_DEP_1)
	v_fmac_f32_e32 v182, v147, v129
	ds_load_2addr_b32 v[128:129], v2 offset0:103 offset1:104
	s_waitcnt lgkmcnt(3)
	v_fmac_f32_e32 v182, v148, v130
	v_fmac_f32_e32 v182, v149, v131
	s_waitcnt lgkmcnt(2)
	s_delay_alu instid0(VALU_DEP_1) | instskip(SKIP_1) | instid1(VALU_DEP_1)
	v_fmac_f32_e32 v182, v150, v132
	s_waitcnt vmcnt(6)
	v_fmac_f32_e32 v182, v151, v133
	ds_load_2addr_b32 v[130:131], v2 offset0:105 offset1:106
	ds_load_2addr_b32 v[132:133], v2 offset0:107 offset1:108
	s_waitcnt lgkmcnt(3)
	v_fmac_f32_e32 v182, v152, v3
	s_delay_alu instid0(VALU_DEP_1) | instskip(SKIP_4) | instid1(VALU_DEP_1)
	v_fmac_f32_e32 v182, v153, v4
	ds_load_2addr_b32 v[3:4], v2 offset0:109 offset1:110
	s_waitcnt lgkmcnt(3)
	v_fmac_f32_e32 v182, v154, v128
	s_waitcnt vmcnt(5)
	v_fmac_f32_e32 v182, v155, v129
	ds_load_2addr_b32 v[128:129], v2 offset0:111 offset1:112
	s_waitcnt lgkmcnt(3)
	v_fmac_f32_e32 v182, v156, v130
	s_delay_alu instid0(VALU_DEP_1) | instskip(SKIP_1) | instid1(VALU_DEP_1)
	v_fmac_f32_e32 v182, v157, v131
	s_waitcnt lgkmcnt(2)
	v_fmac_f32_e32 v182, v158, v132
	s_waitcnt vmcnt(4)
	s_delay_alu instid0(VALU_DEP_1) | instskip(SKIP_4) | instid1(VALU_DEP_1)
	v_fmac_f32_e32 v182, v159, v133
	ds_load_2addr_b32 v[130:131], v2 offset0:113 offset1:114
	ds_load_2addr_b32 v[132:133], v2 offset0:115 offset1:116
	s_waitcnt lgkmcnt(3)
	v_fmac_f32_e32 v182, v160, v3
	v_fmac_f32_e32 v182, v161, v4
	ds_load_2addr_b32 v[3:4], v2 offset0:117 offset1:118
	s_waitcnt lgkmcnt(3)
	v_fmac_f32_e32 v182, v162, v128
	s_waitcnt vmcnt(3)
	s_delay_alu instid0(VALU_DEP_1) | instskip(SKIP_3) | instid1(VALU_DEP_1)
	v_fmac_f32_e32 v182, v163, v129
	ds_load_2addr_b32 v[128:129], v2 offset0:119 offset1:120
	s_waitcnt lgkmcnt(3)
	v_fmac_f32_e32 v182, v164, v130
	v_fmac_f32_e32 v182, v165, v131
	s_waitcnt lgkmcnt(2)
	s_delay_alu instid0(VALU_DEP_1) | instskip(SKIP_1) | instid1(VALU_DEP_1)
	v_fmac_f32_e32 v182, v166, v132
	s_waitcnt vmcnt(2)
	v_fmac_f32_e32 v182, v167, v133
	ds_load_2addr_b32 v[130:131], v2 offset0:121 offset1:122
	ds_load_2addr_b32 v[132:133], v2 offset0:123 offset1:124
	s_waitcnt lgkmcnt(3)
	v_fmac_f32_e32 v182, v168, v3
	s_delay_alu instid0(VALU_DEP_1) | instskip(SKIP_1) | instid1(VALU_DEP_1)
	v_fmac_f32_e32 v182, v169, v4
	s_waitcnt lgkmcnt(2)
	v_fmac_f32_e32 v182, v170, v128
	s_waitcnt vmcnt(1)
	s_delay_alu instid0(VALU_DEP_1) | instskip(SKIP_1) | instid1(VALU_DEP_1)
	v_fmac_f32_e32 v182, v171, v129
	s_waitcnt lgkmcnt(1)
	v_fmac_f32_e32 v182, v172, v130
	s_delay_alu instid0(VALU_DEP_1) | instskip(SKIP_1) | instid1(VALU_DEP_1)
	v_fmac_f32_e32 v182, v173, v131
	s_waitcnt lgkmcnt(0)
	v_fmac_f32_e32 v182, v174, v132
	s_waitcnt vmcnt(0)
	s_delay_alu instid0(VALU_DEP_1) | instskip(NEXT) | instid1(VALU_DEP_1)
	v_fmac_f32_e32 v182, v181, v133
	v_sub_f32_e32 v2, v127, v182
	scratch_store_b32 off, v2, off offset:48
	v_cmpx_lt_u32_e32 11, v0
	s_cbranch_execz .LBB124_351
; %bb.350:
	scratch_load_b32 v2, off, off offset:44
	v_mov_b32_e32 v3, 0
	scratch_store_b32 off, v3, off offset:44
	s_waitcnt vmcnt(0)
	ds_store_b32 v1, v2
.LBB124_351:
	s_or_b32 exec_lo, exec_lo, s0
	s_waitcnt lgkmcnt(0)
	s_waitcnt_vscnt null, 0x0
	s_barrier
	buffer_gl0_inv
	s_clause 0xc
	scratch_load_b128 v[127:130], off, off offset:44
	scratch_load_b128 v[131:134], off, off offset:60
	;; [unrolled: 1-line block ×12, first 2 shown]
	scratch_load_b64 v[3:4], off, off offset:236
	v_mov_b32_e32 v2, 0
	ds_load_b128 v[175:178], v2 offset:304
	ds_load_b128 v[179:182], v2 offset:320
	s_mov_b32 s0, exec_lo
	s_waitcnt vmcnt(12) lgkmcnt(1)
	v_fma_f32 v175, v128, v175, 0
	s_delay_alu instid0(VALU_DEP_1) | instskip(NEXT) | instid1(VALU_DEP_1)
	v_fmac_f32_e32 v175, v129, v176
	v_fmac_f32_e32 v175, v130, v177
	s_waitcnt vmcnt(11)
	s_delay_alu instid0(VALU_DEP_1) | instskip(SKIP_3) | instid1(VALU_DEP_1)
	v_fmac_f32_e32 v175, v131, v178
	ds_load_b128 v[128:131], v2 offset:336
	s_waitcnt lgkmcnt(1)
	v_fmac_f32_e32 v175, v132, v179
	v_fmac_f32_e32 v175, v133, v180
	s_delay_alu instid0(VALU_DEP_1) | instskip(SKIP_1) | instid1(VALU_DEP_1)
	v_fmac_f32_e32 v175, v134, v181
	s_waitcnt vmcnt(10)
	v_fmac_f32_e32 v175, v135, v182
	ds_load_b128 v[132:135], v2 offset:352
	s_waitcnt lgkmcnt(1)
	v_fmac_f32_e32 v175, v136, v128
	s_delay_alu instid0(VALU_DEP_1) | instskip(NEXT) | instid1(VALU_DEP_1)
	v_fmac_f32_e32 v175, v137, v129
	v_fmac_f32_e32 v175, v138, v130
	s_waitcnt vmcnt(9)
	s_delay_alu instid0(VALU_DEP_1) | instskip(SKIP_3) | instid1(VALU_DEP_1)
	v_fmac_f32_e32 v175, v139, v131
	ds_load_b128 v[128:131], v2 offset:368
	s_waitcnt lgkmcnt(1)
	v_fmac_f32_e32 v175, v140, v132
	v_fmac_f32_e32 v175, v141, v133
	s_delay_alu instid0(VALU_DEP_1) | instskip(SKIP_1) | instid1(VALU_DEP_1)
	v_fmac_f32_e32 v175, v142, v134
	s_waitcnt vmcnt(8)
	v_fmac_f32_e32 v175, v143, v135
	ds_load_b128 v[132:135], v2 offset:384
	s_waitcnt lgkmcnt(1)
	v_fmac_f32_e32 v175, v144, v128
	s_delay_alu instid0(VALU_DEP_1) | instskip(NEXT) | instid1(VALU_DEP_1)
	v_fmac_f32_e32 v175, v145, v129
	v_fmac_f32_e32 v175, v146, v130
	s_waitcnt vmcnt(7)
	s_delay_alu instid0(VALU_DEP_1) | instskip(SKIP_3) | instid1(VALU_DEP_1)
	v_fmac_f32_e32 v175, v147, v131
	ds_load_b128 v[128:131], v2 offset:400
	s_waitcnt lgkmcnt(1)
	v_fmac_f32_e32 v175, v148, v132
	v_fmac_f32_e32 v175, v149, v133
	s_delay_alu instid0(VALU_DEP_1) | instskip(SKIP_1) | instid1(VALU_DEP_1)
	v_fmac_f32_e32 v175, v150, v134
	s_waitcnt vmcnt(6)
	v_fmac_f32_e32 v175, v151, v135
	ds_load_b128 v[132:135], v2 offset:416
	s_waitcnt lgkmcnt(1)
	v_fmac_f32_e32 v175, v152, v128
	s_delay_alu instid0(VALU_DEP_1) | instskip(NEXT) | instid1(VALU_DEP_1)
	v_fmac_f32_e32 v175, v153, v129
	v_fmac_f32_e32 v175, v154, v130
	s_waitcnt vmcnt(5)
	s_delay_alu instid0(VALU_DEP_1) | instskip(SKIP_3) | instid1(VALU_DEP_1)
	v_fmac_f32_e32 v175, v155, v131
	ds_load_b128 v[128:131], v2 offset:432
	s_waitcnt lgkmcnt(1)
	v_fmac_f32_e32 v175, v156, v132
	v_fmac_f32_e32 v175, v157, v133
	s_delay_alu instid0(VALU_DEP_1) | instskip(SKIP_1) | instid1(VALU_DEP_1)
	v_fmac_f32_e32 v175, v158, v134
	s_waitcnt vmcnt(4)
	v_fmac_f32_e32 v175, v159, v135
	ds_load_b128 v[132:135], v2 offset:448
	s_waitcnt lgkmcnt(1)
	v_fmac_f32_e32 v175, v160, v128
	s_delay_alu instid0(VALU_DEP_1) | instskip(NEXT) | instid1(VALU_DEP_1)
	v_fmac_f32_e32 v175, v161, v129
	v_fmac_f32_e32 v175, v162, v130
	s_waitcnt vmcnt(3)
	s_delay_alu instid0(VALU_DEP_1) | instskip(SKIP_3) | instid1(VALU_DEP_1)
	v_fmac_f32_e32 v175, v163, v131
	ds_load_b128 v[128:131], v2 offset:464
	s_waitcnt lgkmcnt(1)
	v_fmac_f32_e32 v175, v164, v132
	v_fmac_f32_e32 v175, v165, v133
	s_delay_alu instid0(VALU_DEP_1) | instskip(SKIP_1) | instid1(VALU_DEP_1)
	v_fmac_f32_e32 v175, v166, v134
	s_waitcnt vmcnt(2)
	v_fmac_f32_e32 v175, v167, v135
	ds_load_b128 v[132:135], v2 offset:480
	s_waitcnt lgkmcnt(1)
	v_fmac_f32_e32 v175, v168, v128
	ds_load_b32 v128, v2 offset:496
	v_fmac_f32_e32 v175, v169, v129
	s_delay_alu instid0(VALU_DEP_1) | instskip(SKIP_1) | instid1(VALU_DEP_1)
	v_fmac_f32_e32 v175, v170, v130
	s_waitcnt vmcnt(1)
	v_fmac_f32_e32 v175, v171, v131
	s_waitcnt lgkmcnt(1)
	s_delay_alu instid0(VALU_DEP_1) | instskip(NEXT) | instid1(VALU_DEP_1)
	v_fmac_f32_e32 v175, v172, v132
	v_fmac_f32_e32 v175, v173, v133
	s_delay_alu instid0(VALU_DEP_1) | instskip(SKIP_1) | instid1(VALU_DEP_1)
	v_fmac_f32_e32 v175, v174, v134
	s_waitcnt vmcnt(0)
	v_fmac_f32_e32 v175, v3, v135
	s_waitcnt lgkmcnt(0)
	s_delay_alu instid0(VALU_DEP_1) | instskip(NEXT) | instid1(VALU_DEP_1)
	v_fmac_f32_e32 v175, v4, v128
	v_sub_f32_e32 v3, v127, v175
	scratch_store_b32 off, v3, off offset:44
	v_cmpx_lt_u32_e32 10, v0
	s_cbranch_execz .LBB124_353
; %bb.352:
	scratch_load_b32 v3, off, off offset:40
	scratch_store_b32 off, v2, off offset:40
	s_waitcnt vmcnt(0)
	ds_store_b32 v1, v3
.LBB124_353:
	s_or_b32 exec_lo, exec_lo, s0
	s_waitcnt lgkmcnt(0)
	s_waitcnt_vscnt null, 0x0
	s_barrier
	buffer_gl0_inv
	s_clause 0xc
	scratch_load_b128 v[127:130], off, off offset:40
	scratch_load_b128 v[131:134], off, off offset:56
	;; [unrolled: 1-line block ×12, first 2 shown]
	scratch_load_b96 v[175:177], off, off offset:232
	ds_load_2addr_b32 v[3:4], v2 offset0:75 offset1:76
	ds_load_2addr_b32 v[178:179], v2 offset0:77 offset1:78
	ds_load_2addr_b32 v[180:181], v2 offset0:79 offset1:80
	ds_load_2addr_b32 v[182:183], v2 offset0:81 offset1:82
	s_mov_b32 s0, exec_lo
	s_waitcnt vmcnt(12) lgkmcnt(3)
	v_fma_f32 v184, v128, v3, 0
	s_delay_alu instid0(VALU_DEP_1)
	v_fmac_f32_e32 v184, v129, v4
	ds_load_2addr_b32 v[3:4], v2 offset0:83 offset1:84
	ds_load_2addr_b32 v[128:129], v2 offset0:85 offset1:86
	s_waitcnt lgkmcnt(4)
	v_fmac_f32_e32 v184, v130, v178
	s_waitcnt vmcnt(11)
	s_delay_alu instid0(VALU_DEP_1) | instskip(SKIP_1) | instid1(VALU_DEP_1)
	v_fmac_f32_e32 v184, v131, v179
	s_waitcnt lgkmcnt(3)
	v_fmac_f32_e32 v184, v132, v180
	s_delay_alu instid0(VALU_DEP_1)
	v_fmac_f32_e32 v184, v133, v181
	ds_load_2addr_b32 v[130:131], v2 offset0:87 offset1:88
	ds_load_2addr_b32 v[132:133], v2 offset0:89 offset1:90
	s_waitcnt lgkmcnt(4)
	v_fmac_f32_e32 v184, v134, v182
	s_waitcnt vmcnt(10)
	s_delay_alu instid0(VALU_DEP_1) | instskip(SKIP_1) | instid1(VALU_DEP_1)
	v_fmac_f32_e32 v184, v135, v183
	s_waitcnt lgkmcnt(3)
	v_fmac_f32_e32 v184, v136, v3
	s_delay_alu instid0(VALU_DEP_1) | instskip(SKIP_4) | instid1(VALU_DEP_1)
	v_fmac_f32_e32 v184, v137, v4
	ds_load_2addr_b32 v[3:4], v2 offset0:91 offset1:92
	s_waitcnt lgkmcnt(3)
	v_fmac_f32_e32 v184, v138, v128
	s_waitcnt vmcnt(9)
	v_fmac_f32_e32 v184, v139, v129
	ds_load_2addr_b32 v[128:129], v2 offset0:93 offset1:94
	s_waitcnt lgkmcnt(3)
	v_fmac_f32_e32 v184, v140, v130
	s_delay_alu instid0(VALU_DEP_1) | instskip(SKIP_1) | instid1(VALU_DEP_1)
	v_fmac_f32_e32 v184, v141, v131
	s_waitcnt lgkmcnt(2)
	v_fmac_f32_e32 v184, v142, v132
	s_waitcnt vmcnt(8)
	s_delay_alu instid0(VALU_DEP_1) | instskip(SKIP_4) | instid1(VALU_DEP_1)
	v_fmac_f32_e32 v184, v143, v133
	ds_load_2addr_b32 v[130:131], v2 offset0:95 offset1:96
	ds_load_2addr_b32 v[132:133], v2 offset0:97 offset1:98
	s_waitcnt lgkmcnt(3)
	v_fmac_f32_e32 v184, v144, v3
	v_fmac_f32_e32 v184, v145, v4
	ds_load_2addr_b32 v[3:4], v2 offset0:99 offset1:100
	s_waitcnt lgkmcnt(3)
	v_fmac_f32_e32 v184, v146, v128
	s_waitcnt vmcnt(7)
	s_delay_alu instid0(VALU_DEP_1) | instskip(SKIP_3) | instid1(VALU_DEP_1)
	v_fmac_f32_e32 v184, v147, v129
	ds_load_2addr_b32 v[128:129], v2 offset0:101 offset1:102
	s_waitcnt lgkmcnt(3)
	v_fmac_f32_e32 v184, v148, v130
	v_fmac_f32_e32 v184, v149, v131
	s_waitcnt lgkmcnt(2)
	s_delay_alu instid0(VALU_DEP_1) | instskip(SKIP_1) | instid1(VALU_DEP_1)
	v_fmac_f32_e32 v184, v150, v132
	s_waitcnt vmcnt(6)
	v_fmac_f32_e32 v184, v151, v133
	ds_load_2addr_b32 v[130:131], v2 offset0:103 offset1:104
	ds_load_2addr_b32 v[132:133], v2 offset0:105 offset1:106
	s_waitcnt lgkmcnt(3)
	v_fmac_f32_e32 v184, v152, v3
	s_delay_alu instid0(VALU_DEP_1) | instskip(SKIP_4) | instid1(VALU_DEP_1)
	v_fmac_f32_e32 v184, v153, v4
	ds_load_2addr_b32 v[3:4], v2 offset0:107 offset1:108
	s_waitcnt lgkmcnt(3)
	v_fmac_f32_e32 v184, v154, v128
	s_waitcnt vmcnt(5)
	v_fmac_f32_e32 v184, v155, v129
	ds_load_2addr_b32 v[128:129], v2 offset0:109 offset1:110
	s_waitcnt lgkmcnt(3)
	v_fmac_f32_e32 v184, v156, v130
	s_delay_alu instid0(VALU_DEP_1) | instskip(SKIP_1) | instid1(VALU_DEP_1)
	v_fmac_f32_e32 v184, v157, v131
	s_waitcnt lgkmcnt(2)
	v_fmac_f32_e32 v184, v158, v132
	s_waitcnt vmcnt(4)
	s_delay_alu instid0(VALU_DEP_1) | instskip(SKIP_4) | instid1(VALU_DEP_1)
	v_fmac_f32_e32 v184, v159, v133
	ds_load_2addr_b32 v[130:131], v2 offset0:111 offset1:112
	ds_load_2addr_b32 v[132:133], v2 offset0:113 offset1:114
	s_waitcnt lgkmcnt(3)
	v_fmac_f32_e32 v184, v160, v3
	v_fmac_f32_e32 v184, v161, v4
	ds_load_2addr_b32 v[3:4], v2 offset0:115 offset1:116
	s_waitcnt lgkmcnt(3)
	v_fmac_f32_e32 v184, v162, v128
	s_waitcnt vmcnt(3)
	s_delay_alu instid0(VALU_DEP_1) | instskip(SKIP_3) | instid1(VALU_DEP_1)
	v_fmac_f32_e32 v184, v163, v129
	ds_load_2addr_b32 v[128:129], v2 offset0:117 offset1:118
	s_waitcnt lgkmcnt(3)
	v_fmac_f32_e32 v184, v164, v130
	v_fmac_f32_e32 v184, v165, v131
	s_waitcnt lgkmcnt(2)
	s_delay_alu instid0(VALU_DEP_1) | instskip(SKIP_1) | instid1(VALU_DEP_1)
	v_fmac_f32_e32 v184, v166, v132
	s_waitcnt vmcnt(2)
	v_fmac_f32_e32 v184, v167, v133
	ds_load_2addr_b32 v[130:131], v2 offset0:119 offset1:120
	ds_load_2addr_b32 v[132:133], v2 offset0:121 offset1:122
	s_waitcnt lgkmcnt(3)
	v_fmac_f32_e32 v184, v168, v3
	ds_load_2addr_b32 v[2:3], v2 offset0:123 offset1:124
	v_fmac_f32_e32 v184, v169, v4
	s_waitcnt lgkmcnt(3)
	s_delay_alu instid0(VALU_DEP_1) | instskip(SKIP_1) | instid1(VALU_DEP_1)
	v_fmac_f32_e32 v184, v170, v128
	s_waitcnt vmcnt(1)
	v_fmac_f32_e32 v184, v171, v129
	s_waitcnt lgkmcnt(2)
	s_delay_alu instid0(VALU_DEP_1) | instskip(NEXT) | instid1(VALU_DEP_1)
	v_fmac_f32_e32 v184, v172, v130
	v_fmac_f32_e32 v184, v173, v131
	s_waitcnt lgkmcnt(1)
	s_delay_alu instid0(VALU_DEP_1) | instskip(SKIP_1) | instid1(VALU_DEP_1)
	v_fmac_f32_e32 v184, v174, v132
	s_waitcnt vmcnt(0)
	v_fmac_f32_e32 v184, v175, v133
	s_waitcnt lgkmcnt(0)
	s_delay_alu instid0(VALU_DEP_1) | instskip(NEXT) | instid1(VALU_DEP_1)
	v_fmac_f32_e32 v184, v176, v2
	v_fmac_f32_e32 v184, v177, v3
	s_delay_alu instid0(VALU_DEP_1)
	v_sub_f32_e32 v2, v127, v184
	scratch_store_b32 off, v2, off offset:40
	v_cmpx_lt_u32_e32 9, v0
	s_cbranch_execz .LBB124_355
; %bb.354:
	scratch_load_b32 v2, off, off offset:36
	v_mov_b32_e32 v3, 0
	scratch_store_b32 off, v3, off offset:36
	s_waitcnt vmcnt(0)
	ds_store_b32 v1, v2
.LBB124_355:
	s_or_b32 exec_lo, exec_lo, s0
	s_waitcnt lgkmcnt(0)
	s_waitcnt_vscnt null, 0x0
	s_barrier
	buffer_gl0_inv
	s_clause 0xc
	scratch_load_b128 v[127:130], off, off offset:36
	scratch_load_b128 v[131:134], off, off offset:52
	;; [unrolled: 1-line block ×13, first 2 shown]
	v_mov_b32_e32 v2, 0
	ds_load_2addr_b64 v[179:182], v2 offset0:37 offset1:38
	ds_load_2addr_b64 v[183:186], v2 offset0:39 offset1:40
	s_mov_b32 s0, exec_lo
	s_waitcnt vmcnt(12) lgkmcnt(1)
	v_fma_f32 v179, v128, v179, 0
	s_delay_alu instid0(VALU_DEP_1) | instskip(SKIP_3) | instid1(VALU_DEP_1)
	v_fmac_f32_e32 v179, v129, v180
	ds_load_b64 v[3:4], v2 offset:488
	v_fmac_f32_e32 v179, v130, v181
	s_waitcnt vmcnt(11)
	v_fmac_f32_e32 v179, v131, v182
	ds_load_2addr_b64 v[128:131], v2 offset0:41 offset1:42
	s_waitcnt lgkmcnt(2)
	v_fmac_f32_e32 v179, v132, v183
	s_delay_alu instid0(VALU_DEP_1) | instskip(NEXT) | instid1(VALU_DEP_1)
	v_fmac_f32_e32 v179, v133, v184
	v_fmac_f32_e32 v179, v134, v185
	s_waitcnt vmcnt(10)
	s_delay_alu instid0(VALU_DEP_1) | instskip(SKIP_3) | instid1(VALU_DEP_1)
	v_fmac_f32_e32 v179, v135, v186
	ds_load_2addr_b64 v[132:135], v2 offset0:43 offset1:44
	s_waitcnt lgkmcnt(1)
	v_fmac_f32_e32 v179, v136, v128
	v_fmac_f32_e32 v179, v137, v129
	s_delay_alu instid0(VALU_DEP_1) | instskip(SKIP_1) | instid1(VALU_DEP_1)
	v_fmac_f32_e32 v179, v138, v130
	s_waitcnt vmcnt(9)
	v_fmac_f32_e32 v179, v139, v131
	ds_load_2addr_b64 v[128:131], v2 offset0:45 offset1:46
	s_waitcnt lgkmcnt(1)
	v_fmac_f32_e32 v179, v140, v132
	s_delay_alu instid0(VALU_DEP_1) | instskip(NEXT) | instid1(VALU_DEP_1)
	v_fmac_f32_e32 v179, v141, v133
	v_fmac_f32_e32 v179, v142, v134
	s_waitcnt vmcnt(8)
	s_delay_alu instid0(VALU_DEP_1) | instskip(SKIP_3) | instid1(VALU_DEP_1)
	v_fmac_f32_e32 v179, v143, v135
	ds_load_2addr_b64 v[132:135], v2 offset0:47 offset1:48
	s_waitcnt lgkmcnt(1)
	v_fmac_f32_e32 v179, v144, v128
	v_fmac_f32_e32 v179, v145, v129
	s_delay_alu instid0(VALU_DEP_1) | instskip(SKIP_1) | instid1(VALU_DEP_1)
	;; [unrolled: 17-line block ×4, first 2 shown]
	v_fmac_f32_e32 v179, v162, v130
	s_waitcnt vmcnt(3)
	v_fmac_f32_e32 v179, v163, v131
	ds_load_2addr_b64 v[128:131], v2 offset0:57 offset1:58
	s_waitcnt lgkmcnt(1)
	v_fmac_f32_e32 v179, v164, v132
	s_delay_alu instid0(VALU_DEP_1) | instskip(NEXT) | instid1(VALU_DEP_1)
	v_fmac_f32_e32 v179, v165, v133
	v_fmac_f32_e32 v179, v166, v134
	s_waitcnt vmcnt(2)
	s_delay_alu instid0(VALU_DEP_1)
	v_fmac_f32_e32 v179, v167, v135
	ds_load_2addr_b64 v[132:135], v2 offset0:59 offset1:60
	s_waitcnt lgkmcnt(1)
	v_fmac_f32_e32 v179, v168, v128
	ds_load_b32 v128, v2 offset:496
	v_fmac_f32_e32 v179, v169, v129
	s_delay_alu instid0(VALU_DEP_1) | instskip(SKIP_1) | instid1(VALU_DEP_1)
	v_fmac_f32_e32 v179, v170, v130
	s_waitcnt vmcnt(1)
	v_fmac_f32_e32 v179, v171, v131
	s_waitcnt lgkmcnt(1)
	s_delay_alu instid0(VALU_DEP_1) | instskip(NEXT) | instid1(VALU_DEP_1)
	v_fmac_f32_e32 v179, v172, v132
	v_fmac_f32_e32 v179, v173, v133
	s_delay_alu instid0(VALU_DEP_1) | instskip(SKIP_1) | instid1(VALU_DEP_1)
	v_fmac_f32_e32 v179, v174, v134
	s_waitcnt vmcnt(0)
	v_fmac_f32_e32 v179, v175, v135
	s_delay_alu instid0(VALU_DEP_1) | instskip(NEXT) | instid1(VALU_DEP_1)
	v_fmac_f32_e32 v179, v176, v3
	v_fmac_f32_e32 v179, v177, v4
	s_waitcnt lgkmcnt(0)
	s_delay_alu instid0(VALU_DEP_1) | instskip(NEXT) | instid1(VALU_DEP_1)
	v_fmac_f32_e32 v179, v178, v128
	v_sub_f32_e32 v3, v127, v179
	scratch_store_b32 off, v3, off offset:36
	v_cmpx_lt_u32_e32 8, v0
	s_cbranch_execz .LBB124_357
; %bb.356:
	scratch_load_b32 v3, off, off offset:32
	scratch_store_b32 off, v2, off offset:32
	s_waitcnt vmcnt(0)
	ds_store_b32 v1, v3
.LBB124_357:
	s_or_b32 exec_lo, exec_lo, s0
	s_waitcnt lgkmcnt(0)
	s_waitcnt_vscnt null, 0x0
	s_barrier
	buffer_gl0_inv
	s_clause 0xd
	scratch_load_b128 v[127:130], off, off offset:32
	scratch_load_b128 v[131:134], off, off offset:48
	;; [unrolled: 1-line block ×13, first 2 shown]
	scratch_load_b32 v185, off, off offset:240
	ds_load_2addr_b32 v[3:4], v2 offset0:73 offset1:74
	ds_load_2addr_b32 v[179:180], v2 offset0:75 offset1:76
	;; [unrolled: 1-line block ×4, first 2 shown]
	s_mov_b32 s0, exec_lo
	s_waitcnt vmcnt(13) lgkmcnt(3)
	v_fma_f32 v186, v128, v3, 0
	s_delay_alu instid0(VALU_DEP_1)
	v_fmac_f32_e32 v186, v129, v4
	ds_load_2addr_b32 v[3:4], v2 offset0:81 offset1:82
	ds_load_2addr_b32 v[128:129], v2 offset0:83 offset1:84
	s_waitcnt lgkmcnt(4)
	v_fmac_f32_e32 v186, v130, v179
	s_waitcnt vmcnt(12)
	s_delay_alu instid0(VALU_DEP_1) | instskip(SKIP_1) | instid1(VALU_DEP_1)
	v_fmac_f32_e32 v186, v131, v180
	s_waitcnt lgkmcnt(3)
	v_fmac_f32_e32 v186, v132, v181
	s_delay_alu instid0(VALU_DEP_1)
	v_fmac_f32_e32 v186, v133, v182
	ds_load_2addr_b32 v[130:131], v2 offset0:85 offset1:86
	ds_load_2addr_b32 v[132:133], v2 offset0:87 offset1:88
	s_waitcnt lgkmcnt(4)
	v_fmac_f32_e32 v186, v134, v183
	s_waitcnt vmcnt(11)
	s_delay_alu instid0(VALU_DEP_1) | instskip(SKIP_1) | instid1(VALU_DEP_1)
	v_fmac_f32_e32 v186, v135, v184
	s_waitcnt lgkmcnt(3)
	v_fmac_f32_e32 v186, v136, v3
	s_delay_alu instid0(VALU_DEP_1) | instskip(SKIP_4) | instid1(VALU_DEP_1)
	v_fmac_f32_e32 v186, v137, v4
	ds_load_2addr_b32 v[3:4], v2 offset0:89 offset1:90
	s_waitcnt lgkmcnt(3)
	v_fmac_f32_e32 v186, v138, v128
	s_waitcnt vmcnt(10)
	v_fmac_f32_e32 v186, v139, v129
	ds_load_2addr_b32 v[128:129], v2 offset0:91 offset1:92
	s_waitcnt lgkmcnt(3)
	v_fmac_f32_e32 v186, v140, v130
	s_delay_alu instid0(VALU_DEP_1) | instskip(SKIP_1) | instid1(VALU_DEP_1)
	v_fmac_f32_e32 v186, v141, v131
	s_waitcnt lgkmcnt(2)
	v_fmac_f32_e32 v186, v142, v132
	s_waitcnt vmcnt(9)
	s_delay_alu instid0(VALU_DEP_1) | instskip(SKIP_4) | instid1(VALU_DEP_1)
	v_fmac_f32_e32 v186, v143, v133
	ds_load_2addr_b32 v[130:131], v2 offset0:93 offset1:94
	ds_load_2addr_b32 v[132:133], v2 offset0:95 offset1:96
	s_waitcnt lgkmcnt(3)
	v_fmac_f32_e32 v186, v144, v3
	v_fmac_f32_e32 v186, v145, v4
	ds_load_2addr_b32 v[3:4], v2 offset0:97 offset1:98
	s_waitcnt lgkmcnt(3)
	v_fmac_f32_e32 v186, v146, v128
	s_waitcnt vmcnt(8)
	s_delay_alu instid0(VALU_DEP_1) | instskip(SKIP_3) | instid1(VALU_DEP_1)
	v_fmac_f32_e32 v186, v147, v129
	ds_load_2addr_b32 v[128:129], v2 offset0:99 offset1:100
	s_waitcnt lgkmcnt(3)
	v_fmac_f32_e32 v186, v148, v130
	v_fmac_f32_e32 v186, v149, v131
	s_waitcnt lgkmcnt(2)
	s_delay_alu instid0(VALU_DEP_1) | instskip(SKIP_1) | instid1(VALU_DEP_1)
	v_fmac_f32_e32 v186, v150, v132
	s_waitcnt vmcnt(7)
	v_fmac_f32_e32 v186, v151, v133
	ds_load_2addr_b32 v[130:131], v2 offset0:101 offset1:102
	ds_load_2addr_b32 v[132:133], v2 offset0:103 offset1:104
	s_waitcnt lgkmcnt(3)
	v_fmac_f32_e32 v186, v152, v3
	s_delay_alu instid0(VALU_DEP_1) | instskip(SKIP_4) | instid1(VALU_DEP_1)
	v_fmac_f32_e32 v186, v153, v4
	ds_load_2addr_b32 v[3:4], v2 offset0:105 offset1:106
	s_waitcnt lgkmcnt(3)
	v_fmac_f32_e32 v186, v154, v128
	s_waitcnt vmcnt(6)
	v_fmac_f32_e32 v186, v155, v129
	ds_load_2addr_b32 v[128:129], v2 offset0:107 offset1:108
	s_waitcnt lgkmcnt(3)
	v_fmac_f32_e32 v186, v156, v130
	s_delay_alu instid0(VALU_DEP_1) | instskip(SKIP_1) | instid1(VALU_DEP_1)
	v_fmac_f32_e32 v186, v157, v131
	s_waitcnt lgkmcnt(2)
	v_fmac_f32_e32 v186, v158, v132
	s_waitcnt vmcnt(5)
	s_delay_alu instid0(VALU_DEP_1) | instskip(SKIP_4) | instid1(VALU_DEP_1)
	v_fmac_f32_e32 v186, v159, v133
	ds_load_2addr_b32 v[130:131], v2 offset0:109 offset1:110
	ds_load_2addr_b32 v[132:133], v2 offset0:111 offset1:112
	s_waitcnt lgkmcnt(3)
	v_fmac_f32_e32 v186, v160, v3
	v_fmac_f32_e32 v186, v161, v4
	ds_load_2addr_b32 v[3:4], v2 offset0:113 offset1:114
	s_waitcnt lgkmcnt(3)
	v_fmac_f32_e32 v186, v162, v128
	s_waitcnt vmcnt(4)
	s_delay_alu instid0(VALU_DEP_1) | instskip(SKIP_3) | instid1(VALU_DEP_1)
	v_fmac_f32_e32 v186, v163, v129
	ds_load_2addr_b32 v[128:129], v2 offset0:115 offset1:116
	s_waitcnt lgkmcnt(3)
	v_fmac_f32_e32 v186, v164, v130
	v_fmac_f32_e32 v186, v165, v131
	s_waitcnt lgkmcnt(2)
	s_delay_alu instid0(VALU_DEP_1) | instskip(SKIP_1) | instid1(VALU_DEP_1)
	v_fmac_f32_e32 v186, v166, v132
	s_waitcnt vmcnt(3)
	v_fmac_f32_e32 v186, v167, v133
	ds_load_2addr_b32 v[130:131], v2 offset0:117 offset1:118
	ds_load_2addr_b32 v[132:133], v2 offset0:119 offset1:120
	s_waitcnt lgkmcnt(3)
	v_fmac_f32_e32 v186, v168, v3
	s_delay_alu instid0(VALU_DEP_1) | instskip(SKIP_4) | instid1(VALU_DEP_1)
	v_fmac_f32_e32 v186, v169, v4
	ds_load_2addr_b32 v[3:4], v2 offset0:121 offset1:122
	s_waitcnt lgkmcnt(3)
	v_fmac_f32_e32 v186, v170, v128
	s_waitcnt vmcnt(2)
	v_fmac_f32_e32 v186, v171, v129
	ds_load_2addr_b32 v[128:129], v2 offset0:123 offset1:124
	s_waitcnt lgkmcnt(3)
	v_fmac_f32_e32 v186, v172, v130
	s_delay_alu instid0(VALU_DEP_1) | instskip(SKIP_1) | instid1(VALU_DEP_1)
	v_fmac_f32_e32 v186, v173, v131
	s_waitcnt lgkmcnt(2)
	v_fmac_f32_e32 v186, v174, v132
	s_waitcnt vmcnt(1)
	s_delay_alu instid0(VALU_DEP_1) | instskip(SKIP_1) | instid1(VALU_DEP_1)
	v_fmac_f32_e32 v186, v175, v133
	s_waitcnt lgkmcnt(1)
	v_fmac_f32_e32 v186, v176, v3
	s_delay_alu instid0(VALU_DEP_1) | instskip(SKIP_1) | instid1(VALU_DEP_1)
	v_fmac_f32_e32 v186, v177, v4
	s_waitcnt lgkmcnt(0)
	v_fmac_f32_e32 v186, v178, v128
	s_waitcnt vmcnt(0)
	s_delay_alu instid0(VALU_DEP_1) | instskip(NEXT) | instid1(VALU_DEP_1)
	v_fmac_f32_e32 v186, v185, v129
	v_sub_f32_e32 v2, v127, v186
	scratch_store_b32 off, v2, off offset:32
	v_cmpx_lt_u32_e32 7, v0
	s_cbranch_execz .LBB124_359
; %bb.358:
	scratch_load_b32 v2, off, off offset:28
	v_mov_b32_e32 v3, 0
	scratch_store_b32 off, v3, off offset:28
	s_waitcnt vmcnt(0)
	ds_store_b32 v1, v2
.LBB124_359:
	s_or_b32 exec_lo, exec_lo, s0
	s_waitcnt lgkmcnt(0)
	s_waitcnt_vscnt null, 0x0
	s_barrier
	buffer_gl0_inv
	s_clause 0xd
	scratch_load_b128 v[127:130], off, off offset:28
	scratch_load_b128 v[131:134], off, off offset:44
	;; [unrolled: 1-line block ×13, first 2 shown]
	scratch_load_b64 v[3:4], off, off offset:236
	v_mov_b32_e32 v2, 0
	ds_load_b128 v[179:182], v2 offset:288
	ds_load_b128 v[183:186], v2 offset:304
	s_mov_b32 s0, exec_lo
	s_waitcnt vmcnt(13) lgkmcnt(1)
	v_fma_f32 v179, v128, v179, 0
	s_delay_alu instid0(VALU_DEP_1) | instskip(NEXT) | instid1(VALU_DEP_1)
	v_fmac_f32_e32 v179, v129, v180
	v_fmac_f32_e32 v179, v130, v181
	s_waitcnt vmcnt(12)
	s_delay_alu instid0(VALU_DEP_1) | instskip(SKIP_3) | instid1(VALU_DEP_1)
	v_fmac_f32_e32 v179, v131, v182
	ds_load_b128 v[128:131], v2 offset:320
	s_waitcnt lgkmcnt(1)
	v_fmac_f32_e32 v179, v132, v183
	v_fmac_f32_e32 v179, v133, v184
	s_delay_alu instid0(VALU_DEP_1) | instskip(SKIP_1) | instid1(VALU_DEP_1)
	v_fmac_f32_e32 v179, v134, v185
	s_waitcnt vmcnt(11)
	v_fmac_f32_e32 v179, v135, v186
	ds_load_b128 v[132:135], v2 offset:336
	s_waitcnt lgkmcnt(1)
	v_fmac_f32_e32 v179, v136, v128
	s_delay_alu instid0(VALU_DEP_1) | instskip(NEXT) | instid1(VALU_DEP_1)
	v_fmac_f32_e32 v179, v137, v129
	v_fmac_f32_e32 v179, v138, v130
	s_waitcnt vmcnt(10)
	s_delay_alu instid0(VALU_DEP_1) | instskip(SKIP_3) | instid1(VALU_DEP_1)
	v_fmac_f32_e32 v179, v139, v131
	ds_load_b128 v[128:131], v2 offset:352
	s_waitcnt lgkmcnt(1)
	v_fmac_f32_e32 v179, v140, v132
	v_fmac_f32_e32 v179, v141, v133
	s_delay_alu instid0(VALU_DEP_1) | instskip(SKIP_1) | instid1(VALU_DEP_1)
	v_fmac_f32_e32 v179, v142, v134
	s_waitcnt vmcnt(9)
	v_fmac_f32_e32 v179, v143, v135
	ds_load_b128 v[132:135], v2 offset:368
	s_waitcnt lgkmcnt(1)
	v_fmac_f32_e32 v179, v144, v128
	;; [unrolled: 17-line block ×5, first 2 shown]
	s_delay_alu instid0(VALU_DEP_1) | instskip(NEXT) | instid1(VALU_DEP_1)
	v_fmac_f32_e32 v179, v169, v129
	v_fmac_f32_e32 v179, v170, v130
	s_waitcnt vmcnt(2)
	s_delay_alu instid0(VALU_DEP_1)
	v_fmac_f32_e32 v179, v171, v131
	ds_load_b128 v[128:131], v2 offset:480
	s_waitcnt lgkmcnt(1)
	v_fmac_f32_e32 v179, v172, v132
	ds_load_b32 v132, v2 offset:496
	v_fmac_f32_e32 v179, v173, v133
	s_delay_alu instid0(VALU_DEP_1) | instskip(SKIP_1) | instid1(VALU_DEP_1)
	v_fmac_f32_e32 v179, v174, v134
	s_waitcnt vmcnt(1)
	v_fmac_f32_e32 v179, v175, v135
	s_waitcnt lgkmcnt(1)
	s_delay_alu instid0(VALU_DEP_1) | instskip(NEXT) | instid1(VALU_DEP_1)
	v_fmac_f32_e32 v179, v176, v128
	v_fmac_f32_e32 v179, v177, v129
	s_delay_alu instid0(VALU_DEP_1) | instskip(SKIP_1) | instid1(VALU_DEP_1)
	v_fmac_f32_e32 v179, v178, v130
	s_waitcnt vmcnt(0)
	v_fmac_f32_e32 v179, v3, v131
	s_waitcnt lgkmcnt(0)
	s_delay_alu instid0(VALU_DEP_1) | instskip(NEXT) | instid1(VALU_DEP_1)
	v_fmac_f32_e32 v179, v4, v132
	v_sub_f32_e32 v3, v127, v179
	scratch_store_b32 off, v3, off offset:28
	v_cmpx_lt_u32_e32 6, v0
	s_cbranch_execz .LBB124_361
; %bb.360:
	scratch_load_b32 v3, off, off offset:24
	scratch_store_b32 off, v2, off offset:24
	s_waitcnt vmcnt(0)
	ds_store_b32 v1, v3
.LBB124_361:
	s_or_b32 exec_lo, exec_lo, s0
	s_waitcnt lgkmcnt(0)
	s_waitcnt_vscnt null, 0x0
	s_barrier
	buffer_gl0_inv
	s_clause 0xd
	scratch_load_b128 v[127:130], off, off offset:24
	scratch_load_b128 v[131:134], off, off offset:40
	;; [unrolled: 1-line block ×13, first 2 shown]
	scratch_load_b96 v[179:181], off, off offset:232
	ds_load_2addr_b32 v[3:4], v2 offset0:71 offset1:72
	ds_load_2addr_b32 v[182:183], v2 offset0:73 offset1:74
	;; [unrolled: 1-line block ×4, first 2 shown]
	s_mov_b32 s0, exec_lo
	s_waitcnt vmcnt(13) lgkmcnt(3)
	v_fma_f32 v188, v128, v3, 0
	s_delay_alu instid0(VALU_DEP_1)
	v_fmac_f32_e32 v188, v129, v4
	ds_load_2addr_b32 v[3:4], v2 offset0:79 offset1:80
	ds_load_2addr_b32 v[128:129], v2 offset0:81 offset1:82
	s_waitcnt lgkmcnt(4)
	v_fmac_f32_e32 v188, v130, v182
	s_waitcnt vmcnt(12)
	s_delay_alu instid0(VALU_DEP_1) | instskip(SKIP_1) | instid1(VALU_DEP_1)
	v_fmac_f32_e32 v188, v131, v183
	s_waitcnt lgkmcnt(3)
	v_fmac_f32_e32 v188, v132, v184
	s_delay_alu instid0(VALU_DEP_1)
	v_fmac_f32_e32 v188, v133, v185
	ds_load_2addr_b32 v[130:131], v2 offset0:83 offset1:84
	ds_load_2addr_b32 v[132:133], v2 offset0:85 offset1:86
	s_waitcnt lgkmcnt(4)
	v_fmac_f32_e32 v188, v134, v186
	s_waitcnt vmcnt(11)
	s_delay_alu instid0(VALU_DEP_1) | instskip(SKIP_1) | instid1(VALU_DEP_1)
	v_fmac_f32_e32 v188, v135, v187
	s_waitcnt lgkmcnt(3)
	v_fmac_f32_e32 v188, v136, v3
	s_delay_alu instid0(VALU_DEP_1) | instskip(SKIP_4) | instid1(VALU_DEP_1)
	v_fmac_f32_e32 v188, v137, v4
	ds_load_2addr_b32 v[3:4], v2 offset0:87 offset1:88
	s_waitcnt lgkmcnt(3)
	v_fmac_f32_e32 v188, v138, v128
	s_waitcnt vmcnt(10)
	v_fmac_f32_e32 v188, v139, v129
	ds_load_2addr_b32 v[128:129], v2 offset0:89 offset1:90
	s_waitcnt lgkmcnt(3)
	v_fmac_f32_e32 v188, v140, v130
	s_delay_alu instid0(VALU_DEP_1) | instskip(SKIP_1) | instid1(VALU_DEP_1)
	v_fmac_f32_e32 v188, v141, v131
	s_waitcnt lgkmcnt(2)
	v_fmac_f32_e32 v188, v142, v132
	s_waitcnt vmcnt(9)
	s_delay_alu instid0(VALU_DEP_1) | instskip(SKIP_4) | instid1(VALU_DEP_1)
	v_fmac_f32_e32 v188, v143, v133
	ds_load_2addr_b32 v[130:131], v2 offset0:91 offset1:92
	ds_load_2addr_b32 v[132:133], v2 offset0:93 offset1:94
	s_waitcnt lgkmcnt(3)
	v_fmac_f32_e32 v188, v144, v3
	v_fmac_f32_e32 v188, v145, v4
	ds_load_2addr_b32 v[3:4], v2 offset0:95 offset1:96
	s_waitcnt lgkmcnt(3)
	v_fmac_f32_e32 v188, v146, v128
	s_waitcnt vmcnt(8)
	s_delay_alu instid0(VALU_DEP_1) | instskip(SKIP_3) | instid1(VALU_DEP_1)
	v_fmac_f32_e32 v188, v147, v129
	ds_load_2addr_b32 v[128:129], v2 offset0:97 offset1:98
	s_waitcnt lgkmcnt(3)
	v_fmac_f32_e32 v188, v148, v130
	v_fmac_f32_e32 v188, v149, v131
	s_waitcnt lgkmcnt(2)
	s_delay_alu instid0(VALU_DEP_1) | instskip(SKIP_1) | instid1(VALU_DEP_1)
	v_fmac_f32_e32 v188, v150, v132
	s_waitcnt vmcnt(7)
	v_fmac_f32_e32 v188, v151, v133
	ds_load_2addr_b32 v[130:131], v2 offset0:99 offset1:100
	ds_load_2addr_b32 v[132:133], v2 offset0:101 offset1:102
	s_waitcnt lgkmcnt(3)
	v_fmac_f32_e32 v188, v152, v3
	s_delay_alu instid0(VALU_DEP_1) | instskip(SKIP_4) | instid1(VALU_DEP_1)
	v_fmac_f32_e32 v188, v153, v4
	ds_load_2addr_b32 v[3:4], v2 offset0:103 offset1:104
	s_waitcnt lgkmcnt(3)
	v_fmac_f32_e32 v188, v154, v128
	s_waitcnt vmcnt(6)
	v_fmac_f32_e32 v188, v155, v129
	ds_load_2addr_b32 v[128:129], v2 offset0:105 offset1:106
	s_waitcnt lgkmcnt(3)
	v_fmac_f32_e32 v188, v156, v130
	s_delay_alu instid0(VALU_DEP_1) | instskip(SKIP_1) | instid1(VALU_DEP_1)
	v_fmac_f32_e32 v188, v157, v131
	s_waitcnt lgkmcnt(2)
	v_fmac_f32_e32 v188, v158, v132
	s_waitcnt vmcnt(5)
	s_delay_alu instid0(VALU_DEP_1) | instskip(SKIP_4) | instid1(VALU_DEP_1)
	v_fmac_f32_e32 v188, v159, v133
	ds_load_2addr_b32 v[130:131], v2 offset0:107 offset1:108
	ds_load_2addr_b32 v[132:133], v2 offset0:109 offset1:110
	s_waitcnt lgkmcnt(3)
	v_fmac_f32_e32 v188, v160, v3
	v_fmac_f32_e32 v188, v161, v4
	ds_load_2addr_b32 v[3:4], v2 offset0:111 offset1:112
	s_waitcnt lgkmcnt(3)
	v_fmac_f32_e32 v188, v162, v128
	s_waitcnt vmcnt(4)
	s_delay_alu instid0(VALU_DEP_1) | instskip(SKIP_3) | instid1(VALU_DEP_1)
	v_fmac_f32_e32 v188, v163, v129
	ds_load_2addr_b32 v[128:129], v2 offset0:113 offset1:114
	s_waitcnt lgkmcnt(3)
	v_fmac_f32_e32 v188, v164, v130
	v_fmac_f32_e32 v188, v165, v131
	s_waitcnt lgkmcnt(2)
	s_delay_alu instid0(VALU_DEP_1) | instskip(SKIP_1) | instid1(VALU_DEP_1)
	v_fmac_f32_e32 v188, v166, v132
	s_waitcnt vmcnt(3)
	v_fmac_f32_e32 v188, v167, v133
	ds_load_2addr_b32 v[130:131], v2 offset0:115 offset1:116
	ds_load_2addr_b32 v[132:133], v2 offset0:117 offset1:118
	s_waitcnt lgkmcnt(3)
	v_fmac_f32_e32 v188, v168, v3
	s_delay_alu instid0(VALU_DEP_1) | instskip(SKIP_4) | instid1(VALU_DEP_1)
	v_fmac_f32_e32 v188, v169, v4
	ds_load_2addr_b32 v[3:4], v2 offset0:119 offset1:120
	s_waitcnt lgkmcnt(3)
	v_fmac_f32_e32 v188, v170, v128
	s_waitcnt vmcnt(2)
	v_fmac_f32_e32 v188, v171, v129
	ds_load_2addr_b32 v[128:129], v2 offset0:121 offset1:122
	s_waitcnt lgkmcnt(3)
	v_fmac_f32_e32 v188, v172, v130
	s_delay_alu instid0(VALU_DEP_1) | instskip(SKIP_4) | instid1(VALU_DEP_1)
	v_fmac_f32_e32 v188, v173, v131
	ds_load_2addr_b32 v[130:131], v2 offset0:123 offset1:124
	s_waitcnt lgkmcnt(3)
	v_fmac_f32_e32 v188, v174, v132
	s_waitcnt vmcnt(1)
	v_fmac_f32_e32 v188, v175, v133
	s_waitcnt lgkmcnt(2)
	s_delay_alu instid0(VALU_DEP_1) | instskip(NEXT) | instid1(VALU_DEP_1)
	v_fmac_f32_e32 v188, v176, v3
	v_fmac_f32_e32 v188, v177, v4
	s_waitcnt lgkmcnt(1)
	s_delay_alu instid0(VALU_DEP_1) | instskip(SKIP_1) | instid1(VALU_DEP_1)
	v_fmac_f32_e32 v188, v178, v128
	s_waitcnt vmcnt(0)
	v_fmac_f32_e32 v188, v179, v129
	s_waitcnt lgkmcnt(0)
	s_delay_alu instid0(VALU_DEP_1) | instskip(NEXT) | instid1(VALU_DEP_1)
	v_fmac_f32_e32 v188, v180, v130
	v_fmac_f32_e32 v188, v181, v131
	s_delay_alu instid0(VALU_DEP_1)
	v_sub_f32_e32 v2, v127, v188
	scratch_store_b32 off, v2, off offset:24
	v_cmpx_lt_u32_e32 5, v0
	s_cbranch_execz .LBB124_363
; %bb.362:
	scratch_load_b32 v2, off, off offset:20
	v_mov_b32_e32 v3, 0
	scratch_store_b32 off, v3, off offset:20
	s_waitcnt vmcnt(0)
	ds_store_b32 v1, v2
.LBB124_363:
	s_or_b32 exec_lo, exec_lo, s0
	s_waitcnt lgkmcnt(0)
	s_waitcnt_vscnt null, 0x0
	s_barrier
	buffer_gl0_inv
	s_clause 0xd
	scratch_load_b128 v[127:130], off, off offset:20
	scratch_load_b128 v[131:134], off, off offset:36
	;; [unrolled: 1-line block ×14, first 2 shown]
	v_mov_b32_e32 v2, 0
	ds_load_2addr_b64 v[183:186], v2 offset0:35 offset1:36
	ds_load_2addr_b64 v[187:190], v2 offset0:37 offset1:38
	s_mov_b32 s0, exec_lo
	s_waitcnt vmcnt(13) lgkmcnt(1)
	v_fma_f32 v183, v128, v183, 0
	s_delay_alu instid0(VALU_DEP_1) | instskip(SKIP_3) | instid1(VALU_DEP_1)
	v_fmac_f32_e32 v183, v129, v184
	ds_load_b64 v[3:4], v2 offset:488
	v_fmac_f32_e32 v183, v130, v185
	s_waitcnt vmcnt(12)
	v_fmac_f32_e32 v183, v131, v186
	ds_load_2addr_b64 v[128:131], v2 offset0:39 offset1:40
	s_waitcnt lgkmcnt(2)
	v_fmac_f32_e32 v183, v132, v187
	s_delay_alu instid0(VALU_DEP_1) | instskip(NEXT) | instid1(VALU_DEP_1)
	v_fmac_f32_e32 v183, v133, v188
	v_fmac_f32_e32 v183, v134, v189
	s_waitcnt vmcnt(11)
	s_delay_alu instid0(VALU_DEP_1) | instskip(SKIP_3) | instid1(VALU_DEP_1)
	v_fmac_f32_e32 v183, v135, v190
	ds_load_2addr_b64 v[132:135], v2 offset0:41 offset1:42
	s_waitcnt lgkmcnt(1)
	v_fmac_f32_e32 v183, v136, v128
	v_fmac_f32_e32 v183, v137, v129
	s_delay_alu instid0(VALU_DEP_1) | instskip(SKIP_1) | instid1(VALU_DEP_1)
	v_fmac_f32_e32 v183, v138, v130
	s_waitcnt vmcnt(10)
	v_fmac_f32_e32 v183, v139, v131
	ds_load_2addr_b64 v[128:131], v2 offset0:43 offset1:44
	s_waitcnt lgkmcnt(1)
	v_fmac_f32_e32 v183, v140, v132
	s_delay_alu instid0(VALU_DEP_1) | instskip(NEXT) | instid1(VALU_DEP_1)
	v_fmac_f32_e32 v183, v141, v133
	v_fmac_f32_e32 v183, v142, v134
	s_waitcnt vmcnt(9)
	s_delay_alu instid0(VALU_DEP_1) | instskip(SKIP_3) | instid1(VALU_DEP_1)
	v_fmac_f32_e32 v183, v143, v135
	ds_load_2addr_b64 v[132:135], v2 offset0:45 offset1:46
	s_waitcnt lgkmcnt(1)
	v_fmac_f32_e32 v183, v144, v128
	v_fmac_f32_e32 v183, v145, v129
	s_delay_alu instid0(VALU_DEP_1) | instskip(SKIP_1) | instid1(VALU_DEP_1)
	;; [unrolled: 17-line block ×5, first 2 shown]
	v_fmac_f32_e32 v183, v170, v130
	s_waitcnt vmcnt(2)
	v_fmac_f32_e32 v183, v171, v131
	ds_load_2addr_b64 v[128:131], v2 offset0:59 offset1:60
	s_waitcnt lgkmcnt(1)
	v_fmac_f32_e32 v183, v172, v132
	s_delay_alu instid0(VALU_DEP_1) | instskip(NEXT) | instid1(VALU_DEP_1)
	v_fmac_f32_e32 v183, v173, v133
	v_fmac_f32_e32 v183, v174, v134
	s_waitcnt vmcnt(1)
	s_delay_alu instid0(VALU_DEP_1) | instskip(SKIP_1) | instid1(VALU_DEP_1)
	v_fmac_f32_e32 v183, v175, v135
	s_waitcnt lgkmcnt(0)
	v_fmac_f32_e32 v183, v176, v128
	ds_load_b32 v128, v2 offset:496
	v_fmac_f32_e32 v183, v177, v129
	s_delay_alu instid0(VALU_DEP_1) | instskip(SKIP_1) | instid1(VALU_DEP_1)
	v_fmac_f32_e32 v183, v178, v130
	s_waitcnt vmcnt(0)
	v_fmac_f32_e32 v183, v179, v131
	s_delay_alu instid0(VALU_DEP_1) | instskip(NEXT) | instid1(VALU_DEP_1)
	v_fmac_f32_e32 v183, v180, v3
	v_fmac_f32_e32 v183, v181, v4
	s_waitcnt lgkmcnt(0)
	s_delay_alu instid0(VALU_DEP_1) | instskip(NEXT) | instid1(VALU_DEP_1)
	v_fmac_f32_e32 v183, v182, v128
	v_sub_f32_e32 v3, v127, v183
	scratch_store_b32 off, v3, off offset:20
	v_cmpx_lt_u32_e32 4, v0
	s_cbranch_execz .LBB124_365
; %bb.364:
	scratch_load_b32 v3, off, off offset:16
	scratch_store_b32 off, v2, off offset:16
	s_waitcnt vmcnt(0)
	ds_store_b32 v1, v3
.LBB124_365:
	s_or_b32 exec_lo, exec_lo, s0
	s_waitcnt lgkmcnt(0)
	s_waitcnt_vscnt null, 0x0
	s_barrier
	buffer_gl0_inv
	s_clause 0xe
	scratch_load_b128 v[127:130], off, off offset:16
	scratch_load_b128 v[131:134], off, off offset:32
	;; [unrolled: 1-line block ×14, first 2 shown]
	scratch_load_b32 v189, off, off offset:240
	ds_load_2addr_b32 v[3:4], v2 offset0:69 offset1:70
	ds_load_2addr_b32 v[183:184], v2 offset0:71 offset1:72
	;; [unrolled: 1-line block ×4, first 2 shown]
	s_mov_b32 s0, exec_lo
	s_waitcnt vmcnt(14) lgkmcnt(3)
	v_fma_f32 v190, v128, v3, 0
	s_delay_alu instid0(VALU_DEP_1)
	v_fmac_f32_e32 v190, v129, v4
	ds_load_2addr_b32 v[3:4], v2 offset0:77 offset1:78
	ds_load_2addr_b32 v[128:129], v2 offset0:79 offset1:80
	s_waitcnt lgkmcnt(4)
	v_fmac_f32_e32 v190, v130, v183
	s_waitcnt vmcnt(13)
	s_delay_alu instid0(VALU_DEP_1) | instskip(SKIP_1) | instid1(VALU_DEP_1)
	v_fmac_f32_e32 v190, v131, v184
	s_waitcnt lgkmcnt(3)
	v_fmac_f32_e32 v190, v132, v185
	s_delay_alu instid0(VALU_DEP_1)
	v_fmac_f32_e32 v190, v133, v186
	ds_load_2addr_b32 v[130:131], v2 offset0:81 offset1:82
	ds_load_2addr_b32 v[132:133], v2 offset0:83 offset1:84
	s_waitcnt lgkmcnt(4)
	v_fmac_f32_e32 v190, v134, v187
	s_waitcnt vmcnt(12)
	s_delay_alu instid0(VALU_DEP_1) | instskip(SKIP_1) | instid1(VALU_DEP_1)
	v_fmac_f32_e32 v190, v135, v188
	s_waitcnt lgkmcnt(3)
	v_fmac_f32_e32 v190, v136, v3
	s_delay_alu instid0(VALU_DEP_1) | instskip(SKIP_4) | instid1(VALU_DEP_1)
	v_fmac_f32_e32 v190, v137, v4
	ds_load_2addr_b32 v[3:4], v2 offset0:85 offset1:86
	s_waitcnt lgkmcnt(3)
	v_fmac_f32_e32 v190, v138, v128
	s_waitcnt vmcnt(11)
	v_fmac_f32_e32 v190, v139, v129
	ds_load_2addr_b32 v[128:129], v2 offset0:87 offset1:88
	s_waitcnt lgkmcnt(3)
	v_fmac_f32_e32 v190, v140, v130
	s_delay_alu instid0(VALU_DEP_1) | instskip(SKIP_1) | instid1(VALU_DEP_1)
	v_fmac_f32_e32 v190, v141, v131
	s_waitcnt lgkmcnt(2)
	v_fmac_f32_e32 v190, v142, v132
	s_waitcnt vmcnt(10)
	s_delay_alu instid0(VALU_DEP_1) | instskip(SKIP_4) | instid1(VALU_DEP_1)
	v_fmac_f32_e32 v190, v143, v133
	ds_load_2addr_b32 v[130:131], v2 offset0:89 offset1:90
	ds_load_2addr_b32 v[132:133], v2 offset0:91 offset1:92
	s_waitcnt lgkmcnt(3)
	v_fmac_f32_e32 v190, v144, v3
	v_fmac_f32_e32 v190, v145, v4
	ds_load_2addr_b32 v[3:4], v2 offset0:93 offset1:94
	s_waitcnt lgkmcnt(3)
	v_fmac_f32_e32 v190, v146, v128
	s_waitcnt vmcnt(9)
	s_delay_alu instid0(VALU_DEP_1) | instskip(SKIP_3) | instid1(VALU_DEP_1)
	v_fmac_f32_e32 v190, v147, v129
	ds_load_2addr_b32 v[128:129], v2 offset0:95 offset1:96
	s_waitcnt lgkmcnt(3)
	v_fmac_f32_e32 v190, v148, v130
	v_fmac_f32_e32 v190, v149, v131
	s_waitcnt lgkmcnt(2)
	s_delay_alu instid0(VALU_DEP_1) | instskip(SKIP_1) | instid1(VALU_DEP_1)
	v_fmac_f32_e32 v190, v150, v132
	s_waitcnt vmcnt(8)
	v_fmac_f32_e32 v190, v151, v133
	ds_load_2addr_b32 v[130:131], v2 offset0:97 offset1:98
	ds_load_2addr_b32 v[132:133], v2 offset0:99 offset1:100
	s_waitcnt lgkmcnt(3)
	v_fmac_f32_e32 v190, v152, v3
	s_delay_alu instid0(VALU_DEP_1) | instskip(SKIP_4) | instid1(VALU_DEP_1)
	v_fmac_f32_e32 v190, v153, v4
	ds_load_2addr_b32 v[3:4], v2 offset0:101 offset1:102
	s_waitcnt lgkmcnt(3)
	v_fmac_f32_e32 v190, v154, v128
	s_waitcnt vmcnt(7)
	v_fmac_f32_e32 v190, v155, v129
	ds_load_2addr_b32 v[128:129], v2 offset0:103 offset1:104
	s_waitcnt lgkmcnt(3)
	v_fmac_f32_e32 v190, v156, v130
	s_delay_alu instid0(VALU_DEP_1) | instskip(SKIP_1) | instid1(VALU_DEP_1)
	v_fmac_f32_e32 v190, v157, v131
	s_waitcnt lgkmcnt(2)
	v_fmac_f32_e32 v190, v158, v132
	s_waitcnt vmcnt(6)
	s_delay_alu instid0(VALU_DEP_1) | instskip(SKIP_4) | instid1(VALU_DEP_1)
	v_fmac_f32_e32 v190, v159, v133
	ds_load_2addr_b32 v[130:131], v2 offset0:105 offset1:106
	ds_load_2addr_b32 v[132:133], v2 offset0:107 offset1:108
	s_waitcnt lgkmcnt(3)
	v_fmac_f32_e32 v190, v160, v3
	v_fmac_f32_e32 v190, v161, v4
	ds_load_2addr_b32 v[3:4], v2 offset0:109 offset1:110
	s_waitcnt lgkmcnt(3)
	v_fmac_f32_e32 v190, v162, v128
	s_waitcnt vmcnt(5)
	s_delay_alu instid0(VALU_DEP_1) | instskip(SKIP_3) | instid1(VALU_DEP_1)
	v_fmac_f32_e32 v190, v163, v129
	ds_load_2addr_b32 v[128:129], v2 offset0:111 offset1:112
	s_waitcnt lgkmcnt(3)
	v_fmac_f32_e32 v190, v164, v130
	v_fmac_f32_e32 v190, v165, v131
	s_waitcnt lgkmcnt(2)
	s_delay_alu instid0(VALU_DEP_1) | instskip(SKIP_1) | instid1(VALU_DEP_1)
	v_fmac_f32_e32 v190, v166, v132
	s_waitcnt vmcnt(4)
	v_fmac_f32_e32 v190, v167, v133
	ds_load_2addr_b32 v[130:131], v2 offset0:113 offset1:114
	ds_load_2addr_b32 v[132:133], v2 offset0:115 offset1:116
	s_waitcnt lgkmcnt(3)
	v_fmac_f32_e32 v190, v168, v3
	s_delay_alu instid0(VALU_DEP_1) | instskip(SKIP_4) | instid1(VALU_DEP_1)
	v_fmac_f32_e32 v190, v169, v4
	ds_load_2addr_b32 v[3:4], v2 offset0:117 offset1:118
	s_waitcnt lgkmcnt(3)
	v_fmac_f32_e32 v190, v170, v128
	s_waitcnt vmcnt(3)
	v_fmac_f32_e32 v190, v171, v129
	ds_load_2addr_b32 v[128:129], v2 offset0:119 offset1:120
	s_waitcnt lgkmcnt(3)
	v_fmac_f32_e32 v190, v172, v130
	s_delay_alu instid0(VALU_DEP_1) | instskip(SKIP_1) | instid1(VALU_DEP_1)
	v_fmac_f32_e32 v190, v173, v131
	s_waitcnt lgkmcnt(2)
	v_fmac_f32_e32 v190, v174, v132
	s_waitcnt vmcnt(2)
	s_delay_alu instid0(VALU_DEP_1) | instskip(SKIP_4) | instid1(VALU_DEP_1)
	v_fmac_f32_e32 v190, v175, v133
	ds_load_2addr_b32 v[130:131], v2 offset0:121 offset1:122
	ds_load_2addr_b32 v[132:133], v2 offset0:123 offset1:124
	s_waitcnt lgkmcnt(3)
	v_fmac_f32_e32 v190, v176, v3
	v_fmac_f32_e32 v190, v177, v4
	s_waitcnt lgkmcnt(2)
	s_delay_alu instid0(VALU_DEP_1) | instskip(SKIP_1) | instid1(VALU_DEP_1)
	v_fmac_f32_e32 v190, v178, v128
	s_waitcnt vmcnt(1)
	v_fmac_f32_e32 v190, v179, v129
	s_waitcnt lgkmcnt(1)
	s_delay_alu instid0(VALU_DEP_1) | instskip(NEXT) | instid1(VALU_DEP_1)
	v_fmac_f32_e32 v190, v180, v130
	v_fmac_f32_e32 v190, v181, v131
	s_waitcnt lgkmcnt(0)
	s_delay_alu instid0(VALU_DEP_1) | instskip(SKIP_1) | instid1(VALU_DEP_1)
	v_fmac_f32_e32 v190, v182, v132
	s_waitcnt vmcnt(0)
	v_fmac_f32_e32 v190, v189, v133
	s_delay_alu instid0(VALU_DEP_1)
	v_sub_f32_e32 v2, v127, v190
	scratch_store_b32 off, v2, off offset:16
	v_cmpx_lt_u32_e32 3, v0
	s_cbranch_execz .LBB124_367
; %bb.366:
	scratch_load_b32 v2, off, off offset:12
	v_mov_b32_e32 v3, 0
	scratch_store_b32 off, v3, off offset:12
	s_waitcnt vmcnt(0)
	ds_store_b32 v1, v2
.LBB124_367:
	s_or_b32 exec_lo, exec_lo, s0
	s_waitcnt lgkmcnt(0)
	s_waitcnt_vscnt null, 0x0
	s_barrier
	buffer_gl0_inv
	s_clause 0xe
	scratch_load_b128 v[127:130], off, off offset:12
	scratch_load_b128 v[131:134], off, off offset:28
	;; [unrolled: 1-line block ×14, first 2 shown]
	scratch_load_b64 v[3:4], off, off offset:236
	v_mov_b32_e32 v2, 0
	ds_load_b128 v[183:186], v2 offset:272
	ds_load_b128 v[187:190], v2 offset:288
	s_mov_b32 s0, exec_lo
	s_waitcnt vmcnt(14) lgkmcnt(1)
	v_fma_f32 v183, v128, v183, 0
	s_delay_alu instid0(VALU_DEP_1) | instskip(NEXT) | instid1(VALU_DEP_1)
	v_fmac_f32_e32 v183, v129, v184
	v_fmac_f32_e32 v183, v130, v185
	s_waitcnt vmcnt(13)
	s_delay_alu instid0(VALU_DEP_1) | instskip(SKIP_3) | instid1(VALU_DEP_1)
	v_fmac_f32_e32 v183, v131, v186
	ds_load_b128 v[128:131], v2 offset:304
	s_waitcnt lgkmcnt(1)
	v_fmac_f32_e32 v183, v132, v187
	v_fmac_f32_e32 v183, v133, v188
	s_delay_alu instid0(VALU_DEP_1) | instskip(SKIP_1) | instid1(VALU_DEP_1)
	v_fmac_f32_e32 v183, v134, v189
	s_waitcnt vmcnt(12)
	v_fmac_f32_e32 v183, v135, v190
	ds_load_b128 v[132:135], v2 offset:320
	s_waitcnt lgkmcnt(1)
	v_fmac_f32_e32 v183, v136, v128
	s_delay_alu instid0(VALU_DEP_1) | instskip(NEXT) | instid1(VALU_DEP_1)
	v_fmac_f32_e32 v183, v137, v129
	v_fmac_f32_e32 v183, v138, v130
	s_waitcnt vmcnt(11)
	s_delay_alu instid0(VALU_DEP_1) | instskip(SKIP_3) | instid1(VALU_DEP_1)
	v_fmac_f32_e32 v183, v139, v131
	ds_load_b128 v[128:131], v2 offset:336
	s_waitcnt lgkmcnt(1)
	v_fmac_f32_e32 v183, v140, v132
	v_fmac_f32_e32 v183, v141, v133
	s_delay_alu instid0(VALU_DEP_1) | instskip(SKIP_1) | instid1(VALU_DEP_1)
	v_fmac_f32_e32 v183, v142, v134
	s_waitcnt vmcnt(10)
	v_fmac_f32_e32 v183, v143, v135
	ds_load_b128 v[132:135], v2 offset:352
	s_waitcnt lgkmcnt(1)
	v_fmac_f32_e32 v183, v144, v128
	;; [unrolled: 17-line block ×6, first 2 shown]
	ds_load_b32 v128, v2 offset:496
	v_fmac_f32_e32 v183, v177, v129
	s_delay_alu instid0(VALU_DEP_1) | instskip(SKIP_1) | instid1(VALU_DEP_1)
	v_fmac_f32_e32 v183, v178, v130
	s_waitcnt vmcnt(1)
	v_fmac_f32_e32 v183, v179, v131
	s_waitcnt lgkmcnt(1)
	s_delay_alu instid0(VALU_DEP_1) | instskip(NEXT) | instid1(VALU_DEP_1)
	v_fmac_f32_e32 v183, v180, v132
	v_fmac_f32_e32 v183, v181, v133
	s_delay_alu instid0(VALU_DEP_1) | instskip(SKIP_1) | instid1(VALU_DEP_1)
	v_fmac_f32_e32 v183, v182, v134
	s_waitcnt vmcnt(0)
	v_fmac_f32_e32 v183, v3, v135
	s_waitcnt lgkmcnt(0)
	s_delay_alu instid0(VALU_DEP_1) | instskip(NEXT) | instid1(VALU_DEP_1)
	v_fmac_f32_e32 v183, v4, v128
	v_sub_f32_e32 v3, v127, v183
	scratch_store_b32 off, v3, off offset:12
	v_cmpx_lt_u32_e32 2, v0
	s_cbranch_execz .LBB124_369
; %bb.368:
	scratch_load_b32 v3, off, off offset:8
	scratch_store_b32 off, v2, off offset:8
	s_waitcnt vmcnt(0)
	ds_store_b32 v1, v3
.LBB124_369:
	s_or_b32 exec_lo, exec_lo, s0
	s_waitcnt lgkmcnt(0)
	s_waitcnt_vscnt null, 0x0
	s_barrier
	buffer_gl0_inv
	s_clause 0xe
	scratch_load_b128 v[127:130], off, off offset:8
	scratch_load_b128 v[131:134], off, off offset:24
	;; [unrolled: 1-line block ×14, first 2 shown]
	scratch_load_b96 v[183:185], off, off offset:232
	ds_load_2addr_b32 v[3:4], v2 offset0:67 offset1:68
	ds_load_2addr_b32 v[186:187], v2 offset0:69 offset1:70
	;; [unrolled: 1-line block ×3, first 2 shown]
	s_mov_b32 s0, exec_lo
	s_waitcnt vmcnt(14) lgkmcnt(2)
	v_fma_f32 v190, v128, v3, 0
	s_delay_alu instid0(VALU_DEP_1)
	v_fmac_f32_e32 v190, v129, v4
	ds_load_2addr_b32 v[3:4], v2 offset0:73 offset1:74
	ds_load_2addr_b32 v[128:129], v2 offset0:75 offset1:76
	s_waitcnt lgkmcnt(3)
	v_fmac_f32_e32 v190, v130, v186
	s_waitcnt vmcnt(13)
	s_delay_alu instid0(VALU_DEP_1) | instskip(SKIP_3) | instid1(VALU_DEP_1)
	v_fmac_f32_e32 v190, v131, v187
	ds_load_2addr_b32 v[130:131], v2 offset0:77 offset1:78
	s_waitcnt lgkmcnt(3)
	v_fmac_f32_e32 v190, v132, v188
	v_fmac_f32_e32 v190, v133, v189
	s_waitcnt lgkmcnt(2)
	s_delay_alu instid0(VALU_DEP_1) | instskip(SKIP_1) | instid1(VALU_DEP_1)
	v_fmac_f32_e32 v190, v134, v3
	s_waitcnt vmcnt(12)
	v_fmac_f32_e32 v190, v135, v4
	ds_load_2addr_b32 v[3:4], v2 offset0:79 offset1:80
	s_waitcnt lgkmcnt(2)
	v_fmac_f32_e32 v190, v136, v128
	s_delay_alu instid0(VALU_DEP_1) | instskip(SKIP_4) | instid1(VALU_DEP_1)
	v_fmac_f32_e32 v190, v137, v129
	ds_load_2addr_b32 v[128:129], v2 offset0:81 offset1:82
	s_waitcnt lgkmcnt(2)
	v_fmac_f32_e32 v190, v138, v130
	s_waitcnt vmcnt(11)
	v_fmac_f32_e32 v190, v139, v131
	ds_load_2addr_b32 v[130:131], v2 offset0:83 offset1:84
	s_waitcnt lgkmcnt(2)
	v_fmac_f32_e32 v190, v140, v3
	s_delay_alu instid0(VALU_DEP_1) | instskip(SKIP_4) | instid1(VALU_DEP_1)
	v_fmac_f32_e32 v190, v141, v4
	ds_load_2addr_b32 v[3:4], v2 offset0:85 offset1:86
	s_waitcnt lgkmcnt(2)
	;; [unrolled: 10-line block ×11, first 2 shown]
	v_fmac_f32_e32 v190, v178, v128
	s_waitcnt vmcnt(1)
	v_fmac_f32_e32 v190, v179, v129
	ds_load_2addr_b32 v[128:129], v2 offset0:123 offset1:124
	s_waitcnt lgkmcnt(2)
	v_fmac_f32_e32 v190, v180, v130
	s_delay_alu instid0(VALU_DEP_1) | instskip(SKIP_1) | instid1(VALU_DEP_1)
	v_fmac_f32_e32 v190, v181, v131
	s_waitcnt lgkmcnt(1)
	v_fmac_f32_e32 v190, v182, v3
	s_waitcnt vmcnt(0)
	s_delay_alu instid0(VALU_DEP_1) | instskip(SKIP_1) | instid1(VALU_DEP_1)
	v_fmac_f32_e32 v190, v183, v4
	s_waitcnt lgkmcnt(0)
	v_fmac_f32_e32 v190, v184, v128
	s_delay_alu instid0(VALU_DEP_1) | instskip(NEXT) | instid1(VALU_DEP_1)
	v_fmac_f32_e32 v190, v185, v129
	v_sub_f32_e32 v2, v127, v190
	scratch_store_b32 off, v2, off offset:8
	v_cmpx_lt_u32_e32 1, v0
	s_cbranch_execz .LBB124_371
; %bb.370:
	scratch_load_b32 v2, off, off offset:4
	v_mov_b32_e32 v3, 0
	scratch_store_b32 off, v3, off offset:4
	s_waitcnt vmcnt(0)
	ds_store_b32 v1, v2
.LBB124_371:
	s_or_b32 exec_lo, exec_lo, s0
	s_waitcnt lgkmcnt(0)
	s_waitcnt_vscnt null, 0x0
	s_barrier
	buffer_gl0_inv
	s_clause 0xe
	scratch_load_b128 v[127:130], off, off offset:4
	scratch_load_b128 v[131:134], off, off offset:20
	;; [unrolled: 1-line block ×15, first 2 shown]
	v_mov_b32_e32 v4, 0
	ds_load_2addr_b64 v[187:190], v4 offset0:33 offset1:34
	ds_load_2addr_b64 v[191:194], v4 offset0:35 offset1:36
	s_mov_b32 s0, exec_lo
	s_waitcnt vmcnt(14) lgkmcnt(1)
	v_fma_f32 v187, v128, v187, 0
	s_delay_alu instid0(VALU_DEP_1) | instskip(SKIP_3) | instid1(VALU_DEP_1)
	v_fmac_f32_e32 v187, v129, v188
	ds_load_b64 v[2:3], v4 offset:488
	v_fmac_f32_e32 v187, v130, v189
	s_waitcnt vmcnt(13)
	v_fmac_f32_e32 v187, v131, v190
	ds_load_2addr_b64 v[128:131], v4 offset0:37 offset1:38
	s_waitcnt lgkmcnt(2)
	v_fmac_f32_e32 v187, v132, v191
	s_delay_alu instid0(VALU_DEP_1) | instskip(NEXT) | instid1(VALU_DEP_1)
	v_fmac_f32_e32 v187, v133, v192
	v_fmac_f32_e32 v187, v134, v193
	s_waitcnt vmcnt(12)
	s_delay_alu instid0(VALU_DEP_1) | instskip(SKIP_3) | instid1(VALU_DEP_1)
	v_fmac_f32_e32 v187, v135, v194
	ds_load_2addr_b64 v[132:135], v4 offset0:39 offset1:40
	s_waitcnt lgkmcnt(1)
	v_fmac_f32_e32 v187, v136, v128
	v_fmac_f32_e32 v187, v137, v129
	s_delay_alu instid0(VALU_DEP_1) | instskip(SKIP_1) | instid1(VALU_DEP_1)
	v_fmac_f32_e32 v187, v138, v130
	s_waitcnt vmcnt(11)
	v_fmac_f32_e32 v187, v139, v131
	ds_load_2addr_b64 v[128:131], v4 offset0:41 offset1:42
	s_waitcnt lgkmcnt(1)
	v_fmac_f32_e32 v187, v140, v132
	s_delay_alu instid0(VALU_DEP_1) | instskip(NEXT) | instid1(VALU_DEP_1)
	v_fmac_f32_e32 v187, v141, v133
	v_fmac_f32_e32 v187, v142, v134
	s_waitcnt vmcnt(10)
	s_delay_alu instid0(VALU_DEP_1) | instskip(SKIP_3) | instid1(VALU_DEP_1)
	v_fmac_f32_e32 v187, v143, v135
	ds_load_2addr_b64 v[132:135], v4 offset0:43 offset1:44
	s_waitcnt lgkmcnt(1)
	v_fmac_f32_e32 v187, v144, v128
	v_fmac_f32_e32 v187, v145, v129
	s_delay_alu instid0(VALU_DEP_1) | instskip(SKIP_1) | instid1(VALU_DEP_1)
	;; [unrolled: 17-line block ×5, first 2 shown]
	v_fmac_f32_e32 v187, v170, v130
	s_waitcnt vmcnt(3)
	v_fmac_f32_e32 v187, v171, v131
	ds_load_2addr_b64 v[128:131], v4 offset0:57 offset1:58
	s_waitcnt lgkmcnt(1)
	v_fmac_f32_e32 v187, v172, v132
	s_delay_alu instid0(VALU_DEP_1) | instskip(NEXT) | instid1(VALU_DEP_1)
	v_fmac_f32_e32 v187, v173, v133
	v_fmac_f32_e32 v187, v174, v134
	s_waitcnt vmcnt(2)
	s_delay_alu instid0(VALU_DEP_1)
	v_fmac_f32_e32 v187, v175, v135
	ds_load_2addr_b64 v[132:135], v4 offset0:59 offset1:60
	s_waitcnt lgkmcnt(1)
	v_fmac_f32_e32 v187, v176, v128
	ds_load_b32 v128, v4 offset:496
	v_fmac_f32_e32 v187, v177, v129
	s_delay_alu instid0(VALU_DEP_1) | instskip(SKIP_1) | instid1(VALU_DEP_1)
	v_fmac_f32_e32 v187, v178, v130
	s_waitcnt vmcnt(1)
	v_fmac_f32_e32 v187, v179, v131
	s_waitcnt lgkmcnt(1)
	s_delay_alu instid0(VALU_DEP_1) | instskip(NEXT) | instid1(VALU_DEP_1)
	v_fmac_f32_e32 v187, v180, v132
	v_fmac_f32_e32 v187, v181, v133
	s_delay_alu instid0(VALU_DEP_1) | instskip(SKIP_1) | instid1(VALU_DEP_1)
	v_fmac_f32_e32 v187, v182, v134
	s_waitcnt vmcnt(0)
	v_fmac_f32_e32 v187, v183, v135
	s_delay_alu instid0(VALU_DEP_1) | instskip(NEXT) | instid1(VALU_DEP_1)
	v_fmac_f32_e32 v187, v184, v2
	v_fmac_f32_e32 v187, v185, v3
	s_waitcnt lgkmcnt(0)
	s_delay_alu instid0(VALU_DEP_1) | instskip(NEXT) | instid1(VALU_DEP_1)
	v_fmac_f32_e32 v187, v186, v128
	v_sub_f32_e32 v2, v127, v187
	scratch_store_b32 off, v2, off offset:4
	v_cmpx_ne_u32_e32 0, v0
	s_cbranch_execz .LBB124_373
; %bb.372:
	scratch_load_b32 v0, off, off
	scratch_store_b32 off, v4, off
	s_waitcnt vmcnt(0)
	ds_store_b32 v1, v0
.LBB124_373:
	s_or_b32 exec_lo, exec_lo, s0
	s_waitcnt lgkmcnt(0)
	s_waitcnt_vscnt null, 0x0
	s_barrier
	buffer_gl0_inv
	s_clause 0xf
	scratch_load_b128 v[127:130], off, off
	scratch_load_b128 v[131:134], off, off offset:16
	scratch_load_b128 v[135:138], off, off offset:32
	;; [unrolled: 1-line block ×14, first 2 shown]
	scratch_load_b32 v191, off, off offset:240
	ds_load_2addr_b32 v[183:184], v4 offset0:65 offset1:66
	ds_load_2addr_b32 v[185:186], v4 offset0:67 offset1:68
	;; [unrolled: 1-line block ×4, first 2 shown]
	s_and_b32 vcc_lo, exec_lo, s12
	s_waitcnt vmcnt(15) lgkmcnt(3)
	v_fma_f32 v183, v128, v183, 0
	s_delay_alu instid0(VALU_DEP_1) | instskip(SKIP_4) | instid1(VALU_DEP_1)
	v_fmac_f32_e32 v183, v129, v184
	ds_load_2addr_b32 v[128:129], v4 offset0:73 offset1:74
	s_waitcnt lgkmcnt(3)
	v_fmac_f32_e32 v183, v130, v185
	s_waitcnt vmcnt(14)
	v_fmac_f32_e32 v183, v131, v186
	ds_load_2addr_b32 v[130:131], v4 offset0:75 offset1:76
	s_waitcnt lgkmcnt(3)
	v_fmac_f32_e32 v183, v132, v187
	s_delay_alu instid0(VALU_DEP_1) | instskip(SKIP_1) | instid1(VALU_DEP_1)
	v_fmac_f32_e32 v183, v133, v188
	s_waitcnt lgkmcnt(2)
	v_fmac_f32_e32 v183, v134, v189
	s_waitcnt vmcnt(13)
	s_delay_alu instid0(VALU_DEP_1) | instskip(SKIP_4) | instid1(VALU_DEP_1)
	v_fmac_f32_e32 v183, v135, v190
	ds_load_2addr_b32 v[132:133], v4 offset0:77 offset1:78
	ds_load_2addr_b32 v[134:135], v4 offset0:79 offset1:80
	s_waitcnt lgkmcnt(3)
	v_fmac_f32_e32 v183, v136, v128
	v_fmac_f32_e32 v183, v137, v129
	ds_load_2addr_b32 v[128:129], v4 offset0:81 offset1:82
	s_waitcnt lgkmcnt(3)
	v_fmac_f32_e32 v183, v138, v130
	s_waitcnt vmcnt(12)
	s_delay_alu instid0(VALU_DEP_1) | instskip(SKIP_3) | instid1(VALU_DEP_1)
	v_fmac_f32_e32 v183, v139, v131
	ds_load_2addr_b32 v[130:131], v4 offset0:83 offset1:84
	s_waitcnt lgkmcnt(3)
	v_fmac_f32_e32 v183, v140, v132
	v_fmac_f32_e32 v183, v141, v133
	s_waitcnt lgkmcnt(2)
	s_delay_alu instid0(VALU_DEP_1) | instskip(SKIP_1) | instid1(VALU_DEP_1)
	v_fmac_f32_e32 v183, v142, v134
	s_waitcnt vmcnt(11)
	v_fmac_f32_e32 v183, v143, v135
	ds_load_2addr_b32 v[132:133], v4 offset0:85 offset1:86
	ds_load_2addr_b32 v[134:135], v4 offset0:87 offset1:88
	s_waitcnt lgkmcnt(3)
	v_fmac_f32_e32 v183, v144, v128
	s_delay_alu instid0(VALU_DEP_1) | instskip(SKIP_4) | instid1(VALU_DEP_1)
	v_fmac_f32_e32 v183, v145, v129
	ds_load_2addr_b32 v[128:129], v4 offset0:89 offset1:90
	s_waitcnt lgkmcnt(3)
	v_fmac_f32_e32 v183, v146, v130
	s_waitcnt vmcnt(10)
	v_fmac_f32_e32 v183, v147, v131
	ds_load_2addr_b32 v[130:131], v4 offset0:91 offset1:92
	s_waitcnt lgkmcnt(3)
	v_fmac_f32_e32 v183, v148, v132
	s_delay_alu instid0(VALU_DEP_1) | instskip(SKIP_1) | instid1(VALU_DEP_1)
	v_fmac_f32_e32 v183, v149, v133
	s_waitcnt lgkmcnt(2)
	v_fmac_f32_e32 v183, v150, v134
	s_waitcnt vmcnt(9)
	s_delay_alu instid0(VALU_DEP_1) | instskip(SKIP_4) | instid1(VALU_DEP_1)
	v_fmac_f32_e32 v183, v151, v135
	ds_load_2addr_b32 v[132:133], v4 offset0:93 offset1:94
	ds_load_2addr_b32 v[134:135], v4 offset0:95 offset1:96
	s_waitcnt lgkmcnt(3)
	v_fmac_f32_e32 v183, v152, v128
	v_fmac_f32_e32 v183, v153, v129
	ds_load_2addr_b32 v[128:129], v4 offset0:97 offset1:98
	s_waitcnt lgkmcnt(3)
	v_fmac_f32_e32 v183, v154, v130
	s_waitcnt vmcnt(8)
	s_delay_alu instid0(VALU_DEP_1) | instskip(SKIP_3) | instid1(VALU_DEP_1)
	v_fmac_f32_e32 v183, v155, v131
	ds_load_2addr_b32 v[130:131], v4 offset0:99 offset1:100
	s_waitcnt lgkmcnt(3)
	v_fmac_f32_e32 v183, v156, v132
	v_fmac_f32_e32 v183, v157, v133
	s_waitcnt lgkmcnt(2)
	s_delay_alu instid0(VALU_DEP_1) | instskip(SKIP_1) | instid1(VALU_DEP_1)
	v_fmac_f32_e32 v183, v158, v134
	s_waitcnt vmcnt(7)
	v_fmac_f32_e32 v183, v159, v135
	ds_load_2addr_b32 v[132:133], v4 offset0:101 offset1:102
	ds_load_2addr_b32 v[134:135], v4 offset0:103 offset1:104
	s_waitcnt lgkmcnt(3)
	v_fmac_f32_e32 v183, v160, v128
	;; [unrolled: 41-line block ×3, first 2 shown]
	s_delay_alu instid0(VALU_DEP_1) | instskip(SKIP_4) | instid1(VALU_DEP_1)
	v_fmac_f32_e32 v183, v177, v129
	ds_load_2addr_b32 v[128:129], v4 offset0:121 offset1:122
	s_waitcnt lgkmcnt(3)
	v_fmac_f32_e32 v183, v178, v130
	s_waitcnt vmcnt(2)
	v_fmac_f32_e32 v183, v179, v131
	ds_load_2addr_b32 v[130:131], v4 offset0:123 offset1:124
	s_waitcnt lgkmcnt(3)
	v_fmac_f32_e32 v183, v180, v132
	s_delay_alu instid0(VALU_DEP_1) | instskip(SKIP_1) | instid1(VALU_DEP_1)
	v_fmac_f32_e32 v183, v181, v133
	s_waitcnt lgkmcnt(2)
	v_fmac_f32_e32 v183, v182, v134
	s_waitcnt vmcnt(1)
	s_delay_alu instid0(VALU_DEP_1) | instskip(SKIP_1) | instid1(VALU_DEP_1)
	v_fmac_f32_e32 v183, v0, v135
	s_waitcnt lgkmcnt(1)
	v_fmac_f32_e32 v183, v1, v128
	s_delay_alu instid0(VALU_DEP_1) | instskip(SKIP_1) | instid1(VALU_DEP_1)
	v_fmac_f32_e32 v183, v2, v129
	s_waitcnt lgkmcnt(0)
	v_fmac_f32_e32 v183, v3, v130
	s_waitcnt vmcnt(0)
	s_delay_alu instid0(VALU_DEP_1) | instskip(NEXT) | instid1(VALU_DEP_1)
	v_fmac_f32_e32 v183, v191, v131
	v_sub_f32_e32 v0, v127, v183
	scratch_store_b32 off, v0, off
	s_cbranch_vccz .LBB124_495
; %bb.374:
	v_dual_mov_b32 v0, s2 :: v_dual_mov_b32 v1, s3
	s_mov_b32 s0, exec_lo
	flat_load_b32 v0, v[0:1] offset:236
	s_waitcnt vmcnt(0) lgkmcnt(0)
	v_cmpx_ne_u32_e32 60, v0
	s_cbranch_execz .LBB124_376
; %bb.375:
	v_lshl_add_u32 v0, v0, 2, 0
	scratch_load_b32 v1, v0, off offset:-4
	s_waitcnt vmcnt(0)
	scratch_store_b32 off, v1, off offset:236
	scratch_store_b32 v0, v3, off offset:-4
.LBB124_376:
	s_or_b32 exec_lo, exec_lo, s0
	v_dual_mov_b32 v0, s2 :: v_dual_mov_b32 v1, s3
	s_mov_b32 s0, exec_lo
	flat_load_b32 v0, v[0:1] offset:232
	s_waitcnt vmcnt(0) lgkmcnt(0)
	v_cmpx_ne_u32_e32 59, v0
	s_cbranch_execz .LBB124_378
; %bb.377:
	v_lshl_add_u32 v0, v0, 2, 0
	scratch_load_b32 v1, v0, off offset:-4
	scratch_load_b32 v2, off, off offset:232
	s_waitcnt vmcnt(1)
	scratch_store_b32 off, v1, off offset:232
	s_waitcnt vmcnt(0)
	scratch_store_b32 v0, v2, off offset:-4
.LBB124_378:
	s_or_b32 exec_lo, exec_lo, s0
	v_dual_mov_b32 v0, s2 :: v_dual_mov_b32 v1, s3
	s_mov_b32 s0, exec_lo
	flat_load_b32 v0, v[0:1] offset:228
	s_waitcnt vmcnt(0) lgkmcnt(0)
	v_cmpx_ne_u32_e32 58, v0
	s_cbranch_execz .LBB124_380
; %bb.379:
	v_lshl_add_u32 v0, v0, 2, 0
	scratch_load_b32 v1, v0, off offset:-4
	scratch_load_b32 v2, off, off offset:228
	s_waitcnt vmcnt(1)
	scratch_store_b32 off, v1, off offset:228
	s_waitcnt vmcnt(0)
	scratch_store_b32 v0, v2, off offset:-4
.LBB124_380:
	;; [unrolled: 16-line block ×58, first 2 shown]
	s_or_b32 exec_lo, exec_lo, s0
	v_dual_mov_b32 v0, s2 :: v_dual_mov_b32 v1, s3
	s_mov_b32 s0, exec_lo
	flat_load_b32 v1, v[0:1]
	scratch_load_b32 v0, off, off
	s_waitcnt vmcnt(1) lgkmcnt(0)
	v_cmpx_ne_u32_e32 1, v1
	s_cbranch_execz .LBB124_494
; %bb.493:
	v_lshl_add_u32 v1, v1, 2, 0
	scratch_load_b32 v2, v1, off offset:-4
	s_waitcnt vmcnt(0)
	scratch_store_b32 off, v2, off
	scratch_store_b32 v1, v0, off offset:-4
	scratch_load_b32 v0, off, off
.LBB124_494:
	s_or_b32 exec_lo, exec_lo, s0
.LBB124_495:
	s_clause 0xe
	scratch_load_b128 v[1:4], off, off offset:4
	scratch_load_b128 v[127:130], off, off offset:20
	;; [unrolled: 1-line block ×15, first 2 shown]
	s_waitcnt vmcnt(15)
	global_store_b32 v[5:6], v0, off
	s_waitcnt vmcnt(14)
	s_clause 0x3
	global_store_b32 v[7:8], v1, off
	global_store_b32 v[9:10], v2, off
	global_store_b32 v[11:12], v3, off
	global_store_b32 v[13:14], v4, off
	s_waitcnt vmcnt(13)
	s_clause 0x3
	global_store_b32 v[15:16], v127, off
	global_store_b32 v[17:18], v128, off
	global_store_b32 v[19:20], v129, off
	;; [unrolled: 6-line block ×15, first 2 shown]
	global_store_b32 v[71:72], v182, off
	s_endpgm
	.section	.rodata,"a",@progbits
	.p2align	6, 0x0
	.amdhsa_kernel _ZN9rocsolver6v33100L18getri_kernel_smallILi61EfPKPfEEvT1_iilPiilS6_bb
		.amdhsa_group_segment_fixed_size 500
		.amdhsa_private_segment_fixed_size 256
		.amdhsa_kernarg_size 60
		.amdhsa_user_sgpr_count 15
		.amdhsa_user_sgpr_dispatch_ptr 0
		.amdhsa_user_sgpr_queue_ptr 0
		.amdhsa_user_sgpr_kernarg_segment_ptr 1
		.amdhsa_user_sgpr_dispatch_id 0
		.amdhsa_user_sgpr_private_segment_size 0
		.amdhsa_wavefront_size32 1
		.amdhsa_uses_dynamic_stack 0
		.amdhsa_enable_private_segment 1
		.amdhsa_system_sgpr_workgroup_id_x 1
		.amdhsa_system_sgpr_workgroup_id_y 0
		.amdhsa_system_sgpr_workgroup_id_z 0
		.amdhsa_system_sgpr_workgroup_info 0
		.amdhsa_system_vgpr_workitem_id 0
		.amdhsa_next_free_vgpr 195
		.amdhsa_next_free_sgpr 17
		.amdhsa_reserve_vcc 1
		.amdhsa_float_round_mode_32 0
		.amdhsa_float_round_mode_16_64 0
		.amdhsa_float_denorm_mode_32 3
		.amdhsa_float_denorm_mode_16_64 3
		.amdhsa_dx10_clamp 1
		.amdhsa_ieee_mode 1
		.amdhsa_fp16_overflow 0
		.amdhsa_workgroup_processor_mode 1
		.amdhsa_memory_ordered 1
		.amdhsa_forward_progress 0
		.amdhsa_shared_vgpr_count 0
		.amdhsa_exception_fp_ieee_invalid_op 0
		.amdhsa_exception_fp_denorm_src 0
		.amdhsa_exception_fp_ieee_div_zero 0
		.amdhsa_exception_fp_ieee_overflow 0
		.amdhsa_exception_fp_ieee_underflow 0
		.amdhsa_exception_fp_ieee_inexact 0
		.amdhsa_exception_int_div_zero 0
	.end_amdhsa_kernel
	.section	.text._ZN9rocsolver6v33100L18getri_kernel_smallILi61EfPKPfEEvT1_iilPiilS6_bb,"axG",@progbits,_ZN9rocsolver6v33100L18getri_kernel_smallILi61EfPKPfEEvT1_iilPiilS6_bb,comdat
.Lfunc_end124:
	.size	_ZN9rocsolver6v33100L18getri_kernel_smallILi61EfPKPfEEvT1_iilPiilS6_bb, .Lfunc_end124-_ZN9rocsolver6v33100L18getri_kernel_smallILi61EfPKPfEEvT1_iilPiilS6_bb
                                        ; -- End function
	.section	.AMDGPU.csdata,"",@progbits
; Kernel info:
; codeLenInByte = 49500
; NumSgprs: 19
; NumVgprs: 195
; ScratchSize: 256
; MemoryBound: 0
; FloatMode: 240
; IeeeMode: 1
; LDSByteSize: 500 bytes/workgroup (compile time only)
; SGPRBlocks: 2
; VGPRBlocks: 24
; NumSGPRsForWavesPerEU: 19
; NumVGPRsForWavesPerEU: 195
; Occupancy: 7
; WaveLimiterHint : 1
; COMPUTE_PGM_RSRC2:SCRATCH_EN: 1
; COMPUTE_PGM_RSRC2:USER_SGPR: 15
; COMPUTE_PGM_RSRC2:TRAP_HANDLER: 0
; COMPUTE_PGM_RSRC2:TGID_X_EN: 1
; COMPUTE_PGM_RSRC2:TGID_Y_EN: 0
; COMPUTE_PGM_RSRC2:TGID_Z_EN: 0
; COMPUTE_PGM_RSRC2:TIDIG_COMP_CNT: 0
	.section	.text._ZN9rocsolver6v33100L18getri_kernel_smallILi62EfPKPfEEvT1_iilPiilS6_bb,"axG",@progbits,_ZN9rocsolver6v33100L18getri_kernel_smallILi62EfPKPfEEvT1_iilPiilS6_bb,comdat
	.globl	_ZN9rocsolver6v33100L18getri_kernel_smallILi62EfPKPfEEvT1_iilPiilS6_bb ; -- Begin function _ZN9rocsolver6v33100L18getri_kernel_smallILi62EfPKPfEEvT1_iilPiilS6_bb
	.p2align	8
	.type	_ZN9rocsolver6v33100L18getri_kernel_smallILi62EfPKPfEEvT1_iilPiilS6_bb,@function
_ZN9rocsolver6v33100L18getri_kernel_smallILi62EfPKPfEEvT1_iilPiilS6_bb: ; @_ZN9rocsolver6v33100L18getri_kernel_smallILi62EfPKPfEEvT1_iilPiilS6_bb
; %bb.0:
	s_mov_b32 s2, exec_lo
	v_cmpx_gt_u32_e32 62, v0
	s_cbranch_execz .LBB125_256
; %bb.1:
	s_clause 0x1
	s_load_b32 s13, s[0:1], 0x38
	s_load_b64 s[2:3], s[0:1], 0x0
	s_mov_b32 s8, s15
	s_load_b128 s[4:7], s[0:1], 0x28
	s_waitcnt lgkmcnt(0)
	s_bitcmp1_b32 s13, 8
	s_cselect_b32 s12, -1, 0
	s_ashr_i32 s9, s15, 31
	s_delay_alu instid0(SALU_CYCLE_1) | instskip(NEXT) | instid1(SALU_CYCLE_1)
	s_lshl_b64 s[10:11], s[8:9], 3
	s_add_u32 s2, s2, s10
	s_addc_u32 s3, s3, s11
	s_load_b64 s[10:11], s[2:3], 0x0
	s_bfe_u32 s2, s13, 0x10008
	s_delay_alu instid0(SALU_CYCLE_1)
	s_cmp_eq_u32 s2, 0
                                        ; implicit-def: $sgpr2_sgpr3
	s_cbranch_scc1 .LBB125_3
; %bb.2:
	s_clause 0x1
	s_load_b32 s2, s[0:1], 0x20
	s_load_b64 s[14:15], s[0:1], 0x18
	s_mul_i32 s3, s8, s5
	s_mul_hi_u32 s5, s8, s4
	s_mul_i32 s16, s9, s4
	s_add_i32 s3, s5, s3
	s_mul_i32 s4, s8, s4
	s_add_i32 s5, s3, s16
	s_delay_alu instid0(SALU_CYCLE_1)
	s_lshl_b64 s[4:5], s[4:5], 2
	s_waitcnt lgkmcnt(0)
	s_ashr_i32 s3, s2, 31
	s_add_u32 s4, s14, s4
	s_addc_u32 s5, s15, s5
	s_lshl_b64 s[2:3], s[2:3], 2
	s_delay_alu instid0(SALU_CYCLE_1)
	s_add_u32 s2, s4, s2
	s_addc_u32 s3, s5, s3
.LBB125_3:
	s_load_b64 s[0:1], s[0:1], 0x8
	v_lshlrev_b32_e32 v129, 2, v0
	s_waitcnt lgkmcnt(0)
	v_add3_u32 v2, s1, s1, v0
	s_ashr_i32 s5, s0, 31
	s_mov_b32 s4, s0
	s_mov_b32 s14, s1
	s_lshl_b64 s[4:5], s[4:5], 2
	v_add_nc_u32_e32 v9, s1, v2
	v_ashrrev_i32_e32 v3, 31, v2
	s_add_u32 s4, s10, s4
	s_addc_u32 s5, s11, s5
	v_add_co_u32 v5, s0, s4, v129
	v_add_nc_u32_e32 v11, s1, v9
	v_ashrrev_i32_e32 v10, 31, v9
	s_ashr_i32 s15, s1, 31
	v_add_co_ci_u32_e64 v6, null, s5, 0, s0
	s_delay_alu instid0(VALU_DEP_3)
	v_add_nc_u32_e32 v13, s1, v11
	v_lshlrev_b64 v[2:3], 2, v[2:3]
	s_lshl_b64 s[10:11], s[14:15], 2
	v_lshlrev_b64 v[52:53], 2, v[9:10]
	v_add_co_u32 v7, vcc_lo, v5, s10
	v_add_nc_u32_e32 v15, s1, v13
	v_ashrrev_i32_e32 v12, 31, v11
	v_add_co_ci_u32_e32 v8, vcc_lo, s11, v6, vcc_lo
	v_add_co_u32 v9, vcc_lo, s4, v2
	s_delay_alu instid0(VALU_DEP_4) | instskip(SKIP_3) | instid1(VALU_DEP_4)
	v_add_nc_u32_e32 v17, s1, v15
	v_ashrrev_i32_e32 v14, 31, v13
	v_add_co_ci_u32_e32 v10, vcc_lo, s5, v3, vcc_lo
	v_lshlrev_b64 v[2:3], 2, v[11:12]
	v_add_nc_u32_e32 v19, s1, v17
	v_add_co_u32 v11, vcc_lo, s4, v52
	v_add_co_ci_u32_e32 v12, vcc_lo, s5, v53, vcc_lo
	s_delay_alu instid0(VALU_DEP_3) | instskip(SKIP_3) | instid1(VALU_DEP_4)
	v_add_nc_u32_e32 v21, s1, v19
	v_lshlrev_b64 v[52:53], 2, v[13:14]
	v_ashrrev_i32_e32 v16, 31, v15
	v_add_co_u32 v13, vcc_lo, s4, v2
	v_add_nc_u32_e32 v23, s1, v21
	v_ashrrev_i32_e32 v18, 31, v17
	v_add_co_ci_u32_e32 v14, vcc_lo, s5, v3, vcc_lo
	v_lshlrev_b64 v[2:3], 2, v[15:16]
	s_delay_alu instid0(VALU_DEP_4) | instskip(SKIP_2) | instid1(VALU_DEP_3)
	v_add_nc_u32_e32 v25, s1, v23
	v_add_co_u32 v15, vcc_lo, s4, v52
	v_add_co_ci_u32_e32 v16, vcc_lo, s5, v53, vcc_lo
	v_add_nc_u32_e32 v27, s1, v25
	v_lshlrev_b64 v[52:53], 2, v[17:18]
	v_ashrrev_i32_e32 v20, 31, v19
	v_add_co_u32 v17, vcc_lo, s4, v2
	s_delay_alu instid0(VALU_DEP_4) | instskip(SKIP_3) | instid1(VALU_DEP_4)
	v_add_nc_u32_e32 v29, s1, v27
	v_ashrrev_i32_e32 v22, 31, v21
	v_add_co_ci_u32_e32 v18, vcc_lo, s5, v3, vcc_lo
	v_lshlrev_b64 v[2:3], 2, v[19:20]
	v_add_nc_u32_e32 v31, s1, v29
	v_add_co_u32 v19, vcc_lo, s4, v52
	v_ashrrev_i32_e32 v24, 31, v23
	v_add_co_ci_u32_e32 v20, vcc_lo, s5, v53, vcc_lo
	s_delay_alu instid0(VALU_DEP_4) | instskip(SKIP_3) | instid1(VALU_DEP_4)
	v_add_nc_u32_e32 v33, s1, v31
	v_lshlrev_b64 v[52:53], 2, v[21:22]
	v_add_co_u32 v21, vcc_lo, s4, v2
	v_lshlrev_b64 v[67:68], 2, v[23:24]
	v_add_nc_u32_e32 v35, s1, v33
	v_ashrrev_i32_e32 v26, 31, v25
	v_add_co_ci_u32_e32 v22, vcc_lo, s5, v3, vcc_lo
	v_add_co_u32 v23, vcc_lo, s4, v52
	s_delay_alu instid0(VALU_DEP_4) | instskip(SKIP_3) | instid1(VALU_DEP_4)
	v_add_nc_u32_e32 v37, s1, v35
	v_ashrrev_i32_e32 v28, 31, v27
	v_add_co_ci_u32_e32 v24, vcc_lo, s5, v53, vcc_lo
	v_lshlrev_b64 v[52:53], 2, v[25:26]
	v_add_nc_u32_e32 v39, s1, v37
	v_add_co_u32 v25, vcc_lo, s4, v67
	v_add_co_ci_u32_e32 v26, vcc_lo, s5, v68, vcc_lo
	s_delay_alu instid0(VALU_DEP_3) | instskip(SKIP_3) | instid1(VALU_DEP_4)
	v_add_nc_u32_e32 v41, s1, v39
	v_lshlrev_b64 v[67:68], 2, v[27:28]
	v_ashrrev_i32_e32 v30, 31, v29
	v_add_co_u32 v27, vcc_lo, s4, v52
	v_add_nc_u32_e32 v43, s1, v41
	v_ashrrev_i32_e32 v32, 31, v31
	v_add_co_ci_u32_e32 v28, vcc_lo, s5, v53, vcc_lo
	v_lshlrev_b64 v[52:53], 2, v[29:30]
	s_delay_alu instid0(VALU_DEP_4) | instskip(SKIP_2) | instid1(VALU_DEP_3)
	v_add_nc_u32_e32 v45, s1, v43
	v_add_co_u32 v29, vcc_lo, s4, v67
	v_add_co_ci_u32_e32 v30, vcc_lo, s5, v68, vcc_lo
	v_add_nc_u32_e32 v47, s1, v45
	v_lshlrev_b64 v[67:68], 2, v[31:32]
	v_ashrrev_i32_e32 v34, 31, v33
	v_add_co_u32 v31, vcc_lo, s4, v52
	s_delay_alu instid0(VALU_DEP_4) | instskip(SKIP_3) | instid1(VALU_DEP_4)
	v_add_nc_u32_e32 v49, s1, v47
	v_ashrrev_i32_e32 v36, 31, v35
	v_add_co_ci_u32_e32 v32, vcc_lo, s5, v53, vcc_lo
	v_lshlrev_b64 v[52:53], 2, v[33:34]
	v_add_nc_u32_e32 v51, s1, v49
	v_add_co_u32 v33, vcc_lo, s4, v67
	v_add_co_ci_u32_e32 v34, vcc_lo, s5, v68, vcc_lo
	s_delay_alu instid0(VALU_DEP_3) | instskip(SKIP_3) | instid1(VALU_DEP_4)
	v_add_nc_u32_e32 v54, s1, v51
	v_lshlrev_b64 v[67:68], 2, v[35:36]
	v_ashrrev_i32_e32 v38, 31, v37
	v_add_co_u32 v35, vcc_lo, s4, v52
	v_add_nc_u32_e32 v56, s1, v54
	v_ashrrev_i32_e32 v40, 31, v39
	v_add_co_ci_u32_e32 v36, vcc_lo, s5, v53, vcc_lo
	v_lshlrev_b64 v[52:53], 2, v[37:38]
	s_delay_alu instid0(VALU_DEP_4) | instskip(SKIP_2) | instid1(VALU_DEP_3)
	v_add_nc_u32_e32 v58, s1, v56
	v_add_co_u32 v37, vcc_lo, s4, v67
	v_add_co_ci_u32_e32 v38, vcc_lo, s5, v68, vcc_lo
	v_add_nc_u32_e32 v60, s1, v58
	v_lshlrev_b64 v[67:68], 2, v[39:40]
	v_ashrrev_i32_e32 v42, 31, v41
	;; [unrolled: 25-line block ×4, first 2 shown]
	v_add_co_u32 v55, vcc_lo, s4, v86
	s_delay_alu instid0(VALU_DEP_4) | instskip(SKIP_3) | instid1(VALU_DEP_4)
	v_add_nc_u32_e32 v89, s1, v85
	v_ashrrev_i32_e32 v61, 31, v60
	v_add_co_ci_u32_e32 v56, vcc_lo, s5, v87, vcc_lo
	v_lshlrev_b64 v[86:87], 2, v[58:59]
	v_add_nc_u32_e32 v91, s1, v89
	v_add_co_u32 v57, vcc_lo, s4, v67
	v_add_co_ci_u32_e32 v58, vcc_lo, s5, v68, vcc_lo
	s_delay_alu instid0(VALU_DEP_3) | instskip(SKIP_3) | instid1(VALU_DEP_4)
	v_add_nc_u32_e32 v93, s1, v91
	v_lshlrev_b64 v[67:68], 2, v[60:61]
	v_ashrrev_i32_e32 v63, 31, v62
	v_add_co_u32 v59, vcc_lo, s4, v86
	v_add_nc_u32_e32 v95, s1, v93
	v_ashrrev_i32_e32 v65, 31, v64
	v_add_co_ci_u32_e32 v60, vcc_lo, s5, v87, vcc_lo
	v_lshlrev_b64 v[86:87], 2, v[62:63]
	s_delay_alu instid0(VALU_DEP_4) | instskip(SKIP_3) | instid1(VALU_DEP_4)
	v_add_nc_u32_e32 v97, s1, v95
	v_add_co_u32 v61, vcc_lo, s4, v67
	v_ashrrev_i32_e32 v67, 31, v66
	v_lshlrev_b64 v[116:117], 2, v[64:65]
	v_add_nc_u32_e32 v99, s1, v97
	v_ashrrev_i32_e32 v70, 31, v69
	v_add_co_ci_u32_e32 v62, vcc_lo, s5, v68, vcc_lo
	v_add_co_u32 v63, vcc_lo, s4, v86
	s_delay_alu instid0(VALU_DEP_4) | instskip(SKIP_3) | instid1(VALU_DEP_4)
	v_add_nc_u32_e32 v101, s1, v99
	v_lshlrev_b64 v[67:68], 2, v[66:67]
	v_ashrrev_i32_e32 v72, 31, v71
	v_add_co_ci_u32_e32 v64, vcc_lo, s5, v87, vcc_lo
	v_add_nc_u32_e32 v103, s1, v101
	v_add_co_u32 v65, vcc_lo, s4, v116
	v_lshlrev_b64 v[69:70], 2, v[69:70]
	v_add_co_ci_u32_e32 v66, vcc_lo, s5, v117, vcc_lo
	s_delay_alu instid0(VALU_DEP_4) | instskip(SKIP_3) | instid1(VALU_DEP_4)
	v_add_nc_u32_e32 v105, s1, v103
	v_add_co_u32 v67, vcc_lo, s4, v67
	v_lshlrev_b64 v[71:72], 2, v[71:72]
	v_ashrrev_i32_e32 v74, 31, v73
	v_add_nc_u32_e32 v107, s1, v105
	v_add_co_ci_u32_e32 v68, vcc_lo, s5, v68, vcc_lo
	v_add_co_u32 v69, vcc_lo, s4, v69
	s_delay_alu instid0(VALU_DEP_3) | instskip(SKIP_3) | instid1(VALU_DEP_4)
	v_add_nc_u32_e32 v109, s1, v107
	v_ashrrev_i32_e32 v76, 31, v75
	v_add_co_ci_u32_e32 v70, vcc_lo, s5, v70, vcc_lo
	v_lshlrev_b64 v[86:87], 2, v[73:74]
	v_add_nc_u32_e32 v111, s1, v109
	v_add_co_u32 v73, vcc_lo, s4, v71
	v_add_co_ci_u32_e32 v74, vcc_lo, s5, v72, vcc_lo
	s_delay_alu instid0(VALU_DEP_3) | instskip(SKIP_3) | instid1(VALU_DEP_4)
	v_add_nc_u32_e32 v113, s1, v111
	v_lshlrev_b64 v[71:72], 2, v[75:76]
	v_ashrrev_i32_e32 v78, 31, v77
	v_add_co_u32 v75, vcc_lo, s4, v86
	v_add_nc_u32_e32 v115, s1, v113
	v_add_co_ci_u32_e32 v76, vcc_lo, s5, v87, vcc_lo
	s_delay_alu instid0(VALU_DEP_4) | instskip(SKIP_1) | instid1(VALU_DEP_4)
	v_lshlrev_b64 v[86:87], 2, v[77:78]
	v_ashrrev_i32_e32 v80, 31, v79
	v_add_nc_u32_e32 v118, s1, v115
	v_add_co_u32 v77, vcc_lo, s4, v71
	v_add_co_ci_u32_e32 v78, vcc_lo, s5, v72, vcc_lo
	s_delay_alu instid0(VALU_DEP_3) | instskip(SKIP_3) | instid1(VALU_DEP_4)
	v_add_nc_u32_e32 v120, s1, v118
	v_ashrrev_i32_e32 v82, 31, v81
	v_lshlrev_b64 v[127:128], 2, v[79:80]
	v_add_co_u32 v79, vcc_lo, s4, v86
	v_add_nc_u32_e32 v122, s1, v120
	v_add_co_ci_u32_e32 v80, vcc_lo, s5, v87, vcc_lo
	v_lshlrev_b64 v[87:88], 2, v[81:82]
	v_ashrrev_i32_e32 v84, 31, v83
	s_delay_alu instid0(VALU_DEP_4)
	v_add_nc_u32_e32 v124, s1, v122
	v_ashrrev_i32_e32 v86, 31, v85
	v_ashrrev_i32_e32 v90, 31, v89
	;; [unrolled: 1-line block ×4, first 2 shown]
	v_add_nc_u32_e32 v126, s1, v124
	v_ashrrev_i32_e32 v96, 31, v95
	v_lshlrev_b64 v[89:90], 2, v[89:90]
	v_lshlrev_b64 v[91:92], 2, v[91:92]
	;; [unrolled: 1-line block ×3, first 2 shown]
	v_add_nc_u32_e32 v183, s1, v126
	v_ashrrev_i32_e32 v98, 31, v97
	v_lshlrev_b64 v[95:96], 2, v[95:96]
	v_ashrrev_i32_e32 v100, 31, v99
	v_ashrrev_i32_e32 v102, 31, v101
	v_add_nc_u32_e32 v116, s1, v183
	v_lshlrev_b64 v[97:98], 2, v[97:98]
	v_ashrrev_i32_e32 v104, 31, v103
	v_lshlrev_b64 v[99:100], 2, v[99:100]
	v_lshlrev_b64 v[101:102], 2, v[101:102]
	v_ashrrev_i32_e32 v117, 31, v116
	v_ashrrev_i32_e32 v106, 31, v105
	v_lshlrev_b64 v[103:104], 2, v[103:104]
	v_ashrrev_i32_e32 v108, 31, v107
	v_ashrrev_i32_e32 v110, 31, v109
	v_lshlrev_b64 v[71:72], 2, v[116:117]
	v_lshlrev_b64 v[116:117], 2, v[83:84]
	v_lshlrev_b64 v[105:106], 2, v[105:106]
	v_lshlrev_b64 v[107:108], 2, v[107:108]
	v_ashrrev_i32_e32 v112, 31, v111
	v_lshlrev_b64 v[109:110], 2, v[109:110]
	v_add_co_u32 v71, vcc_lo, s4, v71
	v_add_co_ci_u32_e32 v72, vcc_lo, s5, v72, vcc_lo
	v_add_co_u32 v81, vcc_lo, s4, v127
	v_add_co_ci_u32_e32 v82, vcc_lo, s5, v128, vcc_lo
	;; [unrolled: 2-line block ×3, first 2 shown]
	v_lshlrev_b64 v[87:88], 2, v[85:86]
	v_add_co_u32 v85, vcc_lo, s4, v116
	v_add_co_ci_u32_e32 v86, vcc_lo, s5, v117, vcc_lo
	v_ashrrev_i32_e32 v114, 31, v113
	s_delay_alu instid0(VALU_DEP_4)
	v_add_co_u32 v87, vcc_lo, s4, v87
	v_add_co_ci_u32_e32 v88, vcc_lo, s5, v88, vcc_lo
	v_add_co_u32 v89, vcc_lo, s4, v89
	v_add_co_ci_u32_e32 v90, vcc_lo, s5, v90, vcc_lo
	;; [unrolled: 2-line block ×10, first 2 shown]
	v_add_co_u32 v107, vcc_lo, s4, v107
	v_lshlrev_b64 v[111:112], 2, v[111:112]
	v_ashrrev_i32_e32 v116, 31, v115
	v_add_co_ci_u32_e32 v108, vcc_lo, s5, v108, vcc_lo
	v_add_co_u32 v109, vcc_lo, s4, v109
	v_lshlrev_b64 v[113:114], 2, v[113:114]
	v_ashrrev_i32_e32 v119, 31, v118
	v_add_co_ci_u32_e32 v110, vcc_lo, s5, v110, vcc_lo
	;; [unrolled: 4-line block ×7, first 2 shown]
	v_add_co_u32 v121, vcc_lo, s4, v121
	v_lshlrev_b64 v[125:126], 2, v[126:127]
	v_add_co_ci_u32_e32 v122, vcc_lo, s5, v122, vcc_lo
	v_add_co_u32 v123, vcc_lo, s4, v123
	v_lshlrev_b64 v[127:128], 2, v[183:184]
	v_add_co_ci_u32_e32 v124, vcc_lo, s5, v124, vcc_lo
	v_add_co_u32 v125, vcc_lo, s4, v125
	v_add_co_ci_u32_e32 v126, vcc_lo, s5, v126, vcc_lo
	s_delay_alu instid0(VALU_DEP_4)
	v_add_co_u32 v127, vcc_lo, s4, v127
	v_add_co_ci_u32_e32 v128, vcc_lo, s5, v128, vcc_lo
	s_clause 0x1f
	global_load_b32 v1, v129, s[4:5]
	global_load_b32 v2, v[7:8], off
	global_load_b32 v3, v[9:10], off
	;; [unrolled: 1-line block ×31, first 2 shown]
	s_clause 0x1d
	global_load_b32 v158, v[69:70], off
	global_load_b32 v159, v[73:74], off
	;; [unrolled: 1-line block ×30, first 2 shown]
	s_bitcmp0_b32 s13, 0
	s_mov_b32 s1, -1
	s_waitcnt vmcnt(58)
	scratch_store_b128 off, v[1:4], off
	s_waitcnt vmcnt(54)
	scratch_store_b128 off, v[130:133], off offset:16
	s_waitcnt vmcnt(50)
	scratch_store_b128 off, v[134:137], off offset:32
	;; [unrolled: 2-line block ×14, first 2 shown]
	s_waitcnt vmcnt(0)
	scratch_store_b64 off, v[186:187], off offset:240
	s_cbranch_scc1 .LBB125_254
; %bb.4:
	v_cmp_eq_u32_e64 s0, 0, v0
	s_delay_alu instid0(VALU_DEP_1)
	s_and_saveexec_b32 s1, s0
	s_cbranch_execz .LBB125_6
; %bb.5:
	v_mov_b32_e32 v1, 0
	ds_store_b32 v1, v1 offset:248
.LBB125_6:
	s_or_b32 exec_lo, exec_lo, s1
	s_waitcnt lgkmcnt(0)
	s_waitcnt_vscnt null, 0x0
	s_barrier
	buffer_gl0_inv
	scratch_load_b32 v1, v129, off
	s_mov_b32 s4, exec_lo
	s_waitcnt vmcnt(0)
	v_cmpx_eq_f32_e32 0, v1
	s_cbranch_execz .LBB125_10
; %bb.7:
	v_mov_b32_e32 v1, 0
	s_mov_b32 s5, 0
	ds_load_b32 v2, v1 offset:248
	s_waitcnt lgkmcnt(0)
	v_readfirstlane_b32 s1, v2
	v_add_nc_u32_e32 v2, 1, v0
	s_delay_alu instid0(VALU_DEP_2) | instskip(NEXT) | instid1(VALU_DEP_1)
	s_cmp_eq_u32 s1, 0
	v_cmp_gt_i32_e32 vcc_lo, s1, v2
	s_cselect_b32 s10, -1, 0
	s_delay_alu instid0(SALU_CYCLE_1) | instskip(NEXT) | instid1(SALU_CYCLE_1)
	s_or_b32 s10, s10, vcc_lo
	s_and_b32 exec_lo, exec_lo, s10
	s_cbranch_execz .LBB125_10
; %bb.8:
	v_mov_b32_e32 v3, s1
.LBB125_9:                              ; =>This Inner Loop Header: Depth=1
	ds_cmpstore_rtn_b32 v3, v1, v2, v3 offset:248
	s_waitcnt lgkmcnt(0)
	v_cmp_ne_u32_e32 vcc_lo, 0, v3
	v_cmp_le_i32_e64 s1, v3, v2
	s_delay_alu instid0(VALU_DEP_1) | instskip(NEXT) | instid1(SALU_CYCLE_1)
	s_and_b32 s1, vcc_lo, s1
	s_and_b32 s1, exec_lo, s1
	s_delay_alu instid0(SALU_CYCLE_1) | instskip(NEXT) | instid1(SALU_CYCLE_1)
	s_or_b32 s5, s1, s5
	s_and_not1_b32 exec_lo, exec_lo, s5
	s_cbranch_execnz .LBB125_9
.LBB125_10:
	s_or_b32 exec_lo, exec_lo, s4
	v_mov_b32_e32 v1, 0
	s_barrier
	buffer_gl0_inv
	ds_load_b32 v2, v1 offset:248
	s_and_saveexec_b32 s1, s0
	s_cbranch_execz .LBB125_12
; %bb.11:
	s_lshl_b64 s[4:5], s[8:9], 2
	s_delay_alu instid0(SALU_CYCLE_1)
	s_add_u32 s4, s6, s4
	s_addc_u32 s5, s7, s5
	s_waitcnt lgkmcnt(0)
	global_store_b32 v1, v2, s[4:5]
.LBB125_12:
	s_or_b32 exec_lo, exec_lo, s1
	s_waitcnt lgkmcnt(0)
	v_cmp_ne_u32_e32 vcc_lo, 0, v2
	s_mov_b32 s1, 0
	s_cbranch_vccnz .LBB125_254
; %bb.13:
	v_add_nc_u32_e32 v1, 0, v129
	scratch_load_b32 v2, v1, off
	s_waitcnt vmcnt(0)
	v_div_scale_f32 v3, null, v2, v2, 1.0
	v_div_scale_f32 v131, vcc_lo, 1.0, v2, 1.0
	s_delay_alu instid0(VALU_DEP_2) | instskip(SKIP_2) | instid1(VALU_DEP_1)
	v_rcp_f32_e32 v4, v3
	s_waitcnt_depctr 0xfff
	v_fma_f32 v130, -v3, v4, 1.0
	v_fmac_f32_e32 v4, v130, v4
	s_delay_alu instid0(VALU_DEP_1) | instskip(NEXT) | instid1(VALU_DEP_1)
	v_mul_f32_e32 v130, v131, v4
	v_fma_f32 v132, -v3, v130, v131
	s_delay_alu instid0(VALU_DEP_1) | instskip(NEXT) | instid1(VALU_DEP_1)
	v_fmac_f32_e32 v130, v132, v4
	v_fma_f32 v3, -v3, v130, v131
	s_delay_alu instid0(VALU_DEP_1) | instskip(NEXT) | instid1(VALU_DEP_1)
	v_div_fmas_f32 v3, v3, v4, v130
	v_div_fixup_f32 v2, v3, v2, 1.0
	scratch_store_b32 v1, v2, off
	scratch_load_b32 v3, off, off offset:4
	v_xor_b32_e32 v4, 0x80000000, v2
	v_or_b32_e32 v2, 0x100, v129
	s_waitcnt vmcnt(0)
	ds_store_2addr_stride64_b32 v129, v4, v3 offset1:1
	s_waitcnt lgkmcnt(0)
	s_waitcnt_vscnt null, 0x0
	s_barrier
	buffer_gl0_inv
	s_and_saveexec_b32 s1, s0
	s_cbranch_execz .LBB125_15
; %bb.14:
	scratch_load_b32 v3, v1, off
	ds_load_b32 v4, v2
	v_mov_b32_e32 v130, 0
	ds_load_b32 v130, v130 offset:4
	s_waitcnt vmcnt(0) lgkmcnt(1)
	v_fma_f32 v3, v3, v4, 0
	s_waitcnt lgkmcnt(0)
	s_delay_alu instid0(VALU_DEP_1)
	v_mul_f32_e32 v3, v3, v130
	scratch_store_b32 off, v3, off offset:4
.LBB125_15:
	s_or_b32 exec_lo, exec_lo, s1
	s_waitcnt_vscnt null, 0x0
	s_barrier
	buffer_gl0_inv
	scratch_load_b32 v3, off, off offset:8
	s_mov_b32 s1, exec_lo
	s_waitcnt vmcnt(0)
	ds_store_b32 v2, v3
	s_waitcnt lgkmcnt(0)
	s_barrier
	buffer_gl0_inv
	v_cmpx_gt_u32_e32 2, v0
	s_cbranch_execz .LBB125_17
; %bb.16:
	scratch_load_b32 v130, v1, off
	scratch_load_b32 v131, off, off offset:4
	ds_load_b32 v132, v2
	v_mov_b32_e32 v3, 0
	ds_load_2addr_b32 v[3:4], v3 offset0:2 offset1:65
	s_waitcnt vmcnt(1) lgkmcnt(1)
	v_fma_f32 v130, v130, v132, 0
	s_waitcnt vmcnt(0) lgkmcnt(0)
	s_delay_alu instid0(VALU_DEP_1) | instskip(NEXT) | instid1(VALU_DEP_1)
	v_fma_f32 v4, v131, v4, v130
	v_cndmask_b32_e64 v4, v130, v4, s0
	s_delay_alu instid0(VALU_DEP_1)
	v_mul_f32_e32 v3, v4, v3
	scratch_store_b32 off, v3, off offset:8
.LBB125_17:
	s_or_b32 exec_lo, exec_lo, s1
	s_waitcnt_vscnt null, 0x0
	s_barrier
	buffer_gl0_inv
	scratch_load_b32 v4, off, off offset:12
	v_add_nc_u32_e32 v3, -1, v0
	s_mov_b32 s0, exec_lo
	s_waitcnt vmcnt(0)
	ds_store_b32 v2, v4
	s_waitcnt lgkmcnt(0)
	s_barrier
	buffer_gl0_inv
	v_cmpx_gt_u32_e32 3, v0
	s_cbranch_execz .LBB125_21
; %bb.18:
	v_add_nc_u32_e32 v130, -1, v0
	v_or_b32_e32 v131, 0x100, v129
	v_add_nc_u32_e32 v132, 0, v129
	v_mov_b32_e32 v4, 0
	s_mov_b32 s1, 0
.LBB125_19:                             ; =>This Inner Loop Header: Depth=1
	scratch_load_b32 v133, v132, off
	ds_load_b32 v134, v131
	v_add_nc_u32_e32 v130, 1, v130
	v_add_nc_u32_e32 v131, 4, v131
	v_add_nc_u32_e32 v132, 4, v132
	s_delay_alu instid0(VALU_DEP_3)
	v_cmp_lt_u32_e32 vcc_lo, 1, v130
	s_or_b32 s1, vcc_lo, s1
	s_waitcnt vmcnt(0) lgkmcnt(0)
	v_fmac_f32_e32 v4, v133, v134
	s_and_not1_b32 exec_lo, exec_lo, s1
	s_cbranch_execnz .LBB125_19
; %bb.20:
	s_or_b32 exec_lo, exec_lo, s1
	v_mov_b32_e32 v130, 0
	ds_load_b32 v130, v130 offset:12
	s_waitcnt lgkmcnt(0)
	v_mul_f32_e32 v4, v4, v130
	scratch_store_b32 off, v4, off offset:12
.LBB125_21:
	s_or_b32 exec_lo, exec_lo, s0
	s_waitcnt_vscnt null, 0x0
	s_barrier
	buffer_gl0_inv
	scratch_load_b32 v4, off, off offset:16
	s_mov_b32 s0, exec_lo
	s_waitcnt vmcnt(0)
	ds_store_b32 v2, v4
	s_waitcnt lgkmcnt(0)
	s_barrier
	buffer_gl0_inv
	v_cmpx_gt_u32_e32 4, v0
	s_cbranch_execz .LBB125_25
; %bb.22:
	v_add_nc_u32_e32 v130, -1, v0
	v_or_b32_e32 v131, 0x100, v129
	v_add_nc_u32_e32 v132, 0, v129
	v_mov_b32_e32 v4, 0
	s_mov_b32 s1, 0
.LBB125_23:                             ; =>This Inner Loop Header: Depth=1
	scratch_load_b32 v133, v132, off
	ds_load_b32 v134, v131
	v_add_nc_u32_e32 v130, 1, v130
	v_add_nc_u32_e32 v131, 4, v131
	v_add_nc_u32_e32 v132, 4, v132
	s_delay_alu instid0(VALU_DEP_3)
	v_cmp_lt_u32_e32 vcc_lo, 2, v130
	s_or_b32 s1, vcc_lo, s1
	s_waitcnt vmcnt(0) lgkmcnt(0)
	v_fmac_f32_e32 v4, v133, v134
	s_and_not1_b32 exec_lo, exec_lo, s1
	s_cbranch_execnz .LBB125_23
; %bb.24:
	s_or_b32 exec_lo, exec_lo, s1
	v_mov_b32_e32 v130, 0
	ds_load_b32 v130, v130 offset:16
	s_waitcnt lgkmcnt(0)
	v_mul_f32_e32 v4, v4, v130
	scratch_store_b32 off, v4, off offset:16
.LBB125_25:
	s_or_b32 exec_lo, exec_lo, s0
	s_waitcnt_vscnt null, 0x0
	s_barrier
	buffer_gl0_inv
	scratch_load_b32 v4, off, off offset:20
	;; [unrolled: 40-line block ×21, first 2 shown]
	s_mov_b32 s0, exec_lo
	s_waitcnt vmcnt(0)
	ds_store_b32 v2, v4
	s_waitcnt lgkmcnt(0)
	s_barrier
	buffer_gl0_inv
	v_cmpx_gt_u32_e32 24, v0
	s_cbranch_execz .LBB125_105
; %bb.102:
	v_add_nc_u32_e32 v130, -1, v0
	v_or_b32_e32 v131, 0x100, v129
	v_add_nc_u32_e32 v132, 0, v129
	v_mov_b32_e32 v4, 0
	s_mov_b32 s1, 0
.LBB125_103:                            ; =>This Inner Loop Header: Depth=1
	scratch_load_b32 v133, v132, off
	ds_load_b32 v134, v131
	v_add_nc_u32_e32 v130, 1, v130
	v_add_nc_u32_e32 v131, 4, v131
	v_add_nc_u32_e32 v132, 4, v132
	s_delay_alu instid0(VALU_DEP_3)
	v_cmp_lt_u32_e32 vcc_lo, 22, v130
	s_or_b32 s1, vcc_lo, s1
	s_waitcnt vmcnt(0) lgkmcnt(0)
	v_fmac_f32_e32 v4, v133, v134
	s_and_not1_b32 exec_lo, exec_lo, s1
	s_cbranch_execnz .LBB125_103
; %bb.104:
	s_or_b32 exec_lo, exec_lo, s1
	v_mov_b32_e32 v130, 0
	ds_load_b32 v130, v130 offset:96
	s_waitcnt lgkmcnt(0)
	v_mul_f32_e32 v4, v4, v130
	scratch_store_b32 off, v4, off offset:96
.LBB125_105:
	s_or_b32 exec_lo, exec_lo, s0
	s_waitcnt_vscnt null, 0x0
	s_barrier
	buffer_gl0_inv
	scratch_load_b32 v4, off, off offset:100
	s_mov_b32 s0, exec_lo
	s_waitcnt vmcnt(0)
	ds_store_b32 v2, v4
	s_waitcnt lgkmcnt(0)
	s_barrier
	buffer_gl0_inv
	v_cmpx_gt_u32_e32 25, v0
	s_cbranch_execz .LBB125_109
; %bb.106:
	v_add_nc_u32_e32 v130, -1, v0
	v_or_b32_e32 v131, 0x100, v129
	v_add_nc_u32_e32 v132, 0, v129
	v_mov_b32_e32 v4, 0
	s_mov_b32 s1, 0
.LBB125_107:                            ; =>This Inner Loop Header: Depth=1
	scratch_load_b32 v133, v132, off
	ds_load_b32 v134, v131
	v_add_nc_u32_e32 v130, 1, v130
	v_add_nc_u32_e32 v131, 4, v131
	v_add_nc_u32_e32 v132, 4, v132
	s_delay_alu instid0(VALU_DEP_3)
	v_cmp_lt_u32_e32 vcc_lo, 23, v130
	s_or_b32 s1, vcc_lo, s1
	s_waitcnt vmcnt(0) lgkmcnt(0)
	v_fmac_f32_e32 v4, v133, v134
	s_and_not1_b32 exec_lo, exec_lo, s1
	s_cbranch_execnz .LBB125_107
; %bb.108:
	s_or_b32 exec_lo, exec_lo, s1
	v_mov_b32_e32 v130, 0
	ds_load_b32 v130, v130 offset:100
	s_waitcnt lgkmcnt(0)
	v_mul_f32_e32 v4, v4, v130
	scratch_store_b32 off, v4, off offset:100
.LBB125_109:
	s_or_b32 exec_lo, exec_lo, s0
	s_waitcnt_vscnt null, 0x0
	s_barrier
	buffer_gl0_inv
	scratch_load_b32 v4, off, off offset:104
	;; [unrolled: 40-line block ×36, first 2 shown]
	s_mov_b32 s0, exec_lo
	s_waitcnt vmcnt(0)
	ds_store_b32 v2, v4
	s_waitcnt lgkmcnt(0)
	s_barrier
	buffer_gl0_inv
	v_cmpx_gt_u32_e32 60, v0
	s_cbranch_execz .LBB125_249
; %bb.246:
	v_add_nc_u32_e32 v130, -1, v0
	v_or_b32_e32 v131, 0x100, v129
	v_dual_mov_b32 v4, 0 :: v_dual_add_nc_u32 v129, 0, v129
	s_mov_b32 s1, 0
.LBB125_247:                            ; =>This Inner Loop Header: Depth=1
	scratch_load_b32 v132, v129, off
	ds_load_b32 v133, v131
	v_add_nc_u32_e32 v130, 1, v130
	v_add_nc_u32_e32 v131, 4, v131
	v_add_nc_u32_e32 v129, 4, v129
	s_delay_alu instid0(VALU_DEP_3)
	v_cmp_lt_u32_e32 vcc_lo, 58, v130
	s_or_b32 s1, vcc_lo, s1
	s_waitcnt vmcnt(0) lgkmcnt(0)
	v_fmac_f32_e32 v4, v132, v133
	s_and_not1_b32 exec_lo, exec_lo, s1
	s_cbranch_execnz .LBB125_247
; %bb.248:
	s_or_b32 exec_lo, exec_lo, s1
	v_mov_b32_e32 v129, 0
	ds_load_b32 v129, v129 offset:240
	s_waitcnt lgkmcnt(0)
	v_mul_f32_e32 v4, v4, v129
	scratch_store_b32 off, v4, off offset:240
.LBB125_249:
	s_or_b32 exec_lo, exec_lo, s0
	s_waitcnt_vscnt null, 0x0
	s_barrier
	buffer_gl0_inv
	scratch_load_b32 v4, off, off offset:244
	s_mov_b32 s0, exec_lo
	s_waitcnt vmcnt(0)
	ds_store_b32 v2, v4
	s_waitcnt lgkmcnt(0)
	s_barrier
	buffer_gl0_inv
	v_cmpx_ne_u32_e32 61, v0
	s_cbranch_execz .LBB125_253
; %bb.250:
	v_mov_b32_e32 v4, 0
	s_mov_b32 s1, 0
.LBB125_251:                            ; =>This Inner Loop Header: Depth=1
	scratch_load_b32 v129, v1, off
	ds_load_b32 v130, v2
	v_add_nc_u32_e32 v3, 1, v3
	v_add_nc_u32_e32 v2, 4, v2
	s_waitcnt vmcnt(0) lgkmcnt(0)
	v_dual_fmac_f32 v4, v129, v130 :: v_dual_add_nc_u32 v1, 4, v1
	s_delay_alu instid0(VALU_DEP_3) | instskip(SKIP_1) | instid1(SALU_CYCLE_1)
	v_cmp_lt_u32_e32 vcc_lo, 59, v3
	s_or_b32 s1, vcc_lo, s1
	s_and_not1_b32 exec_lo, exec_lo, s1
	s_cbranch_execnz .LBB125_251
; %bb.252:
	s_or_b32 exec_lo, exec_lo, s1
	v_mov_b32_e32 v1, 0
	ds_load_b32 v1, v1 offset:244
	s_waitcnt lgkmcnt(0)
	v_mul_f32_e32 v1, v4, v1
	scratch_store_b32 off, v1, off offset:244
.LBB125_253:
	s_or_b32 exec_lo, exec_lo, s0
	s_mov_b32 s1, -1
	s_waitcnt_vscnt null, 0x0
	s_barrier
	buffer_gl0_inv
.LBB125_254:
	s_and_b32 vcc_lo, exec_lo, s1
	s_cbranch_vccz .LBB125_256
; %bb.255:
	s_lshl_b64 s[0:1], s[8:9], 2
	v_mov_b32_e32 v1, 0
	s_add_u32 s0, s6, s0
	s_addc_u32 s1, s7, s1
	global_load_b32 v1, v1, s[0:1]
	s_waitcnt vmcnt(0)
	v_cmp_ne_u32_e32 vcc_lo, 0, v1
	s_cbranch_vccz .LBB125_257
.LBB125_256:
	s_endpgm
.LBB125_257:
	v_lshl_or_b32 v1, v0, 2, 0x100
	s_mov_b32 s0, exec_lo
	v_cmpx_eq_u32_e32 61, v0
	s_cbranch_execz .LBB125_259
; %bb.258:
	scratch_load_b32 v2, off, off offset:240
	v_mov_b32_e32 v3, 0
	scratch_store_b32 off, v3, off offset:240
	s_waitcnt vmcnt(0)
	ds_store_b32 v1, v2
.LBB125_259:
	s_or_b32 exec_lo, exec_lo, s0
	s_waitcnt lgkmcnt(0)
	s_waitcnt_vscnt null, 0x0
	s_barrier
	buffer_gl0_inv
	scratch_load_b64 v[3:4], off, off offset:240
	v_mov_b32_e32 v2, 0
	s_mov_b32 s0, exec_lo
	ds_load_b32 v129, v2 offset:500
	s_waitcnt vmcnt(0) lgkmcnt(0)
	v_fma_f32 v4, v4, v129, 0
	s_delay_alu instid0(VALU_DEP_1)
	v_sub_f32_e32 v3, v3, v4
	scratch_store_b32 off, v3, off offset:240
	v_cmpx_lt_u32_e32 59, v0
	s_cbranch_execz .LBB125_261
; %bb.260:
	scratch_load_b32 v3, off, off offset:236
	scratch_store_b32 off, v2, off offset:236
	s_waitcnt vmcnt(0)
	ds_store_b32 v1, v3
.LBB125_261:
	s_or_b32 exec_lo, exec_lo, s0
	s_waitcnt lgkmcnt(0)
	s_waitcnt_vscnt null, 0x0
	s_barrier
	buffer_gl0_inv
	scratch_load_b96 v[129:131], off, off offset:236
	ds_load_b64 v[2:3], v2 offset:496
	s_mov_b32 s0, exec_lo
	s_waitcnt vmcnt(0) lgkmcnt(0)
	v_fma_f32 v2, v130, v2, 0
	s_delay_alu instid0(VALU_DEP_1) | instskip(NEXT) | instid1(VALU_DEP_1)
	v_fmac_f32_e32 v2, v131, v3
	v_sub_f32_e32 v2, v129, v2
	scratch_store_b32 off, v2, off offset:236
	v_cmpx_lt_u32_e32 58, v0
	s_cbranch_execz .LBB125_263
; %bb.262:
	scratch_load_b32 v2, off, off offset:232
	v_mov_b32_e32 v3, 0
	scratch_store_b32 off, v3, off offset:232
	s_waitcnt vmcnt(0)
	ds_store_b32 v1, v2
.LBB125_263:
	s_or_b32 exec_lo, exec_lo, s0
	s_waitcnt lgkmcnt(0)
	s_waitcnt_vscnt null, 0x0
	s_barrier
	buffer_gl0_inv
	scratch_load_b128 v[129:132], off, off offset:232
	v_mov_b32_e32 v2, 0
	ds_load_2addr_b32 v[3:4], v2 offset0:123 offset1:124
	ds_load_b32 v133, v2 offset:500
	s_mov_b32 s0, exec_lo
	s_waitcnt vmcnt(0) lgkmcnt(1)
	v_fma_f32 v3, v130, v3, 0
	s_delay_alu instid0(VALU_DEP_1) | instskip(SKIP_1) | instid1(VALU_DEP_1)
	v_fmac_f32_e32 v3, v131, v4
	s_waitcnt lgkmcnt(0)
	v_fmac_f32_e32 v3, v132, v133
	s_delay_alu instid0(VALU_DEP_1)
	v_sub_f32_e32 v3, v129, v3
	scratch_store_b32 off, v3, off offset:232
	v_cmpx_lt_u32_e32 57, v0
	s_cbranch_execz .LBB125_265
; %bb.264:
	scratch_load_b32 v3, off, off offset:228
	scratch_store_b32 off, v2, off offset:228
	s_waitcnt vmcnt(0)
	ds_store_b32 v1, v3
.LBB125_265:
	s_or_b32 exec_lo, exec_lo, s0
	s_waitcnt lgkmcnt(0)
	s_waitcnt_vscnt null, 0x0
	s_barrier
	buffer_gl0_inv
	s_clause 0x1
	scratch_load_b128 v[129:132], off, off offset:228
	scratch_load_b32 v3, off, off offset:244
	ds_load_2addr_b64 v[133:136], v2 offset0:61 offset1:62
	s_mov_b32 s0, exec_lo
	s_waitcnt vmcnt(1) lgkmcnt(0)
	v_fma_f32 v2, v130, v133, 0
	s_delay_alu instid0(VALU_DEP_1) | instskip(NEXT) | instid1(VALU_DEP_1)
	v_fmac_f32_e32 v2, v131, v134
	v_fmac_f32_e32 v2, v132, v135
	s_waitcnt vmcnt(0)
	s_delay_alu instid0(VALU_DEP_1) | instskip(NEXT) | instid1(VALU_DEP_1)
	v_fmac_f32_e32 v2, v3, v136
	v_sub_f32_e32 v2, v129, v2
	scratch_store_b32 off, v2, off offset:228
	v_cmpx_lt_u32_e32 56, v0
	s_cbranch_execz .LBB125_267
; %bb.266:
	scratch_load_b32 v2, off, off offset:224
	v_mov_b32_e32 v3, 0
	scratch_store_b32 off, v3, off offset:224
	s_waitcnt vmcnt(0)
	ds_store_b32 v1, v2
.LBB125_267:
	s_or_b32 exec_lo, exec_lo, s0
	s_waitcnt lgkmcnt(0)
	s_waitcnt_vscnt null, 0x0
	s_barrier
	buffer_gl0_inv
	s_clause 0x1
	scratch_load_b128 v[129:132], off, off offset:224
	scratch_load_b64 v[3:4], off, off offset:240
	v_mov_b32_e32 v2, 0
	ds_load_2addr_b32 v[133:134], v2 offset0:121 offset1:122
	ds_load_2addr_b32 v[135:136], v2 offset0:123 offset1:124
	ds_load_b32 v137, v2 offset:500
	s_mov_b32 s0, exec_lo
	s_waitcnt vmcnt(1) lgkmcnt(2)
	v_fma_f32 v130, v130, v133, 0
	s_delay_alu instid0(VALU_DEP_1) | instskip(SKIP_1) | instid1(VALU_DEP_1)
	v_fmac_f32_e32 v130, v131, v134
	s_waitcnt lgkmcnt(1)
	v_fmac_f32_e32 v130, v132, v135
	s_waitcnt vmcnt(0)
	s_delay_alu instid0(VALU_DEP_1) | instskip(SKIP_1) | instid1(VALU_DEP_1)
	v_fmac_f32_e32 v130, v3, v136
	s_waitcnt lgkmcnt(0)
	v_fmac_f32_e32 v130, v4, v137
	s_delay_alu instid0(VALU_DEP_1)
	v_sub_f32_e32 v3, v129, v130
	scratch_store_b32 off, v3, off offset:224
	v_cmpx_lt_u32_e32 55, v0
	s_cbranch_execz .LBB125_269
; %bb.268:
	scratch_load_b32 v3, off, off offset:220
	scratch_store_b32 off, v2, off offset:220
	s_waitcnt vmcnt(0)
	ds_store_b32 v1, v3
.LBB125_269:
	s_or_b32 exec_lo, exec_lo, s0
	s_waitcnt lgkmcnt(0)
	s_waitcnt_vscnt null, 0x0
	s_barrier
	buffer_gl0_inv
	s_clause 0x1
	scratch_load_b128 v[129:132], off, off offset:220
	scratch_load_b96 v[137:139], off, off offset:236
	ds_load_b128 v[133:136], v2 offset:480
	ds_load_b64 v[2:3], v2 offset:496
	s_mov_b32 s0, exec_lo
	s_waitcnt vmcnt(1) lgkmcnt(1)
	v_fma_f32 v4, v130, v133, 0
	s_delay_alu instid0(VALU_DEP_1) | instskip(NEXT) | instid1(VALU_DEP_1)
	v_fmac_f32_e32 v4, v131, v134
	v_fmac_f32_e32 v4, v132, v135
	s_waitcnt vmcnt(0)
	s_delay_alu instid0(VALU_DEP_1) | instskip(SKIP_1) | instid1(VALU_DEP_1)
	v_fmac_f32_e32 v4, v137, v136
	s_waitcnt lgkmcnt(0)
	v_fmac_f32_e32 v4, v138, v2
	s_delay_alu instid0(VALU_DEP_1) | instskip(NEXT) | instid1(VALU_DEP_1)
	v_fmac_f32_e32 v4, v139, v3
	v_sub_f32_e32 v2, v129, v4
	scratch_store_b32 off, v2, off offset:220
	v_cmpx_lt_u32_e32 54, v0
	s_cbranch_execz .LBB125_271
; %bb.270:
	scratch_load_b32 v2, off, off offset:216
	v_mov_b32_e32 v3, 0
	scratch_store_b32 off, v3, off offset:216
	s_waitcnt vmcnt(0)
	ds_store_b32 v1, v2
.LBB125_271:
	s_or_b32 exec_lo, exec_lo, s0
	s_waitcnt lgkmcnt(0)
	s_waitcnt_vscnt null, 0x0
	s_barrier
	buffer_gl0_inv
	s_clause 0x1
	scratch_load_b128 v[129:132], off, off offset:216
	scratch_load_b128 v[133:136], off, off offset:232
	v_mov_b32_e32 v2, 0
	ds_load_2addr_b32 v[3:4], v2 offset0:119 offset1:120
	ds_load_2addr_b32 v[137:138], v2 offset0:121 offset1:122
	;; [unrolled: 1-line block ×3, first 2 shown]
	ds_load_b32 v141, v2 offset:500
	s_mov_b32 s0, exec_lo
	s_waitcnt vmcnt(1) lgkmcnt(3)
	v_fma_f32 v3, v130, v3, 0
	s_delay_alu instid0(VALU_DEP_1) | instskip(SKIP_1) | instid1(VALU_DEP_1)
	v_fmac_f32_e32 v3, v131, v4
	s_waitcnt lgkmcnt(2)
	v_fmac_f32_e32 v3, v132, v137
	s_waitcnt vmcnt(0)
	s_delay_alu instid0(VALU_DEP_1) | instskip(SKIP_1) | instid1(VALU_DEP_1)
	v_fmac_f32_e32 v3, v133, v138
	s_waitcnt lgkmcnt(1)
	v_fmac_f32_e32 v3, v134, v139
	s_delay_alu instid0(VALU_DEP_1) | instskip(SKIP_1) | instid1(VALU_DEP_1)
	v_fmac_f32_e32 v3, v135, v140
	s_waitcnt lgkmcnt(0)
	v_fmac_f32_e32 v3, v136, v141
	s_delay_alu instid0(VALU_DEP_1)
	v_sub_f32_e32 v3, v129, v3
	scratch_store_b32 off, v3, off offset:216
	v_cmpx_lt_u32_e32 53, v0
	s_cbranch_execz .LBB125_273
; %bb.272:
	scratch_load_b32 v3, off, off offset:212
	scratch_store_b32 off, v2, off offset:212
	s_waitcnt vmcnt(0)
	ds_store_b32 v1, v3
.LBB125_273:
	s_or_b32 exec_lo, exec_lo, s0
	s_waitcnt lgkmcnt(0)
	s_waitcnt_vscnt null, 0x0
	s_barrier
	buffer_gl0_inv
	s_clause 0x2
	scratch_load_b128 v[129:132], off, off offset:212
	scratch_load_b128 v[133:136], off, off offset:228
	scratch_load_b32 v3, off, off offset:244
	ds_load_2addr_b64 v[137:140], v2 offset0:59 offset1:60
	ds_load_2addr_b64 v[141:144], v2 offset0:61 offset1:62
	s_mov_b32 s0, exec_lo
	s_waitcnt vmcnt(2) lgkmcnt(1)
	v_fma_f32 v2, v130, v137, 0
	s_delay_alu instid0(VALU_DEP_1) | instskip(NEXT) | instid1(VALU_DEP_1)
	v_fmac_f32_e32 v2, v131, v138
	v_fmac_f32_e32 v2, v132, v139
	s_waitcnt vmcnt(1)
	s_delay_alu instid0(VALU_DEP_1) | instskip(SKIP_1) | instid1(VALU_DEP_1)
	v_fmac_f32_e32 v2, v133, v140
	s_waitcnt lgkmcnt(0)
	v_fmac_f32_e32 v2, v134, v141
	s_delay_alu instid0(VALU_DEP_1) | instskip(NEXT) | instid1(VALU_DEP_1)
	v_fmac_f32_e32 v2, v135, v142
	v_fmac_f32_e32 v2, v136, v143
	s_waitcnt vmcnt(0)
	s_delay_alu instid0(VALU_DEP_1) | instskip(NEXT) | instid1(VALU_DEP_1)
	v_fmac_f32_e32 v2, v3, v144
	v_sub_f32_e32 v2, v129, v2
	scratch_store_b32 off, v2, off offset:212
	v_cmpx_lt_u32_e32 52, v0
	s_cbranch_execz .LBB125_275
; %bb.274:
	scratch_load_b32 v2, off, off offset:208
	v_mov_b32_e32 v3, 0
	scratch_store_b32 off, v3, off offset:208
	s_waitcnt vmcnt(0)
	ds_store_b32 v1, v2
.LBB125_275:
	s_or_b32 exec_lo, exec_lo, s0
	s_waitcnt lgkmcnt(0)
	s_waitcnt_vscnt null, 0x0
	s_barrier
	buffer_gl0_inv
	s_clause 0x2
	scratch_load_b128 v[129:132], off, off offset:208
	scratch_load_b128 v[133:136], off, off offset:224
	scratch_load_b64 v[3:4], off, off offset:240
	v_mov_b32_e32 v2, 0
	ds_load_2addr_b32 v[137:138], v2 offset0:117 offset1:118
	ds_load_2addr_b32 v[139:140], v2 offset0:119 offset1:120
	;; [unrolled: 1-line block ×4, first 2 shown]
	s_mov_b32 s0, exec_lo
	s_waitcnt vmcnt(2) lgkmcnt(3)
	v_fma_f32 v130, v130, v137, 0
	s_delay_alu instid0(VALU_DEP_1) | instskip(SKIP_4) | instid1(VALU_DEP_1)
	v_fmac_f32_e32 v130, v131, v138
	ds_load_b32 v131, v2 offset:500
	s_waitcnt lgkmcnt(3)
	v_fmac_f32_e32 v130, v132, v139
	s_waitcnt vmcnt(1)
	v_fmac_f32_e32 v130, v133, v140
	s_waitcnt lgkmcnt(2)
	s_delay_alu instid0(VALU_DEP_1) | instskip(NEXT) | instid1(VALU_DEP_1)
	v_fmac_f32_e32 v130, v134, v141
	v_fmac_f32_e32 v130, v135, v142
	s_waitcnt lgkmcnt(1)
	s_delay_alu instid0(VALU_DEP_1) | instskip(SKIP_1) | instid1(VALU_DEP_1)
	v_fmac_f32_e32 v130, v136, v143
	s_waitcnt vmcnt(0)
	v_fmac_f32_e32 v130, v3, v144
	s_waitcnt lgkmcnt(0)
	s_delay_alu instid0(VALU_DEP_1) | instskip(NEXT) | instid1(VALU_DEP_1)
	v_fmac_f32_e32 v130, v4, v131
	v_sub_f32_e32 v3, v129, v130
	scratch_store_b32 off, v3, off offset:208
	v_cmpx_lt_u32_e32 51, v0
	s_cbranch_execz .LBB125_277
; %bb.276:
	scratch_load_b32 v3, off, off offset:204
	scratch_store_b32 off, v2, off offset:204
	s_waitcnt vmcnt(0)
	ds_store_b32 v1, v3
.LBB125_277:
	s_or_b32 exec_lo, exec_lo, s0
	s_waitcnt lgkmcnt(0)
	s_waitcnt_vscnt null, 0x0
	s_barrier
	buffer_gl0_inv
	s_clause 0x2
	scratch_load_b128 v[129:132], off, off offset:204
	scratch_load_b128 v[133:136], off, off offset:220
	scratch_load_b96 v[145:147], off, off offset:236
	ds_load_b128 v[137:140], v2 offset:464
	ds_load_b128 v[141:144], v2 offset:480
	ds_load_b64 v[2:3], v2 offset:496
	s_mov_b32 s0, exec_lo
	s_waitcnt vmcnt(2) lgkmcnt(2)
	v_fma_f32 v4, v130, v137, 0
	s_delay_alu instid0(VALU_DEP_1) | instskip(NEXT) | instid1(VALU_DEP_1)
	v_fmac_f32_e32 v4, v131, v138
	v_fmac_f32_e32 v4, v132, v139
	s_waitcnt vmcnt(1)
	s_delay_alu instid0(VALU_DEP_1) | instskip(SKIP_1) | instid1(VALU_DEP_1)
	v_fmac_f32_e32 v4, v133, v140
	s_waitcnt lgkmcnt(1)
	v_fmac_f32_e32 v4, v134, v141
	s_delay_alu instid0(VALU_DEP_1) | instskip(NEXT) | instid1(VALU_DEP_1)
	v_fmac_f32_e32 v4, v135, v142
	v_fmac_f32_e32 v4, v136, v143
	s_waitcnt vmcnt(0)
	s_delay_alu instid0(VALU_DEP_1) | instskip(SKIP_1) | instid1(VALU_DEP_1)
	v_fmac_f32_e32 v4, v145, v144
	s_waitcnt lgkmcnt(0)
	v_fmac_f32_e32 v4, v146, v2
	s_delay_alu instid0(VALU_DEP_1) | instskip(NEXT) | instid1(VALU_DEP_1)
	v_fmac_f32_e32 v4, v147, v3
	v_sub_f32_e32 v2, v129, v4
	scratch_store_b32 off, v2, off offset:204
	v_cmpx_lt_u32_e32 50, v0
	s_cbranch_execz .LBB125_279
; %bb.278:
	scratch_load_b32 v2, off, off offset:200
	v_mov_b32_e32 v3, 0
	scratch_store_b32 off, v3, off offset:200
	s_waitcnt vmcnt(0)
	ds_store_b32 v1, v2
.LBB125_279:
	s_or_b32 exec_lo, exec_lo, s0
	s_waitcnt lgkmcnt(0)
	s_waitcnt_vscnt null, 0x0
	s_barrier
	buffer_gl0_inv
	s_clause 0x2
	scratch_load_b128 v[129:132], off, off offset:200
	scratch_load_b128 v[133:136], off, off offset:216
	scratch_load_b128 v[137:140], off, off offset:232
	v_mov_b32_e32 v2, 0
	ds_load_2addr_b32 v[3:4], v2 offset0:115 offset1:116
	ds_load_2addr_b32 v[141:142], v2 offset0:117 offset1:118
	;; [unrolled: 1-line block ×4, first 2 shown]
	s_mov_b32 s0, exec_lo
	s_waitcnt vmcnt(2) lgkmcnt(3)
	v_fma_f32 v130, v130, v3, 0
	s_delay_alu instid0(VALU_DEP_1)
	v_fmac_f32_e32 v130, v131, v4
	ds_load_2addr_b32 v[3:4], v2 offset0:123 offset1:124
	ds_load_b32 v131, v2 offset:500
	s_waitcnt lgkmcnt(4)
	v_fmac_f32_e32 v130, v132, v141
	s_waitcnt vmcnt(1)
	s_delay_alu instid0(VALU_DEP_1) | instskip(SKIP_1) | instid1(VALU_DEP_1)
	v_fmac_f32_e32 v130, v133, v142
	s_waitcnt lgkmcnt(3)
	v_fmac_f32_e32 v130, v134, v143
	s_delay_alu instid0(VALU_DEP_1) | instskip(SKIP_1) | instid1(VALU_DEP_1)
	v_fmac_f32_e32 v130, v135, v144
	s_waitcnt lgkmcnt(2)
	v_fmac_f32_e32 v130, v136, v145
	s_waitcnt vmcnt(0)
	s_delay_alu instid0(VALU_DEP_1) | instskip(SKIP_1) | instid1(VALU_DEP_1)
	v_fmac_f32_e32 v130, v137, v146
	s_waitcnt lgkmcnt(1)
	v_fmac_f32_e32 v130, v138, v3
	s_delay_alu instid0(VALU_DEP_1) | instskip(SKIP_1) | instid1(VALU_DEP_1)
	v_fmac_f32_e32 v130, v139, v4
	s_waitcnt lgkmcnt(0)
	v_fmac_f32_e32 v130, v140, v131
	s_delay_alu instid0(VALU_DEP_1)
	v_sub_f32_e32 v3, v129, v130
	scratch_store_b32 off, v3, off offset:200
	v_cmpx_lt_u32_e32 49, v0
	s_cbranch_execz .LBB125_281
; %bb.280:
	scratch_load_b32 v3, off, off offset:196
	scratch_store_b32 off, v2, off offset:196
	s_waitcnt vmcnt(0)
	ds_store_b32 v1, v3
.LBB125_281:
	s_or_b32 exec_lo, exec_lo, s0
	s_waitcnt lgkmcnt(0)
	s_waitcnt_vscnt null, 0x0
	s_barrier
	buffer_gl0_inv
	s_clause 0x3
	scratch_load_b128 v[129:132], off, off offset:196
	scratch_load_b128 v[133:136], off, off offset:212
	scratch_load_b128 v[137:140], off, off offset:228
	scratch_load_b32 v3, off, off offset:244
	ds_load_2addr_b64 v[141:144], v2 offset0:57 offset1:58
	ds_load_2addr_b64 v[145:148], v2 offset0:59 offset1:60
	s_mov_b32 s0, exec_lo
	s_waitcnt vmcnt(3) lgkmcnt(1)
	v_fma_f32 v4, v130, v141, 0
	s_delay_alu instid0(VALU_DEP_1) | instskip(NEXT) | instid1(VALU_DEP_1)
	v_fmac_f32_e32 v4, v131, v142
	v_fmac_f32_e32 v4, v132, v143
	s_waitcnt vmcnt(2)
	s_delay_alu instid0(VALU_DEP_1) | instskip(SKIP_3) | instid1(VALU_DEP_1)
	v_fmac_f32_e32 v4, v133, v144
	ds_load_2addr_b64 v[130:133], v2 offset0:61 offset1:62
	s_waitcnt lgkmcnt(1)
	v_fmac_f32_e32 v4, v134, v145
	v_fmac_f32_e32 v4, v135, v146
	s_delay_alu instid0(VALU_DEP_1) | instskip(SKIP_1) | instid1(VALU_DEP_1)
	v_fmac_f32_e32 v4, v136, v147
	s_waitcnt vmcnt(1)
	v_fmac_f32_e32 v4, v137, v148
	s_waitcnt lgkmcnt(0)
	s_delay_alu instid0(VALU_DEP_1) | instskip(NEXT) | instid1(VALU_DEP_1)
	v_fmac_f32_e32 v4, v138, v130
	v_fmac_f32_e32 v4, v139, v131
	s_delay_alu instid0(VALU_DEP_1) | instskip(SKIP_1) | instid1(VALU_DEP_1)
	v_fmac_f32_e32 v4, v140, v132
	s_waitcnt vmcnt(0)
	v_fmac_f32_e32 v4, v3, v133
	s_delay_alu instid0(VALU_DEP_1)
	v_sub_f32_e32 v2, v129, v4
	scratch_store_b32 off, v2, off offset:196
	v_cmpx_lt_u32_e32 48, v0
	s_cbranch_execz .LBB125_283
; %bb.282:
	scratch_load_b32 v2, off, off offset:192
	v_mov_b32_e32 v3, 0
	scratch_store_b32 off, v3, off offset:192
	s_waitcnt vmcnt(0)
	ds_store_b32 v1, v2
.LBB125_283:
	s_or_b32 exec_lo, exec_lo, s0
	s_waitcnt lgkmcnt(0)
	s_waitcnt_vscnt null, 0x0
	s_barrier
	buffer_gl0_inv
	s_clause 0x3
	scratch_load_b128 v[129:132], off, off offset:192
	scratch_load_b128 v[133:136], off, off offset:208
	;; [unrolled: 1-line block ×3, first 2 shown]
	scratch_load_b64 v[3:4], off, off offset:240
	v_mov_b32_e32 v2, 0
	ds_load_2addr_b32 v[141:142], v2 offset0:113 offset1:114
	ds_load_2addr_b32 v[143:144], v2 offset0:115 offset1:116
	ds_load_2addr_b32 v[145:146], v2 offset0:117 offset1:118
	ds_load_2addr_b32 v[147:148], v2 offset0:119 offset1:120
	s_mov_b32 s0, exec_lo
	s_waitcnt vmcnt(3) lgkmcnt(3)
	v_fma_f32 v141, v130, v141, 0
	s_delay_alu instid0(VALU_DEP_1) | instskip(SKIP_4) | instid1(VALU_DEP_1)
	v_fmac_f32_e32 v141, v131, v142
	ds_load_2addr_b32 v[130:131], v2 offset0:121 offset1:122
	s_waitcnt lgkmcnt(3)
	v_fmac_f32_e32 v141, v132, v143
	s_waitcnt vmcnt(2)
	v_fmac_f32_e32 v141, v133, v144
	ds_load_2addr_b32 v[132:133], v2 offset0:123 offset1:124
	s_waitcnt lgkmcnt(3)
	v_fmac_f32_e32 v141, v134, v145
	ds_load_b32 v134, v2 offset:500
	v_fmac_f32_e32 v141, v135, v146
	s_waitcnt lgkmcnt(3)
	s_delay_alu instid0(VALU_DEP_1) | instskip(SKIP_1) | instid1(VALU_DEP_1)
	v_fmac_f32_e32 v141, v136, v147
	s_waitcnt vmcnt(1)
	v_fmac_f32_e32 v141, v137, v148
	s_waitcnt lgkmcnt(2)
	s_delay_alu instid0(VALU_DEP_1) | instskip(NEXT) | instid1(VALU_DEP_1)
	v_fmac_f32_e32 v141, v138, v130
	v_fmac_f32_e32 v141, v139, v131
	s_waitcnt lgkmcnt(1)
	s_delay_alu instid0(VALU_DEP_1) | instskip(SKIP_1) | instid1(VALU_DEP_1)
	v_fmac_f32_e32 v141, v140, v132
	s_waitcnt vmcnt(0)
	v_fmac_f32_e32 v141, v3, v133
	s_waitcnt lgkmcnt(0)
	s_delay_alu instid0(VALU_DEP_1) | instskip(NEXT) | instid1(VALU_DEP_1)
	v_fmac_f32_e32 v141, v4, v134
	v_sub_f32_e32 v3, v129, v141
	scratch_store_b32 off, v3, off offset:192
	v_cmpx_lt_u32_e32 47, v0
	s_cbranch_execz .LBB125_285
; %bb.284:
	scratch_load_b32 v3, off, off offset:188
	scratch_store_b32 off, v2, off offset:188
	s_waitcnt vmcnt(0)
	ds_store_b32 v1, v3
.LBB125_285:
	s_or_b32 exec_lo, exec_lo, s0
	s_waitcnt lgkmcnt(0)
	s_waitcnt_vscnt null, 0x0
	s_barrier
	buffer_gl0_inv
	s_clause 0x3
	scratch_load_b128 v[129:132], off, off offset:188
	scratch_load_b128 v[133:136], off, off offset:204
	;; [unrolled: 1-line block ×3, first 2 shown]
	scratch_load_b96 v[149:151], off, off offset:236
	ds_load_b128 v[141:144], v2 offset:448
	ds_load_b128 v[145:148], v2 offset:464
	s_mov_b32 s0, exec_lo
	s_waitcnt vmcnt(3) lgkmcnt(1)
	v_fma_f32 v4, v130, v141, 0
	s_delay_alu instid0(VALU_DEP_1) | instskip(NEXT) | instid1(VALU_DEP_1)
	v_fmac_f32_e32 v4, v131, v142
	v_fmac_f32_e32 v4, v132, v143
	s_waitcnt vmcnt(2)
	s_delay_alu instid0(VALU_DEP_1) | instskip(SKIP_4) | instid1(VALU_DEP_1)
	v_fmac_f32_e32 v4, v133, v144
	ds_load_b128 v[130:133], v2 offset:480
	ds_load_b64 v[2:3], v2 offset:496
	s_waitcnt lgkmcnt(2)
	v_fmac_f32_e32 v4, v134, v145
	v_fmac_f32_e32 v4, v135, v146
	s_delay_alu instid0(VALU_DEP_1) | instskip(SKIP_1) | instid1(VALU_DEP_1)
	v_fmac_f32_e32 v4, v136, v147
	s_waitcnt vmcnt(1)
	v_fmac_f32_e32 v4, v137, v148
	s_waitcnt lgkmcnt(1)
	s_delay_alu instid0(VALU_DEP_1) | instskip(NEXT) | instid1(VALU_DEP_1)
	v_fmac_f32_e32 v4, v138, v130
	v_fmac_f32_e32 v4, v139, v131
	s_delay_alu instid0(VALU_DEP_1) | instskip(SKIP_1) | instid1(VALU_DEP_1)
	v_fmac_f32_e32 v4, v140, v132
	s_waitcnt vmcnt(0)
	v_fmac_f32_e32 v4, v149, v133
	s_waitcnt lgkmcnt(0)
	s_delay_alu instid0(VALU_DEP_1) | instskip(NEXT) | instid1(VALU_DEP_1)
	v_fmac_f32_e32 v4, v150, v2
	v_fmac_f32_e32 v4, v151, v3
	s_delay_alu instid0(VALU_DEP_1)
	v_sub_f32_e32 v2, v129, v4
	scratch_store_b32 off, v2, off offset:188
	v_cmpx_lt_u32_e32 46, v0
	s_cbranch_execz .LBB125_287
; %bb.286:
	scratch_load_b32 v2, off, off offset:184
	v_mov_b32_e32 v3, 0
	scratch_store_b32 off, v3, off offset:184
	s_waitcnt vmcnt(0)
	ds_store_b32 v1, v2
.LBB125_287:
	s_or_b32 exec_lo, exec_lo, s0
	s_waitcnt lgkmcnt(0)
	s_waitcnt_vscnt null, 0x0
	s_barrier
	buffer_gl0_inv
	s_clause 0x3
	scratch_load_b128 v[129:132], off, off offset:184
	scratch_load_b128 v[133:136], off, off offset:200
	;; [unrolled: 1-line block ×4, first 2 shown]
	v_mov_b32_e32 v2, 0
	ds_load_2addr_b32 v[3:4], v2 offset0:111 offset1:112
	ds_load_2addr_b32 v[145:146], v2 offset0:113 offset1:114
	;; [unrolled: 1-line block ×4, first 2 shown]
	s_mov_b32 s0, exec_lo
	s_waitcnt vmcnt(3) lgkmcnt(3)
	v_fma_f32 v151, v130, v3, 0
	s_delay_alu instid0(VALU_DEP_1)
	v_fmac_f32_e32 v151, v131, v4
	ds_load_2addr_b32 v[3:4], v2 offset0:119 offset1:120
	ds_load_2addr_b32 v[130:131], v2 offset0:121 offset1:122
	s_waitcnt lgkmcnt(4)
	v_fmac_f32_e32 v151, v132, v145
	s_waitcnt vmcnt(2)
	s_delay_alu instid0(VALU_DEP_1) | instskip(SKIP_1) | instid1(VALU_DEP_1)
	v_fmac_f32_e32 v151, v133, v146
	s_waitcnt lgkmcnt(3)
	v_fmac_f32_e32 v151, v134, v147
	ds_load_2addr_b32 v[132:133], v2 offset0:123 offset1:124
	ds_load_b32 v134, v2 offset:500
	v_fmac_f32_e32 v151, v135, v148
	s_waitcnt lgkmcnt(4)
	s_delay_alu instid0(VALU_DEP_1) | instskip(SKIP_1) | instid1(VALU_DEP_1)
	v_fmac_f32_e32 v151, v136, v149
	s_waitcnt vmcnt(1)
	v_fmac_f32_e32 v151, v137, v150
	s_waitcnt lgkmcnt(3)
	s_delay_alu instid0(VALU_DEP_1) | instskip(NEXT) | instid1(VALU_DEP_1)
	v_fmac_f32_e32 v151, v138, v3
	v_fmac_f32_e32 v151, v139, v4
	s_waitcnt lgkmcnt(2)
	s_delay_alu instid0(VALU_DEP_1) | instskip(SKIP_1) | instid1(VALU_DEP_1)
	v_fmac_f32_e32 v151, v140, v130
	s_waitcnt vmcnt(0)
	v_fmac_f32_e32 v151, v141, v131
	s_waitcnt lgkmcnt(1)
	s_delay_alu instid0(VALU_DEP_1) | instskip(NEXT) | instid1(VALU_DEP_1)
	v_fmac_f32_e32 v151, v142, v132
	v_fmac_f32_e32 v151, v143, v133
	s_waitcnt lgkmcnt(0)
	s_delay_alu instid0(VALU_DEP_1) | instskip(NEXT) | instid1(VALU_DEP_1)
	v_fmac_f32_e32 v151, v144, v134
	v_sub_f32_e32 v3, v129, v151
	scratch_store_b32 off, v3, off offset:184
	v_cmpx_lt_u32_e32 45, v0
	s_cbranch_execz .LBB125_289
; %bb.288:
	scratch_load_b32 v3, off, off offset:180
	scratch_store_b32 off, v2, off offset:180
	s_waitcnt vmcnt(0)
	ds_store_b32 v1, v3
.LBB125_289:
	s_or_b32 exec_lo, exec_lo, s0
	s_waitcnt lgkmcnt(0)
	s_waitcnt_vscnt null, 0x0
	s_barrier
	buffer_gl0_inv
	s_clause 0x4
	scratch_load_b128 v[129:132], off, off offset:180
	scratch_load_b128 v[133:136], off, off offset:196
	;; [unrolled: 1-line block ×4, first 2 shown]
	scratch_load_b32 v3, off, off offset:244
	ds_load_2addr_b64 v[145:148], v2 offset0:55 offset1:56
	ds_load_2addr_b64 v[149:152], v2 offset0:57 offset1:58
	s_mov_b32 s0, exec_lo
	s_waitcnt vmcnt(4) lgkmcnt(1)
	v_fma_f32 v4, v130, v145, 0
	s_delay_alu instid0(VALU_DEP_1) | instskip(NEXT) | instid1(VALU_DEP_1)
	v_fmac_f32_e32 v4, v131, v146
	v_fmac_f32_e32 v4, v132, v147
	s_waitcnt vmcnt(3)
	s_delay_alu instid0(VALU_DEP_1) | instskip(SKIP_3) | instid1(VALU_DEP_1)
	v_fmac_f32_e32 v4, v133, v148
	ds_load_2addr_b64 v[130:133], v2 offset0:59 offset1:60
	s_waitcnt lgkmcnt(1)
	v_fmac_f32_e32 v4, v134, v149
	v_fmac_f32_e32 v4, v135, v150
	s_delay_alu instid0(VALU_DEP_1) | instskip(SKIP_1) | instid1(VALU_DEP_1)
	v_fmac_f32_e32 v4, v136, v151
	s_waitcnt vmcnt(2)
	v_fmac_f32_e32 v4, v137, v152
	ds_load_2addr_b64 v[134:137], v2 offset0:61 offset1:62
	s_waitcnt lgkmcnt(1)
	v_fmac_f32_e32 v4, v138, v130
	s_delay_alu instid0(VALU_DEP_1) | instskip(NEXT) | instid1(VALU_DEP_1)
	v_fmac_f32_e32 v4, v139, v131
	v_fmac_f32_e32 v4, v140, v132
	s_waitcnt vmcnt(1)
	s_delay_alu instid0(VALU_DEP_1) | instskip(SKIP_1) | instid1(VALU_DEP_1)
	v_fmac_f32_e32 v4, v141, v133
	s_waitcnt lgkmcnt(0)
	v_fmac_f32_e32 v4, v142, v134
	s_delay_alu instid0(VALU_DEP_1) | instskip(NEXT) | instid1(VALU_DEP_1)
	v_fmac_f32_e32 v4, v143, v135
	v_fmac_f32_e32 v4, v144, v136
	s_waitcnt vmcnt(0)
	s_delay_alu instid0(VALU_DEP_1) | instskip(NEXT) | instid1(VALU_DEP_1)
	v_fmac_f32_e32 v4, v3, v137
	v_sub_f32_e32 v2, v129, v4
	scratch_store_b32 off, v2, off offset:180
	v_cmpx_lt_u32_e32 44, v0
	s_cbranch_execz .LBB125_291
; %bb.290:
	scratch_load_b32 v2, off, off offset:176
	v_mov_b32_e32 v3, 0
	scratch_store_b32 off, v3, off offset:176
	s_waitcnt vmcnt(0)
	ds_store_b32 v1, v2
.LBB125_291:
	s_or_b32 exec_lo, exec_lo, s0
	s_waitcnt lgkmcnt(0)
	s_waitcnt_vscnt null, 0x0
	s_barrier
	buffer_gl0_inv
	s_clause 0x4
	scratch_load_b128 v[129:132], off, off offset:176
	scratch_load_b128 v[133:136], off, off offset:192
	;; [unrolled: 1-line block ×4, first 2 shown]
	scratch_load_b64 v[3:4], off, off offset:240
	v_mov_b32_e32 v2, 0
	ds_load_2addr_b32 v[145:146], v2 offset0:109 offset1:110
	ds_load_2addr_b32 v[147:148], v2 offset0:111 offset1:112
	ds_load_2addr_b32 v[149:150], v2 offset0:113 offset1:114
	ds_load_2addr_b32 v[151:152], v2 offset0:115 offset1:116
	s_mov_b32 s0, exec_lo
	s_waitcnt vmcnt(4) lgkmcnt(3)
	v_fma_f32 v145, v130, v145, 0
	s_delay_alu instid0(VALU_DEP_1) | instskip(SKIP_4) | instid1(VALU_DEP_1)
	v_fmac_f32_e32 v145, v131, v146
	ds_load_2addr_b32 v[130:131], v2 offset0:117 offset1:118
	s_waitcnt lgkmcnt(3)
	v_fmac_f32_e32 v145, v132, v147
	s_waitcnt vmcnt(3)
	v_fmac_f32_e32 v145, v133, v148
	ds_load_2addr_b32 v[132:133], v2 offset0:119 offset1:120
	s_waitcnt lgkmcnt(3)
	v_fmac_f32_e32 v145, v134, v149
	s_delay_alu instid0(VALU_DEP_1) | instskip(SKIP_1) | instid1(VALU_DEP_1)
	v_fmac_f32_e32 v145, v135, v150
	s_waitcnt lgkmcnt(2)
	v_fmac_f32_e32 v145, v136, v151
	s_waitcnt vmcnt(2)
	s_delay_alu instid0(VALU_DEP_1)
	v_fmac_f32_e32 v145, v137, v152
	ds_load_2addr_b32 v[134:135], v2 offset0:121 offset1:122
	ds_load_2addr_b32 v[136:137], v2 offset0:123 offset1:124
	s_waitcnt lgkmcnt(3)
	v_fmac_f32_e32 v145, v138, v130
	ds_load_b32 v130, v2 offset:500
	v_fmac_f32_e32 v145, v139, v131
	s_waitcnt lgkmcnt(3)
	s_delay_alu instid0(VALU_DEP_1) | instskip(SKIP_1) | instid1(VALU_DEP_1)
	v_fmac_f32_e32 v145, v140, v132
	s_waitcnt vmcnt(1)
	v_fmac_f32_e32 v145, v141, v133
	s_waitcnt lgkmcnt(2)
	s_delay_alu instid0(VALU_DEP_1) | instskip(NEXT) | instid1(VALU_DEP_1)
	v_fmac_f32_e32 v145, v142, v134
	v_fmac_f32_e32 v145, v143, v135
	s_waitcnt lgkmcnt(1)
	s_delay_alu instid0(VALU_DEP_1) | instskip(SKIP_1) | instid1(VALU_DEP_1)
	v_fmac_f32_e32 v145, v144, v136
	s_waitcnt vmcnt(0)
	v_fmac_f32_e32 v145, v3, v137
	s_waitcnt lgkmcnt(0)
	s_delay_alu instid0(VALU_DEP_1) | instskip(NEXT) | instid1(VALU_DEP_1)
	v_fmac_f32_e32 v145, v4, v130
	v_sub_f32_e32 v3, v129, v145
	scratch_store_b32 off, v3, off offset:176
	v_cmpx_lt_u32_e32 43, v0
	s_cbranch_execz .LBB125_293
; %bb.292:
	scratch_load_b32 v3, off, off offset:172
	scratch_store_b32 off, v2, off offset:172
	s_waitcnt vmcnt(0)
	ds_store_b32 v1, v3
.LBB125_293:
	s_or_b32 exec_lo, exec_lo, s0
	s_waitcnt lgkmcnt(0)
	s_waitcnt_vscnt null, 0x0
	s_barrier
	buffer_gl0_inv
	s_clause 0x4
	scratch_load_b128 v[129:132], off, off offset:172
	scratch_load_b128 v[133:136], off, off offset:188
	;; [unrolled: 1-line block ×4, first 2 shown]
	scratch_load_b96 v[153:155], off, off offset:236
	ds_load_b128 v[145:148], v2 offset:432
	ds_load_b128 v[149:152], v2 offset:448
	s_mov_b32 s0, exec_lo
	s_waitcnt vmcnt(4) lgkmcnt(1)
	v_fma_f32 v4, v130, v145, 0
	s_delay_alu instid0(VALU_DEP_1) | instskip(NEXT) | instid1(VALU_DEP_1)
	v_fmac_f32_e32 v4, v131, v146
	v_fmac_f32_e32 v4, v132, v147
	s_waitcnt vmcnt(3)
	s_delay_alu instid0(VALU_DEP_1) | instskip(SKIP_3) | instid1(VALU_DEP_1)
	v_fmac_f32_e32 v4, v133, v148
	ds_load_b128 v[130:133], v2 offset:464
	s_waitcnt lgkmcnt(1)
	v_fmac_f32_e32 v4, v134, v149
	v_fmac_f32_e32 v4, v135, v150
	s_delay_alu instid0(VALU_DEP_1) | instskip(SKIP_1) | instid1(VALU_DEP_1)
	v_fmac_f32_e32 v4, v136, v151
	s_waitcnt vmcnt(2)
	v_fmac_f32_e32 v4, v137, v152
	ds_load_b128 v[134:137], v2 offset:480
	ds_load_b64 v[2:3], v2 offset:496
	s_waitcnt lgkmcnt(2)
	v_fmac_f32_e32 v4, v138, v130
	s_delay_alu instid0(VALU_DEP_1) | instskip(NEXT) | instid1(VALU_DEP_1)
	v_fmac_f32_e32 v4, v139, v131
	v_fmac_f32_e32 v4, v140, v132
	s_waitcnt vmcnt(1)
	s_delay_alu instid0(VALU_DEP_1) | instskip(SKIP_1) | instid1(VALU_DEP_1)
	v_fmac_f32_e32 v4, v141, v133
	s_waitcnt lgkmcnt(1)
	v_fmac_f32_e32 v4, v142, v134
	s_delay_alu instid0(VALU_DEP_1) | instskip(NEXT) | instid1(VALU_DEP_1)
	v_fmac_f32_e32 v4, v143, v135
	v_fmac_f32_e32 v4, v144, v136
	s_waitcnt vmcnt(0)
	s_delay_alu instid0(VALU_DEP_1) | instskip(SKIP_1) | instid1(VALU_DEP_1)
	v_fmac_f32_e32 v4, v153, v137
	s_waitcnt lgkmcnt(0)
	v_fmac_f32_e32 v4, v154, v2
	s_delay_alu instid0(VALU_DEP_1) | instskip(NEXT) | instid1(VALU_DEP_1)
	v_fmac_f32_e32 v4, v155, v3
	v_sub_f32_e32 v2, v129, v4
	scratch_store_b32 off, v2, off offset:172
	v_cmpx_lt_u32_e32 42, v0
	s_cbranch_execz .LBB125_295
; %bb.294:
	scratch_load_b32 v2, off, off offset:168
	v_mov_b32_e32 v3, 0
	scratch_store_b32 off, v3, off offset:168
	s_waitcnt vmcnt(0)
	ds_store_b32 v1, v2
.LBB125_295:
	s_or_b32 exec_lo, exec_lo, s0
	s_waitcnt lgkmcnt(0)
	s_waitcnt_vscnt null, 0x0
	s_barrier
	buffer_gl0_inv
	s_clause 0x4
	scratch_load_b128 v[129:132], off, off offset:168
	scratch_load_b128 v[133:136], off, off offset:184
	;; [unrolled: 1-line block ×5, first 2 shown]
	v_mov_b32_e32 v2, 0
	ds_load_2addr_b32 v[3:4], v2 offset0:107 offset1:108
	ds_load_2addr_b32 v[149:150], v2 offset0:109 offset1:110
	ds_load_2addr_b32 v[151:152], v2 offset0:111 offset1:112
	ds_load_2addr_b32 v[153:154], v2 offset0:113 offset1:114
	s_mov_b32 s0, exec_lo
	s_waitcnt vmcnt(4) lgkmcnt(3)
	v_fma_f32 v155, v130, v3, 0
	s_delay_alu instid0(VALU_DEP_1)
	v_fmac_f32_e32 v155, v131, v4
	ds_load_2addr_b32 v[3:4], v2 offset0:115 offset1:116
	ds_load_2addr_b32 v[130:131], v2 offset0:117 offset1:118
	s_waitcnt lgkmcnt(4)
	v_fmac_f32_e32 v155, v132, v149
	s_waitcnt vmcnt(3)
	s_delay_alu instid0(VALU_DEP_1) | instskip(SKIP_1) | instid1(VALU_DEP_1)
	v_fmac_f32_e32 v155, v133, v150
	s_waitcnt lgkmcnt(3)
	v_fmac_f32_e32 v155, v134, v151
	s_delay_alu instid0(VALU_DEP_1)
	v_fmac_f32_e32 v155, v135, v152
	ds_load_2addr_b32 v[132:133], v2 offset0:119 offset1:120
	ds_load_2addr_b32 v[134:135], v2 offset0:121 offset1:122
	s_waitcnt lgkmcnt(4)
	v_fmac_f32_e32 v155, v136, v153
	s_waitcnt vmcnt(2)
	s_delay_alu instid0(VALU_DEP_1) | instskip(SKIP_1) | instid1(VALU_DEP_1)
	v_fmac_f32_e32 v155, v137, v154
	s_waitcnt lgkmcnt(3)
	v_fmac_f32_e32 v155, v138, v3
	s_delay_alu instid0(VALU_DEP_1)
	v_fmac_f32_e32 v155, v139, v4
	ds_load_2addr_b32 v[3:4], v2 offset0:123 offset1:124
	s_waitcnt lgkmcnt(3)
	v_fmac_f32_e32 v155, v140, v130
	ds_load_b32 v130, v2 offset:500
	s_waitcnt vmcnt(1)
	v_fmac_f32_e32 v155, v141, v131
	s_waitcnt lgkmcnt(3)
	s_delay_alu instid0(VALU_DEP_1) | instskip(NEXT) | instid1(VALU_DEP_1)
	v_fmac_f32_e32 v155, v142, v132
	v_fmac_f32_e32 v155, v143, v133
	s_waitcnt lgkmcnt(2)
	s_delay_alu instid0(VALU_DEP_1) | instskip(SKIP_1) | instid1(VALU_DEP_1)
	v_fmac_f32_e32 v155, v144, v134
	s_waitcnt vmcnt(0)
	v_fmac_f32_e32 v155, v145, v135
	s_waitcnt lgkmcnt(1)
	s_delay_alu instid0(VALU_DEP_1) | instskip(NEXT) | instid1(VALU_DEP_1)
	v_fmac_f32_e32 v155, v146, v3
	v_fmac_f32_e32 v155, v147, v4
	s_waitcnt lgkmcnt(0)
	s_delay_alu instid0(VALU_DEP_1) | instskip(NEXT) | instid1(VALU_DEP_1)
	v_fmac_f32_e32 v155, v148, v130
	v_sub_f32_e32 v3, v129, v155
	scratch_store_b32 off, v3, off offset:168
	v_cmpx_lt_u32_e32 41, v0
	s_cbranch_execz .LBB125_297
; %bb.296:
	scratch_load_b32 v3, off, off offset:164
	scratch_store_b32 off, v2, off offset:164
	s_waitcnt vmcnt(0)
	ds_store_b32 v1, v3
.LBB125_297:
	s_or_b32 exec_lo, exec_lo, s0
	s_waitcnt lgkmcnt(0)
	s_waitcnt_vscnt null, 0x0
	s_barrier
	buffer_gl0_inv
	s_clause 0x5
	scratch_load_b128 v[129:132], off, off offset:164
	scratch_load_b128 v[133:136], off, off offset:180
	;; [unrolled: 1-line block ×5, first 2 shown]
	scratch_load_b32 v3, off, off offset:244
	ds_load_2addr_b64 v[149:152], v2 offset0:53 offset1:54
	ds_load_2addr_b64 v[153:156], v2 offset0:55 offset1:56
	s_mov_b32 s0, exec_lo
	s_waitcnt vmcnt(5) lgkmcnt(1)
	v_fma_f32 v4, v130, v149, 0
	s_delay_alu instid0(VALU_DEP_1) | instskip(NEXT) | instid1(VALU_DEP_1)
	v_fmac_f32_e32 v4, v131, v150
	v_fmac_f32_e32 v4, v132, v151
	s_waitcnt vmcnt(4)
	s_delay_alu instid0(VALU_DEP_1) | instskip(SKIP_3) | instid1(VALU_DEP_1)
	v_fmac_f32_e32 v4, v133, v152
	ds_load_2addr_b64 v[130:133], v2 offset0:57 offset1:58
	s_waitcnt lgkmcnt(1)
	v_fmac_f32_e32 v4, v134, v153
	v_fmac_f32_e32 v4, v135, v154
	s_delay_alu instid0(VALU_DEP_1) | instskip(SKIP_1) | instid1(VALU_DEP_1)
	v_fmac_f32_e32 v4, v136, v155
	s_waitcnt vmcnt(3)
	v_fmac_f32_e32 v4, v137, v156
	ds_load_2addr_b64 v[134:137], v2 offset0:59 offset1:60
	s_waitcnt lgkmcnt(1)
	v_fmac_f32_e32 v4, v138, v130
	s_delay_alu instid0(VALU_DEP_1) | instskip(NEXT) | instid1(VALU_DEP_1)
	v_fmac_f32_e32 v4, v139, v131
	v_fmac_f32_e32 v4, v140, v132
	s_waitcnt vmcnt(2)
	s_delay_alu instid0(VALU_DEP_1) | instskip(SKIP_3) | instid1(VALU_DEP_1)
	v_fmac_f32_e32 v4, v141, v133
	ds_load_2addr_b64 v[130:133], v2 offset0:61 offset1:62
	s_waitcnt lgkmcnt(1)
	v_fmac_f32_e32 v4, v142, v134
	v_fmac_f32_e32 v4, v143, v135
	s_delay_alu instid0(VALU_DEP_1) | instskip(SKIP_1) | instid1(VALU_DEP_1)
	v_fmac_f32_e32 v4, v144, v136
	s_waitcnt vmcnt(1)
	v_fmac_f32_e32 v4, v145, v137
	s_waitcnt lgkmcnt(0)
	s_delay_alu instid0(VALU_DEP_1) | instskip(NEXT) | instid1(VALU_DEP_1)
	v_fmac_f32_e32 v4, v146, v130
	v_fmac_f32_e32 v4, v147, v131
	s_delay_alu instid0(VALU_DEP_1) | instskip(SKIP_1) | instid1(VALU_DEP_1)
	v_fmac_f32_e32 v4, v148, v132
	s_waitcnt vmcnt(0)
	v_fmac_f32_e32 v4, v3, v133
	s_delay_alu instid0(VALU_DEP_1)
	v_sub_f32_e32 v2, v129, v4
	scratch_store_b32 off, v2, off offset:164
	v_cmpx_lt_u32_e32 40, v0
	s_cbranch_execz .LBB125_299
; %bb.298:
	scratch_load_b32 v2, off, off offset:160
	v_mov_b32_e32 v3, 0
	scratch_store_b32 off, v3, off offset:160
	s_waitcnt vmcnt(0)
	ds_store_b32 v1, v2
.LBB125_299:
	s_or_b32 exec_lo, exec_lo, s0
	s_waitcnt lgkmcnt(0)
	s_waitcnt_vscnt null, 0x0
	s_barrier
	buffer_gl0_inv
	s_clause 0x5
	scratch_load_b128 v[129:132], off, off offset:160
	scratch_load_b128 v[133:136], off, off offset:176
	;; [unrolled: 1-line block ×5, first 2 shown]
	scratch_load_b64 v[3:4], off, off offset:240
	v_mov_b32_e32 v2, 0
	ds_load_2addr_b32 v[149:150], v2 offset0:105 offset1:106
	ds_load_2addr_b32 v[151:152], v2 offset0:107 offset1:108
	;; [unrolled: 1-line block ×4, first 2 shown]
	s_mov_b32 s0, exec_lo
	s_waitcnt vmcnt(5) lgkmcnt(3)
	v_fma_f32 v149, v130, v149, 0
	s_delay_alu instid0(VALU_DEP_1) | instskip(SKIP_4) | instid1(VALU_DEP_1)
	v_fmac_f32_e32 v149, v131, v150
	ds_load_2addr_b32 v[130:131], v2 offset0:113 offset1:114
	s_waitcnt lgkmcnt(3)
	v_fmac_f32_e32 v149, v132, v151
	s_waitcnt vmcnt(4)
	v_fmac_f32_e32 v149, v133, v152
	ds_load_2addr_b32 v[132:133], v2 offset0:115 offset1:116
	s_waitcnt lgkmcnt(3)
	v_fmac_f32_e32 v149, v134, v153
	s_delay_alu instid0(VALU_DEP_1) | instskip(SKIP_1) | instid1(VALU_DEP_1)
	v_fmac_f32_e32 v149, v135, v154
	s_waitcnt lgkmcnt(2)
	v_fmac_f32_e32 v149, v136, v155
	s_waitcnt vmcnt(3)
	s_delay_alu instid0(VALU_DEP_1) | instskip(SKIP_4) | instid1(VALU_DEP_1)
	v_fmac_f32_e32 v149, v137, v156
	ds_load_2addr_b32 v[134:135], v2 offset0:117 offset1:118
	ds_load_2addr_b32 v[136:137], v2 offset0:119 offset1:120
	s_waitcnt lgkmcnt(3)
	v_fmac_f32_e32 v149, v138, v130
	v_fmac_f32_e32 v149, v139, v131
	ds_load_2addr_b32 v[130:131], v2 offset0:121 offset1:122
	s_waitcnt lgkmcnt(3)
	v_fmac_f32_e32 v149, v140, v132
	s_waitcnt vmcnt(2)
	s_delay_alu instid0(VALU_DEP_1)
	v_fmac_f32_e32 v149, v141, v133
	ds_load_2addr_b32 v[132:133], v2 offset0:123 offset1:124
	s_waitcnt lgkmcnt(3)
	v_fmac_f32_e32 v149, v142, v134
	ds_load_b32 v134, v2 offset:500
	v_fmac_f32_e32 v149, v143, v135
	s_waitcnt lgkmcnt(3)
	s_delay_alu instid0(VALU_DEP_1) | instskip(SKIP_1) | instid1(VALU_DEP_1)
	v_fmac_f32_e32 v149, v144, v136
	s_waitcnt vmcnt(1)
	v_fmac_f32_e32 v149, v145, v137
	s_waitcnt lgkmcnt(2)
	s_delay_alu instid0(VALU_DEP_1) | instskip(NEXT) | instid1(VALU_DEP_1)
	v_fmac_f32_e32 v149, v146, v130
	v_fmac_f32_e32 v149, v147, v131
	s_waitcnt lgkmcnt(1)
	s_delay_alu instid0(VALU_DEP_1) | instskip(SKIP_1) | instid1(VALU_DEP_1)
	v_fmac_f32_e32 v149, v148, v132
	s_waitcnt vmcnt(0)
	v_fmac_f32_e32 v149, v3, v133
	s_waitcnt lgkmcnt(0)
	s_delay_alu instid0(VALU_DEP_1) | instskip(NEXT) | instid1(VALU_DEP_1)
	v_fmac_f32_e32 v149, v4, v134
	v_sub_f32_e32 v3, v129, v149
	scratch_store_b32 off, v3, off offset:160
	v_cmpx_lt_u32_e32 39, v0
	s_cbranch_execz .LBB125_301
; %bb.300:
	scratch_load_b32 v3, off, off offset:156
	scratch_store_b32 off, v2, off offset:156
	s_waitcnt vmcnt(0)
	ds_store_b32 v1, v3
.LBB125_301:
	s_or_b32 exec_lo, exec_lo, s0
	s_waitcnt lgkmcnt(0)
	s_waitcnt_vscnt null, 0x0
	s_barrier
	buffer_gl0_inv
	s_clause 0x5
	scratch_load_b128 v[129:132], off, off offset:156
	scratch_load_b128 v[133:136], off, off offset:172
	;; [unrolled: 1-line block ×5, first 2 shown]
	scratch_load_b96 v[157:159], off, off offset:236
	ds_load_b128 v[149:152], v2 offset:416
	ds_load_b128 v[153:156], v2 offset:432
	s_mov_b32 s0, exec_lo
	s_waitcnt vmcnt(5) lgkmcnt(1)
	v_fma_f32 v4, v130, v149, 0
	s_delay_alu instid0(VALU_DEP_1) | instskip(NEXT) | instid1(VALU_DEP_1)
	v_fmac_f32_e32 v4, v131, v150
	v_fmac_f32_e32 v4, v132, v151
	s_waitcnt vmcnt(4)
	s_delay_alu instid0(VALU_DEP_1) | instskip(SKIP_3) | instid1(VALU_DEP_1)
	v_fmac_f32_e32 v4, v133, v152
	ds_load_b128 v[130:133], v2 offset:448
	s_waitcnt lgkmcnt(1)
	v_fmac_f32_e32 v4, v134, v153
	v_fmac_f32_e32 v4, v135, v154
	s_delay_alu instid0(VALU_DEP_1) | instskip(SKIP_1) | instid1(VALU_DEP_1)
	v_fmac_f32_e32 v4, v136, v155
	s_waitcnt vmcnt(3)
	v_fmac_f32_e32 v4, v137, v156
	ds_load_b128 v[134:137], v2 offset:464
	s_waitcnt lgkmcnt(1)
	v_fmac_f32_e32 v4, v138, v130
	s_delay_alu instid0(VALU_DEP_1) | instskip(NEXT) | instid1(VALU_DEP_1)
	v_fmac_f32_e32 v4, v139, v131
	v_fmac_f32_e32 v4, v140, v132
	s_waitcnt vmcnt(2)
	s_delay_alu instid0(VALU_DEP_1) | instskip(SKIP_4) | instid1(VALU_DEP_1)
	v_fmac_f32_e32 v4, v141, v133
	ds_load_b128 v[130:133], v2 offset:480
	ds_load_b64 v[2:3], v2 offset:496
	s_waitcnt lgkmcnt(2)
	v_fmac_f32_e32 v4, v142, v134
	v_fmac_f32_e32 v4, v143, v135
	s_delay_alu instid0(VALU_DEP_1) | instskip(SKIP_1) | instid1(VALU_DEP_1)
	v_fmac_f32_e32 v4, v144, v136
	s_waitcnt vmcnt(1)
	v_fmac_f32_e32 v4, v145, v137
	s_waitcnt lgkmcnt(1)
	s_delay_alu instid0(VALU_DEP_1) | instskip(NEXT) | instid1(VALU_DEP_1)
	v_fmac_f32_e32 v4, v146, v130
	v_fmac_f32_e32 v4, v147, v131
	s_delay_alu instid0(VALU_DEP_1) | instskip(SKIP_1) | instid1(VALU_DEP_1)
	v_fmac_f32_e32 v4, v148, v132
	s_waitcnt vmcnt(0)
	v_fmac_f32_e32 v4, v157, v133
	s_waitcnt lgkmcnt(0)
	s_delay_alu instid0(VALU_DEP_1) | instskip(NEXT) | instid1(VALU_DEP_1)
	v_fmac_f32_e32 v4, v158, v2
	v_fmac_f32_e32 v4, v159, v3
	s_delay_alu instid0(VALU_DEP_1)
	v_sub_f32_e32 v2, v129, v4
	scratch_store_b32 off, v2, off offset:156
	v_cmpx_lt_u32_e32 38, v0
	s_cbranch_execz .LBB125_303
; %bb.302:
	scratch_load_b32 v2, off, off offset:152
	v_mov_b32_e32 v3, 0
	scratch_store_b32 off, v3, off offset:152
	s_waitcnt vmcnt(0)
	ds_store_b32 v1, v2
.LBB125_303:
	s_or_b32 exec_lo, exec_lo, s0
	s_waitcnt lgkmcnt(0)
	s_waitcnt_vscnt null, 0x0
	s_barrier
	buffer_gl0_inv
	s_clause 0x5
	scratch_load_b128 v[129:132], off, off offset:152
	scratch_load_b128 v[133:136], off, off offset:168
	;; [unrolled: 1-line block ×6, first 2 shown]
	v_mov_b32_e32 v2, 0
	ds_load_2addr_b32 v[3:4], v2 offset0:103 offset1:104
	ds_load_2addr_b32 v[153:154], v2 offset0:105 offset1:106
	;; [unrolled: 1-line block ×4, first 2 shown]
	s_mov_b32 s0, exec_lo
	s_waitcnt vmcnt(5) lgkmcnt(3)
	v_fma_f32 v159, v130, v3, 0
	s_delay_alu instid0(VALU_DEP_1)
	v_fmac_f32_e32 v159, v131, v4
	ds_load_2addr_b32 v[3:4], v2 offset0:111 offset1:112
	ds_load_2addr_b32 v[130:131], v2 offset0:113 offset1:114
	s_waitcnt lgkmcnt(4)
	v_fmac_f32_e32 v159, v132, v153
	s_waitcnt vmcnt(4)
	s_delay_alu instid0(VALU_DEP_1) | instskip(SKIP_1) | instid1(VALU_DEP_1)
	v_fmac_f32_e32 v159, v133, v154
	s_waitcnt lgkmcnt(3)
	v_fmac_f32_e32 v159, v134, v155
	s_delay_alu instid0(VALU_DEP_1)
	v_fmac_f32_e32 v159, v135, v156
	ds_load_2addr_b32 v[132:133], v2 offset0:115 offset1:116
	ds_load_2addr_b32 v[134:135], v2 offset0:117 offset1:118
	s_waitcnt lgkmcnt(4)
	v_fmac_f32_e32 v159, v136, v157
	s_waitcnt vmcnt(3)
	s_delay_alu instid0(VALU_DEP_1) | instskip(SKIP_1) | instid1(VALU_DEP_1)
	v_fmac_f32_e32 v159, v137, v158
	s_waitcnt lgkmcnt(3)
	v_fmac_f32_e32 v159, v138, v3
	s_delay_alu instid0(VALU_DEP_1) | instskip(SKIP_4) | instid1(VALU_DEP_1)
	v_fmac_f32_e32 v159, v139, v4
	ds_load_2addr_b32 v[3:4], v2 offset0:119 offset1:120
	s_waitcnt lgkmcnt(3)
	v_fmac_f32_e32 v159, v140, v130
	s_waitcnt vmcnt(2)
	v_fmac_f32_e32 v159, v141, v131
	ds_load_2addr_b32 v[130:131], v2 offset0:121 offset1:122
	s_waitcnt lgkmcnt(3)
	v_fmac_f32_e32 v159, v142, v132
	s_delay_alu instid0(VALU_DEP_1) | instskip(SKIP_1) | instid1(VALU_DEP_1)
	v_fmac_f32_e32 v159, v143, v133
	s_waitcnt lgkmcnt(2)
	v_fmac_f32_e32 v159, v144, v134
	ds_load_2addr_b32 v[132:133], v2 offset0:123 offset1:124
	ds_load_b32 v134, v2 offset:500
	s_waitcnt vmcnt(1)
	v_fmac_f32_e32 v159, v145, v135
	s_waitcnt lgkmcnt(3)
	s_delay_alu instid0(VALU_DEP_1) | instskip(NEXT) | instid1(VALU_DEP_1)
	v_fmac_f32_e32 v159, v146, v3
	v_fmac_f32_e32 v159, v147, v4
	s_waitcnt lgkmcnt(2)
	s_delay_alu instid0(VALU_DEP_1) | instskip(SKIP_1) | instid1(VALU_DEP_1)
	v_fmac_f32_e32 v159, v148, v130
	s_waitcnt vmcnt(0)
	v_fmac_f32_e32 v159, v149, v131
	s_waitcnt lgkmcnt(1)
	s_delay_alu instid0(VALU_DEP_1) | instskip(NEXT) | instid1(VALU_DEP_1)
	v_fmac_f32_e32 v159, v150, v132
	v_fmac_f32_e32 v159, v151, v133
	s_waitcnt lgkmcnt(0)
	s_delay_alu instid0(VALU_DEP_1) | instskip(NEXT) | instid1(VALU_DEP_1)
	v_fmac_f32_e32 v159, v152, v134
	v_sub_f32_e32 v3, v129, v159
	scratch_store_b32 off, v3, off offset:152
	v_cmpx_lt_u32_e32 37, v0
	s_cbranch_execz .LBB125_305
; %bb.304:
	scratch_load_b32 v3, off, off offset:148
	scratch_store_b32 off, v2, off offset:148
	s_waitcnt vmcnt(0)
	ds_store_b32 v1, v3
.LBB125_305:
	s_or_b32 exec_lo, exec_lo, s0
	s_waitcnt lgkmcnt(0)
	s_waitcnt_vscnt null, 0x0
	s_barrier
	buffer_gl0_inv
	s_clause 0x6
	scratch_load_b128 v[129:132], off, off offset:148
	scratch_load_b128 v[133:136], off, off offset:164
	;; [unrolled: 1-line block ×6, first 2 shown]
	scratch_load_b32 v3, off, off offset:244
	ds_load_2addr_b64 v[153:156], v2 offset0:51 offset1:52
	ds_load_2addr_b64 v[157:160], v2 offset0:53 offset1:54
	s_mov_b32 s0, exec_lo
	s_waitcnt vmcnt(6) lgkmcnt(1)
	v_fma_f32 v4, v130, v153, 0
	s_delay_alu instid0(VALU_DEP_1) | instskip(NEXT) | instid1(VALU_DEP_1)
	v_fmac_f32_e32 v4, v131, v154
	v_fmac_f32_e32 v4, v132, v155
	s_waitcnt vmcnt(5)
	s_delay_alu instid0(VALU_DEP_1) | instskip(SKIP_3) | instid1(VALU_DEP_1)
	v_fmac_f32_e32 v4, v133, v156
	ds_load_2addr_b64 v[130:133], v2 offset0:55 offset1:56
	s_waitcnt lgkmcnt(1)
	v_fmac_f32_e32 v4, v134, v157
	v_fmac_f32_e32 v4, v135, v158
	s_delay_alu instid0(VALU_DEP_1) | instskip(SKIP_1) | instid1(VALU_DEP_1)
	v_fmac_f32_e32 v4, v136, v159
	s_waitcnt vmcnt(4)
	v_fmac_f32_e32 v4, v137, v160
	ds_load_2addr_b64 v[134:137], v2 offset0:57 offset1:58
	s_waitcnt lgkmcnt(1)
	v_fmac_f32_e32 v4, v138, v130
	s_delay_alu instid0(VALU_DEP_1) | instskip(NEXT) | instid1(VALU_DEP_1)
	v_fmac_f32_e32 v4, v139, v131
	v_fmac_f32_e32 v4, v140, v132
	s_waitcnt vmcnt(3)
	s_delay_alu instid0(VALU_DEP_1) | instskip(SKIP_3) | instid1(VALU_DEP_1)
	v_fmac_f32_e32 v4, v141, v133
	ds_load_2addr_b64 v[130:133], v2 offset0:59 offset1:60
	s_waitcnt lgkmcnt(1)
	v_fmac_f32_e32 v4, v142, v134
	v_fmac_f32_e32 v4, v143, v135
	s_delay_alu instid0(VALU_DEP_1) | instskip(SKIP_1) | instid1(VALU_DEP_1)
	v_fmac_f32_e32 v4, v144, v136
	s_waitcnt vmcnt(2)
	v_fmac_f32_e32 v4, v145, v137
	ds_load_2addr_b64 v[134:137], v2 offset0:61 offset1:62
	s_waitcnt lgkmcnt(1)
	v_fmac_f32_e32 v4, v146, v130
	s_delay_alu instid0(VALU_DEP_1) | instskip(NEXT) | instid1(VALU_DEP_1)
	v_fmac_f32_e32 v4, v147, v131
	v_fmac_f32_e32 v4, v148, v132
	s_waitcnt vmcnt(1)
	s_delay_alu instid0(VALU_DEP_1) | instskip(SKIP_1) | instid1(VALU_DEP_1)
	v_fmac_f32_e32 v4, v149, v133
	s_waitcnt lgkmcnt(0)
	v_fmac_f32_e32 v4, v150, v134
	s_delay_alu instid0(VALU_DEP_1) | instskip(NEXT) | instid1(VALU_DEP_1)
	v_fmac_f32_e32 v4, v151, v135
	v_fmac_f32_e32 v4, v152, v136
	s_waitcnt vmcnt(0)
	s_delay_alu instid0(VALU_DEP_1) | instskip(NEXT) | instid1(VALU_DEP_1)
	v_fmac_f32_e32 v4, v3, v137
	v_sub_f32_e32 v2, v129, v4
	scratch_store_b32 off, v2, off offset:148
	v_cmpx_lt_u32_e32 36, v0
	s_cbranch_execz .LBB125_307
; %bb.306:
	scratch_load_b32 v2, off, off offset:144
	v_mov_b32_e32 v3, 0
	scratch_store_b32 off, v3, off offset:144
	s_waitcnt vmcnt(0)
	ds_store_b32 v1, v2
.LBB125_307:
	s_or_b32 exec_lo, exec_lo, s0
	s_waitcnt lgkmcnt(0)
	s_waitcnt_vscnt null, 0x0
	s_barrier
	buffer_gl0_inv
	s_clause 0x6
	scratch_load_b128 v[129:132], off, off offset:144
	scratch_load_b128 v[133:136], off, off offset:160
	;; [unrolled: 1-line block ×6, first 2 shown]
	scratch_load_b64 v[3:4], off, off offset:240
	v_mov_b32_e32 v2, 0
	ds_load_2addr_b32 v[153:154], v2 offset0:101 offset1:102
	ds_load_2addr_b32 v[155:156], v2 offset0:103 offset1:104
	ds_load_2addr_b32 v[157:158], v2 offset0:105 offset1:106
	ds_load_2addr_b32 v[159:160], v2 offset0:107 offset1:108
	s_mov_b32 s0, exec_lo
	s_waitcnt vmcnt(6) lgkmcnt(3)
	v_fma_f32 v153, v130, v153, 0
	s_delay_alu instid0(VALU_DEP_1) | instskip(SKIP_4) | instid1(VALU_DEP_1)
	v_fmac_f32_e32 v153, v131, v154
	ds_load_2addr_b32 v[130:131], v2 offset0:109 offset1:110
	s_waitcnt lgkmcnt(3)
	v_fmac_f32_e32 v153, v132, v155
	s_waitcnt vmcnt(5)
	v_fmac_f32_e32 v153, v133, v156
	ds_load_2addr_b32 v[132:133], v2 offset0:111 offset1:112
	s_waitcnt lgkmcnt(3)
	v_fmac_f32_e32 v153, v134, v157
	s_delay_alu instid0(VALU_DEP_1) | instskip(SKIP_1) | instid1(VALU_DEP_1)
	v_fmac_f32_e32 v153, v135, v158
	s_waitcnt lgkmcnt(2)
	v_fmac_f32_e32 v153, v136, v159
	s_waitcnt vmcnt(4)
	s_delay_alu instid0(VALU_DEP_1) | instskip(SKIP_4) | instid1(VALU_DEP_1)
	v_fmac_f32_e32 v153, v137, v160
	ds_load_2addr_b32 v[134:135], v2 offset0:113 offset1:114
	ds_load_2addr_b32 v[136:137], v2 offset0:115 offset1:116
	s_waitcnt lgkmcnt(3)
	v_fmac_f32_e32 v153, v138, v130
	v_fmac_f32_e32 v153, v139, v131
	ds_load_2addr_b32 v[130:131], v2 offset0:117 offset1:118
	s_waitcnt lgkmcnt(3)
	v_fmac_f32_e32 v153, v140, v132
	s_waitcnt vmcnt(3)
	s_delay_alu instid0(VALU_DEP_1) | instskip(SKIP_3) | instid1(VALU_DEP_1)
	v_fmac_f32_e32 v153, v141, v133
	ds_load_2addr_b32 v[132:133], v2 offset0:119 offset1:120
	s_waitcnt lgkmcnt(3)
	v_fmac_f32_e32 v153, v142, v134
	v_fmac_f32_e32 v153, v143, v135
	s_waitcnt lgkmcnt(2)
	s_delay_alu instid0(VALU_DEP_1) | instskip(SKIP_1) | instid1(VALU_DEP_1)
	v_fmac_f32_e32 v153, v144, v136
	s_waitcnt vmcnt(2)
	v_fmac_f32_e32 v153, v145, v137
	ds_load_2addr_b32 v[134:135], v2 offset0:121 offset1:122
	ds_load_2addr_b32 v[136:137], v2 offset0:123 offset1:124
	s_waitcnt lgkmcnt(3)
	v_fmac_f32_e32 v153, v146, v130
	ds_load_b32 v130, v2 offset:500
	v_fmac_f32_e32 v153, v147, v131
	s_waitcnt lgkmcnt(3)
	s_delay_alu instid0(VALU_DEP_1) | instskip(SKIP_1) | instid1(VALU_DEP_1)
	v_fmac_f32_e32 v153, v148, v132
	s_waitcnt vmcnt(1)
	v_fmac_f32_e32 v153, v149, v133
	s_waitcnt lgkmcnt(2)
	s_delay_alu instid0(VALU_DEP_1) | instskip(NEXT) | instid1(VALU_DEP_1)
	v_fmac_f32_e32 v153, v150, v134
	v_fmac_f32_e32 v153, v151, v135
	s_waitcnt lgkmcnt(1)
	s_delay_alu instid0(VALU_DEP_1) | instskip(SKIP_1) | instid1(VALU_DEP_1)
	v_fmac_f32_e32 v153, v152, v136
	s_waitcnt vmcnt(0)
	v_fmac_f32_e32 v153, v3, v137
	s_waitcnt lgkmcnt(0)
	s_delay_alu instid0(VALU_DEP_1) | instskip(NEXT) | instid1(VALU_DEP_1)
	v_fmac_f32_e32 v153, v4, v130
	v_sub_f32_e32 v3, v129, v153
	scratch_store_b32 off, v3, off offset:144
	v_cmpx_lt_u32_e32 35, v0
	s_cbranch_execz .LBB125_309
; %bb.308:
	scratch_load_b32 v3, off, off offset:140
	scratch_store_b32 off, v2, off offset:140
	s_waitcnt vmcnt(0)
	ds_store_b32 v1, v3
.LBB125_309:
	s_or_b32 exec_lo, exec_lo, s0
	s_waitcnt lgkmcnt(0)
	s_waitcnt_vscnt null, 0x0
	s_barrier
	buffer_gl0_inv
	s_clause 0x6
	scratch_load_b128 v[129:132], off, off offset:140
	scratch_load_b128 v[133:136], off, off offset:156
	;; [unrolled: 1-line block ×6, first 2 shown]
	scratch_load_b96 v[161:163], off, off offset:236
	ds_load_b128 v[153:156], v2 offset:400
	ds_load_b128 v[157:160], v2 offset:416
	s_mov_b32 s0, exec_lo
	s_waitcnt vmcnt(6) lgkmcnt(1)
	v_fma_f32 v4, v130, v153, 0
	s_delay_alu instid0(VALU_DEP_1) | instskip(NEXT) | instid1(VALU_DEP_1)
	v_fmac_f32_e32 v4, v131, v154
	v_fmac_f32_e32 v4, v132, v155
	s_waitcnt vmcnt(5)
	s_delay_alu instid0(VALU_DEP_1) | instskip(SKIP_3) | instid1(VALU_DEP_1)
	v_fmac_f32_e32 v4, v133, v156
	ds_load_b128 v[130:133], v2 offset:432
	s_waitcnt lgkmcnt(1)
	v_fmac_f32_e32 v4, v134, v157
	v_fmac_f32_e32 v4, v135, v158
	s_delay_alu instid0(VALU_DEP_1) | instskip(SKIP_1) | instid1(VALU_DEP_1)
	v_fmac_f32_e32 v4, v136, v159
	s_waitcnt vmcnt(4)
	v_fmac_f32_e32 v4, v137, v160
	ds_load_b128 v[134:137], v2 offset:448
	s_waitcnt lgkmcnt(1)
	v_fmac_f32_e32 v4, v138, v130
	s_delay_alu instid0(VALU_DEP_1) | instskip(NEXT) | instid1(VALU_DEP_1)
	v_fmac_f32_e32 v4, v139, v131
	v_fmac_f32_e32 v4, v140, v132
	s_waitcnt vmcnt(3)
	s_delay_alu instid0(VALU_DEP_1) | instskip(SKIP_3) | instid1(VALU_DEP_1)
	v_fmac_f32_e32 v4, v141, v133
	ds_load_b128 v[130:133], v2 offset:464
	s_waitcnt lgkmcnt(1)
	v_fmac_f32_e32 v4, v142, v134
	v_fmac_f32_e32 v4, v143, v135
	s_delay_alu instid0(VALU_DEP_1) | instskip(SKIP_1) | instid1(VALU_DEP_1)
	v_fmac_f32_e32 v4, v144, v136
	s_waitcnt vmcnt(2)
	v_fmac_f32_e32 v4, v145, v137
	ds_load_b128 v[134:137], v2 offset:480
	ds_load_b64 v[2:3], v2 offset:496
	s_waitcnt lgkmcnt(2)
	v_fmac_f32_e32 v4, v146, v130
	s_delay_alu instid0(VALU_DEP_1) | instskip(NEXT) | instid1(VALU_DEP_1)
	v_fmac_f32_e32 v4, v147, v131
	v_fmac_f32_e32 v4, v148, v132
	s_waitcnt vmcnt(1)
	s_delay_alu instid0(VALU_DEP_1) | instskip(SKIP_1) | instid1(VALU_DEP_1)
	v_fmac_f32_e32 v4, v149, v133
	s_waitcnt lgkmcnt(1)
	v_fmac_f32_e32 v4, v150, v134
	s_delay_alu instid0(VALU_DEP_1) | instskip(NEXT) | instid1(VALU_DEP_1)
	v_fmac_f32_e32 v4, v151, v135
	v_fmac_f32_e32 v4, v152, v136
	s_waitcnt vmcnt(0)
	s_delay_alu instid0(VALU_DEP_1) | instskip(SKIP_1) | instid1(VALU_DEP_1)
	v_fmac_f32_e32 v4, v161, v137
	s_waitcnt lgkmcnt(0)
	v_fmac_f32_e32 v4, v162, v2
	s_delay_alu instid0(VALU_DEP_1) | instskip(NEXT) | instid1(VALU_DEP_1)
	v_fmac_f32_e32 v4, v163, v3
	v_sub_f32_e32 v2, v129, v4
	scratch_store_b32 off, v2, off offset:140
	v_cmpx_lt_u32_e32 34, v0
	s_cbranch_execz .LBB125_311
; %bb.310:
	scratch_load_b32 v2, off, off offset:136
	v_mov_b32_e32 v3, 0
	scratch_store_b32 off, v3, off offset:136
	s_waitcnt vmcnt(0)
	ds_store_b32 v1, v2
.LBB125_311:
	s_or_b32 exec_lo, exec_lo, s0
	s_waitcnt lgkmcnt(0)
	s_waitcnt_vscnt null, 0x0
	s_barrier
	buffer_gl0_inv
	s_clause 0x6
	scratch_load_b128 v[129:132], off, off offset:136
	scratch_load_b128 v[133:136], off, off offset:152
	;; [unrolled: 1-line block ×7, first 2 shown]
	v_mov_b32_e32 v2, 0
	ds_load_2addr_b32 v[3:4], v2 offset0:99 offset1:100
	ds_load_2addr_b32 v[157:158], v2 offset0:101 offset1:102
	;; [unrolled: 1-line block ×4, first 2 shown]
	s_mov_b32 s0, exec_lo
	s_waitcnt vmcnt(6) lgkmcnt(3)
	v_fma_f32 v163, v130, v3, 0
	s_delay_alu instid0(VALU_DEP_1)
	v_fmac_f32_e32 v163, v131, v4
	ds_load_2addr_b32 v[3:4], v2 offset0:107 offset1:108
	ds_load_2addr_b32 v[130:131], v2 offset0:109 offset1:110
	s_waitcnt lgkmcnt(4)
	v_fmac_f32_e32 v163, v132, v157
	s_waitcnt vmcnt(5)
	s_delay_alu instid0(VALU_DEP_1) | instskip(SKIP_1) | instid1(VALU_DEP_1)
	v_fmac_f32_e32 v163, v133, v158
	s_waitcnt lgkmcnt(3)
	v_fmac_f32_e32 v163, v134, v159
	s_delay_alu instid0(VALU_DEP_1)
	v_fmac_f32_e32 v163, v135, v160
	ds_load_2addr_b32 v[132:133], v2 offset0:111 offset1:112
	ds_load_2addr_b32 v[134:135], v2 offset0:113 offset1:114
	s_waitcnt lgkmcnt(4)
	v_fmac_f32_e32 v163, v136, v161
	s_waitcnt vmcnt(4)
	s_delay_alu instid0(VALU_DEP_1) | instskip(SKIP_1) | instid1(VALU_DEP_1)
	v_fmac_f32_e32 v163, v137, v162
	s_waitcnt lgkmcnt(3)
	v_fmac_f32_e32 v163, v138, v3
	s_delay_alu instid0(VALU_DEP_1) | instskip(SKIP_4) | instid1(VALU_DEP_1)
	v_fmac_f32_e32 v163, v139, v4
	ds_load_2addr_b32 v[3:4], v2 offset0:115 offset1:116
	s_waitcnt lgkmcnt(3)
	v_fmac_f32_e32 v163, v140, v130
	s_waitcnt vmcnt(3)
	v_fmac_f32_e32 v163, v141, v131
	ds_load_2addr_b32 v[130:131], v2 offset0:117 offset1:118
	s_waitcnt lgkmcnt(3)
	v_fmac_f32_e32 v163, v142, v132
	s_delay_alu instid0(VALU_DEP_1) | instskip(SKIP_1) | instid1(VALU_DEP_1)
	v_fmac_f32_e32 v163, v143, v133
	s_waitcnt lgkmcnt(2)
	v_fmac_f32_e32 v163, v144, v134
	s_waitcnt vmcnt(2)
	s_delay_alu instid0(VALU_DEP_1) | instskip(SKIP_4) | instid1(VALU_DEP_1)
	v_fmac_f32_e32 v163, v145, v135
	ds_load_2addr_b32 v[132:133], v2 offset0:119 offset1:120
	ds_load_2addr_b32 v[134:135], v2 offset0:121 offset1:122
	s_waitcnt lgkmcnt(3)
	v_fmac_f32_e32 v163, v146, v3
	v_fmac_f32_e32 v163, v147, v4
	ds_load_2addr_b32 v[3:4], v2 offset0:123 offset1:124
	s_waitcnt lgkmcnt(3)
	v_fmac_f32_e32 v163, v148, v130
	ds_load_b32 v130, v2 offset:500
	s_waitcnt vmcnt(1)
	v_fmac_f32_e32 v163, v149, v131
	s_waitcnt lgkmcnt(3)
	s_delay_alu instid0(VALU_DEP_1) | instskip(NEXT) | instid1(VALU_DEP_1)
	v_fmac_f32_e32 v163, v150, v132
	v_fmac_f32_e32 v163, v151, v133
	s_waitcnt lgkmcnt(2)
	s_delay_alu instid0(VALU_DEP_1) | instskip(SKIP_1) | instid1(VALU_DEP_1)
	v_fmac_f32_e32 v163, v152, v134
	s_waitcnt vmcnt(0)
	v_fmac_f32_e32 v163, v153, v135
	s_waitcnt lgkmcnt(1)
	s_delay_alu instid0(VALU_DEP_1) | instskip(NEXT) | instid1(VALU_DEP_1)
	v_fmac_f32_e32 v163, v154, v3
	v_fmac_f32_e32 v163, v155, v4
	s_waitcnt lgkmcnt(0)
	s_delay_alu instid0(VALU_DEP_1) | instskip(NEXT) | instid1(VALU_DEP_1)
	v_fmac_f32_e32 v163, v156, v130
	v_sub_f32_e32 v3, v129, v163
	scratch_store_b32 off, v3, off offset:136
	v_cmpx_lt_u32_e32 33, v0
	s_cbranch_execz .LBB125_313
; %bb.312:
	scratch_load_b32 v3, off, off offset:132
	scratch_store_b32 off, v2, off offset:132
	s_waitcnt vmcnt(0)
	ds_store_b32 v1, v3
.LBB125_313:
	s_or_b32 exec_lo, exec_lo, s0
	s_waitcnt lgkmcnt(0)
	s_waitcnt_vscnt null, 0x0
	s_barrier
	buffer_gl0_inv
	s_clause 0x7
	scratch_load_b128 v[129:132], off, off offset:132
	scratch_load_b128 v[133:136], off, off offset:148
	;; [unrolled: 1-line block ×7, first 2 shown]
	scratch_load_b32 v3, off, off offset:244
	ds_load_2addr_b64 v[157:160], v2 offset0:49 offset1:50
	ds_load_2addr_b64 v[161:164], v2 offset0:51 offset1:52
	s_mov_b32 s0, exec_lo
	s_waitcnt vmcnt(7) lgkmcnt(1)
	v_fma_f32 v4, v130, v157, 0
	s_delay_alu instid0(VALU_DEP_1) | instskip(NEXT) | instid1(VALU_DEP_1)
	v_fmac_f32_e32 v4, v131, v158
	v_fmac_f32_e32 v4, v132, v159
	s_waitcnt vmcnt(6)
	s_delay_alu instid0(VALU_DEP_1) | instskip(SKIP_3) | instid1(VALU_DEP_1)
	v_fmac_f32_e32 v4, v133, v160
	ds_load_2addr_b64 v[130:133], v2 offset0:53 offset1:54
	s_waitcnt lgkmcnt(1)
	v_fmac_f32_e32 v4, v134, v161
	v_fmac_f32_e32 v4, v135, v162
	s_delay_alu instid0(VALU_DEP_1) | instskip(SKIP_1) | instid1(VALU_DEP_1)
	v_fmac_f32_e32 v4, v136, v163
	s_waitcnt vmcnt(5)
	v_fmac_f32_e32 v4, v137, v164
	ds_load_2addr_b64 v[134:137], v2 offset0:55 offset1:56
	s_waitcnt lgkmcnt(1)
	v_fmac_f32_e32 v4, v138, v130
	s_delay_alu instid0(VALU_DEP_1) | instskip(NEXT) | instid1(VALU_DEP_1)
	v_fmac_f32_e32 v4, v139, v131
	v_fmac_f32_e32 v4, v140, v132
	s_waitcnt vmcnt(4)
	s_delay_alu instid0(VALU_DEP_1) | instskip(SKIP_3) | instid1(VALU_DEP_1)
	v_fmac_f32_e32 v4, v141, v133
	ds_load_2addr_b64 v[130:133], v2 offset0:57 offset1:58
	s_waitcnt lgkmcnt(1)
	v_fmac_f32_e32 v4, v142, v134
	v_fmac_f32_e32 v4, v143, v135
	s_delay_alu instid0(VALU_DEP_1) | instskip(SKIP_1) | instid1(VALU_DEP_1)
	v_fmac_f32_e32 v4, v144, v136
	s_waitcnt vmcnt(3)
	v_fmac_f32_e32 v4, v145, v137
	ds_load_2addr_b64 v[134:137], v2 offset0:59 offset1:60
	s_waitcnt lgkmcnt(1)
	v_fmac_f32_e32 v4, v146, v130
	s_delay_alu instid0(VALU_DEP_1) | instskip(NEXT) | instid1(VALU_DEP_1)
	v_fmac_f32_e32 v4, v147, v131
	v_fmac_f32_e32 v4, v148, v132
	s_waitcnt vmcnt(2)
	s_delay_alu instid0(VALU_DEP_1) | instskip(SKIP_3) | instid1(VALU_DEP_1)
	v_fmac_f32_e32 v4, v149, v133
	ds_load_2addr_b64 v[130:133], v2 offset0:61 offset1:62
	s_waitcnt lgkmcnt(1)
	v_fmac_f32_e32 v4, v150, v134
	v_fmac_f32_e32 v4, v151, v135
	s_delay_alu instid0(VALU_DEP_1) | instskip(SKIP_1) | instid1(VALU_DEP_1)
	v_fmac_f32_e32 v4, v152, v136
	s_waitcnt vmcnt(1)
	v_fmac_f32_e32 v4, v153, v137
	s_waitcnt lgkmcnt(0)
	s_delay_alu instid0(VALU_DEP_1) | instskip(NEXT) | instid1(VALU_DEP_1)
	v_fmac_f32_e32 v4, v154, v130
	v_fmac_f32_e32 v4, v155, v131
	s_delay_alu instid0(VALU_DEP_1) | instskip(SKIP_1) | instid1(VALU_DEP_1)
	v_fmac_f32_e32 v4, v156, v132
	s_waitcnt vmcnt(0)
	v_fmac_f32_e32 v4, v3, v133
	s_delay_alu instid0(VALU_DEP_1)
	v_sub_f32_e32 v2, v129, v4
	scratch_store_b32 off, v2, off offset:132
	v_cmpx_lt_u32_e32 32, v0
	s_cbranch_execz .LBB125_315
; %bb.314:
	scratch_load_b32 v2, off, off offset:128
	v_mov_b32_e32 v3, 0
	scratch_store_b32 off, v3, off offset:128
	s_waitcnt vmcnt(0)
	ds_store_b32 v1, v2
.LBB125_315:
	s_or_b32 exec_lo, exec_lo, s0
	s_waitcnt lgkmcnt(0)
	s_waitcnt_vscnt null, 0x0
	s_barrier
	buffer_gl0_inv
	s_clause 0x7
	scratch_load_b128 v[129:132], off, off offset:128
	scratch_load_b128 v[133:136], off, off offset:144
	;; [unrolled: 1-line block ×7, first 2 shown]
	scratch_load_b64 v[3:4], off, off offset:240
	v_mov_b32_e32 v2, 0
	ds_load_2addr_b32 v[157:158], v2 offset0:97 offset1:98
	ds_load_2addr_b32 v[159:160], v2 offset0:99 offset1:100
	;; [unrolled: 1-line block ×4, first 2 shown]
	s_mov_b32 s0, exec_lo
	s_waitcnt vmcnt(7) lgkmcnt(3)
	v_fma_f32 v157, v130, v157, 0
	s_delay_alu instid0(VALU_DEP_1) | instskip(SKIP_4) | instid1(VALU_DEP_1)
	v_fmac_f32_e32 v157, v131, v158
	ds_load_2addr_b32 v[130:131], v2 offset0:105 offset1:106
	s_waitcnt lgkmcnt(3)
	v_fmac_f32_e32 v157, v132, v159
	s_waitcnt vmcnt(6)
	v_fmac_f32_e32 v157, v133, v160
	ds_load_2addr_b32 v[132:133], v2 offset0:107 offset1:108
	s_waitcnt lgkmcnt(3)
	v_fmac_f32_e32 v157, v134, v161
	s_delay_alu instid0(VALU_DEP_1) | instskip(SKIP_1) | instid1(VALU_DEP_1)
	v_fmac_f32_e32 v157, v135, v162
	s_waitcnt lgkmcnt(2)
	v_fmac_f32_e32 v157, v136, v163
	s_waitcnt vmcnt(5)
	s_delay_alu instid0(VALU_DEP_1) | instskip(SKIP_4) | instid1(VALU_DEP_1)
	v_fmac_f32_e32 v157, v137, v164
	ds_load_2addr_b32 v[134:135], v2 offset0:109 offset1:110
	ds_load_2addr_b32 v[136:137], v2 offset0:111 offset1:112
	s_waitcnt lgkmcnt(3)
	v_fmac_f32_e32 v157, v138, v130
	v_fmac_f32_e32 v157, v139, v131
	ds_load_2addr_b32 v[130:131], v2 offset0:113 offset1:114
	s_waitcnt lgkmcnt(3)
	v_fmac_f32_e32 v157, v140, v132
	s_waitcnt vmcnt(4)
	s_delay_alu instid0(VALU_DEP_1) | instskip(SKIP_3) | instid1(VALU_DEP_1)
	v_fmac_f32_e32 v157, v141, v133
	ds_load_2addr_b32 v[132:133], v2 offset0:115 offset1:116
	s_waitcnt lgkmcnt(3)
	v_fmac_f32_e32 v157, v142, v134
	v_fmac_f32_e32 v157, v143, v135
	s_waitcnt lgkmcnt(2)
	s_delay_alu instid0(VALU_DEP_1) | instskip(SKIP_1) | instid1(VALU_DEP_1)
	v_fmac_f32_e32 v157, v144, v136
	s_waitcnt vmcnt(3)
	v_fmac_f32_e32 v157, v145, v137
	ds_load_2addr_b32 v[134:135], v2 offset0:117 offset1:118
	ds_load_2addr_b32 v[136:137], v2 offset0:119 offset1:120
	s_waitcnt lgkmcnt(3)
	v_fmac_f32_e32 v157, v146, v130
	s_delay_alu instid0(VALU_DEP_1) | instskip(SKIP_4) | instid1(VALU_DEP_1)
	v_fmac_f32_e32 v157, v147, v131
	ds_load_2addr_b32 v[130:131], v2 offset0:121 offset1:122
	s_waitcnt lgkmcnt(3)
	v_fmac_f32_e32 v157, v148, v132
	s_waitcnt vmcnt(2)
	v_fmac_f32_e32 v157, v149, v133
	ds_load_2addr_b32 v[132:133], v2 offset0:123 offset1:124
	s_waitcnt lgkmcnt(3)
	v_fmac_f32_e32 v157, v150, v134
	ds_load_b32 v134, v2 offset:500
	v_fmac_f32_e32 v157, v151, v135
	s_waitcnt lgkmcnt(3)
	s_delay_alu instid0(VALU_DEP_1) | instskip(SKIP_1) | instid1(VALU_DEP_1)
	v_fmac_f32_e32 v157, v152, v136
	s_waitcnt vmcnt(1)
	v_fmac_f32_e32 v157, v153, v137
	s_waitcnt lgkmcnt(2)
	s_delay_alu instid0(VALU_DEP_1) | instskip(NEXT) | instid1(VALU_DEP_1)
	v_fmac_f32_e32 v157, v154, v130
	v_fmac_f32_e32 v157, v155, v131
	s_waitcnt lgkmcnt(1)
	s_delay_alu instid0(VALU_DEP_1) | instskip(SKIP_1) | instid1(VALU_DEP_1)
	v_fmac_f32_e32 v157, v156, v132
	s_waitcnt vmcnt(0)
	v_fmac_f32_e32 v157, v3, v133
	s_waitcnt lgkmcnt(0)
	s_delay_alu instid0(VALU_DEP_1) | instskip(NEXT) | instid1(VALU_DEP_1)
	v_fmac_f32_e32 v157, v4, v134
	v_sub_f32_e32 v3, v129, v157
	scratch_store_b32 off, v3, off offset:128
	v_cmpx_lt_u32_e32 31, v0
	s_cbranch_execz .LBB125_317
; %bb.316:
	scratch_load_b32 v3, off, off offset:124
	scratch_store_b32 off, v2, off offset:124
	s_waitcnt vmcnt(0)
	ds_store_b32 v1, v3
.LBB125_317:
	s_or_b32 exec_lo, exec_lo, s0
	s_waitcnt lgkmcnt(0)
	s_waitcnt_vscnt null, 0x0
	s_barrier
	buffer_gl0_inv
	s_clause 0x7
	scratch_load_b128 v[129:132], off, off offset:124
	scratch_load_b128 v[133:136], off, off offset:140
	scratch_load_b128 v[137:140], off, off offset:156
	scratch_load_b128 v[141:144], off, off offset:172
	scratch_load_b128 v[145:148], off, off offset:188
	scratch_load_b128 v[149:152], off, off offset:204
	scratch_load_b128 v[153:156], off, off offset:220
	scratch_load_b96 v[165:167], off, off offset:236
	ds_load_b128 v[157:160], v2 offset:384
	ds_load_b128 v[161:164], v2 offset:400
	s_mov_b32 s0, exec_lo
	s_waitcnt vmcnt(7) lgkmcnt(1)
	v_fma_f32 v4, v130, v157, 0
	s_delay_alu instid0(VALU_DEP_1) | instskip(NEXT) | instid1(VALU_DEP_1)
	v_fmac_f32_e32 v4, v131, v158
	v_fmac_f32_e32 v4, v132, v159
	s_waitcnt vmcnt(6)
	s_delay_alu instid0(VALU_DEP_1) | instskip(SKIP_3) | instid1(VALU_DEP_1)
	v_fmac_f32_e32 v4, v133, v160
	ds_load_b128 v[130:133], v2 offset:416
	s_waitcnt lgkmcnt(1)
	v_fmac_f32_e32 v4, v134, v161
	v_fmac_f32_e32 v4, v135, v162
	s_delay_alu instid0(VALU_DEP_1) | instskip(SKIP_1) | instid1(VALU_DEP_1)
	v_fmac_f32_e32 v4, v136, v163
	s_waitcnt vmcnt(5)
	v_fmac_f32_e32 v4, v137, v164
	ds_load_b128 v[134:137], v2 offset:432
	s_waitcnt lgkmcnt(1)
	v_fmac_f32_e32 v4, v138, v130
	s_delay_alu instid0(VALU_DEP_1) | instskip(NEXT) | instid1(VALU_DEP_1)
	v_fmac_f32_e32 v4, v139, v131
	v_fmac_f32_e32 v4, v140, v132
	s_waitcnt vmcnt(4)
	s_delay_alu instid0(VALU_DEP_1) | instskip(SKIP_3) | instid1(VALU_DEP_1)
	v_fmac_f32_e32 v4, v141, v133
	ds_load_b128 v[130:133], v2 offset:448
	s_waitcnt lgkmcnt(1)
	v_fmac_f32_e32 v4, v142, v134
	v_fmac_f32_e32 v4, v143, v135
	s_delay_alu instid0(VALU_DEP_1) | instskip(SKIP_1) | instid1(VALU_DEP_1)
	v_fmac_f32_e32 v4, v144, v136
	s_waitcnt vmcnt(3)
	v_fmac_f32_e32 v4, v145, v137
	ds_load_b128 v[134:137], v2 offset:464
	s_waitcnt lgkmcnt(1)
	v_fmac_f32_e32 v4, v146, v130
	s_delay_alu instid0(VALU_DEP_1) | instskip(NEXT) | instid1(VALU_DEP_1)
	v_fmac_f32_e32 v4, v147, v131
	v_fmac_f32_e32 v4, v148, v132
	s_waitcnt vmcnt(2)
	s_delay_alu instid0(VALU_DEP_1) | instskip(SKIP_4) | instid1(VALU_DEP_1)
	v_fmac_f32_e32 v4, v149, v133
	ds_load_b128 v[130:133], v2 offset:480
	ds_load_b64 v[2:3], v2 offset:496
	s_waitcnt lgkmcnt(2)
	v_fmac_f32_e32 v4, v150, v134
	v_fmac_f32_e32 v4, v151, v135
	s_delay_alu instid0(VALU_DEP_1) | instskip(SKIP_1) | instid1(VALU_DEP_1)
	v_fmac_f32_e32 v4, v152, v136
	s_waitcnt vmcnt(1)
	v_fmac_f32_e32 v4, v153, v137
	s_waitcnt lgkmcnt(1)
	s_delay_alu instid0(VALU_DEP_1) | instskip(NEXT) | instid1(VALU_DEP_1)
	v_fmac_f32_e32 v4, v154, v130
	v_fmac_f32_e32 v4, v155, v131
	s_delay_alu instid0(VALU_DEP_1) | instskip(SKIP_1) | instid1(VALU_DEP_1)
	v_fmac_f32_e32 v4, v156, v132
	s_waitcnt vmcnt(0)
	v_fmac_f32_e32 v4, v165, v133
	s_waitcnt lgkmcnt(0)
	s_delay_alu instid0(VALU_DEP_1) | instskip(NEXT) | instid1(VALU_DEP_1)
	v_fmac_f32_e32 v4, v166, v2
	v_fmac_f32_e32 v4, v167, v3
	s_delay_alu instid0(VALU_DEP_1)
	v_sub_f32_e32 v2, v129, v4
	scratch_store_b32 off, v2, off offset:124
	v_cmpx_lt_u32_e32 30, v0
	s_cbranch_execz .LBB125_319
; %bb.318:
	scratch_load_b32 v2, off, off offset:120
	v_mov_b32_e32 v3, 0
	scratch_store_b32 off, v3, off offset:120
	s_waitcnt vmcnt(0)
	ds_store_b32 v1, v2
.LBB125_319:
	s_or_b32 exec_lo, exec_lo, s0
	s_waitcnt lgkmcnt(0)
	s_waitcnt_vscnt null, 0x0
	s_barrier
	buffer_gl0_inv
	s_clause 0x7
	scratch_load_b128 v[129:132], off, off offset:120
	scratch_load_b128 v[133:136], off, off offset:136
	;; [unrolled: 1-line block ×8, first 2 shown]
	v_mov_b32_e32 v2, 0
	ds_load_2addr_b32 v[3:4], v2 offset0:95 offset1:96
	ds_load_2addr_b32 v[161:162], v2 offset0:97 offset1:98
	;; [unrolled: 1-line block ×4, first 2 shown]
	s_mov_b32 s0, exec_lo
	s_waitcnt vmcnt(7) lgkmcnt(3)
	v_fma_f32 v167, v130, v3, 0
	s_delay_alu instid0(VALU_DEP_1)
	v_fmac_f32_e32 v167, v131, v4
	ds_load_2addr_b32 v[3:4], v2 offset0:103 offset1:104
	ds_load_2addr_b32 v[130:131], v2 offset0:105 offset1:106
	s_waitcnt lgkmcnt(4)
	v_fmac_f32_e32 v167, v132, v161
	s_waitcnt vmcnt(6)
	s_delay_alu instid0(VALU_DEP_1) | instskip(SKIP_1) | instid1(VALU_DEP_1)
	v_fmac_f32_e32 v167, v133, v162
	s_waitcnt lgkmcnt(3)
	v_fmac_f32_e32 v167, v134, v163
	s_delay_alu instid0(VALU_DEP_1)
	v_fmac_f32_e32 v167, v135, v164
	ds_load_2addr_b32 v[132:133], v2 offset0:107 offset1:108
	ds_load_2addr_b32 v[134:135], v2 offset0:109 offset1:110
	s_waitcnt lgkmcnt(4)
	v_fmac_f32_e32 v167, v136, v165
	s_waitcnt vmcnt(5)
	s_delay_alu instid0(VALU_DEP_1) | instskip(SKIP_1) | instid1(VALU_DEP_1)
	v_fmac_f32_e32 v167, v137, v166
	s_waitcnt lgkmcnt(3)
	v_fmac_f32_e32 v167, v138, v3
	s_delay_alu instid0(VALU_DEP_1) | instskip(SKIP_4) | instid1(VALU_DEP_1)
	v_fmac_f32_e32 v167, v139, v4
	ds_load_2addr_b32 v[3:4], v2 offset0:111 offset1:112
	s_waitcnt lgkmcnt(3)
	v_fmac_f32_e32 v167, v140, v130
	s_waitcnt vmcnt(4)
	v_fmac_f32_e32 v167, v141, v131
	ds_load_2addr_b32 v[130:131], v2 offset0:113 offset1:114
	s_waitcnt lgkmcnt(3)
	v_fmac_f32_e32 v167, v142, v132
	s_delay_alu instid0(VALU_DEP_1) | instskip(SKIP_1) | instid1(VALU_DEP_1)
	v_fmac_f32_e32 v167, v143, v133
	s_waitcnt lgkmcnt(2)
	v_fmac_f32_e32 v167, v144, v134
	s_waitcnt vmcnt(3)
	s_delay_alu instid0(VALU_DEP_1) | instskip(SKIP_4) | instid1(VALU_DEP_1)
	v_fmac_f32_e32 v167, v145, v135
	ds_load_2addr_b32 v[132:133], v2 offset0:115 offset1:116
	ds_load_2addr_b32 v[134:135], v2 offset0:117 offset1:118
	s_waitcnt lgkmcnt(3)
	v_fmac_f32_e32 v167, v146, v3
	v_fmac_f32_e32 v167, v147, v4
	ds_load_2addr_b32 v[3:4], v2 offset0:119 offset1:120
	s_waitcnt lgkmcnt(3)
	v_fmac_f32_e32 v167, v148, v130
	s_waitcnt vmcnt(2)
	s_delay_alu instid0(VALU_DEP_1) | instskip(SKIP_3) | instid1(VALU_DEP_1)
	v_fmac_f32_e32 v167, v149, v131
	ds_load_2addr_b32 v[130:131], v2 offset0:121 offset1:122
	s_waitcnt lgkmcnt(3)
	v_fmac_f32_e32 v167, v150, v132
	v_fmac_f32_e32 v167, v151, v133
	s_waitcnt lgkmcnt(2)
	s_delay_alu instid0(VALU_DEP_1)
	v_fmac_f32_e32 v167, v152, v134
	ds_load_2addr_b32 v[132:133], v2 offset0:123 offset1:124
	ds_load_b32 v134, v2 offset:500
	s_waitcnt vmcnt(1)
	v_fmac_f32_e32 v167, v153, v135
	s_waitcnt lgkmcnt(3)
	s_delay_alu instid0(VALU_DEP_1) | instskip(NEXT) | instid1(VALU_DEP_1)
	v_fmac_f32_e32 v167, v154, v3
	v_fmac_f32_e32 v167, v155, v4
	s_waitcnt lgkmcnt(2)
	s_delay_alu instid0(VALU_DEP_1) | instskip(SKIP_1) | instid1(VALU_DEP_1)
	v_fmac_f32_e32 v167, v156, v130
	s_waitcnt vmcnt(0)
	v_fmac_f32_e32 v167, v157, v131
	s_waitcnt lgkmcnt(1)
	s_delay_alu instid0(VALU_DEP_1) | instskip(NEXT) | instid1(VALU_DEP_1)
	v_fmac_f32_e32 v167, v158, v132
	v_fmac_f32_e32 v167, v159, v133
	s_waitcnt lgkmcnt(0)
	s_delay_alu instid0(VALU_DEP_1) | instskip(NEXT) | instid1(VALU_DEP_1)
	v_fmac_f32_e32 v167, v160, v134
	v_sub_f32_e32 v3, v129, v167
	scratch_store_b32 off, v3, off offset:120
	v_cmpx_lt_u32_e32 29, v0
	s_cbranch_execz .LBB125_321
; %bb.320:
	scratch_load_b32 v3, off, off offset:116
	scratch_store_b32 off, v2, off offset:116
	s_waitcnt vmcnt(0)
	ds_store_b32 v1, v3
.LBB125_321:
	s_or_b32 exec_lo, exec_lo, s0
	s_waitcnt lgkmcnt(0)
	s_waitcnt_vscnt null, 0x0
	s_barrier
	buffer_gl0_inv
	s_clause 0x8
	scratch_load_b128 v[129:132], off, off offset:116
	scratch_load_b128 v[133:136], off, off offset:132
	;; [unrolled: 1-line block ×8, first 2 shown]
	scratch_load_b32 v3, off, off offset:244
	ds_load_2addr_b64 v[161:164], v2 offset0:47 offset1:48
	ds_load_2addr_b64 v[165:168], v2 offset0:49 offset1:50
	s_mov_b32 s0, exec_lo
	s_waitcnt vmcnt(8) lgkmcnt(1)
	v_fma_f32 v4, v130, v161, 0
	s_delay_alu instid0(VALU_DEP_1) | instskip(NEXT) | instid1(VALU_DEP_1)
	v_fmac_f32_e32 v4, v131, v162
	v_fmac_f32_e32 v4, v132, v163
	s_waitcnt vmcnt(7)
	s_delay_alu instid0(VALU_DEP_1) | instskip(SKIP_3) | instid1(VALU_DEP_1)
	v_fmac_f32_e32 v4, v133, v164
	ds_load_2addr_b64 v[130:133], v2 offset0:51 offset1:52
	s_waitcnt lgkmcnt(1)
	v_fmac_f32_e32 v4, v134, v165
	v_fmac_f32_e32 v4, v135, v166
	s_delay_alu instid0(VALU_DEP_1) | instskip(SKIP_1) | instid1(VALU_DEP_1)
	v_fmac_f32_e32 v4, v136, v167
	s_waitcnt vmcnt(6)
	v_fmac_f32_e32 v4, v137, v168
	ds_load_2addr_b64 v[134:137], v2 offset0:53 offset1:54
	s_waitcnt lgkmcnt(1)
	v_fmac_f32_e32 v4, v138, v130
	s_delay_alu instid0(VALU_DEP_1) | instskip(NEXT) | instid1(VALU_DEP_1)
	v_fmac_f32_e32 v4, v139, v131
	v_fmac_f32_e32 v4, v140, v132
	s_waitcnt vmcnt(5)
	s_delay_alu instid0(VALU_DEP_1) | instskip(SKIP_3) | instid1(VALU_DEP_1)
	v_fmac_f32_e32 v4, v141, v133
	ds_load_2addr_b64 v[130:133], v2 offset0:55 offset1:56
	s_waitcnt lgkmcnt(1)
	v_fmac_f32_e32 v4, v142, v134
	v_fmac_f32_e32 v4, v143, v135
	s_delay_alu instid0(VALU_DEP_1) | instskip(SKIP_1) | instid1(VALU_DEP_1)
	v_fmac_f32_e32 v4, v144, v136
	s_waitcnt vmcnt(4)
	v_fmac_f32_e32 v4, v145, v137
	ds_load_2addr_b64 v[134:137], v2 offset0:57 offset1:58
	s_waitcnt lgkmcnt(1)
	v_fmac_f32_e32 v4, v146, v130
	;; [unrolled: 17-line block ×3, first 2 shown]
	s_delay_alu instid0(VALU_DEP_1) | instskip(NEXT) | instid1(VALU_DEP_1)
	v_fmac_f32_e32 v4, v155, v131
	v_fmac_f32_e32 v4, v156, v132
	s_waitcnt vmcnt(1)
	s_delay_alu instid0(VALU_DEP_1) | instskip(SKIP_1) | instid1(VALU_DEP_1)
	v_fmac_f32_e32 v4, v157, v133
	s_waitcnt lgkmcnt(0)
	v_fmac_f32_e32 v4, v158, v134
	s_delay_alu instid0(VALU_DEP_1) | instskip(NEXT) | instid1(VALU_DEP_1)
	v_fmac_f32_e32 v4, v159, v135
	v_fmac_f32_e32 v4, v160, v136
	s_waitcnt vmcnt(0)
	s_delay_alu instid0(VALU_DEP_1) | instskip(NEXT) | instid1(VALU_DEP_1)
	v_fmac_f32_e32 v4, v3, v137
	v_sub_f32_e32 v2, v129, v4
	scratch_store_b32 off, v2, off offset:116
	v_cmpx_lt_u32_e32 28, v0
	s_cbranch_execz .LBB125_323
; %bb.322:
	scratch_load_b32 v2, off, off offset:112
	v_mov_b32_e32 v3, 0
	scratch_store_b32 off, v3, off offset:112
	s_waitcnt vmcnt(0)
	ds_store_b32 v1, v2
.LBB125_323:
	s_or_b32 exec_lo, exec_lo, s0
	s_waitcnt lgkmcnt(0)
	s_waitcnt_vscnt null, 0x0
	s_barrier
	buffer_gl0_inv
	s_clause 0x8
	scratch_load_b128 v[129:132], off, off offset:112
	scratch_load_b128 v[133:136], off, off offset:128
	;; [unrolled: 1-line block ×8, first 2 shown]
	scratch_load_b64 v[3:4], off, off offset:240
	v_mov_b32_e32 v2, 0
	ds_load_2addr_b32 v[161:162], v2 offset0:93 offset1:94
	ds_load_2addr_b32 v[163:164], v2 offset0:95 offset1:96
	;; [unrolled: 1-line block ×4, first 2 shown]
	s_mov_b32 s0, exec_lo
	s_waitcnt vmcnt(8) lgkmcnt(3)
	v_fma_f32 v161, v130, v161, 0
	s_delay_alu instid0(VALU_DEP_1) | instskip(SKIP_4) | instid1(VALU_DEP_1)
	v_fmac_f32_e32 v161, v131, v162
	ds_load_2addr_b32 v[130:131], v2 offset0:101 offset1:102
	s_waitcnt lgkmcnt(3)
	v_fmac_f32_e32 v161, v132, v163
	s_waitcnt vmcnt(7)
	v_fmac_f32_e32 v161, v133, v164
	ds_load_2addr_b32 v[132:133], v2 offset0:103 offset1:104
	s_waitcnt lgkmcnt(3)
	v_fmac_f32_e32 v161, v134, v165
	s_delay_alu instid0(VALU_DEP_1) | instskip(SKIP_1) | instid1(VALU_DEP_1)
	v_fmac_f32_e32 v161, v135, v166
	s_waitcnt lgkmcnt(2)
	v_fmac_f32_e32 v161, v136, v167
	s_waitcnt vmcnt(6)
	s_delay_alu instid0(VALU_DEP_1) | instskip(SKIP_4) | instid1(VALU_DEP_1)
	v_fmac_f32_e32 v161, v137, v168
	ds_load_2addr_b32 v[134:135], v2 offset0:105 offset1:106
	ds_load_2addr_b32 v[136:137], v2 offset0:107 offset1:108
	s_waitcnt lgkmcnt(3)
	v_fmac_f32_e32 v161, v138, v130
	v_fmac_f32_e32 v161, v139, v131
	ds_load_2addr_b32 v[130:131], v2 offset0:109 offset1:110
	s_waitcnt lgkmcnt(3)
	v_fmac_f32_e32 v161, v140, v132
	s_waitcnt vmcnt(5)
	s_delay_alu instid0(VALU_DEP_1) | instskip(SKIP_3) | instid1(VALU_DEP_1)
	v_fmac_f32_e32 v161, v141, v133
	ds_load_2addr_b32 v[132:133], v2 offset0:111 offset1:112
	s_waitcnt lgkmcnt(3)
	v_fmac_f32_e32 v161, v142, v134
	v_fmac_f32_e32 v161, v143, v135
	s_waitcnt lgkmcnt(2)
	s_delay_alu instid0(VALU_DEP_1) | instskip(SKIP_1) | instid1(VALU_DEP_1)
	v_fmac_f32_e32 v161, v144, v136
	s_waitcnt vmcnt(4)
	v_fmac_f32_e32 v161, v145, v137
	ds_load_2addr_b32 v[134:135], v2 offset0:113 offset1:114
	ds_load_2addr_b32 v[136:137], v2 offset0:115 offset1:116
	s_waitcnt lgkmcnt(3)
	v_fmac_f32_e32 v161, v146, v130
	s_delay_alu instid0(VALU_DEP_1) | instskip(SKIP_4) | instid1(VALU_DEP_1)
	v_fmac_f32_e32 v161, v147, v131
	ds_load_2addr_b32 v[130:131], v2 offset0:117 offset1:118
	s_waitcnt lgkmcnt(3)
	v_fmac_f32_e32 v161, v148, v132
	s_waitcnt vmcnt(3)
	v_fmac_f32_e32 v161, v149, v133
	ds_load_2addr_b32 v[132:133], v2 offset0:119 offset1:120
	s_waitcnt lgkmcnt(3)
	v_fmac_f32_e32 v161, v150, v134
	s_delay_alu instid0(VALU_DEP_1) | instskip(SKIP_1) | instid1(VALU_DEP_1)
	v_fmac_f32_e32 v161, v151, v135
	s_waitcnt lgkmcnt(2)
	v_fmac_f32_e32 v161, v152, v136
	s_waitcnt vmcnt(2)
	s_delay_alu instid0(VALU_DEP_1)
	v_fmac_f32_e32 v161, v153, v137
	ds_load_2addr_b32 v[134:135], v2 offset0:121 offset1:122
	ds_load_2addr_b32 v[136:137], v2 offset0:123 offset1:124
	s_waitcnt lgkmcnt(3)
	v_fmac_f32_e32 v161, v154, v130
	ds_load_b32 v130, v2 offset:500
	v_fmac_f32_e32 v161, v155, v131
	s_waitcnt lgkmcnt(3)
	s_delay_alu instid0(VALU_DEP_1) | instskip(SKIP_1) | instid1(VALU_DEP_1)
	v_fmac_f32_e32 v161, v156, v132
	s_waitcnt vmcnt(1)
	v_fmac_f32_e32 v161, v157, v133
	s_waitcnt lgkmcnt(2)
	s_delay_alu instid0(VALU_DEP_1) | instskip(NEXT) | instid1(VALU_DEP_1)
	v_fmac_f32_e32 v161, v158, v134
	v_fmac_f32_e32 v161, v159, v135
	s_waitcnt lgkmcnt(1)
	s_delay_alu instid0(VALU_DEP_1) | instskip(SKIP_1) | instid1(VALU_DEP_1)
	v_fmac_f32_e32 v161, v160, v136
	s_waitcnt vmcnt(0)
	v_fmac_f32_e32 v161, v3, v137
	s_waitcnt lgkmcnt(0)
	s_delay_alu instid0(VALU_DEP_1) | instskip(NEXT) | instid1(VALU_DEP_1)
	v_fmac_f32_e32 v161, v4, v130
	v_sub_f32_e32 v3, v129, v161
	scratch_store_b32 off, v3, off offset:112
	v_cmpx_lt_u32_e32 27, v0
	s_cbranch_execz .LBB125_325
; %bb.324:
	scratch_load_b32 v3, off, off offset:108
	scratch_store_b32 off, v2, off offset:108
	s_waitcnt vmcnt(0)
	ds_store_b32 v1, v3
.LBB125_325:
	s_or_b32 exec_lo, exec_lo, s0
	s_waitcnt lgkmcnt(0)
	s_waitcnt_vscnt null, 0x0
	s_barrier
	buffer_gl0_inv
	s_clause 0x8
	scratch_load_b128 v[129:132], off, off offset:108
	scratch_load_b128 v[133:136], off, off offset:124
	;; [unrolled: 1-line block ×8, first 2 shown]
	scratch_load_b96 v[169:171], off, off offset:236
	ds_load_b128 v[161:164], v2 offset:368
	ds_load_b128 v[165:168], v2 offset:384
	s_mov_b32 s0, exec_lo
	s_waitcnt vmcnt(8) lgkmcnt(1)
	v_fma_f32 v4, v130, v161, 0
	s_delay_alu instid0(VALU_DEP_1) | instskip(NEXT) | instid1(VALU_DEP_1)
	v_fmac_f32_e32 v4, v131, v162
	v_fmac_f32_e32 v4, v132, v163
	s_waitcnt vmcnt(7)
	s_delay_alu instid0(VALU_DEP_1) | instskip(SKIP_3) | instid1(VALU_DEP_1)
	v_fmac_f32_e32 v4, v133, v164
	ds_load_b128 v[130:133], v2 offset:400
	s_waitcnt lgkmcnt(1)
	v_fmac_f32_e32 v4, v134, v165
	v_fmac_f32_e32 v4, v135, v166
	s_delay_alu instid0(VALU_DEP_1) | instskip(SKIP_1) | instid1(VALU_DEP_1)
	v_fmac_f32_e32 v4, v136, v167
	s_waitcnt vmcnt(6)
	v_fmac_f32_e32 v4, v137, v168
	ds_load_b128 v[134:137], v2 offset:416
	s_waitcnt lgkmcnt(1)
	v_fmac_f32_e32 v4, v138, v130
	s_delay_alu instid0(VALU_DEP_1) | instskip(NEXT) | instid1(VALU_DEP_1)
	v_fmac_f32_e32 v4, v139, v131
	v_fmac_f32_e32 v4, v140, v132
	s_waitcnt vmcnt(5)
	s_delay_alu instid0(VALU_DEP_1) | instskip(SKIP_3) | instid1(VALU_DEP_1)
	v_fmac_f32_e32 v4, v141, v133
	ds_load_b128 v[130:133], v2 offset:432
	s_waitcnt lgkmcnt(1)
	v_fmac_f32_e32 v4, v142, v134
	v_fmac_f32_e32 v4, v143, v135
	s_delay_alu instid0(VALU_DEP_1) | instskip(SKIP_1) | instid1(VALU_DEP_1)
	v_fmac_f32_e32 v4, v144, v136
	s_waitcnt vmcnt(4)
	v_fmac_f32_e32 v4, v145, v137
	ds_load_b128 v[134:137], v2 offset:448
	s_waitcnt lgkmcnt(1)
	v_fmac_f32_e32 v4, v146, v130
	s_delay_alu instid0(VALU_DEP_1) | instskip(NEXT) | instid1(VALU_DEP_1)
	v_fmac_f32_e32 v4, v147, v131
	v_fmac_f32_e32 v4, v148, v132
	s_waitcnt vmcnt(3)
	s_delay_alu instid0(VALU_DEP_1) | instskip(SKIP_3) | instid1(VALU_DEP_1)
	v_fmac_f32_e32 v4, v149, v133
	ds_load_b128 v[130:133], v2 offset:464
	s_waitcnt lgkmcnt(1)
	v_fmac_f32_e32 v4, v150, v134
	v_fmac_f32_e32 v4, v151, v135
	s_delay_alu instid0(VALU_DEP_1) | instskip(SKIP_1) | instid1(VALU_DEP_1)
	v_fmac_f32_e32 v4, v152, v136
	s_waitcnt vmcnt(2)
	v_fmac_f32_e32 v4, v153, v137
	ds_load_b128 v[134:137], v2 offset:480
	ds_load_b64 v[2:3], v2 offset:496
	s_waitcnt lgkmcnt(2)
	v_fmac_f32_e32 v4, v154, v130
	s_delay_alu instid0(VALU_DEP_1) | instskip(NEXT) | instid1(VALU_DEP_1)
	v_fmac_f32_e32 v4, v155, v131
	v_fmac_f32_e32 v4, v156, v132
	s_waitcnt vmcnt(1)
	s_delay_alu instid0(VALU_DEP_1) | instskip(SKIP_1) | instid1(VALU_DEP_1)
	v_fmac_f32_e32 v4, v157, v133
	s_waitcnt lgkmcnt(1)
	v_fmac_f32_e32 v4, v158, v134
	s_delay_alu instid0(VALU_DEP_1) | instskip(NEXT) | instid1(VALU_DEP_1)
	v_fmac_f32_e32 v4, v159, v135
	v_fmac_f32_e32 v4, v160, v136
	s_waitcnt vmcnt(0)
	s_delay_alu instid0(VALU_DEP_1) | instskip(SKIP_1) | instid1(VALU_DEP_1)
	v_fmac_f32_e32 v4, v169, v137
	s_waitcnt lgkmcnt(0)
	v_fmac_f32_e32 v4, v170, v2
	s_delay_alu instid0(VALU_DEP_1) | instskip(NEXT) | instid1(VALU_DEP_1)
	v_fmac_f32_e32 v4, v171, v3
	v_sub_f32_e32 v2, v129, v4
	scratch_store_b32 off, v2, off offset:108
	v_cmpx_lt_u32_e32 26, v0
	s_cbranch_execz .LBB125_327
; %bb.326:
	scratch_load_b32 v2, off, off offset:104
	v_mov_b32_e32 v3, 0
	scratch_store_b32 off, v3, off offset:104
	s_waitcnt vmcnt(0)
	ds_store_b32 v1, v2
.LBB125_327:
	s_or_b32 exec_lo, exec_lo, s0
	s_waitcnt lgkmcnt(0)
	s_waitcnt_vscnt null, 0x0
	s_barrier
	buffer_gl0_inv
	s_clause 0x8
	scratch_load_b128 v[129:132], off, off offset:104
	scratch_load_b128 v[133:136], off, off offset:120
	scratch_load_b128 v[137:140], off, off offset:136
	scratch_load_b128 v[141:144], off, off offset:152
	scratch_load_b128 v[145:148], off, off offset:168
	scratch_load_b128 v[149:152], off, off offset:184
	scratch_load_b128 v[153:156], off, off offset:200
	scratch_load_b128 v[157:160], off, off offset:216
	scratch_load_b128 v[161:164], off, off offset:232
	v_mov_b32_e32 v2, 0
	ds_load_2addr_b32 v[3:4], v2 offset0:91 offset1:92
	ds_load_2addr_b32 v[165:166], v2 offset0:93 offset1:94
	;; [unrolled: 1-line block ×4, first 2 shown]
	s_mov_b32 s0, exec_lo
	s_waitcnt vmcnt(8) lgkmcnt(3)
	v_fma_f32 v171, v130, v3, 0
	s_delay_alu instid0(VALU_DEP_1)
	v_fmac_f32_e32 v171, v131, v4
	ds_load_2addr_b32 v[3:4], v2 offset0:99 offset1:100
	ds_load_2addr_b32 v[130:131], v2 offset0:101 offset1:102
	s_waitcnt lgkmcnt(4)
	v_fmac_f32_e32 v171, v132, v165
	s_waitcnt vmcnt(7)
	s_delay_alu instid0(VALU_DEP_1) | instskip(SKIP_1) | instid1(VALU_DEP_1)
	v_fmac_f32_e32 v171, v133, v166
	s_waitcnt lgkmcnt(3)
	v_fmac_f32_e32 v171, v134, v167
	s_delay_alu instid0(VALU_DEP_1)
	v_fmac_f32_e32 v171, v135, v168
	ds_load_2addr_b32 v[132:133], v2 offset0:103 offset1:104
	ds_load_2addr_b32 v[134:135], v2 offset0:105 offset1:106
	s_waitcnt lgkmcnt(4)
	v_fmac_f32_e32 v171, v136, v169
	s_waitcnt vmcnt(6)
	s_delay_alu instid0(VALU_DEP_1) | instskip(SKIP_1) | instid1(VALU_DEP_1)
	v_fmac_f32_e32 v171, v137, v170
	s_waitcnt lgkmcnt(3)
	v_fmac_f32_e32 v171, v138, v3
	s_delay_alu instid0(VALU_DEP_1) | instskip(SKIP_4) | instid1(VALU_DEP_1)
	v_fmac_f32_e32 v171, v139, v4
	ds_load_2addr_b32 v[3:4], v2 offset0:107 offset1:108
	s_waitcnt lgkmcnt(3)
	v_fmac_f32_e32 v171, v140, v130
	s_waitcnt vmcnt(5)
	v_fmac_f32_e32 v171, v141, v131
	ds_load_2addr_b32 v[130:131], v2 offset0:109 offset1:110
	s_waitcnt lgkmcnt(3)
	v_fmac_f32_e32 v171, v142, v132
	s_delay_alu instid0(VALU_DEP_1) | instskip(SKIP_1) | instid1(VALU_DEP_1)
	v_fmac_f32_e32 v171, v143, v133
	s_waitcnt lgkmcnt(2)
	v_fmac_f32_e32 v171, v144, v134
	s_waitcnt vmcnt(4)
	s_delay_alu instid0(VALU_DEP_1) | instskip(SKIP_4) | instid1(VALU_DEP_1)
	v_fmac_f32_e32 v171, v145, v135
	ds_load_2addr_b32 v[132:133], v2 offset0:111 offset1:112
	ds_load_2addr_b32 v[134:135], v2 offset0:113 offset1:114
	s_waitcnt lgkmcnt(3)
	v_fmac_f32_e32 v171, v146, v3
	v_fmac_f32_e32 v171, v147, v4
	ds_load_2addr_b32 v[3:4], v2 offset0:115 offset1:116
	s_waitcnt lgkmcnt(3)
	v_fmac_f32_e32 v171, v148, v130
	s_waitcnt vmcnt(3)
	s_delay_alu instid0(VALU_DEP_1) | instskip(SKIP_3) | instid1(VALU_DEP_1)
	v_fmac_f32_e32 v171, v149, v131
	ds_load_2addr_b32 v[130:131], v2 offset0:117 offset1:118
	s_waitcnt lgkmcnt(3)
	v_fmac_f32_e32 v171, v150, v132
	v_fmac_f32_e32 v171, v151, v133
	s_waitcnt lgkmcnt(2)
	s_delay_alu instid0(VALU_DEP_1) | instskip(SKIP_1) | instid1(VALU_DEP_1)
	v_fmac_f32_e32 v171, v152, v134
	s_waitcnt vmcnt(2)
	v_fmac_f32_e32 v171, v153, v135
	ds_load_2addr_b32 v[132:133], v2 offset0:119 offset1:120
	ds_load_2addr_b32 v[134:135], v2 offset0:121 offset1:122
	s_waitcnt lgkmcnt(3)
	v_fmac_f32_e32 v171, v154, v3
	s_delay_alu instid0(VALU_DEP_1)
	v_fmac_f32_e32 v171, v155, v4
	ds_load_2addr_b32 v[3:4], v2 offset0:123 offset1:124
	s_waitcnt lgkmcnt(3)
	v_fmac_f32_e32 v171, v156, v130
	ds_load_b32 v130, v2 offset:500
	s_waitcnt vmcnt(1)
	v_fmac_f32_e32 v171, v157, v131
	s_waitcnt lgkmcnt(3)
	s_delay_alu instid0(VALU_DEP_1) | instskip(NEXT) | instid1(VALU_DEP_1)
	v_fmac_f32_e32 v171, v158, v132
	v_fmac_f32_e32 v171, v159, v133
	s_waitcnt lgkmcnt(2)
	s_delay_alu instid0(VALU_DEP_1) | instskip(SKIP_1) | instid1(VALU_DEP_1)
	v_fmac_f32_e32 v171, v160, v134
	s_waitcnt vmcnt(0)
	v_fmac_f32_e32 v171, v161, v135
	s_waitcnt lgkmcnt(1)
	s_delay_alu instid0(VALU_DEP_1) | instskip(NEXT) | instid1(VALU_DEP_1)
	v_fmac_f32_e32 v171, v162, v3
	v_fmac_f32_e32 v171, v163, v4
	s_waitcnt lgkmcnt(0)
	s_delay_alu instid0(VALU_DEP_1) | instskip(NEXT) | instid1(VALU_DEP_1)
	v_fmac_f32_e32 v171, v164, v130
	v_sub_f32_e32 v3, v129, v171
	scratch_store_b32 off, v3, off offset:104
	v_cmpx_lt_u32_e32 25, v0
	s_cbranch_execz .LBB125_329
; %bb.328:
	scratch_load_b32 v3, off, off offset:100
	scratch_store_b32 off, v2, off offset:100
	s_waitcnt vmcnt(0)
	ds_store_b32 v1, v3
.LBB125_329:
	s_or_b32 exec_lo, exec_lo, s0
	s_waitcnt lgkmcnt(0)
	s_waitcnt_vscnt null, 0x0
	s_barrier
	buffer_gl0_inv
	s_clause 0x9
	scratch_load_b128 v[129:132], off, off offset:100
	scratch_load_b128 v[133:136], off, off offset:116
	;; [unrolled: 1-line block ×9, first 2 shown]
	scratch_load_b32 v3, off, off offset:244
	ds_load_2addr_b64 v[165:168], v2 offset0:45 offset1:46
	ds_load_2addr_b64 v[169:172], v2 offset0:47 offset1:48
	s_mov_b32 s0, exec_lo
	s_waitcnt vmcnt(9) lgkmcnt(1)
	v_fma_f32 v4, v130, v165, 0
	s_delay_alu instid0(VALU_DEP_1) | instskip(NEXT) | instid1(VALU_DEP_1)
	v_fmac_f32_e32 v4, v131, v166
	v_fmac_f32_e32 v4, v132, v167
	s_waitcnt vmcnt(8)
	s_delay_alu instid0(VALU_DEP_1) | instskip(SKIP_3) | instid1(VALU_DEP_1)
	v_fmac_f32_e32 v4, v133, v168
	ds_load_2addr_b64 v[130:133], v2 offset0:49 offset1:50
	s_waitcnt lgkmcnt(1)
	v_fmac_f32_e32 v4, v134, v169
	v_fmac_f32_e32 v4, v135, v170
	s_delay_alu instid0(VALU_DEP_1) | instskip(SKIP_1) | instid1(VALU_DEP_1)
	v_fmac_f32_e32 v4, v136, v171
	s_waitcnt vmcnt(7)
	v_fmac_f32_e32 v4, v137, v172
	ds_load_2addr_b64 v[134:137], v2 offset0:51 offset1:52
	s_waitcnt lgkmcnt(1)
	v_fmac_f32_e32 v4, v138, v130
	s_delay_alu instid0(VALU_DEP_1) | instskip(NEXT) | instid1(VALU_DEP_1)
	v_fmac_f32_e32 v4, v139, v131
	v_fmac_f32_e32 v4, v140, v132
	s_waitcnt vmcnt(6)
	s_delay_alu instid0(VALU_DEP_1) | instskip(SKIP_3) | instid1(VALU_DEP_1)
	v_fmac_f32_e32 v4, v141, v133
	ds_load_2addr_b64 v[130:133], v2 offset0:53 offset1:54
	s_waitcnt lgkmcnt(1)
	v_fmac_f32_e32 v4, v142, v134
	v_fmac_f32_e32 v4, v143, v135
	s_delay_alu instid0(VALU_DEP_1) | instskip(SKIP_1) | instid1(VALU_DEP_1)
	v_fmac_f32_e32 v4, v144, v136
	s_waitcnt vmcnt(5)
	v_fmac_f32_e32 v4, v145, v137
	ds_load_2addr_b64 v[134:137], v2 offset0:55 offset1:56
	s_waitcnt lgkmcnt(1)
	v_fmac_f32_e32 v4, v146, v130
	;; [unrolled: 17-line block ×3, first 2 shown]
	s_delay_alu instid0(VALU_DEP_1) | instskip(NEXT) | instid1(VALU_DEP_1)
	v_fmac_f32_e32 v4, v155, v131
	v_fmac_f32_e32 v4, v156, v132
	s_waitcnt vmcnt(2)
	s_delay_alu instid0(VALU_DEP_1) | instskip(SKIP_3) | instid1(VALU_DEP_1)
	v_fmac_f32_e32 v4, v157, v133
	ds_load_2addr_b64 v[130:133], v2 offset0:61 offset1:62
	s_waitcnt lgkmcnt(1)
	v_fmac_f32_e32 v4, v158, v134
	v_fmac_f32_e32 v4, v159, v135
	s_delay_alu instid0(VALU_DEP_1) | instskip(SKIP_1) | instid1(VALU_DEP_1)
	v_fmac_f32_e32 v4, v160, v136
	s_waitcnt vmcnt(1)
	v_fmac_f32_e32 v4, v161, v137
	s_waitcnt lgkmcnt(0)
	s_delay_alu instid0(VALU_DEP_1) | instskip(NEXT) | instid1(VALU_DEP_1)
	v_fmac_f32_e32 v4, v162, v130
	v_fmac_f32_e32 v4, v163, v131
	s_delay_alu instid0(VALU_DEP_1) | instskip(SKIP_1) | instid1(VALU_DEP_1)
	v_fmac_f32_e32 v4, v164, v132
	s_waitcnt vmcnt(0)
	v_fmac_f32_e32 v4, v3, v133
	s_delay_alu instid0(VALU_DEP_1)
	v_sub_f32_e32 v2, v129, v4
	scratch_store_b32 off, v2, off offset:100
	v_cmpx_lt_u32_e32 24, v0
	s_cbranch_execz .LBB125_331
; %bb.330:
	scratch_load_b32 v2, off, off offset:96
	v_mov_b32_e32 v3, 0
	scratch_store_b32 off, v3, off offset:96
	s_waitcnt vmcnt(0)
	ds_store_b32 v1, v2
.LBB125_331:
	s_or_b32 exec_lo, exec_lo, s0
	s_waitcnt lgkmcnt(0)
	s_waitcnt_vscnt null, 0x0
	s_barrier
	buffer_gl0_inv
	s_clause 0x9
	scratch_load_b128 v[129:132], off, off offset:96
	scratch_load_b128 v[133:136], off, off offset:112
	;; [unrolled: 1-line block ×9, first 2 shown]
	scratch_load_b64 v[3:4], off, off offset:240
	v_mov_b32_e32 v2, 0
	ds_load_2addr_b32 v[165:166], v2 offset0:89 offset1:90
	ds_load_2addr_b32 v[167:168], v2 offset0:91 offset1:92
	;; [unrolled: 1-line block ×4, first 2 shown]
	s_mov_b32 s0, exec_lo
	s_waitcnt vmcnt(9) lgkmcnt(3)
	v_fma_f32 v165, v130, v165, 0
	s_delay_alu instid0(VALU_DEP_1) | instskip(SKIP_4) | instid1(VALU_DEP_1)
	v_fmac_f32_e32 v165, v131, v166
	ds_load_2addr_b32 v[130:131], v2 offset0:97 offset1:98
	s_waitcnt lgkmcnt(3)
	v_fmac_f32_e32 v165, v132, v167
	s_waitcnt vmcnt(8)
	v_fmac_f32_e32 v165, v133, v168
	ds_load_2addr_b32 v[132:133], v2 offset0:99 offset1:100
	s_waitcnt lgkmcnt(3)
	v_fmac_f32_e32 v165, v134, v169
	s_delay_alu instid0(VALU_DEP_1) | instskip(SKIP_1) | instid1(VALU_DEP_1)
	v_fmac_f32_e32 v165, v135, v170
	s_waitcnt lgkmcnt(2)
	v_fmac_f32_e32 v165, v136, v171
	s_waitcnt vmcnt(7)
	s_delay_alu instid0(VALU_DEP_1) | instskip(SKIP_4) | instid1(VALU_DEP_1)
	v_fmac_f32_e32 v165, v137, v172
	ds_load_2addr_b32 v[134:135], v2 offset0:101 offset1:102
	ds_load_2addr_b32 v[136:137], v2 offset0:103 offset1:104
	s_waitcnt lgkmcnt(3)
	v_fmac_f32_e32 v165, v138, v130
	v_fmac_f32_e32 v165, v139, v131
	ds_load_2addr_b32 v[130:131], v2 offset0:105 offset1:106
	s_waitcnt lgkmcnt(3)
	v_fmac_f32_e32 v165, v140, v132
	s_waitcnt vmcnt(6)
	s_delay_alu instid0(VALU_DEP_1) | instskip(SKIP_3) | instid1(VALU_DEP_1)
	v_fmac_f32_e32 v165, v141, v133
	ds_load_2addr_b32 v[132:133], v2 offset0:107 offset1:108
	s_waitcnt lgkmcnt(3)
	v_fmac_f32_e32 v165, v142, v134
	v_fmac_f32_e32 v165, v143, v135
	s_waitcnt lgkmcnt(2)
	s_delay_alu instid0(VALU_DEP_1) | instskip(SKIP_1) | instid1(VALU_DEP_1)
	v_fmac_f32_e32 v165, v144, v136
	s_waitcnt vmcnt(5)
	v_fmac_f32_e32 v165, v145, v137
	ds_load_2addr_b32 v[134:135], v2 offset0:109 offset1:110
	ds_load_2addr_b32 v[136:137], v2 offset0:111 offset1:112
	s_waitcnt lgkmcnt(3)
	v_fmac_f32_e32 v165, v146, v130
	s_delay_alu instid0(VALU_DEP_1) | instskip(SKIP_4) | instid1(VALU_DEP_1)
	v_fmac_f32_e32 v165, v147, v131
	ds_load_2addr_b32 v[130:131], v2 offset0:113 offset1:114
	s_waitcnt lgkmcnt(3)
	v_fmac_f32_e32 v165, v148, v132
	s_waitcnt vmcnt(4)
	v_fmac_f32_e32 v165, v149, v133
	ds_load_2addr_b32 v[132:133], v2 offset0:115 offset1:116
	s_waitcnt lgkmcnt(3)
	v_fmac_f32_e32 v165, v150, v134
	s_delay_alu instid0(VALU_DEP_1) | instskip(SKIP_1) | instid1(VALU_DEP_1)
	v_fmac_f32_e32 v165, v151, v135
	s_waitcnt lgkmcnt(2)
	v_fmac_f32_e32 v165, v152, v136
	s_waitcnt vmcnt(3)
	s_delay_alu instid0(VALU_DEP_1) | instskip(SKIP_4) | instid1(VALU_DEP_1)
	v_fmac_f32_e32 v165, v153, v137
	ds_load_2addr_b32 v[134:135], v2 offset0:117 offset1:118
	ds_load_2addr_b32 v[136:137], v2 offset0:119 offset1:120
	s_waitcnt lgkmcnt(3)
	v_fmac_f32_e32 v165, v154, v130
	v_fmac_f32_e32 v165, v155, v131
	ds_load_2addr_b32 v[130:131], v2 offset0:121 offset1:122
	s_waitcnt lgkmcnt(3)
	v_fmac_f32_e32 v165, v156, v132
	s_waitcnt vmcnt(2)
	s_delay_alu instid0(VALU_DEP_1)
	v_fmac_f32_e32 v165, v157, v133
	ds_load_2addr_b32 v[132:133], v2 offset0:123 offset1:124
	s_waitcnt lgkmcnt(3)
	v_fmac_f32_e32 v165, v158, v134
	ds_load_b32 v134, v2 offset:500
	v_fmac_f32_e32 v165, v159, v135
	s_waitcnt lgkmcnt(3)
	s_delay_alu instid0(VALU_DEP_1) | instskip(SKIP_1) | instid1(VALU_DEP_1)
	v_fmac_f32_e32 v165, v160, v136
	s_waitcnt vmcnt(1)
	v_fmac_f32_e32 v165, v161, v137
	s_waitcnt lgkmcnt(2)
	s_delay_alu instid0(VALU_DEP_1) | instskip(NEXT) | instid1(VALU_DEP_1)
	v_fmac_f32_e32 v165, v162, v130
	v_fmac_f32_e32 v165, v163, v131
	s_waitcnt lgkmcnt(1)
	s_delay_alu instid0(VALU_DEP_1) | instskip(SKIP_1) | instid1(VALU_DEP_1)
	v_fmac_f32_e32 v165, v164, v132
	s_waitcnt vmcnt(0)
	v_fmac_f32_e32 v165, v3, v133
	s_waitcnt lgkmcnt(0)
	s_delay_alu instid0(VALU_DEP_1) | instskip(NEXT) | instid1(VALU_DEP_1)
	v_fmac_f32_e32 v165, v4, v134
	v_sub_f32_e32 v3, v129, v165
	scratch_store_b32 off, v3, off offset:96
	v_cmpx_lt_u32_e32 23, v0
	s_cbranch_execz .LBB125_333
; %bb.332:
	scratch_load_b32 v3, off, off offset:92
	scratch_store_b32 off, v2, off offset:92
	s_waitcnt vmcnt(0)
	ds_store_b32 v1, v3
.LBB125_333:
	s_or_b32 exec_lo, exec_lo, s0
	s_waitcnt lgkmcnt(0)
	s_waitcnt_vscnt null, 0x0
	s_barrier
	buffer_gl0_inv
	s_clause 0x9
	scratch_load_b128 v[129:132], off, off offset:92
	scratch_load_b128 v[133:136], off, off offset:108
	;; [unrolled: 1-line block ×9, first 2 shown]
	scratch_load_b96 v[173:175], off, off offset:236
	ds_load_b128 v[165:168], v2 offset:352
	ds_load_b128 v[169:172], v2 offset:368
	s_mov_b32 s0, exec_lo
	s_waitcnt vmcnt(9) lgkmcnt(1)
	v_fma_f32 v4, v130, v165, 0
	s_delay_alu instid0(VALU_DEP_1) | instskip(NEXT) | instid1(VALU_DEP_1)
	v_fmac_f32_e32 v4, v131, v166
	v_fmac_f32_e32 v4, v132, v167
	s_waitcnt vmcnt(8)
	s_delay_alu instid0(VALU_DEP_1) | instskip(SKIP_3) | instid1(VALU_DEP_1)
	v_fmac_f32_e32 v4, v133, v168
	ds_load_b128 v[130:133], v2 offset:384
	s_waitcnt lgkmcnt(1)
	v_fmac_f32_e32 v4, v134, v169
	v_fmac_f32_e32 v4, v135, v170
	s_delay_alu instid0(VALU_DEP_1) | instskip(SKIP_1) | instid1(VALU_DEP_1)
	v_fmac_f32_e32 v4, v136, v171
	s_waitcnt vmcnt(7)
	v_fmac_f32_e32 v4, v137, v172
	ds_load_b128 v[134:137], v2 offset:400
	s_waitcnt lgkmcnt(1)
	v_fmac_f32_e32 v4, v138, v130
	s_delay_alu instid0(VALU_DEP_1) | instskip(NEXT) | instid1(VALU_DEP_1)
	v_fmac_f32_e32 v4, v139, v131
	v_fmac_f32_e32 v4, v140, v132
	s_waitcnt vmcnt(6)
	s_delay_alu instid0(VALU_DEP_1) | instskip(SKIP_3) | instid1(VALU_DEP_1)
	v_fmac_f32_e32 v4, v141, v133
	ds_load_b128 v[130:133], v2 offset:416
	s_waitcnt lgkmcnt(1)
	v_fmac_f32_e32 v4, v142, v134
	v_fmac_f32_e32 v4, v143, v135
	s_delay_alu instid0(VALU_DEP_1) | instskip(SKIP_1) | instid1(VALU_DEP_1)
	v_fmac_f32_e32 v4, v144, v136
	s_waitcnt vmcnt(5)
	v_fmac_f32_e32 v4, v145, v137
	ds_load_b128 v[134:137], v2 offset:432
	s_waitcnt lgkmcnt(1)
	v_fmac_f32_e32 v4, v146, v130
	;; [unrolled: 17-line block ×3, first 2 shown]
	s_delay_alu instid0(VALU_DEP_1) | instskip(NEXT) | instid1(VALU_DEP_1)
	v_fmac_f32_e32 v4, v155, v131
	v_fmac_f32_e32 v4, v156, v132
	s_waitcnt vmcnt(2)
	s_delay_alu instid0(VALU_DEP_1) | instskip(SKIP_4) | instid1(VALU_DEP_1)
	v_fmac_f32_e32 v4, v157, v133
	ds_load_b128 v[130:133], v2 offset:480
	ds_load_b64 v[2:3], v2 offset:496
	s_waitcnt lgkmcnt(2)
	v_fmac_f32_e32 v4, v158, v134
	v_fmac_f32_e32 v4, v159, v135
	s_delay_alu instid0(VALU_DEP_1) | instskip(SKIP_1) | instid1(VALU_DEP_1)
	v_fmac_f32_e32 v4, v160, v136
	s_waitcnt vmcnt(1)
	v_fmac_f32_e32 v4, v161, v137
	s_waitcnt lgkmcnt(1)
	s_delay_alu instid0(VALU_DEP_1) | instskip(NEXT) | instid1(VALU_DEP_1)
	v_fmac_f32_e32 v4, v162, v130
	v_fmac_f32_e32 v4, v163, v131
	s_delay_alu instid0(VALU_DEP_1) | instskip(SKIP_1) | instid1(VALU_DEP_1)
	v_fmac_f32_e32 v4, v164, v132
	s_waitcnt vmcnt(0)
	v_fmac_f32_e32 v4, v173, v133
	s_waitcnt lgkmcnt(0)
	s_delay_alu instid0(VALU_DEP_1) | instskip(NEXT) | instid1(VALU_DEP_1)
	v_fmac_f32_e32 v4, v174, v2
	v_fmac_f32_e32 v4, v175, v3
	s_delay_alu instid0(VALU_DEP_1)
	v_sub_f32_e32 v2, v129, v4
	scratch_store_b32 off, v2, off offset:92
	v_cmpx_lt_u32_e32 22, v0
	s_cbranch_execz .LBB125_335
; %bb.334:
	scratch_load_b32 v2, off, off offset:88
	v_mov_b32_e32 v3, 0
	scratch_store_b32 off, v3, off offset:88
	s_waitcnt vmcnt(0)
	ds_store_b32 v1, v2
.LBB125_335:
	s_or_b32 exec_lo, exec_lo, s0
	s_waitcnt lgkmcnt(0)
	s_waitcnt_vscnt null, 0x0
	s_barrier
	buffer_gl0_inv
	s_clause 0x9
	scratch_load_b128 v[129:132], off, off offset:88
	scratch_load_b128 v[133:136], off, off offset:104
	;; [unrolled: 1-line block ×10, first 2 shown]
	v_mov_b32_e32 v2, 0
	ds_load_2addr_b32 v[3:4], v2 offset0:87 offset1:88
	ds_load_2addr_b32 v[169:170], v2 offset0:89 offset1:90
	;; [unrolled: 1-line block ×4, first 2 shown]
	s_mov_b32 s0, exec_lo
	s_waitcnt vmcnt(9) lgkmcnt(3)
	v_fma_f32 v175, v130, v3, 0
	s_delay_alu instid0(VALU_DEP_1)
	v_fmac_f32_e32 v175, v131, v4
	ds_load_2addr_b32 v[3:4], v2 offset0:95 offset1:96
	ds_load_2addr_b32 v[130:131], v2 offset0:97 offset1:98
	s_waitcnt lgkmcnt(4)
	v_fmac_f32_e32 v175, v132, v169
	s_waitcnt vmcnt(8)
	s_delay_alu instid0(VALU_DEP_1) | instskip(SKIP_1) | instid1(VALU_DEP_1)
	v_fmac_f32_e32 v175, v133, v170
	s_waitcnt lgkmcnt(3)
	v_fmac_f32_e32 v175, v134, v171
	s_delay_alu instid0(VALU_DEP_1)
	v_fmac_f32_e32 v175, v135, v172
	ds_load_2addr_b32 v[132:133], v2 offset0:99 offset1:100
	ds_load_2addr_b32 v[134:135], v2 offset0:101 offset1:102
	s_waitcnt lgkmcnt(4)
	v_fmac_f32_e32 v175, v136, v173
	s_waitcnt vmcnt(7)
	s_delay_alu instid0(VALU_DEP_1) | instskip(SKIP_1) | instid1(VALU_DEP_1)
	v_fmac_f32_e32 v175, v137, v174
	s_waitcnt lgkmcnt(3)
	v_fmac_f32_e32 v175, v138, v3
	s_delay_alu instid0(VALU_DEP_1) | instskip(SKIP_4) | instid1(VALU_DEP_1)
	v_fmac_f32_e32 v175, v139, v4
	ds_load_2addr_b32 v[3:4], v2 offset0:103 offset1:104
	s_waitcnt lgkmcnt(3)
	v_fmac_f32_e32 v175, v140, v130
	s_waitcnt vmcnt(6)
	v_fmac_f32_e32 v175, v141, v131
	ds_load_2addr_b32 v[130:131], v2 offset0:105 offset1:106
	s_waitcnt lgkmcnt(3)
	v_fmac_f32_e32 v175, v142, v132
	s_delay_alu instid0(VALU_DEP_1) | instskip(SKIP_1) | instid1(VALU_DEP_1)
	v_fmac_f32_e32 v175, v143, v133
	s_waitcnt lgkmcnt(2)
	v_fmac_f32_e32 v175, v144, v134
	s_waitcnt vmcnt(5)
	s_delay_alu instid0(VALU_DEP_1) | instskip(SKIP_4) | instid1(VALU_DEP_1)
	v_fmac_f32_e32 v175, v145, v135
	ds_load_2addr_b32 v[132:133], v2 offset0:107 offset1:108
	ds_load_2addr_b32 v[134:135], v2 offset0:109 offset1:110
	s_waitcnt lgkmcnt(3)
	v_fmac_f32_e32 v175, v146, v3
	v_fmac_f32_e32 v175, v147, v4
	ds_load_2addr_b32 v[3:4], v2 offset0:111 offset1:112
	s_waitcnt lgkmcnt(3)
	v_fmac_f32_e32 v175, v148, v130
	s_waitcnt vmcnt(4)
	s_delay_alu instid0(VALU_DEP_1) | instskip(SKIP_3) | instid1(VALU_DEP_1)
	v_fmac_f32_e32 v175, v149, v131
	ds_load_2addr_b32 v[130:131], v2 offset0:113 offset1:114
	s_waitcnt lgkmcnt(3)
	v_fmac_f32_e32 v175, v150, v132
	v_fmac_f32_e32 v175, v151, v133
	s_waitcnt lgkmcnt(2)
	s_delay_alu instid0(VALU_DEP_1) | instskip(SKIP_1) | instid1(VALU_DEP_1)
	v_fmac_f32_e32 v175, v152, v134
	s_waitcnt vmcnt(3)
	v_fmac_f32_e32 v175, v153, v135
	ds_load_2addr_b32 v[132:133], v2 offset0:115 offset1:116
	ds_load_2addr_b32 v[134:135], v2 offset0:117 offset1:118
	s_waitcnt lgkmcnt(3)
	v_fmac_f32_e32 v175, v154, v3
	s_delay_alu instid0(VALU_DEP_1) | instskip(SKIP_4) | instid1(VALU_DEP_1)
	v_fmac_f32_e32 v175, v155, v4
	ds_load_2addr_b32 v[3:4], v2 offset0:119 offset1:120
	s_waitcnt lgkmcnt(3)
	v_fmac_f32_e32 v175, v156, v130
	s_waitcnt vmcnt(2)
	v_fmac_f32_e32 v175, v157, v131
	ds_load_2addr_b32 v[130:131], v2 offset0:121 offset1:122
	s_waitcnt lgkmcnt(3)
	v_fmac_f32_e32 v175, v158, v132
	s_delay_alu instid0(VALU_DEP_1) | instskip(SKIP_1) | instid1(VALU_DEP_1)
	v_fmac_f32_e32 v175, v159, v133
	s_waitcnt lgkmcnt(2)
	v_fmac_f32_e32 v175, v160, v134
	ds_load_2addr_b32 v[132:133], v2 offset0:123 offset1:124
	ds_load_b32 v134, v2 offset:500
	s_waitcnt vmcnt(1)
	v_fmac_f32_e32 v175, v161, v135
	s_waitcnt lgkmcnt(3)
	s_delay_alu instid0(VALU_DEP_1) | instskip(NEXT) | instid1(VALU_DEP_1)
	v_fmac_f32_e32 v175, v162, v3
	v_fmac_f32_e32 v175, v163, v4
	s_waitcnt lgkmcnt(2)
	s_delay_alu instid0(VALU_DEP_1) | instskip(SKIP_1) | instid1(VALU_DEP_1)
	v_fmac_f32_e32 v175, v164, v130
	s_waitcnt vmcnt(0)
	v_fmac_f32_e32 v175, v165, v131
	s_waitcnt lgkmcnt(1)
	s_delay_alu instid0(VALU_DEP_1) | instskip(NEXT) | instid1(VALU_DEP_1)
	v_fmac_f32_e32 v175, v166, v132
	v_fmac_f32_e32 v175, v167, v133
	s_waitcnt lgkmcnt(0)
	s_delay_alu instid0(VALU_DEP_1) | instskip(NEXT) | instid1(VALU_DEP_1)
	v_fmac_f32_e32 v175, v168, v134
	v_sub_f32_e32 v3, v129, v175
	scratch_store_b32 off, v3, off offset:88
	v_cmpx_lt_u32_e32 21, v0
	s_cbranch_execz .LBB125_337
; %bb.336:
	scratch_load_b32 v3, off, off offset:84
	scratch_store_b32 off, v2, off offset:84
	s_waitcnt vmcnt(0)
	ds_store_b32 v1, v3
.LBB125_337:
	s_or_b32 exec_lo, exec_lo, s0
	s_waitcnt lgkmcnt(0)
	s_waitcnt_vscnt null, 0x0
	s_barrier
	buffer_gl0_inv
	s_clause 0xa
	scratch_load_b128 v[129:132], off, off offset:84
	scratch_load_b128 v[133:136], off, off offset:100
	;; [unrolled: 1-line block ×10, first 2 shown]
	scratch_load_b32 v3, off, off offset:244
	ds_load_2addr_b64 v[169:172], v2 offset0:43 offset1:44
	ds_load_2addr_b64 v[173:176], v2 offset0:45 offset1:46
	s_mov_b32 s0, exec_lo
	s_waitcnt vmcnt(10) lgkmcnt(1)
	v_fma_f32 v4, v130, v169, 0
	s_delay_alu instid0(VALU_DEP_1) | instskip(NEXT) | instid1(VALU_DEP_1)
	v_fmac_f32_e32 v4, v131, v170
	v_fmac_f32_e32 v4, v132, v171
	s_waitcnt vmcnt(9)
	s_delay_alu instid0(VALU_DEP_1) | instskip(SKIP_3) | instid1(VALU_DEP_1)
	v_fmac_f32_e32 v4, v133, v172
	ds_load_2addr_b64 v[130:133], v2 offset0:47 offset1:48
	s_waitcnt lgkmcnt(1)
	v_fmac_f32_e32 v4, v134, v173
	v_fmac_f32_e32 v4, v135, v174
	s_delay_alu instid0(VALU_DEP_1) | instskip(SKIP_1) | instid1(VALU_DEP_1)
	v_fmac_f32_e32 v4, v136, v175
	s_waitcnt vmcnt(8)
	v_fmac_f32_e32 v4, v137, v176
	ds_load_2addr_b64 v[134:137], v2 offset0:49 offset1:50
	s_waitcnt lgkmcnt(1)
	v_fmac_f32_e32 v4, v138, v130
	s_delay_alu instid0(VALU_DEP_1) | instskip(NEXT) | instid1(VALU_DEP_1)
	v_fmac_f32_e32 v4, v139, v131
	v_fmac_f32_e32 v4, v140, v132
	s_waitcnt vmcnt(7)
	s_delay_alu instid0(VALU_DEP_1) | instskip(SKIP_3) | instid1(VALU_DEP_1)
	v_fmac_f32_e32 v4, v141, v133
	ds_load_2addr_b64 v[130:133], v2 offset0:51 offset1:52
	s_waitcnt lgkmcnt(1)
	v_fmac_f32_e32 v4, v142, v134
	v_fmac_f32_e32 v4, v143, v135
	s_delay_alu instid0(VALU_DEP_1) | instskip(SKIP_1) | instid1(VALU_DEP_1)
	v_fmac_f32_e32 v4, v144, v136
	s_waitcnt vmcnt(6)
	v_fmac_f32_e32 v4, v145, v137
	ds_load_2addr_b64 v[134:137], v2 offset0:53 offset1:54
	s_waitcnt lgkmcnt(1)
	v_fmac_f32_e32 v4, v146, v130
	;; [unrolled: 17-line block ×4, first 2 shown]
	s_delay_alu instid0(VALU_DEP_1) | instskip(NEXT) | instid1(VALU_DEP_1)
	v_fmac_f32_e32 v4, v163, v131
	v_fmac_f32_e32 v4, v164, v132
	s_waitcnt vmcnt(1)
	s_delay_alu instid0(VALU_DEP_1) | instskip(SKIP_1) | instid1(VALU_DEP_1)
	v_fmac_f32_e32 v4, v165, v133
	s_waitcnt lgkmcnt(0)
	v_fmac_f32_e32 v4, v166, v134
	s_delay_alu instid0(VALU_DEP_1) | instskip(NEXT) | instid1(VALU_DEP_1)
	v_fmac_f32_e32 v4, v167, v135
	v_fmac_f32_e32 v4, v168, v136
	s_waitcnt vmcnt(0)
	s_delay_alu instid0(VALU_DEP_1) | instskip(NEXT) | instid1(VALU_DEP_1)
	v_fmac_f32_e32 v4, v3, v137
	v_sub_f32_e32 v2, v129, v4
	scratch_store_b32 off, v2, off offset:84
	v_cmpx_lt_u32_e32 20, v0
	s_cbranch_execz .LBB125_339
; %bb.338:
	scratch_load_b32 v2, off, off offset:80
	v_mov_b32_e32 v3, 0
	scratch_store_b32 off, v3, off offset:80
	s_waitcnt vmcnt(0)
	ds_store_b32 v1, v2
.LBB125_339:
	s_or_b32 exec_lo, exec_lo, s0
	s_waitcnt lgkmcnt(0)
	s_waitcnt_vscnt null, 0x0
	s_barrier
	buffer_gl0_inv
	s_clause 0xa
	scratch_load_b128 v[129:132], off, off offset:80
	scratch_load_b128 v[133:136], off, off offset:96
	scratch_load_b128 v[137:140], off, off offset:112
	scratch_load_b128 v[141:144], off, off offset:128
	scratch_load_b128 v[145:148], off, off offset:144
	scratch_load_b128 v[149:152], off, off offset:160
	scratch_load_b128 v[153:156], off, off offset:176
	scratch_load_b128 v[157:160], off, off offset:192
	scratch_load_b128 v[161:164], off, off offset:208
	scratch_load_b128 v[165:168], off, off offset:224
	scratch_load_b64 v[3:4], off, off offset:240
	v_mov_b32_e32 v2, 0
	ds_load_2addr_b32 v[169:170], v2 offset0:85 offset1:86
	ds_load_2addr_b32 v[171:172], v2 offset0:87 offset1:88
	;; [unrolled: 1-line block ×4, first 2 shown]
	s_mov_b32 s0, exec_lo
	s_waitcnt vmcnt(10) lgkmcnt(3)
	v_fma_f32 v169, v130, v169, 0
	s_delay_alu instid0(VALU_DEP_1) | instskip(SKIP_4) | instid1(VALU_DEP_1)
	v_fmac_f32_e32 v169, v131, v170
	ds_load_2addr_b32 v[130:131], v2 offset0:93 offset1:94
	s_waitcnt lgkmcnt(3)
	v_fmac_f32_e32 v169, v132, v171
	s_waitcnt vmcnt(9)
	v_fmac_f32_e32 v169, v133, v172
	ds_load_2addr_b32 v[132:133], v2 offset0:95 offset1:96
	s_waitcnt lgkmcnt(3)
	v_fmac_f32_e32 v169, v134, v173
	s_delay_alu instid0(VALU_DEP_1) | instskip(SKIP_1) | instid1(VALU_DEP_1)
	v_fmac_f32_e32 v169, v135, v174
	s_waitcnt lgkmcnt(2)
	v_fmac_f32_e32 v169, v136, v175
	s_waitcnt vmcnt(8)
	s_delay_alu instid0(VALU_DEP_1) | instskip(SKIP_4) | instid1(VALU_DEP_1)
	v_fmac_f32_e32 v169, v137, v176
	ds_load_2addr_b32 v[134:135], v2 offset0:97 offset1:98
	ds_load_2addr_b32 v[136:137], v2 offset0:99 offset1:100
	s_waitcnt lgkmcnt(3)
	v_fmac_f32_e32 v169, v138, v130
	v_fmac_f32_e32 v169, v139, v131
	ds_load_2addr_b32 v[130:131], v2 offset0:101 offset1:102
	s_waitcnt lgkmcnt(3)
	v_fmac_f32_e32 v169, v140, v132
	s_waitcnt vmcnt(7)
	s_delay_alu instid0(VALU_DEP_1) | instskip(SKIP_3) | instid1(VALU_DEP_1)
	v_fmac_f32_e32 v169, v141, v133
	ds_load_2addr_b32 v[132:133], v2 offset0:103 offset1:104
	s_waitcnt lgkmcnt(3)
	v_fmac_f32_e32 v169, v142, v134
	v_fmac_f32_e32 v169, v143, v135
	s_waitcnt lgkmcnt(2)
	s_delay_alu instid0(VALU_DEP_1) | instskip(SKIP_1) | instid1(VALU_DEP_1)
	v_fmac_f32_e32 v169, v144, v136
	s_waitcnt vmcnt(6)
	v_fmac_f32_e32 v169, v145, v137
	ds_load_2addr_b32 v[134:135], v2 offset0:105 offset1:106
	ds_load_2addr_b32 v[136:137], v2 offset0:107 offset1:108
	s_waitcnt lgkmcnt(3)
	v_fmac_f32_e32 v169, v146, v130
	s_delay_alu instid0(VALU_DEP_1) | instskip(SKIP_4) | instid1(VALU_DEP_1)
	v_fmac_f32_e32 v169, v147, v131
	ds_load_2addr_b32 v[130:131], v2 offset0:109 offset1:110
	s_waitcnt lgkmcnt(3)
	v_fmac_f32_e32 v169, v148, v132
	s_waitcnt vmcnt(5)
	v_fmac_f32_e32 v169, v149, v133
	ds_load_2addr_b32 v[132:133], v2 offset0:111 offset1:112
	s_waitcnt lgkmcnt(3)
	v_fmac_f32_e32 v169, v150, v134
	s_delay_alu instid0(VALU_DEP_1) | instskip(SKIP_1) | instid1(VALU_DEP_1)
	v_fmac_f32_e32 v169, v151, v135
	s_waitcnt lgkmcnt(2)
	v_fmac_f32_e32 v169, v152, v136
	s_waitcnt vmcnt(4)
	s_delay_alu instid0(VALU_DEP_1) | instskip(SKIP_4) | instid1(VALU_DEP_1)
	v_fmac_f32_e32 v169, v153, v137
	ds_load_2addr_b32 v[134:135], v2 offset0:113 offset1:114
	ds_load_2addr_b32 v[136:137], v2 offset0:115 offset1:116
	s_waitcnt lgkmcnt(3)
	v_fmac_f32_e32 v169, v154, v130
	v_fmac_f32_e32 v169, v155, v131
	ds_load_2addr_b32 v[130:131], v2 offset0:117 offset1:118
	s_waitcnt lgkmcnt(3)
	v_fmac_f32_e32 v169, v156, v132
	s_waitcnt vmcnt(3)
	s_delay_alu instid0(VALU_DEP_1) | instskip(SKIP_3) | instid1(VALU_DEP_1)
	v_fmac_f32_e32 v169, v157, v133
	ds_load_2addr_b32 v[132:133], v2 offset0:119 offset1:120
	s_waitcnt lgkmcnt(3)
	v_fmac_f32_e32 v169, v158, v134
	v_fmac_f32_e32 v169, v159, v135
	s_waitcnt lgkmcnt(2)
	s_delay_alu instid0(VALU_DEP_1) | instskip(SKIP_1) | instid1(VALU_DEP_1)
	v_fmac_f32_e32 v169, v160, v136
	s_waitcnt vmcnt(2)
	v_fmac_f32_e32 v169, v161, v137
	ds_load_2addr_b32 v[134:135], v2 offset0:121 offset1:122
	ds_load_2addr_b32 v[136:137], v2 offset0:123 offset1:124
	s_waitcnt lgkmcnt(3)
	v_fmac_f32_e32 v169, v162, v130
	ds_load_b32 v130, v2 offset:500
	v_fmac_f32_e32 v169, v163, v131
	s_waitcnt lgkmcnt(3)
	s_delay_alu instid0(VALU_DEP_1) | instskip(SKIP_1) | instid1(VALU_DEP_1)
	v_fmac_f32_e32 v169, v164, v132
	s_waitcnt vmcnt(1)
	v_fmac_f32_e32 v169, v165, v133
	s_waitcnt lgkmcnt(2)
	s_delay_alu instid0(VALU_DEP_1) | instskip(NEXT) | instid1(VALU_DEP_1)
	v_fmac_f32_e32 v169, v166, v134
	v_fmac_f32_e32 v169, v167, v135
	s_waitcnt lgkmcnt(1)
	s_delay_alu instid0(VALU_DEP_1) | instskip(SKIP_1) | instid1(VALU_DEP_1)
	v_fmac_f32_e32 v169, v168, v136
	s_waitcnt vmcnt(0)
	v_fmac_f32_e32 v169, v3, v137
	s_waitcnt lgkmcnt(0)
	s_delay_alu instid0(VALU_DEP_1) | instskip(NEXT) | instid1(VALU_DEP_1)
	v_fmac_f32_e32 v169, v4, v130
	v_sub_f32_e32 v3, v129, v169
	scratch_store_b32 off, v3, off offset:80
	v_cmpx_lt_u32_e32 19, v0
	s_cbranch_execz .LBB125_341
; %bb.340:
	scratch_load_b32 v3, off, off offset:76
	scratch_store_b32 off, v2, off offset:76
	s_waitcnt vmcnt(0)
	ds_store_b32 v1, v3
.LBB125_341:
	s_or_b32 exec_lo, exec_lo, s0
	s_waitcnt lgkmcnt(0)
	s_waitcnt_vscnt null, 0x0
	s_barrier
	buffer_gl0_inv
	s_clause 0xa
	scratch_load_b128 v[129:132], off, off offset:76
	scratch_load_b128 v[133:136], off, off offset:92
	;; [unrolled: 1-line block ×10, first 2 shown]
	scratch_load_b96 v[177:179], off, off offset:236
	ds_load_b128 v[169:172], v2 offset:336
	ds_load_b128 v[173:176], v2 offset:352
	s_mov_b32 s0, exec_lo
	s_waitcnt vmcnt(10) lgkmcnt(1)
	v_fma_f32 v4, v130, v169, 0
	s_delay_alu instid0(VALU_DEP_1) | instskip(NEXT) | instid1(VALU_DEP_1)
	v_fmac_f32_e32 v4, v131, v170
	v_fmac_f32_e32 v4, v132, v171
	s_waitcnt vmcnt(9)
	s_delay_alu instid0(VALU_DEP_1) | instskip(SKIP_3) | instid1(VALU_DEP_1)
	v_fmac_f32_e32 v4, v133, v172
	ds_load_b128 v[130:133], v2 offset:368
	s_waitcnt lgkmcnt(1)
	v_fmac_f32_e32 v4, v134, v173
	v_fmac_f32_e32 v4, v135, v174
	s_delay_alu instid0(VALU_DEP_1) | instskip(SKIP_1) | instid1(VALU_DEP_1)
	v_fmac_f32_e32 v4, v136, v175
	s_waitcnt vmcnt(8)
	v_fmac_f32_e32 v4, v137, v176
	ds_load_b128 v[134:137], v2 offset:384
	s_waitcnt lgkmcnt(1)
	v_fmac_f32_e32 v4, v138, v130
	s_delay_alu instid0(VALU_DEP_1) | instskip(NEXT) | instid1(VALU_DEP_1)
	v_fmac_f32_e32 v4, v139, v131
	v_fmac_f32_e32 v4, v140, v132
	s_waitcnt vmcnt(7)
	s_delay_alu instid0(VALU_DEP_1) | instskip(SKIP_3) | instid1(VALU_DEP_1)
	v_fmac_f32_e32 v4, v141, v133
	ds_load_b128 v[130:133], v2 offset:400
	s_waitcnt lgkmcnt(1)
	v_fmac_f32_e32 v4, v142, v134
	v_fmac_f32_e32 v4, v143, v135
	s_delay_alu instid0(VALU_DEP_1) | instskip(SKIP_1) | instid1(VALU_DEP_1)
	v_fmac_f32_e32 v4, v144, v136
	s_waitcnt vmcnt(6)
	v_fmac_f32_e32 v4, v145, v137
	ds_load_b128 v[134:137], v2 offset:416
	s_waitcnt lgkmcnt(1)
	v_fmac_f32_e32 v4, v146, v130
	;; [unrolled: 17-line block ×3, first 2 shown]
	s_delay_alu instid0(VALU_DEP_1) | instskip(NEXT) | instid1(VALU_DEP_1)
	v_fmac_f32_e32 v4, v155, v131
	v_fmac_f32_e32 v4, v156, v132
	s_waitcnt vmcnt(3)
	s_delay_alu instid0(VALU_DEP_1) | instskip(SKIP_3) | instid1(VALU_DEP_1)
	v_fmac_f32_e32 v4, v157, v133
	ds_load_b128 v[130:133], v2 offset:464
	s_waitcnt lgkmcnt(1)
	v_fmac_f32_e32 v4, v158, v134
	v_fmac_f32_e32 v4, v159, v135
	s_delay_alu instid0(VALU_DEP_1) | instskip(SKIP_1) | instid1(VALU_DEP_1)
	v_fmac_f32_e32 v4, v160, v136
	s_waitcnt vmcnt(2)
	v_fmac_f32_e32 v4, v161, v137
	ds_load_b128 v[134:137], v2 offset:480
	ds_load_b64 v[2:3], v2 offset:496
	s_waitcnt lgkmcnt(2)
	v_fmac_f32_e32 v4, v162, v130
	s_delay_alu instid0(VALU_DEP_1) | instskip(NEXT) | instid1(VALU_DEP_1)
	v_fmac_f32_e32 v4, v163, v131
	v_fmac_f32_e32 v4, v164, v132
	s_waitcnt vmcnt(1)
	s_delay_alu instid0(VALU_DEP_1) | instskip(SKIP_1) | instid1(VALU_DEP_1)
	v_fmac_f32_e32 v4, v165, v133
	s_waitcnt lgkmcnt(1)
	v_fmac_f32_e32 v4, v166, v134
	s_delay_alu instid0(VALU_DEP_1) | instskip(NEXT) | instid1(VALU_DEP_1)
	v_fmac_f32_e32 v4, v167, v135
	v_fmac_f32_e32 v4, v168, v136
	s_waitcnt vmcnt(0)
	s_delay_alu instid0(VALU_DEP_1) | instskip(SKIP_1) | instid1(VALU_DEP_1)
	v_fmac_f32_e32 v4, v177, v137
	s_waitcnt lgkmcnt(0)
	v_fmac_f32_e32 v4, v178, v2
	s_delay_alu instid0(VALU_DEP_1) | instskip(NEXT) | instid1(VALU_DEP_1)
	v_fmac_f32_e32 v4, v179, v3
	v_sub_f32_e32 v2, v129, v4
	scratch_store_b32 off, v2, off offset:76
	v_cmpx_lt_u32_e32 18, v0
	s_cbranch_execz .LBB125_343
; %bb.342:
	scratch_load_b32 v2, off, off offset:72
	v_mov_b32_e32 v3, 0
	scratch_store_b32 off, v3, off offset:72
	s_waitcnt vmcnt(0)
	ds_store_b32 v1, v2
.LBB125_343:
	s_or_b32 exec_lo, exec_lo, s0
	s_waitcnt lgkmcnt(0)
	s_waitcnt_vscnt null, 0x0
	s_barrier
	buffer_gl0_inv
	s_clause 0xa
	scratch_load_b128 v[129:132], off, off offset:72
	scratch_load_b128 v[133:136], off, off offset:88
	scratch_load_b128 v[137:140], off, off offset:104
	scratch_load_b128 v[141:144], off, off offset:120
	scratch_load_b128 v[145:148], off, off offset:136
	scratch_load_b128 v[149:152], off, off offset:152
	scratch_load_b128 v[153:156], off, off offset:168
	scratch_load_b128 v[157:160], off, off offset:184
	scratch_load_b128 v[161:164], off, off offset:200
	scratch_load_b128 v[165:168], off, off offset:216
	scratch_load_b128 v[169:172], off, off offset:232
	v_mov_b32_e32 v2, 0
	ds_load_2addr_b32 v[3:4], v2 offset0:83 offset1:84
	ds_load_2addr_b32 v[173:174], v2 offset0:85 offset1:86
	;; [unrolled: 1-line block ×4, first 2 shown]
	s_mov_b32 s0, exec_lo
	s_waitcnt vmcnt(10) lgkmcnt(3)
	v_fma_f32 v179, v130, v3, 0
	s_delay_alu instid0(VALU_DEP_1)
	v_fmac_f32_e32 v179, v131, v4
	ds_load_2addr_b32 v[3:4], v2 offset0:91 offset1:92
	ds_load_2addr_b32 v[130:131], v2 offset0:93 offset1:94
	s_waitcnt lgkmcnt(4)
	v_fmac_f32_e32 v179, v132, v173
	s_waitcnt vmcnt(9)
	s_delay_alu instid0(VALU_DEP_1) | instskip(SKIP_1) | instid1(VALU_DEP_1)
	v_fmac_f32_e32 v179, v133, v174
	s_waitcnt lgkmcnt(3)
	v_fmac_f32_e32 v179, v134, v175
	s_delay_alu instid0(VALU_DEP_1)
	v_fmac_f32_e32 v179, v135, v176
	ds_load_2addr_b32 v[132:133], v2 offset0:95 offset1:96
	ds_load_2addr_b32 v[134:135], v2 offset0:97 offset1:98
	s_waitcnt lgkmcnt(4)
	v_fmac_f32_e32 v179, v136, v177
	s_waitcnt vmcnt(8)
	s_delay_alu instid0(VALU_DEP_1) | instskip(SKIP_1) | instid1(VALU_DEP_1)
	v_fmac_f32_e32 v179, v137, v178
	s_waitcnt lgkmcnt(3)
	v_fmac_f32_e32 v179, v138, v3
	s_delay_alu instid0(VALU_DEP_1) | instskip(SKIP_4) | instid1(VALU_DEP_1)
	v_fmac_f32_e32 v179, v139, v4
	ds_load_2addr_b32 v[3:4], v2 offset0:99 offset1:100
	s_waitcnt lgkmcnt(3)
	v_fmac_f32_e32 v179, v140, v130
	s_waitcnt vmcnt(7)
	v_fmac_f32_e32 v179, v141, v131
	ds_load_2addr_b32 v[130:131], v2 offset0:101 offset1:102
	s_waitcnt lgkmcnt(3)
	v_fmac_f32_e32 v179, v142, v132
	s_delay_alu instid0(VALU_DEP_1) | instskip(SKIP_1) | instid1(VALU_DEP_1)
	v_fmac_f32_e32 v179, v143, v133
	s_waitcnt lgkmcnt(2)
	v_fmac_f32_e32 v179, v144, v134
	s_waitcnt vmcnt(6)
	s_delay_alu instid0(VALU_DEP_1) | instskip(SKIP_4) | instid1(VALU_DEP_1)
	v_fmac_f32_e32 v179, v145, v135
	ds_load_2addr_b32 v[132:133], v2 offset0:103 offset1:104
	ds_load_2addr_b32 v[134:135], v2 offset0:105 offset1:106
	s_waitcnt lgkmcnt(3)
	v_fmac_f32_e32 v179, v146, v3
	v_fmac_f32_e32 v179, v147, v4
	ds_load_2addr_b32 v[3:4], v2 offset0:107 offset1:108
	s_waitcnt lgkmcnt(3)
	v_fmac_f32_e32 v179, v148, v130
	s_waitcnt vmcnt(5)
	s_delay_alu instid0(VALU_DEP_1) | instskip(SKIP_3) | instid1(VALU_DEP_1)
	v_fmac_f32_e32 v179, v149, v131
	ds_load_2addr_b32 v[130:131], v2 offset0:109 offset1:110
	s_waitcnt lgkmcnt(3)
	v_fmac_f32_e32 v179, v150, v132
	v_fmac_f32_e32 v179, v151, v133
	s_waitcnt lgkmcnt(2)
	s_delay_alu instid0(VALU_DEP_1) | instskip(SKIP_1) | instid1(VALU_DEP_1)
	v_fmac_f32_e32 v179, v152, v134
	s_waitcnt vmcnt(4)
	v_fmac_f32_e32 v179, v153, v135
	ds_load_2addr_b32 v[132:133], v2 offset0:111 offset1:112
	ds_load_2addr_b32 v[134:135], v2 offset0:113 offset1:114
	s_waitcnt lgkmcnt(3)
	v_fmac_f32_e32 v179, v154, v3
	s_delay_alu instid0(VALU_DEP_1) | instskip(SKIP_4) | instid1(VALU_DEP_1)
	v_fmac_f32_e32 v179, v155, v4
	ds_load_2addr_b32 v[3:4], v2 offset0:115 offset1:116
	s_waitcnt lgkmcnt(3)
	v_fmac_f32_e32 v179, v156, v130
	s_waitcnt vmcnt(3)
	v_fmac_f32_e32 v179, v157, v131
	ds_load_2addr_b32 v[130:131], v2 offset0:117 offset1:118
	s_waitcnt lgkmcnt(3)
	v_fmac_f32_e32 v179, v158, v132
	s_delay_alu instid0(VALU_DEP_1) | instskip(SKIP_1) | instid1(VALU_DEP_1)
	v_fmac_f32_e32 v179, v159, v133
	s_waitcnt lgkmcnt(2)
	v_fmac_f32_e32 v179, v160, v134
	s_waitcnt vmcnt(2)
	s_delay_alu instid0(VALU_DEP_1) | instskip(SKIP_4) | instid1(VALU_DEP_1)
	v_fmac_f32_e32 v179, v161, v135
	ds_load_2addr_b32 v[132:133], v2 offset0:119 offset1:120
	ds_load_2addr_b32 v[134:135], v2 offset0:121 offset1:122
	s_waitcnt lgkmcnt(3)
	v_fmac_f32_e32 v179, v162, v3
	v_fmac_f32_e32 v179, v163, v4
	ds_load_2addr_b32 v[3:4], v2 offset0:123 offset1:124
	s_waitcnt lgkmcnt(3)
	v_fmac_f32_e32 v179, v164, v130
	ds_load_b32 v130, v2 offset:500
	s_waitcnt vmcnt(1)
	v_fmac_f32_e32 v179, v165, v131
	s_waitcnt lgkmcnt(3)
	s_delay_alu instid0(VALU_DEP_1) | instskip(NEXT) | instid1(VALU_DEP_1)
	v_fmac_f32_e32 v179, v166, v132
	v_fmac_f32_e32 v179, v167, v133
	s_waitcnt lgkmcnt(2)
	s_delay_alu instid0(VALU_DEP_1) | instskip(SKIP_1) | instid1(VALU_DEP_1)
	v_fmac_f32_e32 v179, v168, v134
	s_waitcnt vmcnt(0)
	v_fmac_f32_e32 v179, v169, v135
	s_waitcnt lgkmcnt(1)
	s_delay_alu instid0(VALU_DEP_1) | instskip(NEXT) | instid1(VALU_DEP_1)
	v_fmac_f32_e32 v179, v170, v3
	v_fmac_f32_e32 v179, v171, v4
	s_waitcnt lgkmcnt(0)
	s_delay_alu instid0(VALU_DEP_1) | instskip(NEXT) | instid1(VALU_DEP_1)
	v_fmac_f32_e32 v179, v172, v130
	v_sub_f32_e32 v3, v129, v179
	scratch_store_b32 off, v3, off offset:72
	v_cmpx_lt_u32_e32 17, v0
	s_cbranch_execz .LBB125_345
; %bb.344:
	scratch_load_b32 v3, off, off offset:68
	scratch_store_b32 off, v2, off offset:68
	s_waitcnt vmcnt(0)
	ds_store_b32 v1, v3
.LBB125_345:
	s_or_b32 exec_lo, exec_lo, s0
	s_waitcnt lgkmcnt(0)
	s_waitcnt_vscnt null, 0x0
	s_barrier
	buffer_gl0_inv
	s_clause 0xb
	scratch_load_b128 v[129:132], off, off offset:68
	scratch_load_b128 v[133:136], off, off offset:84
	;; [unrolled: 1-line block ×11, first 2 shown]
	scratch_load_b32 v3, off, off offset:244
	ds_load_2addr_b64 v[173:176], v2 offset0:41 offset1:42
	ds_load_2addr_b64 v[177:180], v2 offset0:43 offset1:44
	s_mov_b32 s0, exec_lo
	s_waitcnt vmcnt(11) lgkmcnt(1)
	v_fma_f32 v4, v130, v173, 0
	s_delay_alu instid0(VALU_DEP_1) | instskip(NEXT) | instid1(VALU_DEP_1)
	v_fmac_f32_e32 v4, v131, v174
	v_fmac_f32_e32 v4, v132, v175
	s_waitcnt vmcnt(10)
	s_delay_alu instid0(VALU_DEP_1) | instskip(SKIP_3) | instid1(VALU_DEP_1)
	v_fmac_f32_e32 v4, v133, v176
	ds_load_2addr_b64 v[130:133], v2 offset0:45 offset1:46
	s_waitcnt lgkmcnt(1)
	v_fmac_f32_e32 v4, v134, v177
	v_fmac_f32_e32 v4, v135, v178
	s_delay_alu instid0(VALU_DEP_1) | instskip(SKIP_1) | instid1(VALU_DEP_1)
	v_fmac_f32_e32 v4, v136, v179
	s_waitcnt vmcnt(9)
	v_fmac_f32_e32 v4, v137, v180
	ds_load_2addr_b64 v[134:137], v2 offset0:47 offset1:48
	s_waitcnt lgkmcnt(1)
	v_fmac_f32_e32 v4, v138, v130
	s_delay_alu instid0(VALU_DEP_1) | instskip(NEXT) | instid1(VALU_DEP_1)
	v_fmac_f32_e32 v4, v139, v131
	v_fmac_f32_e32 v4, v140, v132
	s_waitcnt vmcnt(8)
	s_delay_alu instid0(VALU_DEP_1) | instskip(SKIP_3) | instid1(VALU_DEP_1)
	v_fmac_f32_e32 v4, v141, v133
	ds_load_2addr_b64 v[130:133], v2 offset0:49 offset1:50
	s_waitcnt lgkmcnt(1)
	v_fmac_f32_e32 v4, v142, v134
	v_fmac_f32_e32 v4, v143, v135
	s_delay_alu instid0(VALU_DEP_1) | instskip(SKIP_1) | instid1(VALU_DEP_1)
	v_fmac_f32_e32 v4, v144, v136
	s_waitcnt vmcnt(7)
	v_fmac_f32_e32 v4, v145, v137
	ds_load_2addr_b64 v[134:137], v2 offset0:51 offset1:52
	s_waitcnt lgkmcnt(1)
	v_fmac_f32_e32 v4, v146, v130
	;; [unrolled: 17-line block ×4, first 2 shown]
	s_delay_alu instid0(VALU_DEP_1) | instskip(NEXT) | instid1(VALU_DEP_1)
	v_fmac_f32_e32 v4, v163, v131
	v_fmac_f32_e32 v4, v164, v132
	s_waitcnt vmcnt(2)
	s_delay_alu instid0(VALU_DEP_1) | instskip(SKIP_3) | instid1(VALU_DEP_1)
	v_fmac_f32_e32 v4, v165, v133
	ds_load_2addr_b64 v[130:133], v2 offset0:61 offset1:62
	s_waitcnt lgkmcnt(1)
	v_fmac_f32_e32 v4, v166, v134
	v_fmac_f32_e32 v4, v167, v135
	s_delay_alu instid0(VALU_DEP_1) | instskip(SKIP_1) | instid1(VALU_DEP_1)
	v_fmac_f32_e32 v4, v168, v136
	s_waitcnt vmcnt(1)
	v_fmac_f32_e32 v4, v169, v137
	s_waitcnt lgkmcnt(0)
	s_delay_alu instid0(VALU_DEP_1) | instskip(NEXT) | instid1(VALU_DEP_1)
	v_fmac_f32_e32 v4, v170, v130
	v_fmac_f32_e32 v4, v171, v131
	s_delay_alu instid0(VALU_DEP_1) | instskip(SKIP_1) | instid1(VALU_DEP_1)
	v_fmac_f32_e32 v4, v172, v132
	s_waitcnt vmcnt(0)
	v_fmac_f32_e32 v4, v3, v133
	s_delay_alu instid0(VALU_DEP_1)
	v_sub_f32_e32 v2, v129, v4
	scratch_store_b32 off, v2, off offset:68
	v_cmpx_lt_u32_e32 16, v0
	s_cbranch_execz .LBB125_347
; %bb.346:
	scratch_load_b32 v2, off, off offset:64
	v_mov_b32_e32 v3, 0
	scratch_store_b32 off, v3, off offset:64
	s_waitcnt vmcnt(0)
	ds_store_b32 v1, v2
.LBB125_347:
	s_or_b32 exec_lo, exec_lo, s0
	s_waitcnt lgkmcnt(0)
	s_waitcnt_vscnt null, 0x0
	s_barrier
	buffer_gl0_inv
	s_clause 0xb
	scratch_load_b128 v[129:132], off, off offset:64
	scratch_load_b128 v[133:136], off, off offset:80
	;; [unrolled: 1-line block ×11, first 2 shown]
	scratch_load_b64 v[3:4], off, off offset:240
	v_mov_b32_e32 v2, 0
	ds_load_2addr_b32 v[173:174], v2 offset0:81 offset1:82
	ds_load_2addr_b32 v[175:176], v2 offset0:83 offset1:84
	;; [unrolled: 1-line block ×4, first 2 shown]
	s_mov_b32 s0, exec_lo
	s_waitcnt vmcnt(11) lgkmcnt(3)
	v_fma_f32 v173, v130, v173, 0
	s_delay_alu instid0(VALU_DEP_1) | instskip(SKIP_4) | instid1(VALU_DEP_1)
	v_fmac_f32_e32 v173, v131, v174
	ds_load_2addr_b32 v[130:131], v2 offset0:89 offset1:90
	s_waitcnt lgkmcnt(3)
	v_fmac_f32_e32 v173, v132, v175
	s_waitcnt vmcnt(10)
	v_fmac_f32_e32 v173, v133, v176
	ds_load_2addr_b32 v[132:133], v2 offset0:91 offset1:92
	s_waitcnt lgkmcnt(3)
	v_fmac_f32_e32 v173, v134, v177
	s_delay_alu instid0(VALU_DEP_1) | instskip(SKIP_1) | instid1(VALU_DEP_1)
	v_fmac_f32_e32 v173, v135, v178
	s_waitcnt lgkmcnt(2)
	v_fmac_f32_e32 v173, v136, v179
	s_waitcnt vmcnt(9)
	s_delay_alu instid0(VALU_DEP_1) | instskip(SKIP_4) | instid1(VALU_DEP_1)
	v_fmac_f32_e32 v173, v137, v180
	ds_load_2addr_b32 v[134:135], v2 offset0:93 offset1:94
	ds_load_2addr_b32 v[136:137], v2 offset0:95 offset1:96
	s_waitcnt lgkmcnt(3)
	v_fmac_f32_e32 v173, v138, v130
	v_fmac_f32_e32 v173, v139, v131
	ds_load_2addr_b32 v[130:131], v2 offset0:97 offset1:98
	s_waitcnt lgkmcnt(3)
	v_fmac_f32_e32 v173, v140, v132
	s_waitcnt vmcnt(8)
	s_delay_alu instid0(VALU_DEP_1) | instskip(SKIP_3) | instid1(VALU_DEP_1)
	v_fmac_f32_e32 v173, v141, v133
	ds_load_2addr_b32 v[132:133], v2 offset0:99 offset1:100
	s_waitcnt lgkmcnt(3)
	v_fmac_f32_e32 v173, v142, v134
	v_fmac_f32_e32 v173, v143, v135
	s_waitcnt lgkmcnt(2)
	s_delay_alu instid0(VALU_DEP_1) | instskip(SKIP_1) | instid1(VALU_DEP_1)
	v_fmac_f32_e32 v173, v144, v136
	s_waitcnt vmcnt(7)
	v_fmac_f32_e32 v173, v145, v137
	ds_load_2addr_b32 v[134:135], v2 offset0:101 offset1:102
	ds_load_2addr_b32 v[136:137], v2 offset0:103 offset1:104
	s_waitcnt lgkmcnt(3)
	v_fmac_f32_e32 v173, v146, v130
	s_delay_alu instid0(VALU_DEP_1) | instskip(SKIP_4) | instid1(VALU_DEP_1)
	v_fmac_f32_e32 v173, v147, v131
	ds_load_2addr_b32 v[130:131], v2 offset0:105 offset1:106
	s_waitcnt lgkmcnt(3)
	v_fmac_f32_e32 v173, v148, v132
	s_waitcnt vmcnt(6)
	v_fmac_f32_e32 v173, v149, v133
	ds_load_2addr_b32 v[132:133], v2 offset0:107 offset1:108
	s_waitcnt lgkmcnt(3)
	v_fmac_f32_e32 v173, v150, v134
	s_delay_alu instid0(VALU_DEP_1) | instskip(SKIP_1) | instid1(VALU_DEP_1)
	v_fmac_f32_e32 v173, v151, v135
	s_waitcnt lgkmcnt(2)
	v_fmac_f32_e32 v173, v152, v136
	s_waitcnt vmcnt(5)
	s_delay_alu instid0(VALU_DEP_1) | instskip(SKIP_4) | instid1(VALU_DEP_1)
	v_fmac_f32_e32 v173, v153, v137
	ds_load_2addr_b32 v[134:135], v2 offset0:109 offset1:110
	ds_load_2addr_b32 v[136:137], v2 offset0:111 offset1:112
	s_waitcnt lgkmcnt(3)
	v_fmac_f32_e32 v173, v154, v130
	v_fmac_f32_e32 v173, v155, v131
	ds_load_2addr_b32 v[130:131], v2 offset0:113 offset1:114
	s_waitcnt lgkmcnt(3)
	v_fmac_f32_e32 v173, v156, v132
	s_waitcnt vmcnt(4)
	s_delay_alu instid0(VALU_DEP_1) | instskip(SKIP_3) | instid1(VALU_DEP_1)
	v_fmac_f32_e32 v173, v157, v133
	ds_load_2addr_b32 v[132:133], v2 offset0:115 offset1:116
	s_waitcnt lgkmcnt(3)
	v_fmac_f32_e32 v173, v158, v134
	v_fmac_f32_e32 v173, v159, v135
	s_waitcnt lgkmcnt(2)
	s_delay_alu instid0(VALU_DEP_1) | instskip(SKIP_1) | instid1(VALU_DEP_1)
	v_fmac_f32_e32 v173, v160, v136
	s_waitcnt vmcnt(3)
	v_fmac_f32_e32 v173, v161, v137
	ds_load_2addr_b32 v[134:135], v2 offset0:117 offset1:118
	ds_load_2addr_b32 v[136:137], v2 offset0:119 offset1:120
	s_waitcnt lgkmcnt(3)
	v_fmac_f32_e32 v173, v162, v130
	s_delay_alu instid0(VALU_DEP_1) | instskip(SKIP_4) | instid1(VALU_DEP_1)
	v_fmac_f32_e32 v173, v163, v131
	ds_load_2addr_b32 v[130:131], v2 offset0:121 offset1:122
	s_waitcnt lgkmcnt(3)
	v_fmac_f32_e32 v173, v164, v132
	s_waitcnt vmcnt(2)
	v_fmac_f32_e32 v173, v165, v133
	ds_load_2addr_b32 v[132:133], v2 offset0:123 offset1:124
	s_waitcnt lgkmcnt(3)
	v_fmac_f32_e32 v173, v166, v134
	ds_load_b32 v134, v2 offset:500
	v_fmac_f32_e32 v173, v167, v135
	s_waitcnt lgkmcnt(3)
	s_delay_alu instid0(VALU_DEP_1) | instskip(SKIP_1) | instid1(VALU_DEP_1)
	v_fmac_f32_e32 v173, v168, v136
	s_waitcnt vmcnt(1)
	v_fmac_f32_e32 v173, v169, v137
	s_waitcnt lgkmcnt(2)
	s_delay_alu instid0(VALU_DEP_1) | instskip(NEXT) | instid1(VALU_DEP_1)
	v_fmac_f32_e32 v173, v170, v130
	v_fmac_f32_e32 v173, v171, v131
	s_waitcnt lgkmcnt(1)
	s_delay_alu instid0(VALU_DEP_1) | instskip(SKIP_1) | instid1(VALU_DEP_1)
	v_fmac_f32_e32 v173, v172, v132
	s_waitcnt vmcnt(0)
	v_fmac_f32_e32 v173, v3, v133
	s_waitcnt lgkmcnt(0)
	s_delay_alu instid0(VALU_DEP_1) | instskip(NEXT) | instid1(VALU_DEP_1)
	v_fmac_f32_e32 v173, v4, v134
	v_sub_f32_e32 v3, v129, v173
	scratch_store_b32 off, v3, off offset:64
	v_cmpx_lt_u32_e32 15, v0
	s_cbranch_execz .LBB125_349
; %bb.348:
	scratch_load_b32 v3, off, off offset:60
	scratch_store_b32 off, v2, off offset:60
	s_waitcnt vmcnt(0)
	ds_store_b32 v1, v3
.LBB125_349:
	s_or_b32 exec_lo, exec_lo, s0
	s_waitcnt lgkmcnt(0)
	s_waitcnt_vscnt null, 0x0
	s_barrier
	buffer_gl0_inv
	s_clause 0xb
	scratch_load_b128 v[129:132], off, off offset:60
	scratch_load_b128 v[133:136], off, off offset:76
	;; [unrolled: 1-line block ×11, first 2 shown]
	scratch_load_b96 v[181:183], off, off offset:236
	ds_load_b128 v[173:176], v2 offset:320
	ds_load_b128 v[177:180], v2 offset:336
	s_mov_b32 s0, exec_lo
	s_waitcnt vmcnt(11) lgkmcnt(1)
	v_fma_f32 v4, v130, v173, 0
	s_delay_alu instid0(VALU_DEP_1) | instskip(NEXT) | instid1(VALU_DEP_1)
	v_fmac_f32_e32 v4, v131, v174
	v_fmac_f32_e32 v4, v132, v175
	s_waitcnt vmcnt(10)
	s_delay_alu instid0(VALU_DEP_1) | instskip(SKIP_3) | instid1(VALU_DEP_1)
	v_fmac_f32_e32 v4, v133, v176
	ds_load_b128 v[130:133], v2 offset:352
	s_waitcnt lgkmcnt(1)
	v_fmac_f32_e32 v4, v134, v177
	v_fmac_f32_e32 v4, v135, v178
	s_delay_alu instid0(VALU_DEP_1) | instskip(SKIP_1) | instid1(VALU_DEP_1)
	v_fmac_f32_e32 v4, v136, v179
	s_waitcnt vmcnt(9)
	v_fmac_f32_e32 v4, v137, v180
	ds_load_b128 v[134:137], v2 offset:368
	s_waitcnt lgkmcnt(1)
	v_fmac_f32_e32 v4, v138, v130
	s_delay_alu instid0(VALU_DEP_1) | instskip(NEXT) | instid1(VALU_DEP_1)
	v_fmac_f32_e32 v4, v139, v131
	v_fmac_f32_e32 v4, v140, v132
	s_waitcnt vmcnt(8)
	s_delay_alu instid0(VALU_DEP_1) | instskip(SKIP_3) | instid1(VALU_DEP_1)
	v_fmac_f32_e32 v4, v141, v133
	ds_load_b128 v[130:133], v2 offset:384
	s_waitcnt lgkmcnt(1)
	v_fmac_f32_e32 v4, v142, v134
	v_fmac_f32_e32 v4, v143, v135
	s_delay_alu instid0(VALU_DEP_1) | instskip(SKIP_1) | instid1(VALU_DEP_1)
	v_fmac_f32_e32 v4, v144, v136
	s_waitcnt vmcnt(7)
	v_fmac_f32_e32 v4, v145, v137
	ds_load_b128 v[134:137], v2 offset:400
	s_waitcnt lgkmcnt(1)
	v_fmac_f32_e32 v4, v146, v130
	;; [unrolled: 17-line block ×4, first 2 shown]
	s_delay_alu instid0(VALU_DEP_1) | instskip(NEXT) | instid1(VALU_DEP_1)
	v_fmac_f32_e32 v4, v163, v131
	v_fmac_f32_e32 v4, v164, v132
	s_waitcnt vmcnt(2)
	s_delay_alu instid0(VALU_DEP_1) | instskip(SKIP_4) | instid1(VALU_DEP_1)
	v_fmac_f32_e32 v4, v165, v133
	ds_load_b128 v[130:133], v2 offset:480
	ds_load_b64 v[2:3], v2 offset:496
	s_waitcnt lgkmcnt(2)
	v_fmac_f32_e32 v4, v166, v134
	v_fmac_f32_e32 v4, v167, v135
	s_delay_alu instid0(VALU_DEP_1) | instskip(SKIP_1) | instid1(VALU_DEP_1)
	v_fmac_f32_e32 v4, v168, v136
	s_waitcnt vmcnt(1)
	v_fmac_f32_e32 v4, v169, v137
	s_waitcnt lgkmcnt(1)
	s_delay_alu instid0(VALU_DEP_1) | instskip(NEXT) | instid1(VALU_DEP_1)
	v_fmac_f32_e32 v4, v170, v130
	v_fmac_f32_e32 v4, v171, v131
	s_delay_alu instid0(VALU_DEP_1) | instskip(SKIP_1) | instid1(VALU_DEP_1)
	v_fmac_f32_e32 v4, v172, v132
	s_waitcnt vmcnt(0)
	v_fmac_f32_e32 v4, v181, v133
	s_waitcnt lgkmcnt(0)
	s_delay_alu instid0(VALU_DEP_1) | instskip(NEXT) | instid1(VALU_DEP_1)
	v_fmac_f32_e32 v4, v182, v2
	v_fmac_f32_e32 v4, v183, v3
	s_delay_alu instid0(VALU_DEP_1)
	v_sub_f32_e32 v2, v129, v4
	scratch_store_b32 off, v2, off offset:60
	v_cmpx_lt_u32_e32 14, v0
	s_cbranch_execz .LBB125_351
; %bb.350:
	scratch_load_b32 v2, off, off offset:56
	v_mov_b32_e32 v3, 0
	scratch_store_b32 off, v3, off offset:56
	s_waitcnt vmcnt(0)
	ds_store_b32 v1, v2
.LBB125_351:
	s_or_b32 exec_lo, exec_lo, s0
	s_waitcnt lgkmcnt(0)
	s_waitcnt_vscnt null, 0x0
	s_barrier
	buffer_gl0_inv
	s_clause 0xb
	scratch_load_b128 v[129:132], off, off offset:56
	scratch_load_b128 v[133:136], off, off offset:72
	;; [unrolled: 1-line block ×12, first 2 shown]
	v_mov_b32_e32 v2, 0
	ds_load_2addr_b32 v[3:4], v2 offset0:79 offset1:80
	ds_load_2addr_b32 v[177:178], v2 offset0:81 offset1:82
	;; [unrolled: 1-line block ×4, first 2 shown]
	s_mov_b32 s0, exec_lo
	s_waitcnt vmcnt(11) lgkmcnt(3)
	v_fma_f32 v183, v130, v3, 0
	s_delay_alu instid0(VALU_DEP_1)
	v_fmac_f32_e32 v183, v131, v4
	ds_load_2addr_b32 v[3:4], v2 offset0:87 offset1:88
	ds_load_2addr_b32 v[130:131], v2 offset0:89 offset1:90
	s_waitcnt lgkmcnt(4)
	v_fmac_f32_e32 v183, v132, v177
	s_waitcnt vmcnt(10)
	s_delay_alu instid0(VALU_DEP_1) | instskip(SKIP_1) | instid1(VALU_DEP_1)
	v_fmac_f32_e32 v183, v133, v178
	s_waitcnt lgkmcnt(3)
	v_fmac_f32_e32 v183, v134, v179
	s_delay_alu instid0(VALU_DEP_1)
	v_fmac_f32_e32 v183, v135, v180
	ds_load_2addr_b32 v[132:133], v2 offset0:91 offset1:92
	ds_load_2addr_b32 v[134:135], v2 offset0:93 offset1:94
	s_waitcnt lgkmcnt(4)
	v_fmac_f32_e32 v183, v136, v181
	s_waitcnt vmcnt(9)
	s_delay_alu instid0(VALU_DEP_1) | instskip(SKIP_1) | instid1(VALU_DEP_1)
	v_fmac_f32_e32 v183, v137, v182
	s_waitcnt lgkmcnt(3)
	v_fmac_f32_e32 v183, v138, v3
	s_delay_alu instid0(VALU_DEP_1) | instskip(SKIP_4) | instid1(VALU_DEP_1)
	v_fmac_f32_e32 v183, v139, v4
	ds_load_2addr_b32 v[3:4], v2 offset0:95 offset1:96
	s_waitcnt lgkmcnt(3)
	v_fmac_f32_e32 v183, v140, v130
	s_waitcnt vmcnt(8)
	v_fmac_f32_e32 v183, v141, v131
	ds_load_2addr_b32 v[130:131], v2 offset0:97 offset1:98
	s_waitcnt lgkmcnt(3)
	v_fmac_f32_e32 v183, v142, v132
	s_delay_alu instid0(VALU_DEP_1) | instskip(SKIP_1) | instid1(VALU_DEP_1)
	v_fmac_f32_e32 v183, v143, v133
	s_waitcnt lgkmcnt(2)
	v_fmac_f32_e32 v183, v144, v134
	s_waitcnt vmcnt(7)
	s_delay_alu instid0(VALU_DEP_1) | instskip(SKIP_4) | instid1(VALU_DEP_1)
	v_fmac_f32_e32 v183, v145, v135
	ds_load_2addr_b32 v[132:133], v2 offset0:99 offset1:100
	ds_load_2addr_b32 v[134:135], v2 offset0:101 offset1:102
	s_waitcnt lgkmcnt(3)
	v_fmac_f32_e32 v183, v146, v3
	v_fmac_f32_e32 v183, v147, v4
	ds_load_2addr_b32 v[3:4], v2 offset0:103 offset1:104
	s_waitcnt lgkmcnt(3)
	v_fmac_f32_e32 v183, v148, v130
	s_waitcnt vmcnt(6)
	s_delay_alu instid0(VALU_DEP_1) | instskip(SKIP_3) | instid1(VALU_DEP_1)
	v_fmac_f32_e32 v183, v149, v131
	ds_load_2addr_b32 v[130:131], v2 offset0:105 offset1:106
	s_waitcnt lgkmcnt(3)
	v_fmac_f32_e32 v183, v150, v132
	v_fmac_f32_e32 v183, v151, v133
	s_waitcnt lgkmcnt(2)
	s_delay_alu instid0(VALU_DEP_1) | instskip(SKIP_1) | instid1(VALU_DEP_1)
	v_fmac_f32_e32 v183, v152, v134
	s_waitcnt vmcnt(5)
	v_fmac_f32_e32 v183, v153, v135
	ds_load_2addr_b32 v[132:133], v2 offset0:107 offset1:108
	ds_load_2addr_b32 v[134:135], v2 offset0:109 offset1:110
	s_waitcnt lgkmcnt(3)
	v_fmac_f32_e32 v183, v154, v3
	s_delay_alu instid0(VALU_DEP_1) | instskip(SKIP_4) | instid1(VALU_DEP_1)
	v_fmac_f32_e32 v183, v155, v4
	ds_load_2addr_b32 v[3:4], v2 offset0:111 offset1:112
	s_waitcnt lgkmcnt(3)
	v_fmac_f32_e32 v183, v156, v130
	s_waitcnt vmcnt(4)
	v_fmac_f32_e32 v183, v157, v131
	ds_load_2addr_b32 v[130:131], v2 offset0:113 offset1:114
	s_waitcnt lgkmcnt(3)
	v_fmac_f32_e32 v183, v158, v132
	s_delay_alu instid0(VALU_DEP_1) | instskip(SKIP_1) | instid1(VALU_DEP_1)
	v_fmac_f32_e32 v183, v159, v133
	s_waitcnt lgkmcnt(2)
	v_fmac_f32_e32 v183, v160, v134
	s_waitcnt vmcnt(3)
	s_delay_alu instid0(VALU_DEP_1) | instskip(SKIP_4) | instid1(VALU_DEP_1)
	v_fmac_f32_e32 v183, v161, v135
	ds_load_2addr_b32 v[132:133], v2 offset0:115 offset1:116
	ds_load_2addr_b32 v[134:135], v2 offset0:117 offset1:118
	s_waitcnt lgkmcnt(3)
	v_fmac_f32_e32 v183, v162, v3
	v_fmac_f32_e32 v183, v163, v4
	ds_load_2addr_b32 v[3:4], v2 offset0:119 offset1:120
	s_waitcnt lgkmcnt(3)
	v_fmac_f32_e32 v183, v164, v130
	s_waitcnt vmcnt(2)
	s_delay_alu instid0(VALU_DEP_1) | instskip(SKIP_3) | instid1(VALU_DEP_1)
	v_fmac_f32_e32 v183, v165, v131
	ds_load_2addr_b32 v[130:131], v2 offset0:121 offset1:122
	s_waitcnt lgkmcnt(3)
	v_fmac_f32_e32 v183, v166, v132
	v_fmac_f32_e32 v183, v167, v133
	s_waitcnt lgkmcnt(2)
	s_delay_alu instid0(VALU_DEP_1)
	v_fmac_f32_e32 v183, v168, v134
	ds_load_2addr_b32 v[132:133], v2 offset0:123 offset1:124
	ds_load_b32 v134, v2 offset:500
	s_waitcnt vmcnt(1)
	v_fmac_f32_e32 v183, v169, v135
	s_waitcnt lgkmcnt(3)
	s_delay_alu instid0(VALU_DEP_1) | instskip(NEXT) | instid1(VALU_DEP_1)
	v_fmac_f32_e32 v183, v170, v3
	v_fmac_f32_e32 v183, v171, v4
	s_waitcnt lgkmcnt(2)
	s_delay_alu instid0(VALU_DEP_1) | instskip(SKIP_1) | instid1(VALU_DEP_1)
	v_fmac_f32_e32 v183, v172, v130
	s_waitcnt vmcnt(0)
	v_fmac_f32_e32 v183, v173, v131
	s_waitcnt lgkmcnt(1)
	s_delay_alu instid0(VALU_DEP_1) | instskip(NEXT) | instid1(VALU_DEP_1)
	v_fmac_f32_e32 v183, v174, v132
	v_fmac_f32_e32 v183, v175, v133
	s_waitcnt lgkmcnt(0)
	s_delay_alu instid0(VALU_DEP_1) | instskip(NEXT) | instid1(VALU_DEP_1)
	v_fmac_f32_e32 v183, v176, v134
	v_sub_f32_e32 v3, v129, v183
	scratch_store_b32 off, v3, off offset:56
	v_cmpx_lt_u32_e32 13, v0
	s_cbranch_execz .LBB125_353
; %bb.352:
	scratch_load_b32 v3, off, off offset:52
	scratch_store_b32 off, v2, off offset:52
	s_waitcnt vmcnt(0)
	ds_store_b32 v1, v3
.LBB125_353:
	s_or_b32 exec_lo, exec_lo, s0
	s_waitcnt lgkmcnt(0)
	s_waitcnt_vscnt null, 0x0
	s_barrier
	buffer_gl0_inv
	s_clause 0xc
	scratch_load_b128 v[129:132], off, off offset:52
	scratch_load_b128 v[133:136], off, off offset:68
	;; [unrolled: 1-line block ×12, first 2 shown]
	scratch_load_b32 v3, off, off offset:244
	ds_load_2addr_b64 v[177:180], v2 offset0:39 offset1:40
	ds_load_2addr_b64 v[181:184], v2 offset0:41 offset1:42
	s_mov_b32 s0, exec_lo
	s_waitcnt vmcnt(12) lgkmcnt(1)
	v_fma_f32 v4, v130, v177, 0
	s_delay_alu instid0(VALU_DEP_1) | instskip(NEXT) | instid1(VALU_DEP_1)
	v_fmac_f32_e32 v4, v131, v178
	v_fmac_f32_e32 v4, v132, v179
	s_waitcnt vmcnt(11)
	s_delay_alu instid0(VALU_DEP_1) | instskip(SKIP_3) | instid1(VALU_DEP_1)
	v_fmac_f32_e32 v4, v133, v180
	ds_load_2addr_b64 v[130:133], v2 offset0:43 offset1:44
	s_waitcnt lgkmcnt(1)
	v_fmac_f32_e32 v4, v134, v181
	v_fmac_f32_e32 v4, v135, v182
	s_delay_alu instid0(VALU_DEP_1) | instskip(SKIP_1) | instid1(VALU_DEP_1)
	v_fmac_f32_e32 v4, v136, v183
	s_waitcnt vmcnt(10)
	v_fmac_f32_e32 v4, v137, v184
	ds_load_2addr_b64 v[134:137], v2 offset0:45 offset1:46
	s_waitcnt lgkmcnt(1)
	v_fmac_f32_e32 v4, v138, v130
	s_delay_alu instid0(VALU_DEP_1) | instskip(NEXT) | instid1(VALU_DEP_1)
	v_fmac_f32_e32 v4, v139, v131
	v_fmac_f32_e32 v4, v140, v132
	s_waitcnt vmcnt(9)
	s_delay_alu instid0(VALU_DEP_1) | instskip(SKIP_3) | instid1(VALU_DEP_1)
	v_fmac_f32_e32 v4, v141, v133
	ds_load_2addr_b64 v[130:133], v2 offset0:47 offset1:48
	s_waitcnt lgkmcnt(1)
	v_fmac_f32_e32 v4, v142, v134
	v_fmac_f32_e32 v4, v143, v135
	s_delay_alu instid0(VALU_DEP_1) | instskip(SKIP_1) | instid1(VALU_DEP_1)
	v_fmac_f32_e32 v4, v144, v136
	s_waitcnt vmcnt(8)
	v_fmac_f32_e32 v4, v145, v137
	ds_load_2addr_b64 v[134:137], v2 offset0:49 offset1:50
	s_waitcnt lgkmcnt(1)
	v_fmac_f32_e32 v4, v146, v130
	;; [unrolled: 17-line block ×5, first 2 shown]
	s_delay_alu instid0(VALU_DEP_1) | instskip(NEXT) | instid1(VALU_DEP_1)
	v_fmac_f32_e32 v4, v171, v131
	v_fmac_f32_e32 v4, v172, v132
	s_waitcnt vmcnt(1)
	s_delay_alu instid0(VALU_DEP_1) | instskip(SKIP_1) | instid1(VALU_DEP_1)
	v_fmac_f32_e32 v4, v173, v133
	s_waitcnt lgkmcnt(0)
	v_fmac_f32_e32 v4, v174, v134
	s_delay_alu instid0(VALU_DEP_1) | instskip(NEXT) | instid1(VALU_DEP_1)
	v_fmac_f32_e32 v4, v175, v135
	v_fmac_f32_e32 v4, v176, v136
	s_waitcnt vmcnt(0)
	s_delay_alu instid0(VALU_DEP_1) | instskip(NEXT) | instid1(VALU_DEP_1)
	v_fmac_f32_e32 v4, v3, v137
	v_sub_f32_e32 v2, v129, v4
	scratch_store_b32 off, v2, off offset:52
	v_cmpx_lt_u32_e32 12, v0
	s_cbranch_execz .LBB125_355
; %bb.354:
	scratch_load_b32 v2, off, off offset:48
	v_mov_b32_e32 v3, 0
	scratch_store_b32 off, v3, off offset:48
	s_waitcnt vmcnt(0)
	ds_store_b32 v1, v2
.LBB125_355:
	s_or_b32 exec_lo, exec_lo, s0
	s_waitcnt lgkmcnt(0)
	s_waitcnt_vscnt null, 0x0
	s_barrier
	buffer_gl0_inv
	s_clause 0xc
	scratch_load_b128 v[129:132], off, off offset:48
	scratch_load_b128 v[133:136], off, off offset:64
	;; [unrolled: 1-line block ×12, first 2 shown]
	scratch_load_b64 v[3:4], off, off offset:240
	v_mov_b32_e32 v2, 0
	ds_load_2addr_b32 v[177:178], v2 offset0:77 offset1:78
	ds_load_2addr_b32 v[179:180], v2 offset0:79 offset1:80
	;; [unrolled: 1-line block ×4, first 2 shown]
	s_mov_b32 s0, exec_lo
	s_waitcnt vmcnt(12) lgkmcnt(3)
	v_fma_f32 v177, v130, v177, 0
	s_delay_alu instid0(VALU_DEP_1) | instskip(SKIP_4) | instid1(VALU_DEP_1)
	v_fmac_f32_e32 v177, v131, v178
	ds_load_2addr_b32 v[130:131], v2 offset0:85 offset1:86
	s_waitcnt lgkmcnt(3)
	v_fmac_f32_e32 v177, v132, v179
	s_waitcnt vmcnt(11)
	v_fmac_f32_e32 v177, v133, v180
	ds_load_2addr_b32 v[132:133], v2 offset0:87 offset1:88
	s_waitcnt lgkmcnt(3)
	v_fmac_f32_e32 v177, v134, v181
	s_delay_alu instid0(VALU_DEP_1) | instskip(SKIP_1) | instid1(VALU_DEP_1)
	v_fmac_f32_e32 v177, v135, v182
	s_waitcnt lgkmcnt(2)
	v_fmac_f32_e32 v177, v136, v183
	s_waitcnt vmcnt(10)
	s_delay_alu instid0(VALU_DEP_1) | instskip(SKIP_4) | instid1(VALU_DEP_1)
	v_fmac_f32_e32 v177, v137, v184
	ds_load_2addr_b32 v[134:135], v2 offset0:89 offset1:90
	ds_load_2addr_b32 v[136:137], v2 offset0:91 offset1:92
	s_waitcnt lgkmcnt(3)
	v_fmac_f32_e32 v177, v138, v130
	v_fmac_f32_e32 v177, v139, v131
	ds_load_2addr_b32 v[130:131], v2 offset0:93 offset1:94
	s_waitcnt lgkmcnt(3)
	v_fmac_f32_e32 v177, v140, v132
	s_waitcnt vmcnt(9)
	s_delay_alu instid0(VALU_DEP_1) | instskip(SKIP_3) | instid1(VALU_DEP_1)
	v_fmac_f32_e32 v177, v141, v133
	ds_load_2addr_b32 v[132:133], v2 offset0:95 offset1:96
	s_waitcnt lgkmcnt(3)
	v_fmac_f32_e32 v177, v142, v134
	v_fmac_f32_e32 v177, v143, v135
	s_waitcnt lgkmcnt(2)
	s_delay_alu instid0(VALU_DEP_1) | instskip(SKIP_1) | instid1(VALU_DEP_1)
	v_fmac_f32_e32 v177, v144, v136
	s_waitcnt vmcnt(8)
	v_fmac_f32_e32 v177, v145, v137
	ds_load_2addr_b32 v[134:135], v2 offset0:97 offset1:98
	ds_load_2addr_b32 v[136:137], v2 offset0:99 offset1:100
	s_waitcnt lgkmcnt(3)
	v_fmac_f32_e32 v177, v146, v130
	s_delay_alu instid0(VALU_DEP_1) | instskip(SKIP_4) | instid1(VALU_DEP_1)
	v_fmac_f32_e32 v177, v147, v131
	ds_load_2addr_b32 v[130:131], v2 offset0:101 offset1:102
	s_waitcnt lgkmcnt(3)
	v_fmac_f32_e32 v177, v148, v132
	s_waitcnt vmcnt(7)
	v_fmac_f32_e32 v177, v149, v133
	ds_load_2addr_b32 v[132:133], v2 offset0:103 offset1:104
	s_waitcnt lgkmcnt(3)
	v_fmac_f32_e32 v177, v150, v134
	s_delay_alu instid0(VALU_DEP_1) | instskip(SKIP_1) | instid1(VALU_DEP_1)
	v_fmac_f32_e32 v177, v151, v135
	s_waitcnt lgkmcnt(2)
	v_fmac_f32_e32 v177, v152, v136
	s_waitcnt vmcnt(6)
	s_delay_alu instid0(VALU_DEP_1) | instskip(SKIP_4) | instid1(VALU_DEP_1)
	v_fmac_f32_e32 v177, v153, v137
	ds_load_2addr_b32 v[134:135], v2 offset0:105 offset1:106
	ds_load_2addr_b32 v[136:137], v2 offset0:107 offset1:108
	s_waitcnt lgkmcnt(3)
	v_fmac_f32_e32 v177, v154, v130
	v_fmac_f32_e32 v177, v155, v131
	ds_load_2addr_b32 v[130:131], v2 offset0:109 offset1:110
	s_waitcnt lgkmcnt(3)
	v_fmac_f32_e32 v177, v156, v132
	s_waitcnt vmcnt(5)
	s_delay_alu instid0(VALU_DEP_1) | instskip(SKIP_3) | instid1(VALU_DEP_1)
	v_fmac_f32_e32 v177, v157, v133
	ds_load_2addr_b32 v[132:133], v2 offset0:111 offset1:112
	s_waitcnt lgkmcnt(3)
	v_fmac_f32_e32 v177, v158, v134
	v_fmac_f32_e32 v177, v159, v135
	s_waitcnt lgkmcnt(2)
	s_delay_alu instid0(VALU_DEP_1) | instskip(SKIP_1) | instid1(VALU_DEP_1)
	v_fmac_f32_e32 v177, v160, v136
	s_waitcnt vmcnt(4)
	v_fmac_f32_e32 v177, v161, v137
	ds_load_2addr_b32 v[134:135], v2 offset0:113 offset1:114
	ds_load_2addr_b32 v[136:137], v2 offset0:115 offset1:116
	s_waitcnt lgkmcnt(3)
	v_fmac_f32_e32 v177, v162, v130
	s_delay_alu instid0(VALU_DEP_1) | instskip(SKIP_4) | instid1(VALU_DEP_1)
	v_fmac_f32_e32 v177, v163, v131
	ds_load_2addr_b32 v[130:131], v2 offset0:117 offset1:118
	s_waitcnt lgkmcnt(3)
	v_fmac_f32_e32 v177, v164, v132
	s_waitcnt vmcnt(3)
	v_fmac_f32_e32 v177, v165, v133
	ds_load_2addr_b32 v[132:133], v2 offset0:119 offset1:120
	s_waitcnt lgkmcnt(3)
	v_fmac_f32_e32 v177, v166, v134
	s_delay_alu instid0(VALU_DEP_1) | instskip(SKIP_1) | instid1(VALU_DEP_1)
	v_fmac_f32_e32 v177, v167, v135
	s_waitcnt lgkmcnt(2)
	v_fmac_f32_e32 v177, v168, v136
	s_waitcnt vmcnt(2)
	s_delay_alu instid0(VALU_DEP_1)
	v_fmac_f32_e32 v177, v169, v137
	ds_load_2addr_b32 v[134:135], v2 offset0:121 offset1:122
	ds_load_2addr_b32 v[136:137], v2 offset0:123 offset1:124
	s_waitcnt lgkmcnt(3)
	v_fmac_f32_e32 v177, v170, v130
	ds_load_b32 v130, v2 offset:500
	v_fmac_f32_e32 v177, v171, v131
	s_waitcnt lgkmcnt(3)
	s_delay_alu instid0(VALU_DEP_1) | instskip(SKIP_1) | instid1(VALU_DEP_1)
	v_fmac_f32_e32 v177, v172, v132
	s_waitcnt vmcnt(1)
	v_fmac_f32_e32 v177, v173, v133
	s_waitcnt lgkmcnt(2)
	s_delay_alu instid0(VALU_DEP_1) | instskip(NEXT) | instid1(VALU_DEP_1)
	v_fmac_f32_e32 v177, v174, v134
	v_fmac_f32_e32 v177, v175, v135
	s_waitcnt lgkmcnt(1)
	s_delay_alu instid0(VALU_DEP_1) | instskip(SKIP_1) | instid1(VALU_DEP_1)
	v_fmac_f32_e32 v177, v176, v136
	s_waitcnt vmcnt(0)
	v_fmac_f32_e32 v177, v3, v137
	s_waitcnt lgkmcnt(0)
	s_delay_alu instid0(VALU_DEP_1) | instskip(NEXT) | instid1(VALU_DEP_1)
	v_fmac_f32_e32 v177, v4, v130
	v_sub_f32_e32 v3, v129, v177
	scratch_store_b32 off, v3, off offset:48
	v_cmpx_lt_u32_e32 11, v0
	s_cbranch_execz .LBB125_357
; %bb.356:
	scratch_load_b32 v3, off, off offset:44
	scratch_store_b32 off, v2, off offset:44
	s_waitcnt vmcnt(0)
	ds_store_b32 v1, v3
.LBB125_357:
	s_or_b32 exec_lo, exec_lo, s0
	s_waitcnt lgkmcnt(0)
	s_waitcnt_vscnt null, 0x0
	s_barrier
	buffer_gl0_inv
	s_clause 0xc
	scratch_load_b128 v[129:132], off, off offset:44
	scratch_load_b128 v[133:136], off, off offset:60
	;; [unrolled: 1-line block ×12, first 2 shown]
	scratch_load_b96 v[185:187], off, off offset:236
	ds_load_b128 v[177:180], v2 offset:304
	ds_load_b128 v[181:184], v2 offset:320
	s_mov_b32 s0, exec_lo
	s_waitcnt vmcnt(12) lgkmcnt(1)
	v_fma_f32 v4, v130, v177, 0
	s_delay_alu instid0(VALU_DEP_1) | instskip(NEXT) | instid1(VALU_DEP_1)
	v_fmac_f32_e32 v4, v131, v178
	v_fmac_f32_e32 v4, v132, v179
	s_waitcnt vmcnt(11)
	s_delay_alu instid0(VALU_DEP_1) | instskip(SKIP_3) | instid1(VALU_DEP_1)
	v_fmac_f32_e32 v4, v133, v180
	ds_load_b128 v[130:133], v2 offset:336
	s_waitcnt lgkmcnt(1)
	v_fmac_f32_e32 v4, v134, v181
	v_fmac_f32_e32 v4, v135, v182
	s_delay_alu instid0(VALU_DEP_1) | instskip(SKIP_1) | instid1(VALU_DEP_1)
	v_fmac_f32_e32 v4, v136, v183
	s_waitcnt vmcnt(10)
	v_fmac_f32_e32 v4, v137, v184
	ds_load_b128 v[134:137], v2 offset:352
	s_waitcnt lgkmcnt(1)
	v_fmac_f32_e32 v4, v138, v130
	s_delay_alu instid0(VALU_DEP_1) | instskip(NEXT) | instid1(VALU_DEP_1)
	v_fmac_f32_e32 v4, v139, v131
	v_fmac_f32_e32 v4, v140, v132
	s_waitcnt vmcnt(9)
	s_delay_alu instid0(VALU_DEP_1) | instskip(SKIP_3) | instid1(VALU_DEP_1)
	v_fmac_f32_e32 v4, v141, v133
	ds_load_b128 v[130:133], v2 offset:368
	s_waitcnt lgkmcnt(1)
	v_fmac_f32_e32 v4, v142, v134
	v_fmac_f32_e32 v4, v143, v135
	s_delay_alu instid0(VALU_DEP_1) | instskip(SKIP_1) | instid1(VALU_DEP_1)
	v_fmac_f32_e32 v4, v144, v136
	s_waitcnt vmcnt(8)
	v_fmac_f32_e32 v4, v145, v137
	ds_load_b128 v[134:137], v2 offset:384
	s_waitcnt lgkmcnt(1)
	v_fmac_f32_e32 v4, v146, v130
	;; [unrolled: 17-line block ×4, first 2 shown]
	s_delay_alu instid0(VALU_DEP_1) | instskip(NEXT) | instid1(VALU_DEP_1)
	v_fmac_f32_e32 v4, v163, v131
	v_fmac_f32_e32 v4, v164, v132
	s_waitcnt vmcnt(3)
	s_delay_alu instid0(VALU_DEP_1) | instskip(SKIP_3) | instid1(VALU_DEP_1)
	v_fmac_f32_e32 v4, v165, v133
	ds_load_b128 v[130:133], v2 offset:464
	s_waitcnt lgkmcnt(1)
	v_fmac_f32_e32 v4, v166, v134
	v_fmac_f32_e32 v4, v167, v135
	s_delay_alu instid0(VALU_DEP_1) | instskip(SKIP_1) | instid1(VALU_DEP_1)
	v_fmac_f32_e32 v4, v168, v136
	s_waitcnt vmcnt(2)
	v_fmac_f32_e32 v4, v169, v137
	ds_load_b128 v[134:137], v2 offset:480
	ds_load_b64 v[2:3], v2 offset:496
	s_waitcnt lgkmcnt(2)
	v_fmac_f32_e32 v4, v170, v130
	s_delay_alu instid0(VALU_DEP_1) | instskip(NEXT) | instid1(VALU_DEP_1)
	v_fmac_f32_e32 v4, v171, v131
	v_fmac_f32_e32 v4, v172, v132
	s_waitcnt vmcnt(1)
	s_delay_alu instid0(VALU_DEP_1) | instskip(SKIP_1) | instid1(VALU_DEP_1)
	v_fmac_f32_e32 v4, v173, v133
	s_waitcnt lgkmcnt(1)
	v_fmac_f32_e32 v4, v174, v134
	s_delay_alu instid0(VALU_DEP_1) | instskip(NEXT) | instid1(VALU_DEP_1)
	v_fmac_f32_e32 v4, v175, v135
	v_fmac_f32_e32 v4, v176, v136
	s_waitcnt vmcnt(0)
	s_delay_alu instid0(VALU_DEP_1) | instskip(SKIP_1) | instid1(VALU_DEP_1)
	v_fmac_f32_e32 v4, v185, v137
	s_waitcnt lgkmcnt(0)
	v_fmac_f32_e32 v4, v186, v2
	s_delay_alu instid0(VALU_DEP_1) | instskip(NEXT) | instid1(VALU_DEP_1)
	v_fmac_f32_e32 v4, v187, v3
	v_sub_f32_e32 v2, v129, v4
	scratch_store_b32 off, v2, off offset:44
	v_cmpx_lt_u32_e32 10, v0
	s_cbranch_execz .LBB125_359
; %bb.358:
	scratch_load_b32 v2, off, off offset:40
	v_mov_b32_e32 v3, 0
	scratch_store_b32 off, v3, off offset:40
	s_waitcnt vmcnt(0)
	ds_store_b32 v1, v2
.LBB125_359:
	s_or_b32 exec_lo, exec_lo, s0
	s_waitcnt lgkmcnt(0)
	s_waitcnt_vscnt null, 0x0
	s_barrier
	buffer_gl0_inv
	s_clause 0xc
	scratch_load_b128 v[129:132], off, off offset:40
	scratch_load_b128 v[133:136], off, off offset:56
	;; [unrolled: 1-line block ×13, first 2 shown]
	v_mov_b32_e32 v2, 0
	ds_load_2addr_b32 v[3:4], v2 offset0:75 offset1:76
	ds_load_2addr_b32 v[181:182], v2 offset0:77 offset1:78
	;; [unrolled: 1-line block ×4, first 2 shown]
	s_mov_b32 s0, exec_lo
	s_waitcnt vmcnt(12) lgkmcnt(3)
	v_fma_f32 v187, v130, v3, 0
	s_delay_alu instid0(VALU_DEP_1)
	v_fmac_f32_e32 v187, v131, v4
	ds_load_2addr_b32 v[3:4], v2 offset0:83 offset1:84
	ds_load_2addr_b32 v[130:131], v2 offset0:85 offset1:86
	s_waitcnt lgkmcnt(4)
	v_fmac_f32_e32 v187, v132, v181
	s_waitcnt vmcnt(11)
	s_delay_alu instid0(VALU_DEP_1) | instskip(SKIP_1) | instid1(VALU_DEP_1)
	v_fmac_f32_e32 v187, v133, v182
	s_waitcnt lgkmcnt(3)
	v_fmac_f32_e32 v187, v134, v183
	s_delay_alu instid0(VALU_DEP_1)
	v_fmac_f32_e32 v187, v135, v184
	ds_load_2addr_b32 v[132:133], v2 offset0:87 offset1:88
	ds_load_2addr_b32 v[134:135], v2 offset0:89 offset1:90
	s_waitcnt lgkmcnt(4)
	v_fmac_f32_e32 v187, v136, v185
	s_waitcnt vmcnt(10)
	s_delay_alu instid0(VALU_DEP_1) | instskip(SKIP_1) | instid1(VALU_DEP_1)
	v_fmac_f32_e32 v187, v137, v186
	s_waitcnt lgkmcnt(3)
	v_fmac_f32_e32 v187, v138, v3
	s_delay_alu instid0(VALU_DEP_1) | instskip(SKIP_4) | instid1(VALU_DEP_1)
	v_fmac_f32_e32 v187, v139, v4
	ds_load_2addr_b32 v[3:4], v2 offset0:91 offset1:92
	s_waitcnt lgkmcnt(3)
	v_fmac_f32_e32 v187, v140, v130
	s_waitcnt vmcnt(9)
	v_fmac_f32_e32 v187, v141, v131
	ds_load_2addr_b32 v[130:131], v2 offset0:93 offset1:94
	s_waitcnt lgkmcnt(3)
	v_fmac_f32_e32 v187, v142, v132
	s_delay_alu instid0(VALU_DEP_1) | instskip(SKIP_1) | instid1(VALU_DEP_1)
	v_fmac_f32_e32 v187, v143, v133
	s_waitcnt lgkmcnt(2)
	v_fmac_f32_e32 v187, v144, v134
	s_waitcnt vmcnt(8)
	s_delay_alu instid0(VALU_DEP_1) | instskip(SKIP_4) | instid1(VALU_DEP_1)
	v_fmac_f32_e32 v187, v145, v135
	ds_load_2addr_b32 v[132:133], v2 offset0:95 offset1:96
	ds_load_2addr_b32 v[134:135], v2 offset0:97 offset1:98
	s_waitcnt lgkmcnt(3)
	v_fmac_f32_e32 v187, v146, v3
	v_fmac_f32_e32 v187, v147, v4
	ds_load_2addr_b32 v[3:4], v2 offset0:99 offset1:100
	s_waitcnt lgkmcnt(3)
	v_fmac_f32_e32 v187, v148, v130
	s_waitcnt vmcnt(7)
	s_delay_alu instid0(VALU_DEP_1) | instskip(SKIP_3) | instid1(VALU_DEP_1)
	v_fmac_f32_e32 v187, v149, v131
	ds_load_2addr_b32 v[130:131], v2 offset0:101 offset1:102
	s_waitcnt lgkmcnt(3)
	v_fmac_f32_e32 v187, v150, v132
	v_fmac_f32_e32 v187, v151, v133
	s_waitcnt lgkmcnt(2)
	s_delay_alu instid0(VALU_DEP_1) | instskip(SKIP_1) | instid1(VALU_DEP_1)
	v_fmac_f32_e32 v187, v152, v134
	s_waitcnt vmcnt(6)
	v_fmac_f32_e32 v187, v153, v135
	ds_load_2addr_b32 v[132:133], v2 offset0:103 offset1:104
	ds_load_2addr_b32 v[134:135], v2 offset0:105 offset1:106
	s_waitcnt lgkmcnt(3)
	v_fmac_f32_e32 v187, v154, v3
	s_delay_alu instid0(VALU_DEP_1) | instskip(SKIP_4) | instid1(VALU_DEP_1)
	v_fmac_f32_e32 v187, v155, v4
	ds_load_2addr_b32 v[3:4], v2 offset0:107 offset1:108
	s_waitcnt lgkmcnt(3)
	v_fmac_f32_e32 v187, v156, v130
	s_waitcnt vmcnt(5)
	v_fmac_f32_e32 v187, v157, v131
	ds_load_2addr_b32 v[130:131], v2 offset0:109 offset1:110
	s_waitcnt lgkmcnt(3)
	v_fmac_f32_e32 v187, v158, v132
	s_delay_alu instid0(VALU_DEP_1) | instskip(SKIP_1) | instid1(VALU_DEP_1)
	v_fmac_f32_e32 v187, v159, v133
	s_waitcnt lgkmcnt(2)
	v_fmac_f32_e32 v187, v160, v134
	s_waitcnt vmcnt(4)
	s_delay_alu instid0(VALU_DEP_1) | instskip(SKIP_4) | instid1(VALU_DEP_1)
	v_fmac_f32_e32 v187, v161, v135
	ds_load_2addr_b32 v[132:133], v2 offset0:111 offset1:112
	ds_load_2addr_b32 v[134:135], v2 offset0:113 offset1:114
	s_waitcnt lgkmcnt(3)
	v_fmac_f32_e32 v187, v162, v3
	v_fmac_f32_e32 v187, v163, v4
	ds_load_2addr_b32 v[3:4], v2 offset0:115 offset1:116
	s_waitcnt lgkmcnt(3)
	v_fmac_f32_e32 v187, v164, v130
	s_waitcnt vmcnt(3)
	s_delay_alu instid0(VALU_DEP_1) | instskip(SKIP_3) | instid1(VALU_DEP_1)
	v_fmac_f32_e32 v187, v165, v131
	ds_load_2addr_b32 v[130:131], v2 offset0:117 offset1:118
	s_waitcnt lgkmcnt(3)
	v_fmac_f32_e32 v187, v166, v132
	v_fmac_f32_e32 v187, v167, v133
	s_waitcnt lgkmcnt(2)
	s_delay_alu instid0(VALU_DEP_1) | instskip(SKIP_1) | instid1(VALU_DEP_1)
	v_fmac_f32_e32 v187, v168, v134
	s_waitcnt vmcnt(2)
	v_fmac_f32_e32 v187, v169, v135
	ds_load_2addr_b32 v[132:133], v2 offset0:119 offset1:120
	ds_load_2addr_b32 v[134:135], v2 offset0:121 offset1:122
	s_waitcnt lgkmcnt(3)
	v_fmac_f32_e32 v187, v170, v3
	s_delay_alu instid0(VALU_DEP_1)
	v_fmac_f32_e32 v187, v171, v4
	ds_load_2addr_b32 v[3:4], v2 offset0:123 offset1:124
	s_waitcnt lgkmcnt(3)
	v_fmac_f32_e32 v187, v172, v130
	ds_load_b32 v130, v2 offset:500
	s_waitcnt vmcnt(1)
	v_fmac_f32_e32 v187, v173, v131
	s_waitcnt lgkmcnt(3)
	s_delay_alu instid0(VALU_DEP_1) | instskip(NEXT) | instid1(VALU_DEP_1)
	v_fmac_f32_e32 v187, v174, v132
	v_fmac_f32_e32 v187, v175, v133
	s_waitcnt lgkmcnt(2)
	s_delay_alu instid0(VALU_DEP_1) | instskip(SKIP_1) | instid1(VALU_DEP_1)
	v_fmac_f32_e32 v187, v176, v134
	s_waitcnt vmcnt(0)
	v_fmac_f32_e32 v187, v177, v135
	s_waitcnt lgkmcnt(1)
	s_delay_alu instid0(VALU_DEP_1) | instskip(NEXT) | instid1(VALU_DEP_1)
	v_fmac_f32_e32 v187, v178, v3
	v_fmac_f32_e32 v187, v179, v4
	s_waitcnt lgkmcnt(0)
	s_delay_alu instid0(VALU_DEP_1) | instskip(NEXT) | instid1(VALU_DEP_1)
	v_fmac_f32_e32 v187, v180, v130
	v_sub_f32_e32 v3, v129, v187
	scratch_store_b32 off, v3, off offset:40
	v_cmpx_lt_u32_e32 9, v0
	s_cbranch_execz .LBB125_361
; %bb.360:
	scratch_load_b32 v3, off, off offset:36
	scratch_store_b32 off, v2, off offset:36
	s_waitcnt vmcnt(0)
	ds_store_b32 v1, v3
.LBB125_361:
	s_or_b32 exec_lo, exec_lo, s0
	s_waitcnt lgkmcnt(0)
	s_waitcnt_vscnt null, 0x0
	s_barrier
	buffer_gl0_inv
	s_clause 0xd
	scratch_load_b128 v[129:132], off, off offset:36
	scratch_load_b128 v[133:136], off, off offset:52
	;; [unrolled: 1-line block ×13, first 2 shown]
	scratch_load_b32 v3, off, off offset:244
	ds_load_2addr_b64 v[181:184], v2 offset0:37 offset1:38
	ds_load_2addr_b64 v[185:188], v2 offset0:39 offset1:40
	s_mov_b32 s0, exec_lo
	s_waitcnt vmcnt(13) lgkmcnt(1)
	v_fma_f32 v4, v130, v181, 0
	s_delay_alu instid0(VALU_DEP_1) | instskip(NEXT) | instid1(VALU_DEP_1)
	v_fmac_f32_e32 v4, v131, v182
	v_fmac_f32_e32 v4, v132, v183
	s_waitcnt vmcnt(12)
	s_delay_alu instid0(VALU_DEP_1) | instskip(SKIP_3) | instid1(VALU_DEP_1)
	v_fmac_f32_e32 v4, v133, v184
	ds_load_2addr_b64 v[130:133], v2 offset0:41 offset1:42
	s_waitcnt lgkmcnt(1)
	v_fmac_f32_e32 v4, v134, v185
	v_fmac_f32_e32 v4, v135, v186
	s_delay_alu instid0(VALU_DEP_1) | instskip(SKIP_1) | instid1(VALU_DEP_1)
	v_fmac_f32_e32 v4, v136, v187
	s_waitcnt vmcnt(11)
	v_fmac_f32_e32 v4, v137, v188
	ds_load_2addr_b64 v[134:137], v2 offset0:43 offset1:44
	s_waitcnt lgkmcnt(1)
	v_fmac_f32_e32 v4, v138, v130
	s_delay_alu instid0(VALU_DEP_1) | instskip(NEXT) | instid1(VALU_DEP_1)
	v_fmac_f32_e32 v4, v139, v131
	v_fmac_f32_e32 v4, v140, v132
	s_waitcnt vmcnt(10)
	s_delay_alu instid0(VALU_DEP_1) | instskip(SKIP_3) | instid1(VALU_DEP_1)
	v_fmac_f32_e32 v4, v141, v133
	ds_load_2addr_b64 v[130:133], v2 offset0:45 offset1:46
	s_waitcnt lgkmcnt(1)
	v_fmac_f32_e32 v4, v142, v134
	v_fmac_f32_e32 v4, v143, v135
	s_delay_alu instid0(VALU_DEP_1) | instskip(SKIP_1) | instid1(VALU_DEP_1)
	v_fmac_f32_e32 v4, v144, v136
	s_waitcnt vmcnt(9)
	v_fmac_f32_e32 v4, v145, v137
	ds_load_2addr_b64 v[134:137], v2 offset0:47 offset1:48
	s_waitcnt lgkmcnt(1)
	v_fmac_f32_e32 v4, v146, v130
	;; [unrolled: 17-line block ×5, first 2 shown]
	s_delay_alu instid0(VALU_DEP_1) | instskip(NEXT) | instid1(VALU_DEP_1)
	v_fmac_f32_e32 v4, v171, v131
	v_fmac_f32_e32 v4, v172, v132
	s_waitcnt vmcnt(2)
	s_delay_alu instid0(VALU_DEP_1) | instskip(SKIP_3) | instid1(VALU_DEP_1)
	v_fmac_f32_e32 v4, v173, v133
	ds_load_2addr_b64 v[130:133], v2 offset0:61 offset1:62
	s_waitcnt lgkmcnt(1)
	v_fmac_f32_e32 v4, v174, v134
	v_fmac_f32_e32 v4, v175, v135
	s_delay_alu instid0(VALU_DEP_1) | instskip(SKIP_1) | instid1(VALU_DEP_1)
	v_fmac_f32_e32 v4, v176, v136
	s_waitcnt vmcnt(1)
	v_fmac_f32_e32 v4, v177, v137
	s_waitcnt lgkmcnt(0)
	s_delay_alu instid0(VALU_DEP_1) | instskip(NEXT) | instid1(VALU_DEP_1)
	v_fmac_f32_e32 v4, v178, v130
	v_fmac_f32_e32 v4, v179, v131
	s_delay_alu instid0(VALU_DEP_1) | instskip(SKIP_1) | instid1(VALU_DEP_1)
	v_fmac_f32_e32 v4, v180, v132
	s_waitcnt vmcnt(0)
	v_fmac_f32_e32 v4, v3, v133
	s_delay_alu instid0(VALU_DEP_1)
	v_sub_f32_e32 v2, v129, v4
	scratch_store_b32 off, v2, off offset:36
	v_cmpx_lt_u32_e32 8, v0
	s_cbranch_execz .LBB125_363
; %bb.362:
	scratch_load_b32 v2, off, off offset:32
	v_mov_b32_e32 v3, 0
	scratch_store_b32 off, v3, off offset:32
	s_waitcnt vmcnt(0)
	ds_store_b32 v1, v2
.LBB125_363:
	s_or_b32 exec_lo, exec_lo, s0
	s_waitcnt lgkmcnt(0)
	s_waitcnt_vscnt null, 0x0
	s_barrier
	buffer_gl0_inv
	s_clause 0xd
	scratch_load_b128 v[129:132], off, off offset:32
	scratch_load_b128 v[133:136], off, off offset:48
	scratch_load_b128 v[137:140], off, off offset:64
	scratch_load_b128 v[141:144], off, off offset:80
	scratch_load_b128 v[145:148], off, off offset:96
	scratch_load_b128 v[149:152], off, off offset:112
	scratch_load_b128 v[153:156], off, off offset:128
	scratch_load_b128 v[157:160], off, off offset:144
	scratch_load_b128 v[161:164], off, off offset:160
	scratch_load_b128 v[165:168], off, off offset:176
	scratch_load_b128 v[169:172], off, off offset:192
	scratch_load_b128 v[173:176], off, off offset:208
	scratch_load_b128 v[177:180], off, off offset:224
	scratch_load_b64 v[3:4], off, off offset:240
	v_mov_b32_e32 v2, 0
	ds_load_2addr_b32 v[181:182], v2 offset0:73 offset1:74
	ds_load_2addr_b32 v[183:184], v2 offset0:75 offset1:76
	;; [unrolled: 1-line block ×4, first 2 shown]
	s_mov_b32 s0, exec_lo
	s_waitcnt vmcnt(13) lgkmcnt(3)
	v_fma_f32 v181, v130, v181, 0
	s_delay_alu instid0(VALU_DEP_1) | instskip(SKIP_4) | instid1(VALU_DEP_1)
	v_fmac_f32_e32 v181, v131, v182
	ds_load_2addr_b32 v[130:131], v2 offset0:81 offset1:82
	s_waitcnt lgkmcnt(3)
	v_fmac_f32_e32 v181, v132, v183
	s_waitcnt vmcnt(12)
	v_fmac_f32_e32 v181, v133, v184
	ds_load_2addr_b32 v[132:133], v2 offset0:83 offset1:84
	s_waitcnt lgkmcnt(3)
	v_fmac_f32_e32 v181, v134, v185
	s_delay_alu instid0(VALU_DEP_1) | instskip(SKIP_1) | instid1(VALU_DEP_1)
	v_fmac_f32_e32 v181, v135, v186
	s_waitcnt lgkmcnt(2)
	v_fmac_f32_e32 v181, v136, v187
	s_waitcnt vmcnt(11)
	s_delay_alu instid0(VALU_DEP_1) | instskip(SKIP_4) | instid1(VALU_DEP_1)
	v_fmac_f32_e32 v181, v137, v188
	ds_load_2addr_b32 v[134:135], v2 offset0:85 offset1:86
	ds_load_2addr_b32 v[136:137], v2 offset0:87 offset1:88
	s_waitcnt lgkmcnt(3)
	v_fmac_f32_e32 v181, v138, v130
	v_fmac_f32_e32 v181, v139, v131
	ds_load_2addr_b32 v[130:131], v2 offset0:89 offset1:90
	s_waitcnt lgkmcnt(3)
	v_fmac_f32_e32 v181, v140, v132
	s_waitcnt vmcnt(10)
	s_delay_alu instid0(VALU_DEP_1) | instskip(SKIP_3) | instid1(VALU_DEP_1)
	v_fmac_f32_e32 v181, v141, v133
	ds_load_2addr_b32 v[132:133], v2 offset0:91 offset1:92
	s_waitcnt lgkmcnt(3)
	v_fmac_f32_e32 v181, v142, v134
	v_fmac_f32_e32 v181, v143, v135
	s_waitcnt lgkmcnt(2)
	s_delay_alu instid0(VALU_DEP_1) | instskip(SKIP_1) | instid1(VALU_DEP_1)
	v_fmac_f32_e32 v181, v144, v136
	s_waitcnt vmcnt(9)
	v_fmac_f32_e32 v181, v145, v137
	ds_load_2addr_b32 v[134:135], v2 offset0:93 offset1:94
	ds_load_2addr_b32 v[136:137], v2 offset0:95 offset1:96
	s_waitcnt lgkmcnt(3)
	v_fmac_f32_e32 v181, v146, v130
	s_delay_alu instid0(VALU_DEP_1) | instskip(SKIP_4) | instid1(VALU_DEP_1)
	v_fmac_f32_e32 v181, v147, v131
	ds_load_2addr_b32 v[130:131], v2 offset0:97 offset1:98
	s_waitcnt lgkmcnt(3)
	v_fmac_f32_e32 v181, v148, v132
	s_waitcnt vmcnt(8)
	v_fmac_f32_e32 v181, v149, v133
	ds_load_2addr_b32 v[132:133], v2 offset0:99 offset1:100
	s_waitcnt lgkmcnt(3)
	v_fmac_f32_e32 v181, v150, v134
	s_delay_alu instid0(VALU_DEP_1) | instskip(SKIP_1) | instid1(VALU_DEP_1)
	v_fmac_f32_e32 v181, v151, v135
	s_waitcnt lgkmcnt(2)
	v_fmac_f32_e32 v181, v152, v136
	s_waitcnt vmcnt(7)
	s_delay_alu instid0(VALU_DEP_1) | instskip(SKIP_4) | instid1(VALU_DEP_1)
	v_fmac_f32_e32 v181, v153, v137
	ds_load_2addr_b32 v[134:135], v2 offset0:101 offset1:102
	ds_load_2addr_b32 v[136:137], v2 offset0:103 offset1:104
	s_waitcnt lgkmcnt(3)
	v_fmac_f32_e32 v181, v154, v130
	v_fmac_f32_e32 v181, v155, v131
	ds_load_2addr_b32 v[130:131], v2 offset0:105 offset1:106
	s_waitcnt lgkmcnt(3)
	v_fmac_f32_e32 v181, v156, v132
	s_waitcnt vmcnt(6)
	s_delay_alu instid0(VALU_DEP_1) | instskip(SKIP_3) | instid1(VALU_DEP_1)
	v_fmac_f32_e32 v181, v157, v133
	ds_load_2addr_b32 v[132:133], v2 offset0:107 offset1:108
	s_waitcnt lgkmcnt(3)
	v_fmac_f32_e32 v181, v158, v134
	v_fmac_f32_e32 v181, v159, v135
	s_waitcnt lgkmcnt(2)
	s_delay_alu instid0(VALU_DEP_1) | instskip(SKIP_1) | instid1(VALU_DEP_1)
	v_fmac_f32_e32 v181, v160, v136
	s_waitcnt vmcnt(5)
	v_fmac_f32_e32 v181, v161, v137
	ds_load_2addr_b32 v[134:135], v2 offset0:109 offset1:110
	ds_load_2addr_b32 v[136:137], v2 offset0:111 offset1:112
	s_waitcnt lgkmcnt(3)
	v_fmac_f32_e32 v181, v162, v130
	s_delay_alu instid0(VALU_DEP_1) | instskip(SKIP_4) | instid1(VALU_DEP_1)
	v_fmac_f32_e32 v181, v163, v131
	ds_load_2addr_b32 v[130:131], v2 offset0:113 offset1:114
	s_waitcnt lgkmcnt(3)
	v_fmac_f32_e32 v181, v164, v132
	s_waitcnt vmcnt(4)
	v_fmac_f32_e32 v181, v165, v133
	ds_load_2addr_b32 v[132:133], v2 offset0:115 offset1:116
	s_waitcnt lgkmcnt(3)
	v_fmac_f32_e32 v181, v166, v134
	s_delay_alu instid0(VALU_DEP_1) | instskip(SKIP_1) | instid1(VALU_DEP_1)
	v_fmac_f32_e32 v181, v167, v135
	s_waitcnt lgkmcnt(2)
	v_fmac_f32_e32 v181, v168, v136
	s_waitcnt vmcnt(3)
	s_delay_alu instid0(VALU_DEP_1) | instskip(SKIP_4) | instid1(VALU_DEP_1)
	v_fmac_f32_e32 v181, v169, v137
	ds_load_2addr_b32 v[134:135], v2 offset0:117 offset1:118
	ds_load_2addr_b32 v[136:137], v2 offset0:119 offset1:120
	s_waitcnt lgkmcnt(3)
	v_fmac_f32_e32 v181, v170, v130
	v_fmac_f32_e32 v181, v171, v131
	ds_load_2addr_b32 v[130:131], v2 offset0:121 offset1:122
	s_waitcnt lgkmcnt(3)
	v_fmac_f32_e32 v181, v172, v132
	s_waitcnt vmcnt(2)
	s_delay_alu instid0(VALU_DEP_1)
	v_fmac_f32_e32 v181, v173, v133
	ds_load_2addr_b32 v[132:133], v2 offset0:123 offset1:124
	s_waitcnt lgkmcnt(3)
	v_fmac_f32_e32 v181, v174, v134
	ds_load_b32 v134, v2 offset:500
	v_fmac_f32_e32 v181, v175, v135
	s_waitcnt lgkmcnt(3)
	s_delay_alu instid0(VALU_DEP_1) | instskip(SKIP_1) | instid1(VALU_DEP_1)
	v_fmac_f32_e32 v181, v176, v136
	s_waitcnt vmcnt(1)
	v_fmac_f32_e32 v181, v177, v137
	s_waitcnt lgkmcnt(2)
	s_delay_alu instid0(VALU_DEP_1) | instskip(NEXT) | instid1(VALU_DEP_1)
	v_fmac_f32_e32 v181, v178, v130
	v_fmac_f32_e32 v181, v179, v131
	s_waitcnt lgkmcnt(1)
	s_delay_alu instid0(VALU_DEP_1) | instskip(SKIP_1) | instid1(VALU_DEP_1)
	v_fmac_f32_e32 v181, v180, v132
	s_waitcnt vmcnt(0)
	v_fmac_f32_e32 v181, v3, v133
	s_waitcnt lgkmcnt(0)
	s_delay_alu instid0(VALU_DEP_1) | instskip(NEXT) | instid1(VALU_DEP_1)
	v_fmac_f32_e32 v181, v4, v134
	v_sub_f32_e32 v3, v129, v181
	scratch_store_b32 off, v3, off offset:32
	v_cmpx_lt_u32_e32 7, v0
	s_cbranch_execz .LBB125_365
; %bb.364:
	scratch_load_b32 v3, off, off offset:28
	scratch_store_b32 off, v2, off offset:28
	s_waitcnt vmcnt(0)
	ds_store_b32 v1, v3
.LBB125_365:
	s_or_b32 exec_lo, exec_lo, s0
	s_waitcnt lgkmcnt(0)
	s_waitcnt_vscnt null, 0x0
	s_barrier
	buffer_gl0_inv
	s_clause 0xd
	scratch_load_b128 v[129:132], off, off offset:28
	scratch_load_b128 v[133:136], off, off offset:44
	scratch_load_b128 v[137:140], off, off offset:60
	scratch_load_b128 v[141:144], off, off offset:76
	scratch_load_b128 v[145:148], off, off offset:92
	scratch_load_b128 v[149:152], off, off offset:108
	scratch_load_b128 v[153:156], off, off offset:124
	scratch_load_b128 v[157:160], off, off offset:140
	scratch_load_b128 v[161:164], off, off offset:156
	scratch_load_b128 v[165:168], off, off offset:172
	scratch_load_b128 v[169:172], off, off offset:188
	scratch_load_b128 v[173:176], off, off offset:204
	scratch_load_b128 v[177:180], off, off offset:220
	scratch_load_b96 v[189:191], off, off offset:236
	ds_load_b128 v[181:184], v2 offset:288
	ds_load_b128 v[185:188], v2 offset:304
	s_mov_b32 s0, exec_lo
	s_waitcnt vmcnt(13) lgkmcnt(1)
	v_fma_f32 v4, v130, v181, 0
	s_delay_alu instid0(VALU_DEP_1) | instskip(NEXT) | instid1(VALU_DEP_1)
	v_fmac_f32_e32 v4, v131, v182
	v_fmac_f32_e32 v4, v132, v183
	s_waitcnt vmcnt(12)
	s_delay_alu instid0(VALU_DEP_1) | instskip(SKIP_3) | instid1(VALU_DEP_1)
	v_fmac_f32_e32 v4, v133, v184
	ds_load_b128 v[130:133], v2 offset:320
	s_waitcnt lgkmcnt(1)
	v_fmac_f32_e32 v4, v134, v185
	v_fmac_f32_e32 v4, v135, v186
	s_delay_alu instid0(VALU_DEP_1) | instskip(SKIP_1) | instid1(VALU_DEP_1)
	v_fmac_f32_e32 v4, v136, v187
	s_waitcnt vmcnt(11)
	v_fmac_f32_e32 v4, v137, v188
	ds_load_b128 v[134:137], v2 offset:336
	s_waitcnt lgkmcnt(1)
	v_fmac_f32_e32 v4, v138, v130
	s_delay_alu instid0(VALU_DEP_1) | instskip(NEXT) | instid1(VALU_DEP_1)
	v_fmac_f32_e32 v4, v139, v131
	v_fmac_f32_e32 v4, v140, v132
	s_waitcnt vmcnt(10)
	s_delay_alu instid0(VALU_DEP_1) | instskip(SKIP_3) | instid1(VALU_DEP_1)
	v_fmac_f32_e32 v4, v141, v133
	ds_load_b128 v[130:133], v2 offset:352
	s_waitcnt lgkmcnt(1)
	v_fmac_f32_e32 v4, v142, v134
	v_fmac_f32_e32 v4, v143, v135
	s_delay_alu instid0(VALU_DEP_1) | instskip(SKIP_1) | instid1(VALU_DEP_1)
	v_fmac_f32_e32 v4, v144, v136
	s_waitcnt vmcnt(9)
	v_fmac_f32_e32 v4, v145, v137
	ds_load_b128 v[134:137], v2 offset:368
	s_waitcnt lgkmcnt(1)
	v_fmac_f32_e32 v4, v146, v130
	;; [unrolled: 17-line block ×5, first 2 shown]
	s_delay_alu instid0(VALU_DEP_1) | instskip(NEXT) | instid1(VALU_DEP_1)
	v_fmac_f32_e32 v4, v171, v131
	v_fmac_f32_e32 v4, v172, v132
	s_waitcnt vmcnt(2)
	s_delay_alu instid0(VALU_DEP_1) | instskip(SKIP_4) | instid1(VALU_DEP_1)
	v_fmac_f32_e32 v4, v173, v133
	ds_load_b128 v[130:133], v2 offset:480
	ds_load_b64 v[2:3], v2 offset:496
	s_waitcnt lgkmcnt(2)
	v_fmac_f32_e32 v4, v174, v134
	v_fmac_f32_e32 v4, v175, v135
	s_delay_alu instid0(VALU_DEP_1) | instskip(SKIP_1) | instid1(VALU_DEP_1)
	v_fmac_f32_e32 v4, v176, v136
	s_waitcnt vmcnt(1)
	v_fmac_f32_e32 v4, v177, v137
	s_waitcnt lgkmcnt(1)
	s_delay_alu instid0(VALU_DEP_1) | instskip(NEXT) | instid1(VALU_DEP_1)
	v_fmac_f32_e32 v4, v178, v130
	v_fmac_f32_e32 v4, v179, v131
	s_delay_alu instid0(VALU_DEP_1) | instskip(SKIP_1) | instid1(VALU_DEP_1)
	v_fmac_f32_e32 v4, v180, v132
	s_waitcnt vmcnt(0)
	v_fmac_f32_e32 v4, v189, v133
	s_waitcnt lgkmcnt(0)
	s_delay_alu instid0(VALU_DEP_1) | instskip(NEXT) | instid1(VALU_DEP_1)
	v_fmac_f32_e32 v4, v190, v2
	v_fmac_f32_e32 v4, v191, v3
	s_delay_alu instid0(VALU_DEP_1)
	v_sub_f32_e32 v2, v129, v4
	scratch_store_b32 off, v2, off offset:28
	v_cmpx_lt_u32_e32 6, v0
	s_cbranch_execz .LBB125_367
; %bb.366:
	scratch_load_b32 v2, off, off offset:24
	v_mov_b32_e32 v3, 0
	scratch_store_b32 off, v3, off offset:24
	s_waitcnt vmcnt(0)
	ds_store_b32 v1, v2
.LBB125_367:
	s_or_b32 exec_lo, exec_lo, s0
	s_waitcnt lgkmcnt(0)
	s_waitcnt_vscnt null, 0x0
	s_barrier
	buffer_gl0_inv
	s_clause 0xd
	scratch_load_b128 v[129:132], off, off offset:24
	scratch_load_b128 v[133:136], off, off offset:40
	;; [unrolled: 1-line block ×14, first 2 shown]
	v_mov_b32_e32 v2, 0
	ds_load_2addr_b32 v[3:4], v2 offset0:71 offset1:72
	ds_load_2addr_b32 v[185:186], v2 offset0:73 offset1:74
	;; [unrolled: 1-line block ×4, first 2 shown]
	s_mov_b32 s0, exec_lo
	s_waitcnt vmcnt(13) lgkmcnt(3)
	v_fma_f32 v191, v130, v3, 0
	s_delay_alu instid0(VALU_DEP_1)
	v_fmac_f32_e32 v191, v131, v4
	ds_load_2addr_b32 v[3:4], v2 offset0:79 offset1:80
	ds_load_2addr_b32 v[130:131], v2 offset0:81 offset1:82
	s_waitcnt lgkmcnt(4)
	v_fmac_f32_e32 v191, v132, v185
	s_waitcnt vmcnt(12)
	s_delay_alu instid0(VALU_DEP_1) | instskip(SKIP_1) | instid1(VALU_DEP_1)
	v_fmac_f32_e32 v191, v133, v186
	s_waitcnt lgkmcnt(3)
	v_fmac_f32_e32 v191, v134, v187
	s_delay_alu instid0(VALU_DEP_1)
	v_fmac_f32_e32 v191, v135, v188
	ds_load_2addr_b32 v[132:133], v2 offset0:83 offset1:84
	ds_load_2addr_b32 v[134:135], v2 offset0:85 offset1:86
	s_waitcnt lgkmcnt(4)
	v_fmac_f32_e32 v191, v136, v189
	s_waitcnt vmcnt(11)
	s_delay_alu instid0(VALU_DEP_1) | instskip(SKIP_1) | instid1(VALU_DEP_1)
	v_fmac_f32_e32 v191, v137, v190
	s_waitcnt lgkmcnt(3)
	v_fmac_f32_e32 v191, v138, v3
	s_delay_alu instid0(VALU_DEP_1) | instskip(SKIP_4) | instid1(VALU_DEP_1)
	v_fmac_f32_e32 v191, v139, v4
	ds_load_2addr_b32 v[3:4], v2 offset0:87 offset1:88
	s_waitcnt lgkmcnt(3)
	v_fmac_f32_e32 v191, v140, v130
	s_waitcnt vmcnt(10)
	v_fmac_f32_e32 v191, v141, v131
	ds_load_2addr_b32 v[130:131], v2 offset0:89 offset1:90
	s_waitcnt lgkmcnt(3)
	v_fmac_f32_e32 v191, v142, v132
	s_delay_alu instid0(VALU_DEP_1) | instskip(SKIP_1) | instid1(VALU_DEP_1)
	v_fmac_f32_e32 v191, v143, v133
	s_waitcnt lgkmcnt(2)
	v_fmac_f32_e32 v191, v144, v134
	s_waitcnt vmcnt(9)
	s_delay_alu instid0(VALU_DEP_1) | instskip(SKIP_4) | instid1(VALU_DEP_1)
	v_fmac_f32_e32 v191, v145, v135
	ds_load_2addr_b32 v[132:133], v2 offset0:91 offset1:92
	ds_load_2addr_b32 v[134:135], v2 offset0:93 offset1:94
	s_waitcnt lgkmcnt(3)
	v_fmac_f32_e32 v191, v146, v3
	v_fmac_f32_e32 v191, v147, v4
	ds_load_2addr_b32 v[3:4], v2 offset0:95 offset1:96
	s_waitcnt lgkmcnt(3)
	v_fmac_f32_e32 v191, v148, v130
	s_waitcnt vmcnt(8)
	s_delay_alu instid0(VALU_DEP_1) | instskip(SKIP_3) | instid1(VALU_DEP_1)
	v_fmac_f32_e32 v191, v149, v131
	ds_load_2addr_b32 v[130:131], v2 offset0:97 offset1:98
	s_waitcnt lgkmcnt(3)
	v_fmac_f32_e32 v191, v150, v132
	v_fmac_f32_e32 v191, v151, v133
	s_waitcnt lgkmcnt(2)
	s_delay_alu instid0(VALU_DEP_1) | instskip(SKIP_1) | instid1(VALU_DEP_1)
	v_fmac_f32_e32 v191, v152, v134
	s_waitcnt vmcnt(7)
	v_fmac_f32_e32 v191, v153, v135
	ds_load_2addr_b32 v[132:133], v2 offset0:99 offset1:100
	ds_load_2addr_b32 v[134:135], v2 offset0:101 offset1:102
	s_waitcnt lgkmcnt(3)
	v_fmac_f32_e32 v191, v154, v3
	s_delay_alu instid0(VALU_DEP_1) | instskip(SKIP_4) | instid1(VALU_DEP_1)
	v_fmac_f32_e32 v191, v155, v4
	ds_load_2addr_b32 v[3:4], v2 offset0:103 offset1:104
	s_waitcnt lgkmcnt(3)
	v_fmac_f32_e32 v191, v156, v130
	s_waitcnt vmcnt(6)
	v_fmac_f32_e32 v191, v157, v131
	ds_load_2addr_b32 v[130:131], v2 offset0:105 offset1:106
	s_waitcnt lgkmcnt(3)
	v_fmac_f32_e32 v191, v158, v132
	s_delay_alu instid0(VALU_DEP_1) | instskip(SKIP_1) | instid1(VALU_DEP_1)
	v_fmac_f32_e32 v191, v159, v133
	s_waitcnt lgkmcnt(2)
	v_fmac_f32_e32 v191, v160, v134
	s_waitcnt vmcnt(5)
	s_delay_alu instid0(VALU_DEP_1) | instskip(SKIP_4) | instid1(VALU_DEP_1)
	v_fmac_f32_e32 v191, v161, v135
	ds_load_2addr_b32 v[132:133], v2 offset0:107 offset1:108
	ds_load_2addr_b32 v[134:135], v2 offset0:109 offset1:110
	s_waitcnt lgkmcnt(3)
	v_fmac_f32_e32 v191, v162, v3
	v_fmac_f32_e32 v191, v163, v4
	ds_load_2addr_b32 v[3:4], v2 offset0:111 offset1:112
	s_waitcnt lgkmcnt(3)
	v_fmac_f32_e32 v191, v164, v130
	s_waitcnt vmcnt(4)
	s_delay_alu instid0(VALU_DEP_1) | instskip(SKIP_3) | instid1(VALU_DEP_1)
	v_fmac_f32_e32 v191, v165, v131
	ds_load_2addr_b32 v[130:131], v2 offset0:113 offset1:114
	s_waitcnt lgkmcnt(3)
	v_fmac_f32_e32 v191, v166, v132
	v_fmac_f32_e32 v191, v167, v133
	s_waitcnt lgkmcnt(2)
	s_delay_alu instid0(VALU_DEP_1) | instskip(SKIP_1) | instid1(VALU_DEP_1)
	v_fmac_f32_e32 v191, v168, v134
	s_waitcnt vmcnt(3)
	v_fmac_f32_e32 v191, v169, v135
	ds_load_2addr_b32 v[132:133], v2 offset0:115 offset1:116
	ds_load_2addr_b32 v[134:135], v2 offset0:117 offset1:118
	s_waitcnt lgkmcnt(3)
	v_fmac_f32_e32 v191, v170, v3
	s_delay_alu instid0(VALU_DEP_1) | instskip(SKIP_4) | instid1(VALU_DEP_1)
	v_fmac_f32_e32 v191, v171, v4
	ds_load_2addr_b32 v[3:4], v2 offset0:119 offset1:120
	s_waitcnt lgkmcnt(3)
	v_fmac_f32_e32 v191, v172, v130
	s_waitcnt vmcnt(2)
	v_fmac_f32_e32 v191, v173, v131
	ds_load_2addr_b32 v[130:131], v2 offset0:121 offset1:122
	s_waitcnt lgkmcnt(3)
	v_fmac_f32_e32 v191, v174, v132
	s_delay_alu instid0(VALU_DEP_1) | instskip(SKIP_1) | instid1(VALU_DEP_1)
	v_fmac_f32_e32 v191, v175, v133
	s_waitcnt lgkmcnt(2)
	v_fmac_f32_e32 v191, v176, v134
	ds_load_2addr_b32 v[132:133], v2 offset0:123 offset1:124
	ds_load_b32 v134, v2 offset:500
	s_waitcnt vmcnt(1)
	v_fmac_f32_e32 v191, v177, v135
	s_waitcnt lgkmcnt(3)
	s_delay_alu instid0(VALU_DEP_1) | instskip(NEXT) | instid1(VALU_DEP_1)
	v_fmac_f32_e32 v191, v178, v3
	v_fmac_f32_e32 v191, v179, v4
	s_waitcnt lgkmcnt(2)
	s_delay_alu instid0(VALU_DEP_1) | instskip(SKIP_1) | instid1(VALU_DEP_1)
	v_fmac_f32_e32 v191, v180, v130
	s_waitcnt vmcnt(0)
	v_fmac_f32_e32 v191, v181, v131
	s_waitcnt lgkmcnt(1)
	s_delay_alu instid0(VALU_DEP_1) | instskip(NEXT) | instid1(VALU_DEP_1)
	v_fmac_f32_e32 v191, v182, v132
	v_fmac_f32_e32 v191, v183, v133
	s_waitcnt lgkmcnt(0)
	s_delay_alu instid0(VALU_DEP_1) | instskip(NEXT) | instid1(VALU_DEP_1)
	v_fmac_f32_e32 v191, v184, v134
	v_sub_f32_e32 v3, v129, v191
	scratch_store_b32 off, v3, off offset:24
	v_cmpx_lt_u32_e32 5, v0
	s_cbranch_execz .LBB125_369
; %bb.368:
	scratch_load_b32 v3, off, off offset:20
	scratch_store_b32 off, v2, off offset:20
	s_waitcnt vmcnt(0)
	ds_store_b32 v1, v3
.LBB125_369:
	s_or_b32 exec_lo, exec_lo, s0
	s_waitcnt lgkmcnt(0)
	s_waitcnt_vscnt null, 0x0
	s_barrier
	buffer_gl0_inv
	s_clause 0xe
	scratch_load_b128 v[129:132], off, off offset:20
	scratch_load_b128 v[133:136], off, off offset:36
	;; [unrolled: 1-line block ×14, first 2 shown]
	scratch_load_b32 v3, off, off offset:244
	ds_load_2addr_b64 v[185:188], v2 offset0:35 offset1:36
	ds_load_2addr_b64 v[189:192], v2 offset0:37 offset1:38
	s_mov_b32 s0, exec_lo
	s_waitcnt vmcnt(14) lgkmcnt(1)
	v_fma_f32 v4, v130, v185, 0
	s_delay_alu instid0(VALU_DEP_1) | instskip(NEXT) | instid1(VALU_DEP_1)
	v_fmac_f32_e32 v4, v131, v186
	v_fmac_f32_e32 v4, v132, v187
	s_waitcnt vmcnt(13)
	s_delay_alu instid0(VALU_DEP_1) | instskip(SKIP_3) | instid1(VALU_DEP_1)
	v_fmac_f32_e32 v4, v133, v188
	ds_load_2addr_b64 v[130:133], v2 offset0:39 offset1:40
	s_waitcnt lgkmcnt(1)
	v_fmac_f32_e32 v4, v134, v189
	v_fmac_f32_e32 v4, v135, v190
	s_delay_alu instid0(VALU_DEP_1) | instskip(SKIP_1) | instid1(VALU_DEP_1)
	v_fmac_f32_e32 v4, v136, v191
	s_waitcnt vmcnt(12)
	v_fmac_f32_e32 v4, v137, v192
	ds_load_2addr_b64 v[134:137], v2 offset0:41 offset1:42
	s_waitcnt lgkmcnt(1)
	v_fmac_f32_e32 v4, v138, v130
	s_delay_alu instid0(VALU_DEP_1) | instskip(NEXT) | instid1(VALU_DEP_1)
	v_fmac_f32_e32 v4, v139, v131
	v_fmac_f32_e32 v4, v140, v132
	s_waitcnt vmcnt(11)
	s_delay_alu instid0(VALU_DEP_1) | instskip(SKIP_3) | instid1(VALU_DEP_1)
	v_fmac_f32_e32 v4, v141, v133
	ds_load_2addr_b64 v[130:133], v2 offset0:43 offset1:44
	s_waitcnt lgkmcnt(1)
	v_fmac_f32_e32 v4, v142, v134
	v_fmac_f32_e32 v4, v143, v135
	s_delay_alu instid0(VALU_DEP_1) | instskip(SKIP_1) | instid1(VALU_DEP_1)
	v_fmac_f32_e32 v4, v144, v136
	s_waitcnt vmcnt(10)
	v_fmac_f32_e32 v4, v145, v137
	ds_load_2addr_b64 v[134:137], v2 offset0:45 offset1:46
	s_waitcnt lgkmcnt(1)
	v_fmac_f32_e32 v4, v146, v130
	s_delay_alu instid0(VALU_DEP_1) | instskip(NEXT) | instid1(VALU_DEP_1)
	v_fmac_f32_e32 v4, v147, v131
	v_fmac_f32_e32 v4, v148, v132
	s_waitcnt vmcnt(9)
	s_delay_alu instid0(VALU_DEP_1) | instskip(SKIP_3) | instid1(VALU_DEP_1)
	v_fmac_f32_e32 v4, v149, v133
	ds_load_2addr_b64 v[130:133], v2 offset0:47 offset1:48
	s_waitcnt lgkmcnt(1)
	v_fmac_f32_e32 v4, v150, v134
	v_fmac_f32_e32 v4, v151, v135
	s_delay_alu instid0(VALU_DEP_1) | instskip(SKIP_1) | instid1(VALU_DEP_1)
	v_fmac_f32_e32 v4, v152, v136
	s_waitcnt vmcnt(8)
	v_fmac_f32_e32 v4, v153, v137
	ds_load_2addr_b64 v[134:137], v2 offset0:49 offset1:50
	s_waitcnt lgkmcnt(1)
	v_fmac_f32_e32 v4, v154, v130
	s_delay_alu instid0(VALU_DEP_1) | instskip(NEXT) | instid1(VALU_DEP_1)
	v_fmac_f32_e32 v4, v155, v131
	v_fmac_f32_e32 v4, v156, v132
	s_waitcnt vmcnt(7)
	s_delay_alu instid0(VALU_DEP_1) | instskip(SKIP_3) | instid1(VALU_DEP_1)
	v_fmac_f32_e32 v4, v157, v133
	ds_load_2addr_b64 v[130:133], v2 offset0:51 offset1:52
	s_waitcnt lgkmcnt(1)
	v_fmac_f32_e32 v4, v158, v134
	v_fmac_f32_e32 v4, v159, v135
	s_delay_alu instid0(VALU_DEP_1) | instskip(SKIP_1) | instid1(VALU_DEP_1)
	v_fmac_f32_e32 v4, v160, v136
	s_waitcnt vmcnt(6)
	v_fmac_f32_e32 v4, v161, v137
	ds_load_2addr_b64 v[134:137], v2 offset0:53 offset1:54
	s_waitcnt lgkmcnt(1)
	v_fmac_f32_e32 v4, v162, v130
	s_delay_alu instid0(VALU_DEP_1) | instskip(NEXT) | instid1(VALU_DEP_1)
	v_fmac_f32_e32 v4, v163, v131
	v_fmac_f32_e32 v4, v164, v132
	s_waitcnt vmcnt(5)
	s_delay_alu instid0(VALU_DEP_1) | instskip(SKIP_3) | instid1(VALU_DEP_1)
	v_fmac_f32_e32 v4, v165, v133
	ds_load_2addr_b64 v[130:133], v2 offset0:55 offset1:56
	s_waitcnt lgkmcnt(1)
	v_fmac_f32_e32 v4, v166, v134
	v_fmac_f32_e32 v4, v167, v135
	s_delay_alu instid0(VALU_DEP_1) | instskip(SKIP_1) | instid1(VALU_DEP_1)
	v_fmac_f32_e32 v4, v168, v136
	s_waitcnt vmcnt(4)
	v_fmac_f32_e32 v4, v169, v137
	ds_load_2addr_b64 v[134:137], v2 offset0:57 offset1:58
	s_waitcnt lgkmcnt(1)
	v_fmac_f32_e32 v4, v170, v130
	s_delay_alu instid0(VALU_DEP_1) | instskip(NEXT) | instid1(VALU_DEP_1)
	v_fmac_f32_e32 v4, v171, v131
	v_fmac_f32_e32 v4, v172, v132
	s_waitcnt vmcnt(3)
	s_delay_alu instid0(VALU_DEP_1) | instskip(SKIP_3) | instid1(VALU_DEP_1)
	v_fmac_f32_e32 v4, v173, v133
	ds_load_2addr_b64 v[130:133], v2 offset0:59 offset1:60
	s_waitcnt lgkmcnt(1)
	v_fmac_f32_e32 v4, v174, v134
	v_fmac_f32_e32 v4, v175, v135
	s_delay_alu instid0(VALU_DEP_1) | instskip(SKIP_1) | instid1(VALU_DEP_1)
	v_fmac_f32_e32 v4, v176, v136
	s_waitcnt vmcnt(2)
	v_fmac_f32_e32 v4, v177, v137
	ds_load_2addr_b64 v[134:137], v2 offset0:61 offset1:62
	s_waitcnt lgkmcnt(1)
	v_fmac_f32_e32 v4, v178, v130
	s_delay_alu instid0(VALU_DEP_1) | instskip(NEXT) | instid1(VALU_DEP_1)
	v_fmac_f32_e32 v4, v179, v131
	v_fmac_f32_e32 v4, v180, v132
	s_waitcnt vmcnt(1)
	s_delay_alu instid0(VALU_DEP_1) | instskip(SKIP_1) | instid1(VALU_DEP_1)
	v_fmac_f32_e32 v4, v181, v133
	s_waitcnt lgkmcnt(0)
	v_fmac_f32_e32 v4, v182, v134
	s_delay_alu instid0(VALU_DEP_1) | instskip(NEXT) | instid1(VALU_DEP_1)
	v_fmac_f32_e32 v4, v183, v135
	v_fmac_f32_e32 v4, v184, v136
	s_waitcnt vmcnt(0)
	s_delay_alu instid0(VALU_DEP_1) | instskip(NEXT) | instid1(VALU_DEP_1)
	v_fmac_f32_e32 v4, v3, v137
	v_sub_f32_e32 v2, v129, v4
	scratch_store_b32 off, v2, off offset:20
	v_cmpx_lt_u32_e32 4, v0
	s_cbranch_execz .LBB125_371
; %bb.370:
	scratch_load_b32 v2, off, off offset:16
	v_mov_b32_e32 v3, 0
	scratch_store_b32 off, v3, off offset:16
	s_waitcnt vmcnt(0)
	ds_store_b32 v1, v2
.LBB125_371:
	s_or_b32 exec_lo, exec_lo, s0
	s_waitcnt lgkmcnt(0)
	s_waitcnt_vscnt null, 0x0
	s_barrier
	buffer_gl0_inv
	s_clause 0xe
	scratch_load_b128 v[129:132], off, off offset:16
	scratch_load_b128 v[133:136], off, off offset:32
	;; [unrolled: 1-line block ×14, first 2 shown]
	scratch_load_b64 v[3:4], off, off offset:240
	v_mov_b32_e32 v2, 0
	ds_load_2addr_b32 v[185:186], v2 offset0:69 offset1:70
	ds_load_2addr_b32 v[187:188], v2 offset0:71 offset1:72
	;; [unrolled: 1-line block ×4, first 2 shown]
	s_mov_b32 s0, exec_lo
	s_waitcnt vmcnt(14) lgkmcnt(3)
	v_fma_f32 v185, v130, v185, 0
	s_delay_alu instid0(VALU_DEP_1) | instskip(SKIP_4) | instid1(VALU_DEP_1)
	v_fmac_f32_e32 v185, v131, v186
	ds_load_2addr_b32 v[130:131], v2 offset0:77 offset1:78
	s_waitcnt lgkmcnt(3)
	v_fmac_f32_e32 v185, v132, v187
	s_waitcnt vmcnt(13)
	v_fmac_f32_e32 v185, v133, v188
	ds_load_2addr_b32 v[132:133], v2 offset0:79 offset1:80
	s_waitcnt lgkmcnt(3)
	v_fmac_f32_e32 v185, v134, v189
	s_delay_alu instid0(VALU_DEP_1) | instskip(SKIP_1) | instid1(VALU_DEP_1)
	v_fmac_f32_e32 v185, v135, v190
	s_waitcnt lgkmcnt(2)
	v_fmac_f32_e32 v185, v136, v191
	s_waitcnt vmcnt(12)
	s_delay_alu instid0(VALU_DEP_1) | instskip(SKIP_4) | instid1(VALU_DEP_1)
	v_fmac_f32_e32 v185, v137, v192
	ds_load_2addr_b32 v[134:135], v2 offset0:81 offset1:82
	ds_load_2addr_b32 v[136:137], v2 offset0:83 offset1:84
	s_waitcnt lgkmcnt(3)
	v_fmac_f32_e32 v185, v138, v130
	v_fmac_f32_e32 v185, v139, v131
	ds_load_2addr_b32 v[130:131], v2 offset0:85 offset1:86
	s_waitcnt lgkmcnt(3)
	v_fmac_f32_e32 v185, v140, v132
	s_waitcnt vmcnt(11)
	s_delay_alu instid0(VALU_DEP_1) | instskip(SKIP_3) | instid1(VALU_DEP_1)
	v_fmac_f32_e32 v185, v141, v133
	ds_load_2addr_b32 v[132:133], v2 offset0:87 offset1:88
	s_waitcnt lgkmcnt(3)
	v_fmac_f32_e32 v185, v142, v134
	v_fmac_f32_e32 v185, v143, v135
	s_waitcnt lgkmcnt(2)
	s_delay_alu instid0(VALU_DEP_1) | instskip(SKIP_1) | instid1(VALU_DEP_1)
	v_fmac_f32_e32 v185, v144, v136
	s_waitcnt vmcnt(10)
	v_fmac_f32_e32 v185, v145, v137
	ds_load_2addr_b32 v[134:135], v2 offset0:89 offset1:90
	ds_load_2addr_b32 v[136:137], v2 offset0:91 offset1:92
	s_waitcnt lgkmcnt(3)
	v_fmac_f32_e32 v185, v146, v130
	s_delay_alu instid0(VALU_DEP_1) | instskip(SKIP_4) | instid1(VALU_DEP_1)
	v_fmac_f32_e32 v185, v147, v131
	ds_load_2addr_b32 v[130:131], v2 offset0:93 offset1:94
	s_waitcnt lgkmcnt(3)
	v_fmac_f32_e32 v185, v148, v132
	s_waitcnt vmcnt(9)
	v_fmac_f32_e32 v185, v149, v133
	ds_load_2addr_b32 v[132:133], v2 offset0:95 offset1:96
	s_waitcnt lgkmcnt(3)
	v_fmac_f32_e32 v185, v150, v134
	s_delay_alu instid0(VALU_DEP_1) | instskip(SKIP_1) | instid1(VALU_DEP_1)
	v_fmac_f32_e32 v185, v151, v135
	s_waitcnt lgkmcnt(2)
	v_fmac_f32_e32 v185, v152, v136
	s_waitcnt vmcnt(8)
	s_delay_alu instid0(VALU_DEP_1) | instskip(SKIP_4) | instid1(VALU_DEP_1)
	v_fmac_f32_e32 v185, v153, v137
	ds_load_2addr_b32 v[134:135], v2 offset0:97 offset1:98
	ds_load_2addr_b32 v[136:137], v2 offset0:99 offset1:100
	s_waitcnt lgkmcnt(3)
	v_fmac_f32_e32 v185, v154, v130
	v_fmac_f32_e32 v185, v155, v131
	ds_load_2addr_b32 v[130:131], v2 offset0:101 offset1:102
	s_waitcnt lgkmcnt(3)
	v_fmac_f32_e32 v185, v156, v132
	s_waitcnt vmcnt(7)
	s_delay_alu instid0(VALU_DEP_1) | instskip(SKIP_3) | instid1(VALU_DEP_1)
	v_fmac_f32_e32 v185, v157, v133
	ds_load_2addr_b32 v[132:133], v2 offset0:103 offset1:104
	s_waitcnt lgkmcnt(3)
	v_fmac_f32_e32 v185, v158, v134
	v_fmac_f32_e32 v185, v159, v135
	s_waitcnt lgkmcnt(2)
	s_delay_alu instid0(VALU_DEP_1) | instskip(SKIP_1) | instid1(VALU_DEP_1)
	v_fmac_f32_e32 v185, v160, v136
	s_waitcnt vmcnt(6)
	v_fmac_f32_e32 v185, v161, v137
	ds_load_2addr_b32 v[134:135], v2 offset0:105 offset1:106
	ds_load_2addr_b32 v[136:137], v2 offset0:107 offset1:108
	s_waitcnt lgkmcnt(3)
	v_fmac_f32_e32 v185, v162, v130
	;; [unrolled: 41-line block ×3, first 2 shown]
	ds_load_b32 v130, v2 offset:500
	v_fmac_f32_e32 v185, v179, v131
	s_waitcnt lgkmcnt(3)
	s_delay_alu instid0(VALU_DEP_1) | instskip(SKIP_1) | instid1(VALU_DEP_1)
	v_fmac_f32_e32 v185, v180, v132
	s_waitcnt vmcnt(1)
	v_fmac_f32_e32 v185, v181, v133
	s_waitcnt lgkmcnt(2)
	s_delay_alu instid0(VALU_DEP_1) | instskip(NEXT) | instid1(VALU_DEP_1)
	v_fmac_f32_e32 v185, v182, v134
	v_fmac_f32_e32 v185, v183, v135
	s_waitcnt lgkmcnt(1)
	s_delay_alu instid0(VALU_DEP_1) | instskip(SKIP_1) | instid1(VALU_DEP_1)
	v_fmac_f32_e32 v185, v184, v136
	s_waitcnt vmcnt(0)
	v_fmac_f32_e32 v185, v3, v137
	s_waitcnt lgkmcnt(0)
	s_delay_alu instid0(VALU_DEP_1) | instskip(NEXT) | instid1(VALU_DEP_1)
	v_fmac_f32_e32 v185, v4, v130
	v_sub_f32_e32 v3, v129, v185
	scratch_store_b32 off, v3, off offset:16
	v_cmpx_lt_u32_e32 3, v0
	s_cbranch_execz .LBB125_373
; %bb.372:
	scratch_load_b32 v3, off, off offset:12
	scratch_store_b32 off, v2, off offset:12
	s_waitcnt vmcnt(0)
	ds_store_b32 v1, v3
.LBB125_373:
	s_or_b32 exec_lo, exec_lo, s0
	s_waitcnt lgkmcnt(0)
	s_waitcnt_vscnt null, 0x0
	s_barrier
	buffer_gl0_inv
	s_clause 0xe
	scratch_load_b128 v[129:132], off, off offset:12
	scratch_load_b128 v[133:136], off, off offset:28
	;; [unrolled: 1-line block ×14, first 2 shown]
	scratch_load_b96 v[193:195], off, off offset:236
	ds_load_b128 v[185:188], v2 offset:272
	ds_load_b128 v[189:192], v2 offset:288
	s_mov_b32 s0, exec_lo
	s_waitcnt vmcnt(14) lgkmcnt(1)
	v_fma_f32 v4, v130, v185, 0
	s_delay_alu instid0(VALU_DEP_1) | instskip(NEXT) | instid1(VALU_DEP_1)
	v_fmac_f32_e32 v4, v131, v186
	v_fmac_f32_e32 v4, v132, v187
	s_waitcnt vmcnt(13)
	s_delay_alu instid0(VALU_DEP_1) | instskip(SKIP_3) | instid1(VALU_DEP_1)
	v_fmac_f32_e32 v4, v133, v188
	ds_load_b128 v[130:133], v2 offset:304
	s_waitcnt lgkmcnt(1)
	v_fmac_f32_e32 v4, v134, v189
	v_fmac_f32_e32 v4, v135, v190
	s_delay_alu instid0(VALU_DEP_1) | instskip(SKIP_1) | instid1(VALU_DEP_1)
	v_fmac_f32_e32 v4, v136, v191
	s_waitcnt vmcnt(12)
	v_fmac_f32_e32 v4, v137, v192
	ds_load_b128 v[134:137], v2 offset:320
	s_waitcnt lgkmcnt(1)
	v_fmac_f32_e32 v4, v138, v130
	s_delay_alu instid0(VALU_DEP_1) | instskip(NEXT) | instid1(VALU_DEP_1)
	v_fmac_f32_e32 v4, v139, v131
	v_fmac_f32_e32 v4, v140, v132
	s_waitcnt vmcnt(11)
	s_delay_alu instid0(VALU_DEP_1) | instskip(SKIP_3) | instid1(VALU_DEP_1)
	v_fmac_f32_e32 v4, v141, v133
	ds_load_b128 v[130:133], v2 offset:336
	s_waitcnt lgkmcnt(1)
	v_fmac_f32_e32 v4, v142, v134
	v_fmac_f32_e32 v4, v143, v135
	s_delay_alu instid0(VALU_DEP_1) | instskip(SKIP_1) | instid1(VALU_DEP_1)
	v_fmac_f32_e32 v4, v144, v136
	s_waitcnt vmcnt(10)
	v_fmac_f32_e32 v4, v145, v137
	ds_load_b128 v[134:137], v2 offset:352
	s_waitcnt lgkmcnt(1)
	v_fmac_f32_e32 v4, v146, v130
	;; [unrolled: 17-line block ×5, first 2 shown]
	s_delay_alu instid0(VALU_DEP_1) | instskip(NEXT) | instid1(VALU_DEP_1)
	v_fmac_f32_e32 v4, v171, v131
	v_fmac_f32_e32 v4, v172, v132
	s_waitcnt vmcnt(3)
	s_delay_alu instid0(VALU_DEP_1) | instskip(SKIP_3) | instid1(VALU_DEP_1)
	v_fmac_f32_e32 v4, v173, v133
	ds_load_b128 v[130:133], v2 offset:464
	s_waitcnt lgkmcnt(1)
	v_fmac_f32_e32 v4, v174, v134
	v_fmac_f32_e32 v4, v175, v135
	s_delay_alu instid0(VALU_DEP_1) | instskip(SKIP_1) | instid1(VALU_DEP_1)
	v_fmac_f32_e32 v4, v176, v136
	s_waitcnt vmcnt(2)
	v_fmac_f32_e32 v4, v177, v137
	ds_load_b128 v[134:137], v2 offset:480
	ds_load_b64 v[2:3], v2 offset:496
	s_waitcnt lgkmcnt(2)
	v_fmac_f32_e32 v4, v178, v130
	s_delay_alu instid0(VALU_DEP_1) | instskip(NEXT) | instid1(VALU_DEP_1)
	v_fmac_f32_e32 v4, v179, v131
	v_fmac_f32_e32 v4, v180, v132
	s_waitcnt vmcnt(1)
	s_delay_alu instid0(VALU_DEP_1) | instskip(SKIP_1) | instid1(VALU_DEP_1)
	v_fmac_f32_e32 v4, v181, v133
	s_waitcnt lgkmcnt(1)
	v_fmac_f32_e32 v4, v182, v134
	s_delay_alu instid0(VALU_DEP_1) | instskip(NEXT) | instid1(VALU_DEP_1)
	v_fmac_f32_e32 v4, v183, v135
	v_fmac_f32_e32 v4, v184, v136
	s_waitcnt vmcnt(0)
	s_delay_alu instid0(VALU_DEP_1) | instskip(SKIP_1) | instid1(VALU_DEP_1)
	v_fmac_f32_e32 v4, v193, v137
	s_waitcnt lgkmcnt(0)
	v_fmac_f32_e32 v4, v194, v2
	s_delay_alu instid0(VALU_DEP_1) | instskip(NEXT) | instid1(VALU_DEP_1)
	v_fmac_f32_e32 v4, v195, v3
	v_sub_f32_e32 v2, v129, v4
	scratch_store_b32 off, v2, off offset:12
	v_cmpx_lt_u32_e32 2, v0
	s_cbranch_execz .LBB125_375
; %bb.374:
	scratch_load_b32 v2, off, off offset:8
	v_mov_b32_e32 v3, 0
	scratch_store_b32 off, v3, off offset:8
	s_waitcnt vmcnt(0)
	ds_store_b32 v1, v2
.LBB125_375:
	s_or_b32 exec_lo, exec_lo, s0
	s_waitcnt lgkmcnt(0)
	s_waitcnt_vscnt null, 0x0
	s_barrier
	buffer_gl0_inv
	s_clause 0xe
	scratch_load_b128 v[129:132], off, off offset:8
	scratch_load_b128 v[133:136], off, off offset:24
	;; [unrolled: 1-line block ×15, first 2 shown]
	v_mov_b32_e32 v2, 0
	ds_load_2addr_b32 v[3:4], v2 offset0:67 offset1:68
	ds_load_2addr_b32 v[189:190], v2 offset0:69 offset1:70
	;; [unrolled: 1-line block ×4, first 2 shown]
	s_mov_b32 s0, exec_lo
	s_waitcnt vmcnt(14) lgkmcnt(3)
	v_fma_f32 v195, v130, v3, 0
	s_delay_alu instid0(VALU_DEP_1)
	v_fmac_f32_e32 v195, v131, v4
	ds_load_2addr_b32 v[3:4], v2 offset0:75 offset1:76
	ds_load_2addr_b32 v[130:131], v2 offset0:77 offset1:78
	s_waitcnt lgkmcnt(4)
	v_fmac_f32_e32 v195, v132, v189
	s_waitcnt vmcnt(13)
	s_delay_alu instid0(VALU_DEP_1) | instskip(SKIP_1) | instid1(VALU_DEP_1)
	v_fmac_f32_e32 v195, v133, v190
	s_waitcnt lgkmcnt(3)
	v_fmac_f32_e32 v195, v134, v191
	s_delay_alu instid0(VALU_DEP_1)
	v_fmac_f32_e32 v195, v135, v192
	ds_load_2addr_b32 v[132:133], v2 offset0:79 offset1:80
	ds_load_2addr_b32 v[134:135], v2 offset0:81 offset1:82
	s_waitcnt lgkmcnt(4)
	v_fmac_f32_e32 v195, v136, v193
	s_waitcnt vmcnt(12)
	s_delay_alu instid0(VALU_DEP_1) | instskip(SKIP_1) | instid1(VALU_DEP_1)
	v_fmac_f32_e32 v195, v137, v194
	s_waitcnt lgkmcnt(3)
	v_fmac_f32_e32 v195, v138, v3
	s_delay_alu instid0(VALU_DEP_1) | instskip(SKIP_4) | instid1(VALU_DEP_1)
	v_fmac_f32_e32 v195, v139, v4
	ds_load_2addr_b32 v[3:4], v2 offset0:83 offset1:84
	s_waitcnt lgkmcnt(3)
	v_fmac_f32_e32 v195, v140, v130
	s_waitcnt vmcnt(11)
	v_fmac_f32_e32 v195, v141, v131
	ds_load_2addr_b32 v[130:131], v2 offset0:85 offset1:86
	s_waitcnt lgkmcnt(3)
	v_fmac_f32_e32 v195, v142, v132
	s_delay_alu instid0(VALU_DEP_1) | instskip(SKIP_1) | instid1(VALU_DEP_1)
	v_fmac_f32_e32 v195, v143, v133
	s_waitcnt lgkmcnt(2)
	v_fmac_f32_e32 v195, v144, v134
	s_waitcnt vmcnt(10)
	s_delay_alu instid0(VALU_DEP_1) | instskip(SKIP_4) | instid1(VALU_DEP_1)
	v_fmac_f32_e32 v195, v145, v135
	ds_load_2addr_b32 v[132:133], v2 offset0:87 offset1:88
	ds_load_2addr_b32 v[134:135], v2 offset0:89 offset1:90
	s_waitcnt lgkmcnt(3)
	v_fmac_f32_e32 v195, v146, v3
	v_fmac_f32_e32 v195, v147, v4
	ds_load_2addr_b32 v[3:4], v2 offset0:91 offset1:92
	s_waitcnt lgkmcnt(3)
	v_fmac_f32_e32 v195, v148, v130
	s_waitcnt vmcnt(9)
	s_delay_alu instid0(VALU_DEP_1) | instskip(SKIP_3) | instid1(VALU_DEP_1)
	v_fmac_f32_e32 v195, v149, v131
	ds_load_2addr_b32 v[130:131], v2 offset0:93 offset1:94
	s_waitcnt lgkmcnt(3)
	v_fmac_f32_e32 v195, v150, v132
	v_fmac_f32_e32 v195, v151, v133
	s_waitcnt lgkmcnt(2)
	s_delay_alu instid0(VALU_DEP_1) | instskip(SKIP_1) | instid1(VALU_DEP_1)
	v_fmac_f32_e32 v195, v152, v134
	s_waitcnt vmcnt(8)
	v_fmac_f32_e32 v195, v153, v135
	ds_load_2addr_b32 v[132:133], v2 offset0:95 offset1:96
	ds_load_2addr_b32 v[134:135], v2 offset0:97 offset1:98
	s_waitcnt lgkmcnt(3)
	v_fmac_f32_e32 v195, v154, v3
	s_delay_alu instid0(VALU_DEP_1) | instskip(SKIP_4) | instid1(VALU_DEP_1)
	v_fmac_f32_e32 v195, v155, v4
	ds_load_2addr_b32 v[3:4], v2 offset0:99 offset1:100
	s_waitcnt lgkmcnt(3)
	v_fmac_f32_e32 v195, v156, v130
	s_waitcnt vmcnt(7)
	v_fmac_f32_e32 v195, v157, v131
	ds_load_2addr_b32 v[130:131], v2 offset0:101 offset1:102
	s_waitcnt lgkmcnt(3)
	v_fmac_f32_e32 v195, v158, v132
	s_delay_alu instid0(VALU_DEP_1) | instskip(SKIP_1) | instid1(VALU_DEP_1)
	v_fmac_f32_e32 v195, v159, v133
	s_waitcnt lgkmcnt(2)
	v_fmac_f32_e32 v195, v160, v134
	s_waitcnt vmcnt(6)
	s_delay_alu instid0(VALU_DEP_1) | instskip(SKIP_4) | instid1(VALU_DEP_1)
	v_fmac_f32_e32 v195, v161, v135
	ds_load_2addr_b32 v[132:133], v2 offset0:103 offset1:104
	ds_load_2addr_b32 v[134:135], v2 offset0:105 offset1:106
	s_waitcnt lgkmcnt(3)
	v_fmac_f32_e32 v195, v162, v3
	v_fmac_f32_e32 v195, v163, v4
	ds_load_2addr_b32 v[3:4], v2 offset0:107 offset1:108
	s_waitcnt lgkmcnt(3)
	v_fmac_f32_e32 v195, v164, v130
	s_waitcnt vmcnt(5)
	s_delay_alu instid0(VALU_DEP_1) | instskip(SKIP_3) | instid1(VALU_DEP_1)
	v_fmac_f32_e32 v195, v165, v131
	ds_load_2addr_b32 v[130:131], v2 offset0:109 offset1:110
	s_waitcnt lgkmcnt(3)
	v_fmac_f32_e32 v195, v166, v132
	v_fmac_f32_e32 v195, v167, v133
	s_waitcnt lgkmcnt(2)
	s_delay_alu instid0(VALU_DEP_1) | instskip(SKIP_1) | instid1(VALU_DEP_1)
	v_fmac_f32_e32 v195, v168, v134
	s_waitcnt vmcnt(4)
	v_fmac_f32_e32 v195, v169, v135
	ds_load_2addr_b32 v[132:133], v2 offset0:111 offset1:112
	ds_load_2addr_b32 v[134:135], v2 offset0:113 offset1:114
	s_waitcnt lgkmcnt(3)
	v_fmac_f32_e32 v195, v170, v3
	s_delay_alu instid0(VALU_DEP_1) | instskip(SKIP_4) | instid1(VALU_DEP_1)
	v_fmac_f32_e32 v195, v171, v4
	ds_load_2addr_b32 v[3:4], v2 offset0:115 offset1:116
	s_waitcnt lgkmcnt(3)
	v_fmac_f32_e32 v195, v172, v130
	s_waitcnt vmcnt(3)
	v_fmac_f32_e32 v195, v173, v131
	ds_load_2addr_b32 v[130:131], v2 offset0:117 offset1:118
	s_waitcnt lgkmcnt(3)
	v_fmac_f32_e32 v195, v174, v132
	s_delay_alu instid0(VALU_DEP_1) | instskip(SKIP_1) | instid1(VALU_DEP_1)
	v_fmac_f32_e32 v195, v175, v133
	s_waitcnt lgkmcnt(2)
	v_fmac_f32_e32 v195, v176, v134
	s_waitcnt vmcnt(2)
	s_delay_alu instid0(VALU_DEP_1) | instskip(SKIP_4) | instid1(VALU_DEP_1)
	v_fmac_f32_e32 v195, v177, v135
	ds_load_2addr_b32 v[132:133], v2 offset0:119 offset1:120
	ds_load_2addr_b32 v[134:135], v2 offset0:121 offset1:122
	s_waitcnt lgkmcnt(3)
	v_fmac_f32_e32 v195, v178, v3
	v_fmac_f32_e32 v195, v179, v4
	ds_load_2addr_b32 v[3:4], v2 offset0:123 offset1:124
	s_waitcnt lgkmcnt(3)
	v_fmac_f32_e32 v195, v180, v130
	ds_load_b32 v130, v2 offset:500
	s_waitcnt vmcnt(1)
	v_fmac_f32_e32 v195, v181, v131
	s_waitcnt lgkmcnt(3)
	s_delay_alu instid0(VALU_DEP_1) | instskip(NEXT) | instid1(VALU_DEP_1)
	v_fmac_f32_e32 v195, v182, v132
	v_fmac_f32_e32 v195, v183, v133
	s_waitcnt lgkmcnt(2)
	s_delay_alu instid0(VALU_DEP_1) | instskip(SKIP_1) | instid1(VALU_DEP_1)
	v_fmac_f32_e32 v195, v184, v134
	s_waitcnt vmcnt(0)
	v_fmac_f32_e32 v195, v185, v135
	s_waitcnt lgkmcnt(1)
	s_delay_alu instid0(VALU_DEP_1) | instskip(NEXT) | instid1(VALU_DEP_1)
	v_fmac_f32_e32 v195, v186, v3
	v_fmac_f32_e32 v195, v187, v4
	s_waitcnt lgkmcnt(0)
	s_delay_alu instid0(VALU_DEP_1) | instskip(NEXT) | instid1(VALU_DEP_1)
	v_fmac_f32_e32 v195, v188, v130
	v_sub_f32_e32 v3, v129, v195
	scratch_store_b32 off, v3, off offset:8
	v_cmpx_lt_u32_e32 1, v0
	s_cbranch_execz .LBB125_377
; %bb.376:
	scratch_load_b32 v3, off, off offset:4
	scratch_store_b32 off, v2, off offset:4
	s_waitcnt vmcnt(0)
	ds_store_b32 v1, v3
.LBB125_377:
	s_or_b32 exec_lo, exec_lo, s0
	s_waitcnt lgkmcnt(0)
	s_waitcnt_vscnt null, 0x0
	s_barrier
	buffer_gl0_inv
	s_clause 0xf
	scratch_load_b128 v[129:132], off, off offset:4
	scratch_load_b128 v[133:136], off, off offset:20
	;; [unrolled: 1-line block ×15, first 2 shown]
	scratch_load_b32 v3, off, off offset:244
	ds_load_2addr_b64 v[189:192], v2 offset0:33 offset1:34
	ds_load_2addr_b64 v[193:196], v2 offset0:35 offset1:36
	s_mov_b32 s0, exec_lo
	s_waitcnt vmcnt(15) lgkmcnt(1)
	v_fma_f32 v4, v130, v189, 0
	s_delay_alu instid0(VALU_DEP_1) | instskip(NEXT) | instid1(VALU_DEP_1)
	v_fmac_f32_e32 v4, v131, v190
	v_fmac_f32_e32 v4, v132, v191
	s_waitcnt vmcnt(14)
	s_delay_alu instid0(VALU_DEP_1) | instskip(SKIP_3) | instid1(VALU_DEP_1)
	v_fmac_f32_e32 v4, v133, v192
	ds_load_2addr_b64 v[130:133], v2 offset0:37 offset1:38
	s_waitcnt lgkmcnt(1)
	v_fmac_f32_e32 v4, v134, v193
	v_fmac_f32_e32 v4, v135, v194
	s_delay_alu instid0(VALU_DEP_1) | instskip(SKIP_1) | instid1(VALU_DEP_1)
	v_fmac_f32_e32 v4, v136, v195
	s_waitcnt vmcnt(13)
	v_fmac_f32_e32 v4, v137, v196
	ds_load_2addr_b64 v[134:137], v2 offset0:39 offset1:40
	s_waitcnt lgkmcnt(1)
	v_fmac_f32_e32 v4, v138, v130
	s_delay_alu instid0(VALU_DEP_1) | instskip(NEXT) | instid1(VALU_DEP_1)
	v_fmac_f32_e32 v4, v139, v131
	v_fmac_f32_e32 v4, v140, v132
	s_waitcnt vmcnt(12)
	s_delay_alu instid0(VALU_DEP_1) | instskip(SKIP_3) | instid1(VALU_DEP_1)
	v_fmac_f32_e32 v4, v141, v133
	ds_load_2addr_b64 v[130:133], v2 offset0:41 offset1:42
	s_waitcnt lgkmcnt(1)
	v_fmac_f32_e32 v4, v142, v134
	v_fmac_f32_e32 v4, v143, v135
	s_delay_alu instid0(VALU_DEP_1) | instskip(SKIP_1) | instid1(VALU_DEP_1)
	v_fmac_f32_e32 v4, v144, v136
	s_waitcnt vmcnt(11)
	v_fmac_f32_e32 v4, v145, v137
	ds_load_2addr_b64 v[134:137], v2 offset0:43 offset1:44
	s_waitcnt lgkmcnt(1)
	v_fmac_f32_e32 v4, v146, v130
	;; [unrolled: 17-line block ×6, first 2 shown]
	s_delay_alu instid0(VALU_DEP_1) | instskip(NEXT) | instid1(VALU_DEP_1)
	v_fmac_f32_e32 v4, v179, v131
	v_fmac_f32_e32 v4, v180, v132
	s_waitcnt vmcnt(2)
	s_delay_alu instid0(VALU_DEP_1) | instskip(SKIP_3) | instid1(VALU_DEP_1)
	v_fmac_f32_e32 v4, v181, v133
	ds_load_2addr_b64 v[130:133], v2 offset0:61 offset1:62
	s_waitcnt lgkmcnt(1)
	v_fmac_f32_e32 v4, v182, v134
	v_fmac_f32_e32 v4, v183, v135
	s_delay_alu instid0(VALU_DEP_1) | instskip(SKIP_1) | instid1(VALU_DEP_1)
	v_fmac_f32_e32 v4, v184, v136
	s_waitcnt vmcnt(1)
	v_fmac_f32_e32 v4, v185, v137
	s_waitcnt lgkmcnt(0)
	s_delay_alu instid0(VALU_DEP_1) | instskip(NEXT) | instid1(VALU_DEP_1)
	v_fmac_f32_e32 v4, v186, v130
	v_fmac_f32_e32 v4, v187, v131
	s_delay_alu instid0(VALU_DEP_1) | instskip(SKIP_1) | instid1(VALU_DEP_1)
	v_fmac_f32_e32 v4, v188, v132
	s_waitcnt vmcnt(0)
	v_fmac_f32_e32 v4, v3, v133
	s_delay_alu instid0(VALU_DEP_1)
	v_sub_f32_e32 v2, v129, v4
	scratch_store_b32 off, v2, off offset:4
	v_cmpx_ne_u32_e32 0, v0
	s_cbranch_execz .LBB125_379
; %bb.378:
	scratch_load_b32 v0, off, off
	v_mov_b32_e32 v2, 0
	scratch_store_b32 off, v2, off
	s_waitcnt vmcnt(0)
	ds_store_b32 v1, v0
.LBB125_379:
	s_or_b32 exec_lo, exec_lo, s0
	s_waitcnt lgkmcnt(0)
	s_waitcnt_vscnt null, 0x0
	s_barrier
	buffer_gl0_inv
	s_clause 0xe
	scratch_load_b128 v[129:132], off, off
	scratch_load_b128 v[133:136], off, off offset:16
	scratch_load_b128 v[137:140], off, off offset:32
	;; [unrolled: 1-line block ×14, first 2 shown]
	v_mov_b32_e32 v4, 0
	scratch_load_b64 v[0:1], off, off offset:240
	s_and_b32 vcc_lo, exec_lo, s12
	ds_load_2addr_b32 v[2:3], v4 offset0:65 offset1:66
	s_waitcnt vmcnt(15) lgkmcnt(0)
	v_fma_f32 v195, v130, v2, 0
	s_delay_alu instid0(VALU_DEP_1)
	v_fmac_f32_e32 v195, v131, v3
	ds_load_2addr_b32 v[189:190], v4 offset0:67 offset1:68
	ds_load_2addr_b32 v[191:192], v4 offset0:69 offset1:70
	;; [unrolled: 1-line block ×5, first 2 shown]
	s_waitcnt lgkmcnt(4)
	v_fmac_f32_e32 v195, v132, v189
	s_waitcnt vmcnt(14)
	s_delay_alu instid0(VALU_DEP_1) | instskip(SKIP_1) | instid1(VALU_DEP_1)
	v_fmac_f32_e32 v195, v133, v190
	s_waitcnt lgkmcnt(3)
	v_fmac_f32_e32 v195, v134, v191
	s_delay_alu instid0(VALU_DEP_1)
	v_fmac_f32_e32 v195, v135, v192
	ds_load_2addr_b32 v[132:133], v4 offset0:77 offset1:78
	ds_load_2addr_b32 v[134:135], v4 offset0:79 offset1:80
	s_waitcnt lgkmcnt(4)
	v_fmac_f32_e32 v195, v136, v193
	s_waitcnt vmcnt(13)
	s_delay_alu instid0(VALU_DEP_1) | instskip(SKIP_1) | instid1(VALU_DEP_1)
	v_fmac_f32_e32 v195, v137, v194
	s_waitcnt lgkmcnt(3)
	v_fmac_f32_e32 v195, v138, v2
	s_delay_alu instid0(VALU_DEP_1) | instskip(SKIP_4) | instid1(VALU_DEP_1)
	v_fmac_f32_e32 v195, v139, v3
	ds_load_2addr_b32 v[2:3], v4 offset0:81 offset1:82
	s_waitcnt lgkmcnt(3)
	v_fmac_f32_e32 v195, v140, v130
	s_waitcnt vmcnt(12)
	v_fmac_f32_e32 v195, v141, v131
	ds_load_2addr_b32 v[130:131], v4 offset0:83 offset1:84
	s_waitcnt lgkmcnt(3)
	v_fmac_f32_e32 v195, v142, v132
	s_delay_alu instid0(VALU_DEP_1) | instskip(SKIP_1) | instid1(VALU_DEP_1)
	v_fmac_f32_e32 v195, v143, v133
	s_waitcnt lgkmcnt(2)
	v_fmac_f32_e32 v195, v144, v134
	s_waitcnt vmcnt(11)
	s_delay_alu instid0(VALU_DEP_1) | instskip(SKIP_4) | instid1(VALU_DEP_1)
	v_fmac_f32_e32 v195, v145, v135
	ds_load_2addr_b32 v[132:133], v4 offset0:85 offset1:86
	ds_load_2addr_b32 v[134:135], v4 offset0:87 offset1:88
	s_waitcnt lgkmcnt(3)
	v_fmac_f32_e32 v195, v146, v2
	v_fmac_f32_e32 v195, v147, v3
	ds_load_2addr_b32 v[2:3], v4 offset0:89 offset1:90
	s_waitcnt lgkmcnt(3)
	v_fmac_f32_e32 v195, v148, v130
	s_waitcnt vmcnt(10)
	s_delay_alu instid0(VALU_DEP_1) | instskip(SKIP_3) | instid1(VALU_DEP_1)
	v_fmac_f32_e32 v195, v149, v131
	ds_load_2addr_b32 v[130:131], v4 offset0:91 offset1:92
	s_waitcnt lgkmcnt(3)
	v_fmac_f32_e32 v195, v150, v132
	v_fmac_f32_e32 v195, v151, v133
	s_waitcnt lgkmcnt(2)
	s_delay_alu instid0(VALU_DEP_1) | instskip(SKIP_1) | instid1(VALU_DEP_1)
	v_fmac_f32_e32 v195, v152, v134
	s_waitcnt vmcnt(9)
	v_fmac_f32_e32 v195, v153, v135
	ds_load_2addr_b32 v[132:133], v4 offset0:93 offset1:94
	ds_load_2addr_b32 v[134:135], v4 offset0:95 offset1:96
	s_waitcnt lgkmcnt(3)
	v_fmac_f32_e32 v195, v154, v2
	s_delay_alu instid0(VALU_DEP_1) | instskip(SKIP_4) | instid1(VALU_DEP_1)
	v_fmac_f32_e32 v195, v155, v3
	ds_load_2addr_b32 v[2:3], v4 offset0:97 offset1:98
	s_waitcnt lgkmcnt(3)
	v_fmac_f32_e32 v195, v156, v130
	s_waitcnt vmcnt(8)
	v_fmac_f32_e32 v195, v157, v131
	ds_load_2addr_b32 v[130:131], v4 offset0:99 offset1:100
	s_waitcnt lgkmcnt(3)
	v_fmac_f32_e32 v195, v158, v132
	s_delay_alu instid0(VALU_DEP_1) | instskip(SKIP_1) | instid1(VALU_DEP_1)
	v_fmac_f32_e32 v195, v159, v133
	s_waitcnt lgkmcnt(2)
	v_fmac_f32_e32 v195, v160, v134
	s_waitcnt vmcnt(7)
	s_delay_alu instid0(VALU_DEP_1) | instskip(SKIP_4) | instid1(VALU_DEP_1)
	v_fmac_f32_e32 v195, v161, v135
	ds_load_2addr_b32 v[132:133], v4 offset0:101 offset1:102
	ds_load_2addr_b32 v[134:135], v4 offset0:103 offset1:104
	s_waitcnt lgkmcnt(3)
	v_fmac_f32_e32 v195, v162, v2
	v_fmac_f32_e32 v195, v163, v3
	ds_load_2addr_b32 v[2:3], v4 offset0:105 offset1:106
	s_waitcnt lgkmcnt(3)
	v_fmac_f32_e32 v195, v164, v130
	s_waitcnt vmcnt(6)
	s_delay_alu instid0(VALU_DEP_1) | instskip(SKIP_3) | instid1(VALU_DEP_1)
	v_fmac_f32_e32 v195, v165, v131
	ds_load_2addr_b32 v[130:131], v4 offset0:107 offset1:108
	s_waitcnt lgkmcnt(3)
	v_fmac_f32_e32 v195, v166, v132
	v_fmac_f32_e32 v195, v167, v133
	s_waitcnt lgkmcnt(2)
	s_delay_alu instid0(VALU_DEP_1) | instskip(SKIP_1) | instid1(VALU_DEP_1)
	v_fmac_f32_e32 v195, v168, v134
	s_waitcnt vmcnt(5)
	v_fmac_f32_e32 v195, v169, v135
	ds_load_2addr_b32 v[132:133], v4 offset0:109 offset1:110
	ds_load_2addr_b32 v[134:135], v4 offset0:111 offset1:112
	s_waitcnt lgkmcnt(3)
	v_fmac_f32_e32 v195, v170, v2
	s_delay_alu instid0(VALU_DEP_1) | instskip(SKIP_4) | instid1(VALU_DEP_1)
	v_fmac_f32_e32 v195, v171, v3
	ds_load_2addr_b32 v[2:3], v4 offset0:113 offset1:114
	s_waitcnt lgkmcnt(3)
	v_fmac_f32_e32 v195, v172, v130
	s_waitcnt vmcnt(4)
	v_fmac_f32_e32 v195, v173, v131
	ds_load_2addr_b32 v[130:131], v4 offset0:115 offset1:116
	s_waitcnt lgkmcnt(3)
	v_fmac_f32_e32 v195, v174, v132
	s_delay_alu instid0(VALU_DEP_1) | instskip(SKIP_1) | instid1(VALU_DEP_1)
	v_fmac_f32_e32 v195, v175, v133
	s_waitcnt lgkmcnt(2)
	v_fmac_f32_e32 v195, v176, v134
	s_waitcnt vmcnt(3)
	s_delay_alu instid0(VALU_DEP_1) | instskip(SKIP_4) | instid1(VALU_DEP_1)
	v_fmac_f32_e32 v195, v177, v135
	ds_load_2addr_b32 v[132:133], v4 offset0:117 offset1:118
	ds_load_2addr_b32 v[134:135], v4 offset0:119 offset1:120
	s_waitcnt lgkmcnt(3)
	v_fmac_f32_e32 v195, v178, v2
	v_fmac_f32_e32 v195, v179, v3
	ds_load_2addr_b32 v[2:3], v4 offset0:121 offset1:122
	s_waitcnt lgkmcnt(3)
	v_fmac_f32_e32 v195, v180, v130
	s_waitcnt vmcnt(2)
	s_delay_alu instid0(VALU_DEP_1) | instskip(SKIP_4) | instid1(VALU_DEP_1)
	v_fmac_f32_e32 v195, v181, v131
	ds_load_2addr_b32 v[130:131], v4 offset0:123 offset1:124
	ds_load_b32 v4, v4 offset:500
	s_waitcnt lgkmcnt(4)
	v_fmac_f32_e32 v195, v182, v132
	v_fmac_f32_e32 v195, v183, v133
	s_waitcnt lgkmcnt(3)
	s_delay_alu instid0(VALU_DEP_1) | instskip(SKIP_1) | instid1(VALU_DEP_1)
	v_fmac_f32_e32 v195, v184, v134
	s_waitcnt vmcnt(1)
	v_fmac_f32_e32 v195, v185, v135
	s_waitcnt lgkmcnt(2)
	s_delay_alu instid0(VALU_DEP_1) | instskip(NEXT) | instid1(VALU_DEP_1)
	v_fmac_f32_e32 v195, v186, v2
	v_fmac_f32_e32 v195, v187, v3
	s_waitcnt lgkmcnt(1)
	s_delay_alu instid0(VALU_DEP_1) | instskip(SKIP_1) | instid1(VALU_DEP_1)
	v_fmac_f32_e32 v195, v188, v130
	s_waitcnt vmcnt(0)
	v_fmac_f32_e32 v195, v0, v131
	s_waitcnt lgkmcnt(0)
	s_delay_alu instid0(VALU_DEP_1) | instskip(NEXT) | instid1(VALU_DEP_1)
	v_fmac_f32_e32 v195, v1, v4
	v_sub_f32_e32 v1, v129, v195
	scratch_store_b32 off, v1, off
	s_cbranch_vccz .LBB125_503
; %bb.380:
	v_dual_mov_b32 v1, s2 :: v_dual_mov_b32 v2, s3
	s_mov_b32 s0, exec_lo
	flat_load_b32 v1, v[1:2] offset:240
	s_waitcnt vmcnt(0) lgkmcnt(0)
	v_cmpx_ne_u32_e32 61, v1
	s_cbranch_execz .LBB125_382
; %bb.381:
	v_lshl_add_u32 v1, v1, 2, 0
	scratch_load_b32 v2, v1, off offset:-4
	s_waitcnt vmcnt(0)
	scratch_store_b32 off, v2, off offset:240
	scratch_store_b32 v1, v0, off offset:-4
.LBB125_382:
	s_or_b32 exec_lo, exec_lo, s0
	v_dual_mov_b32 v0, s2 :: v_dual_mov_b32 v1, s3
	s_mov_b32 s0, exec_lo
	flat_load_b32 v0, v[0:1] offset:236
	s_waitcnt vmcnt(0) lgkmcnt(0)
	v_cmpx_ne_u32_e32 60, v0
	s_cbranch_execz .LBB125_384
; %bb.383:
	v_lshl_add_u32 v0, v0, 2, 0
	scratch_load_b32 v1, v0, off offset:-4
	scratch_load_b32 v2, off, off offset:236
	s_waitcnt vmcnt(1)
	scratch_store_b32 off, v1, off offset:236
	s_waitcnt vmcnt(0)
	scratch_store_b32 v0, v2, off offset:-4
.LBB125_384:
	s_or_b32 exec_lo, exec_lo, s0
	v_dual_mov_b32 v0, s2 :: v_dual_mov_b32 v1, s3
	s_mov_b32 s0, exec_lo
	flat_load_b32 v0, v[0:1] offset:232
	s_waitcnt vmcnt(0) lgkmcnt(0)
	v_cmpx_ne_u32_e32 59, v0
	s_cbranch_execz .LBB125_386
; %bb.385:
	v_lshl_add_u32 v0, v0, 2, 0
	scratch_load_b32 v1, v0, off offset:-4
	scratch_load_b32 v2, off, off offset:232
	s_waitcnt vmcnt(1)
	scratch_store_b32 off, v1, off offset:232
	s_waitcnt vmcnt(0)
	scratch_store_b32 v0, v2, off offset:-4
.LBB125_386:
	;; [unrolled: 16-line block ×59, first 2 shown]
	s_or_b32 exec_lo, exec_lo, s0
	v_dual_mov_b32 v0, s2 :: v_dual_mov_b32 v1, s3
	s_mov_b32 s0, exec_lo
	flat_load_b32 v0, v[0:1]
	scratch_load_b32 v1, off, off
	s_waitcnt vmcnt(1) lgkmcnt(0)
	v_cmpx_ne_u32_e32 1, v0
	s_cbranch_execz .LBB125_502
; %bb.501:
	v_lshl_add_u32 v0, v0, 2, 0
	scratch_load_b32 v2, v0, off offset:-4
	s_waitcnt vmcnt(0)
	scratch_store_b32 off, v2, off
	scratch_store_b32 v0, v1, off offset:-4
	scratch_load_b32 v1, off, off
.LBB125_502:
	s_or_b32 exec_lo, exec_lo, s0
.LBB125_503:
	s_clause 0xf
	scratch_load_b128 v[129:132], off, off offset:4
	scratch_load_b128 v[133:136], off, off offset:20
	;; [unrolled: 1-line block ×15, first 2 shown]
	scratch_load_b32 v0, off, off offset:244
	s_waitcnt vmcnt(16)
	global_store_b32 v[5:6], v1, off
	s_waitcnt vmcnt(15)
	s_clause 0x3
	global_store_b32 v[7:8], v129, off
	global_store_b32 v[9:10], v130, off
	global_store_b32 v[11:12], v131, off
	global_store_b32 v[13:14], v132, off
	s_waitcnt vmcnt(14)
	s_clause 0x3
	global_store_b32 v[15:16], v133, off
	global_store_b32 v[17:18], v134, off
	global_store_b32 v[19:20], v135, off
	global_store_b32 v[21:22], v136, off
	s_waitcnt vmcnt(13)
	s_clause 0x3
	global_store_b32 v[23:24], v137, off
	global_store_b32 v[25:26], v138, off
	global_store_b32 v[27:28], v139, off
	global_store_b32 v[29:30], v140, off
	s_waitcnt vmcnt(12)
	s_clause 0x3
	global_store_b32 v[31:32], v141, off
	global_store_b32 v[33:34], v142, off
	global_store_b32 v[35:36], v143, off
	global_store_b32 v[37:38], v144, off
	s_waitcnt vmcnt(11)
	s_clause 0x3
	global_store_b32 v[39:40], v145, off
	global_store_b32 v[41:42], v146, off
	global_store_b32 v[43:44], v147, off
	global_store_b32 v[45:46], v148, off
	s_waitcnt vmcnt(10)
	s_clause 0x3
	global_store_b32 v[47:48], v149, off
	global_store_b32 v[49:50], v150, off
	global_store_b32 v[51:52], v151, off
	global_store_b32 v[53:54], v152, off
	s_waitcnt vmcnt(9)
	s_clause 0x3
	global_store_b32 v[55:56], v153, off
	global_store_b32 v[57:58], v154, off
	global_store_b32 v[59:60], v155, off
	global_store_b32 v[61:62], v156, off
	s_waitcnt vmcnt(8)
	s_clause 0x3
	global_store_b32 v[63:64], v157, off
	global_store_b32 v[65:66], v158, off
	global_store_b32 v[67:68], v159, off
	global_store_b32 v[69:70], v160, off
	s_waitcnt vmcnt(7)
	s_clause 0x3
	global_store_b32 v[73:74], v161, off
	global_store_b32 v[75:76], v162, off
	global_store_b32 v[77:78], v163, off
	global_store_b32 v[79:80], v164, off
	s_waitcnt vmcnt(6)
	s_clause 0x3
	global_store_b32 v[81:82], v165, off
	global_store_b32 v[83:84], v166, off
	global_store_b32 v[85:86], v167, off
	global_store_b32 v[87:88], v168, off
	s_waitcnt vmcnt(5)
	s_clause 0x3
	global_store_b32 v[89:90], v169, off
	global_store_b32 v[91:92], v170, off
	global_store_b32 v[93:94], v171, off
	global_store_b32 v[95:96], v172, off
	s_waitcnt vmcnt(4)
	s_clause 0x3
	global_store_b32 v[97:98], v173, off
	global_store_b32 v[99:100], v174, off
	global_store_b32 v[101:102], v175, off
	global_store_b32 v[103:104], v176, off
	s_waitcnt vmcnt(3)
	s_clause 0x3
	global_store_b32 v[105:106], v177, off
	global_store_b32 v[107:108], v178, off
	global_store_b32 v[109:110], v179, off
	global_store_b32 v[111:112], v180, off
	s_waitcnt vmcnt(2)
	s_clause 0x3
	global_store_b32 v[113:114], v181, off
	global_store_b32 v[115:116], v182, off
	global_store_b32 v[117:118], v183, off
	global_store_b32 v[119:120], v184, off
	s_waitcnt vmcnt(1)
	s_clause 0x3
	global_store_b32 v[121:122], v185, off
	global_store_b32 v[123:124], v186, off
	global_store_b32 v[125:126], v187, off
	global_store_b32 v[127:128], v188, off
	s_waitcnt vmcnt(0)
	global_store_b32 v[71:72], v0, off
	s_endpgm
	.section	.rodata,"a",@progbits
	.p2align	6, 0x0
	.amdhsa_kernel _ZN9rocsolver6v33100L18getri_kernel_smallILi62EfPKPfEEvT1_iilPiilS6_bb
		.amdhsa_group_segment_fixed_size 504
		.amdhsa_private_segment_fixed_size 256
		.amdhsa_kernarg_size 60
		.amdhsa_user_sgpr_count 15
		.amdhsa_user_sgpr_dispatch_ptr 0
		.amdhsa_user_sgpr_queue_ptr 0
		.amdhsa_user_sgpr_kernarg_segment_ptr 1
		.amdhsa_user_sgpr_dispatch_id 0
		.amdhsa_user_sgpr_private_segment_size 0
		.amdhsa_wavefront_size32 1
		.amdhsa_uses_dynamic_stack 0
		.amdhsa_enable_private_segment 1
		.amdhsa_system_sgpr_workgroup_id_x 1
		.amdhsa_system_sgpr_workgroup_id_y 0
		.amdhsa_system_sgpr_workgroup_id_z 0
		.amdhsa_system_sgpr_workgroup_info 0
		.amdhsa_system_vgpr_workitem_id 0
		.amdhsa_next_free_vgpr 197
		.amdhsa_next_free_sgpr 17
		.amdhsa_reserve_vcc 1
		.amdhsa_float_round_mode_32 0
		.amdhsa_float_round_mode_16_64 0
		.amdhsa_float_denorm_mode_32 3
		.amdhsa_float_denorm_mode_16_64 3
		.amdhsa_dx10_clamp 1
		.amdhsa_ieee_mode 1
		.amdhsa_fp16_overflow 0
		.amdhsa_workgroup_processor_mode 1
		.amdhsa_memory_ordered 1
		.amdhsa_forward_progress 0
		.amdhsa_shared_vgpr_count 0
		.amdhsa_exception_fp_ieee_invalid_op 0
		.amdhsa_exception_fp_denorm_src 0
		.amdhsa_exception_fp_ieee_div_zero 0
		.amdhsa_exception_fp_ieee_overflow 0
		.amdhsa_exception_fp_ieee_underflow 0
		.amdhsa_exception_fp_ieee_inexact 0
		.amdhsa_exception_int_div_zero 0
	.end_amdhsa_kernel
	.section	.text._ZN9rocsolver6v33100L18getri_kernel_smallILi62EfPKPfEEvT1_iilPiilS6_bb,"axG",@progbits,_ZN9rocsolver6v33100L18getri_kernel_smallILi62EfPKPfEEvT1_iilPiilS6_bb,comdat
.Lfunc_end125:
	.size	_ZN9rocsolver6v33100L18getri_kernel_smallILi62EfPKPfEEvT1_iilPiilS6_bb, .Lfunc_end125-_ZN9rocsolver6v33100L18getri_kernel_smallILi62EfPKPfEEvT1_iilPiilS6_bb
                                        ; -- End function
	.section	.AMDGPU.csdata,"",@progbits
; Kernel info:
; codeLenInByte = 50668
; NumSgprs: 19
; NumVgprs: 197
; ScratchSize: 256
; MemoryBound: 0
; FloatMode: 240
; IeeeMode: 1
; LDSByteSize: 504 bytes/workgroup (compile time only)
; SGPRBlocks: 2
; VGPRBlocks: 24
; NumSGPRsForWavesPerEU: 19
; NumVGPRsForWavesPerEU: 197
; Occupancy: 7
; WaveLimiterHint : 1
; COMPUTE_PGM_RSRC2:SCRATCH_EN: 1
; COMPUTE_PGM_RSRC2:USER_SGPR: 15
; COMPUTE_PGM_RSRC2:TRAP_HANDLER: 0
; COMPUTE_PGM_RSRC2:TGID_X_EN: 1
; COMPUTE_PGM_RSRC2:TGID_Y_EN: 0
; COMPUTE_PGM_RSRC2:TGID_Z_EN: 0
; COMPUTE_PGM_RSRC2:TIDIG_COMP_CNT: 0
	.section	.text._ZN9rocsolver6v33100L18getri_kernel_smallILi63EfPKPfEEvT1_iilPiilS6_bb,"axG",@progbits,_ZN9rocsolver6v33100L18getri_kernel_smallILi63EfPKPfEEvT1_iilPiilS6_bb,comdat
	.globl	_ZN9rocsolver6v33100L18getri_kernel_smallILi63EfPKPfEEvT1_iilPiilS6_bb ; -- Begin function _ZN9rocsolver6v33100L18getri_kernel_smallILi63EfPKPfEEvT1_iilPiilS6_bb
	.p2align	8
	.type	_ZN9rocsolver6v33100L18getri_kernel_smallILi63EfPKPfEEvT1_iilPiilS6_bb,@function
_ZN9rocsolver6v33100L18getri_kernel_smallILi63EfPKPfEEvT1_iilPiilS6_bb: ; @_ZN9rocsolver6v33100L18getri_kernel_smallILi63EfPKPfEEvT1_iilPiilS6_bb
; %bb.0:
	s_mov_b32 s2, exec_lo
	v_cmpx_gt_u32_e32 63, v0
	s_cbranch_execz .LBB126_260
; %bb.1:
	s_clause 0x1
	s_load_b32 s13, s[0:1], 0x38
	s_load_b64 s[2:3], s[0:1], 0x0
	s_mov_b32 s8, s15
	s_load_b128 s[4:7], s[0:1], 0x28
	s_waitcnt lgkmcnt(0)
	s_bitcmp1_b32 s13, 8
	s_cselect_b32 s12, -1, 0
	s_ashr_i32 s9, s15, 31
	s_delay_alu instid0(SALU_CYCLE_1) | instskip(NEXT) | instid1(SALU_CYCLE_1)
	s_lshl_b64 s[10:11], s[8:9], 3
	s_add_u32 s2, s2, s10
	s_addc_u32 s3, s3, s11
	s_load_b64 s[10:11], s[2:3], 0x0
	s_bfe_u32 s2, s13, 0x10008
	s_delay_alu instid0(SALU_CYCLE_1)
	s_cmp_eq_u32 s2, 0
                                        ; implicit-def: $sgpr2_sgpr3
	s_cbranch_scc1 .LBB126_3
; %bb.2:
	s_clause 0x1
	s_load_b32 s2, s[0:1], 0x20
	s_load_b64 s[14:15], s[0:1], 0x18
	s_mul_i32 s3, s8, s5
	s_mul_hi_u32 s5, s8, s4
	s_mul_i32 s16, s9, s4
	s_add_i32 s3, s5, s3
	s_mul_i32 s4, s8, s4
	s_add_i32 s5, s3, s16
	s_delay_alu instid0(SALU_CYCLE_1)
	s_lshl_b64 s[4:5], s[4:5], 2
	s_waitcnt lgkmcnt(0)
	s_ashr_i32 s3, s2, 31
	s_add_u32 s4, s14, s4
	s_addc_u32 s5, s15, s5
	s_lshl_b64 s[2:3], s[2:3], 2
	s_delay_alu instid0(SALU_CYCLE_1)
	s_add_u32 s2, s4, s2
	s_addc_u32 s3, s5, s3
.LBB126_3:
	s_load_b64 s[0:1], s[0:1], 0x8
	v_lshlrev_b32_e32 v131, 2, v0
	s_waitcnt lgkmcnt(0)
	v_add3_u32 v2, s1, s1, v0
	s_ashr_i32 s5, s0, 31
	s_mov_b32 s4, s0
	s_mov_b32 s14, s1
	s_lshl_b64 s[4:5], s[4:5], 2
	v_add_nc_u32_e32 v9, s1, v2
	v_ashrrev_i32_e32 v3, 31, v2
	s_add_u32 s4, s10, s4
	s_addc_u32 s5, s11, s5
	v_add_co_u32 v5, s0, s4, v131
	v_add_nc_u32_e32 v11, s1, v9
	v_ashrrev_i32_e32 v10, 31, v9
	s_ashr_i32 s15, s1, 31
	v_add_co_ci_u32_e64 v6, null, s5, 0, s0
	s_delay_alu instid0(VALU_DEP_3)
	v_add_nc_u32_e32 v13, s1, v11
	v_lshlrev_b64 v[2:3], 2, v[2:3]
	s_lshl_b64 s[10:11], s[14:15], 2
	v_lshlrev_b64 v[52:53], 2, v[9:10]
	v_add_co_u32 v7, vcc_lo, v5, s10
	v_add_nc_u32_e32 v15, s1, v13
	v_ashrrev_i32_e32 v12, 31, v11
	v_add_co_ci_u32_e32 v8, vcc_lo, s11, v6, vcc_lo
	v_add_co_u32 v9, vcc_lo, s4, v2
	s_delay_alu instid0(VALU_DEP_4) | instskip(SKIP_3) | instid1(VALU_DEP_4)
	v_add_nc_u32_e32 v17, s1, v15
	v_ashrrev_i32_e32 v14, 31, v13
	v_add_co_ci_u32_e32 v10, vcc_lo, s5, v3, vcc_lo
	v_lshlrev_b64 v[2:3], 2, v[11:12]
	v_add_nc_u32_e32 v19, s1, v17
	v_add_co_u32 v11, vcc_lo, s4, v52
	v_add_co_ci_u32_e32 v12, vcc_lo, s5, v53, vcc_lo
	s_delay_alu instid0(VALU_DEP_3) | instskip(SKIP_3) | instid1(VALU_DEP_4)
	v_add_nc_u32_e32 v21, s1, v19
	v_lshlrev_b64 v[52:53], 2, v[13:14]
	v_ashrrev_i32_e32 v16, 31, v15
	v_add_co_u32 v13, vcc_lo, s4, v2
	v_add_nc_u32_e32 v23, s1, v21
	v_ashrrev_i32_e32 v18, 31, v17
	v_add_co_ci_u32_e32 v14, vcc_lo, s5, v3, vcc_lo
	v_lshlrev_b64 v[2:3], 2, v[15:16]
	s_delay_alu instid0(VALU_DEP_4) | instskip(SKIP_2) | instid1(VALU_DEP_3)
	v_add_nc_u32_e32 v25, s1, v23
	v_add_co_u32 v15, vcc_lo, s4, v52
	v_add_co_ci_u32_e32 v16, vcc_lo, s5, v53, vcc_lo
	v_add_nc_u32_e32 v27, s1, v25
	v_lshlrev_b64 v[52:53], 2, v[17:18]
	v_ashrrev_i32_e32 v20, 31, v19
	v_add_co_u32 v17, vcc_lo, s4, v2
	s_delay_alu instid0(VALU_DEP_4) | instskip(SKIP_3) | instid1(VALU_DEP_4)
	v_add_nc_u32_e32 v29, s1, v27
	v_ashrrev_i32_e32 v22, 31, v21
	v_add_co_ci_u32_e32 v18, vcc_lo, s5, v3, vcc_lo
	v_lshlrev_b64 v[2:3], 2, v[19:20]
	v_add_nc_u32_e32 v31, s1, v29
	v_add_co_u32 v19, vcc_lo, s4, v52
	v_ashrrev_i32_e32 v24, 31, v23
	v_add_co_ci_u32_e32 v20, vcc_lo, s5, v53, vcc_lo
	s_delay_alu instid0(VALU_DEP_4) | instskip(SKIP_3) | instid1(VALU_DEP_4)
	v_add_nc_u32_e32 v33, s1, v31
	v_lshlrev_b64 v[52:53], 2, v[21:22]
	v_add_co_u32 v21, vcc_lo, s4, v2
	v_lshlrev_b64 v[67:68], 2, v[23:24]
	v_add_nc_u32_e32 v35, s1, v33
	v_ashrrev_i32_e32 v26, 31, v25
	v_add_co_ci_u32_e32 v22, vcc_lo, s5, v3, vcc_lo
	v_add_co_u32 v23, vcc_lo, s4, v52
	s_delay_alu instid0(VALU_DEP_4) | instskip(SKIP_3) | instid1(VALU_DEP_4)
	v_add_nc_u32_e32 v37, s1, v35
	v_ashrrev_i32_e32 v28, 31, v27
	v_add_co_ci_u32_e32 v24, vcc_lo, s5, v53, vcc_lo
	v_lshlrev_b64 v[52:53], 2, v[25:26]
	v_add_nc_u32_e32 v39, s1, v37
	v_add_co_u32 v25, vcc_lo, s4, v67
	v_add_co_ci_u32_e32 v26, vcc_lo, s5, v68, vcc_lo
	s_delay_alu instid0(VALU_DEP_3) | instskip(SKIP_3) | instid1(VALU_DEP_4)
	v_add_nc_u32_e32 v41, s1, v39
	v_lshlrev_b64 v[67:68], 2, v[27:28]
	v_ashrrev_i32_e32 v30, 31, v29
	v_add_co_u32 v27, vcc_lo, s4, v52
	v_add_nc_u32_e32 v43, s1, v41
	v_ashrrev_i32_e32 v32, 31, v31
	v_add_co_ci_u32_e32 v28, vcc_lo, s5, v53, vcc_lo
	v_lshlrev_b64 v[52:53], 2, v[29:30]
	s_delay_alu instid0(VALU_DEP_4) | instskip(SKIP_2) | instid1(VALU_DEP_3)
	v_add_nc_u32_e32 v45, s1, v43
	v_add_co_u32 v29, vcc_lo, s4, v67
	v_add_co_ci_u32_e32 v30, vcc_lo, s5, v68, vcc_lo
	v_add_nc_u32_e32 v47, s1, v45
	v_lshlrev_b64 v[67:68], 2, v[31:32]
	v_ashrrev_i32_e32 v34, 31, v33
	v_add_co_u32 v31, vcc_lo, s4, v52
	s_delay_alu instid0(VALU_DEP_4) | instskip(SKIP_3) | instid1(VALU_DEP_4)
	v_add_nc_u32_e32 v49, s1, v47
	v_ashrrev_i32_e32 v36, 31, v35
	v_add_co_ci_u32_e32 v32, vcc_lo, s5, v53, vcc_lo
	v_lshlrev_b64 v[52:53], 2, v[33:34]
	v_add_nc_u32_e32 v51, s1, v49
	v_add_co_u32 v33, vcc_lo, s4, v67
	v_add_co_ci_u32_e32 v34, vcc_lo, s5, v68, vcc_lo
	s_delay_alu instid0(VALU_DEP_3) | instskip(SKIP_3) | instid1(VALU_DEP_4)
	v_add_nc_u32_e32 v54, s1, v51
	v_lshlrev_b64 v[67:68], 2, v[35:36]
	v_ashrrev_i32_e32 v38, 31, v37
	v_add_co_u32 v35, vcc_lo, s4, v52
	v_add_nc_u32_e32 v56, s1, v54
	v_ashrrev_i32_e32 v40, 31, v39
	v_add_co_ci_u32_e32 v36, vcc_lo, s5, v53, vcc_lo
	v_lshlrev_b64 v[52:53], 2, v[37:38]
	s_delay_alu instid0(VALU_DEP_4) | instskip(SKIP_2) | instid1(VALU_DEP_3)
	v_add_nc_u32_e32 v58, s1, v56
	v_add_co_u32 v37, vcc_lo, s4, v67
	v_add_co_ci_u32_e32 v38, vcc_lo, s5, v68, vcc_lo
	v_add_nc_u32_e32 v60, s1, v58
	v_lshlrev_b64 v[67:68], 2, v[39:40]
	v_ashrrev_i32_e32 v42, 31, v41
	;; [unrolled: 25-line block ×4, first 2 shown]
	v_add_co_u32 v55, vcc_lo, s4, v86
	s_delay_alu instid0(VALU_DEP_4) | instskip(SKIP_3) | instid1(VALU_DEP_4)
	v_add_nc_u32_e32 v89, s1, v85
	v_ashrrev_i32_e32 v61, 31, v60
	v_add_co_ci_u32_e32 v56, vcc_lo, s5, v87, vcc_lo
	v_lshlrev_b64 v[86:87], 2, v[58:59]
	v_add_nc_u32_e32 v91, s1, v89
	v_add_co_u32 v57, vcc_lo, s4, v67
	v_add_co_ci_u32_e32 v58, vcc_lo, s5, v68, vcc_lo
	s_delay_alu instid0(VALU_DEP_3) | instskip(SKIP_3) | instid1(VALU_DEP_4)
	v_add_nc_u32_e32 v93, s1, v91
	v_lshlrev_b64 v[67:68], 2, v[60:61]
	v_ashrrev_i32_e32 v63, 31, v62
	v_add_co_u32 v59, vcc_lo, s4, v86
	v_add_nc_u32_e32 v95, s1, v93
	v_ashrrev_i32_e32 v65, 31, v64
	v_add_co_ci_u32_e32 v60, vcc_lo, s5, v87, vcc_lo
	v_lshlrev_b64 v[86:87], 2, v[62:63]
	s_delay_alu instid0(VALU_DEP_4) | instskip(SKIP_3) | instid1(VALU_DEP_4)
	v_add_nc_u32_e32 v97, s1, v95
	v_add_co_u32 v61, vcc_lo, s4, v67
	v_ashrrev_i32_e32 v67, 31, v66
	v_lshlrev_b64 v[116:117], 2, v[64:65]
	v_add_nc_u32_e32 v99, s1, v97
	v_ashrrev_i32_e32 v70, 31, v69
	v_add_co_ci_u32_e32 v62, vcc_lo, s5, v68, vcc_lo
	v_add_co_u32 v63, vcc_lo, s4, v86
	s_delay_alu instid0(VALU_DEP_4) | instskip(SKIP_3) | instid1(VALU_DEP_4)
	v_add_nc_u32_e32 v101, s1, v99
	v_lshlrev_b64 v[67:68], 2, v[66:67]
	v_ashrrev_i32_e32 v72, 31, v71
	v_add_co_ci_u32_e32 v64, vcc_lo, s5, v87, vcc_lo
	v_add_nc_u32_e32 v103, s1, v101
	v_add_co_u32 v65, vcc_lo, s4, v116
	v_lshlrev_b64 v[69:70], 2, v[69:70]
	v_ashrrev_i32_e32 v74, 31, v73
	s_delay_alu instid0(VALU_DEP_4) | instskip(SKIP_2) | instid1(VALU_DEP_3)
	v_add_nc_u32_e32 v105, s1, v103
	v_add_co_ci_u32_e32 v66, vcc_lo, s5, v117, vcc_lo
	v_add_co_u32 v67, vcc_lo, s4, v67
	v_add_nc_u32_e32 v107, s1, v105
	v_lshlrev_b64 v[71:72], 2, v[71:72]
	v_add_co_ci_u32_e32 v68, vcc_lo, s5, v68, vcc_lo
	v_add_co_u32 v69, vcc_lo, s4, v69
	s_delay_alu instid0(VALU_DEP_4) | instskip(SKIP_3) | instid1(VALU_DEP_4)
	v_add_nc_u32_e32 v109, s1, v107
	v_lshlrev_b64 v[73:74], 2, v[73:74]
	v_ashrrev_i32_e32 v76, 31, v75
	v_add_co_ci_u32_e32 v70, vcc_lo, s5, v70, vcc_lo
	v_add_nc_u32_e32 v111, s1, v109
	v_add_co_u32 v71, vcc_lo, s4, v71
	v_ashrrev_i32_e32 v78, 31, v77
	v_add_co_ci_u32_e32 v72, vcc_lo, s5, v72, vcc_lo
	s_delay_alu instid0(VALU_DEP_4) | instskip(SKIP_3) | instid1(VALU_DEP_4)
	v_add_nc_u32_e32 v113, s1, v111
	v_lshlrev_b64 v[86:87], 2, v[75:76]
	v_add_co_u32 v75, vcc_lo, s4, v73
	v_add_co_ci_u32_e32 v76, vcc_lo, s5, v74, vcc_lo
	v_add_nc_u32_e32 v115, s1, v113
	v_lshlrev_b64 v[73:74], 2, v[77:78]
	v_ashrrev_i32_e32 v80, 31, v79
	v_add_co_u32 v77, vcc_lo, s4, v86
	s_delay_alu instid0(VALU_DEP_4) | instskip(SKIP_1) | instid1(VALU_DEP_4)
	v_add_nc_u32_e32 v118, s1, v115
	v_add_co_ci_u32_e32 v78, vcc_lo, s5, v87, vcc_lo
	v_lshlrev_b64 v[86:87], 2, v[79:80]
	v_ashrrev_i32_e32 v82, 31, v81
	s_delay_alu instid0(VALU_DEP_4) | instskip(SKIP_2) | instid1(VALU_DEP_3)
	v_add_nc_u32_e32 v120, s1, v118
	v_add_co_u32 v79, vcc_lo, s4, v73
	v_add_co_ci_u32_e32 v80, vcc_lo, s5, v74, vcc_lo
	v_add_nc_u32_e32 v122, s1, v120
	v_ashrrev_i32_e32 v84, 31, v83
	v_lshlrev_b64 v[129:130], 2, v[81:82]
	v_add_co_u32 v81, vcc_lo, s4, v86
	s_delay_alu instid0(VALU_DEP_4) | instskip(SKIP_3) | instid1(VALU_DEP_4)
	v_add_nc_u32_e32 v124, s1, v122
	v_ashrrev_i32_e32 v86, 31, v85
	v_add_co_ci_u32_e32 v82, vcc_lo, s5, v87, vcc_lo
	v_lshlrev_b64 v[87:88], 2, v[83:84]
	v_add_nc_u32_e32 v126, s1, v124
	v_ashrrev_i32_e32 v90, 31, v89
	v_ashrrev_i32_e32 v92, 31, v91
	;; [unrolled: 1-line block ×4, first 2 shown]
	v_add_nc_u32_e32 v128, s1, v126
	v_lshlrev_b64 v[89:90], 2, v[89:90]
	v_lshlrev_b64 v[91:92], 2, v[91:92]
	v_lshlrev_b64 v[93:94], 2, v[93:94]
	v_ashrrev_i32_e32 v98, 31, v97
	v_add_nc_u32_e32 v185, s1, v128
	v_lshlrev_b64 v[95:96], 2, v[95:96]
	v_ashrrev_i32_e32 v100, 31, v99
	v_ashrrev_i32_e32 v102, 31, v101
	v_lshlrev_b64 v[97:98], 2, v[97:98]
	v_add_nc_u32_e32 v116, s1, v185
	v_ashrrev_i32_e32 v104, 31, v103
	v_lshlrev_b64 v[99:100], 2, v[99:100]
	v_lshlrev_b64 v[101:102], 2, v[101:102]
	v_ashrrev_i32_e32 v106, 31, v105
	v_ashrrev_i32_e32 v117, 31, v116
	v_lshlrev_b64 v[103:104], 2, v[103:104]
	v_ashrrev_i32_e32 v108, 31, v107
	v_ashrrev_i32_e32 v110, 31, v109
	v_lshlrev_b64 v[105:106], 2, v[105:106]
	v_lshlrev_b64 v[73:74], 2, v[116:117]
	;; [unrolled: 1-line block ×4, first 2 shown]
	v_ashrrev_i32_e32 v112, 31, v111
	v_lshlrev_b64 v[109:110], 2, v[109:110]
	v_ashrrev_i32_e32 v114, 31, v113
	v_add_co_u32 v73, vcc_lo, s4, v73
	v_add_co_ci_u32_e32 v74, vcc_lo, s5, v74, vcc_lo
	v_add_co_u32 v83, vcc_lo, s4, v129
	v_add_co_ci_u32_e32 v84, vcc_lo, s5, v130, vcc_lo
	;; [unrolled: 2-line block ×13, first 2 shown]
	v_add_co_u32 v107, vcc_lo, s4, v107
	v_lshlrev_b64 v[111:112], 2, v[111:112]
	v_ashrrev_i32_e32 v116, 31, v115
	v_add_co_ci_u32_e32 v108, vcc_lo, s5, v108, vcc_lo
	v_add_co_u32 v109, vcc_lo, s4, v109
	v_lshlrev_b64 v[113:114], 2, v[113:114]
	v_ashrrev_i32_e32 v119, 31, v118
	v_add_co_ci_u32_e32 v110, vcc_lo, s5, v110, vcc_lo
	;; [unrolled: 4-line block ×8, first 2 shown]
	v_add_co_u32 v123, vcc_lo, s4, v123
	v_lshlrev_b64 v[127:128], 2, v[128:129]
	v_add_co_ci_u32_e32 v124, vcc_lo, s5, v124, vcc_lo
	v_add_co_u32 v125, vcc_lo, s4, v125
	v_lshlrev_b64 v[129:130], 2, v[185:186]
	v_add_co_ci_u32_e32 v126, vcc_lo, s5, v126, vcc_lo
	v_add_co_u32 v127, vcc_lo, s4, v127
	v_add_co_ci_u32_e32 v128, vcc_lo, s5, v128, vcc_lo
	s_delay_alu instid0(VALU_DEP_4)
	v_add_co_u32 v129, vcc_lo, s4, v129
	s_clause 0x1f
	global_load_b32 v1, v131, s[4:5]
	global_load_b32 v2, v[7:8], off
	global_load_b32 v3, v[9:10], off
	;; [unrolled: 1-line block ×31, first 2 shown]
	s_clause 0x18
	global_load_b32 v160, v[69:70], off
	global_load_b32 v161, v[71:72], off
	;; [unrolled: 1-line block ×25, first 2 shown]
	v_add_co_ci_u32_e32 v130, vcc_lo, s5, v130, vcc_lo
	s_clause 0x5
	global_load_b32 v185, v[121:122], off
	global_load_b32 v186, v[123:124], off
	;; [unrolled: 1-line block ×6, first 2 shown]
	s_bitcmp0_b32 s13, 0
	s_mov_b32 s1, -1
	s_waitcnt vmcnt(59)
	scratch_store_b128 off, v[1:4], off
	s_waitcnt vmcnt(55)
	scratch_store_b128 off, v[132:135], off offset:16
	s_waitcnt vmcnt(51)
	scratch_store_b128 off, v[136:139], off offset:32
	;; [unrolled: 2-line block ×14, first 2 shown]
	s_waitcnt vmcnt(0)
	scratch_store_b96 off, v[188:190], off offset:240
	s_cbranch_scc1 .LBB126_258
; %bb.4:
	v_cmp_eq_u32_e64 s0, 0, v0
	s_delay_alu instid0(VALU_DEP_1)
	s_and_saveexec_b32 s1, s0
	s_cbranch_execz .LBB126_6
; %bb.5:
	v_mov_b32_e32 v1, 0
	ds_store_b32 v1, v1 offset:252
.LBB126_6:
	s_or_b32 exec_lo, exec_lo, s1
	s_waitcnt lgkmcnt(0)
	s_waitcnt_vscnt null, 0x0
	s_barrier
	buffer_gl0_inv
	scratch_load_b32 v1, v131, off
	s_mov_b32 s4, exec_lo
	s_waitcnt vmcnt(0)
	v_cmpx_eq_f32_e32 0, v1
	s_cbranch_execz .LBB126_10
; %bb.7:
	v_mov_b32_e32 v1, 0
	s_mov_b32 s5, 0
	ds_load_b32 v2, v1 offset:252
	s_waitcnt lgkmcnt(0)
	v_readfirstlane_b32 s1, v2
	v_add_nc_u32_e32 v2, 1, v0
	s_delay_alu instid0(VALU_DEP_2) | instskip(NEXT) | instid1(VALU_DEP_1)
	s_cmp_eq_u32 s1, 0
	v_cmp_gt_i32_e32 vcc_lo, s1, v2
	s_cselect_b32 s10, -1, 0
	s_delay_alu instid0(SALU_CYCLE_1) | instskip(NEXT) | instid1(SALU_CYCLE_1)
	s_or_b32 s10, s10, vcc_lo
	s_and_b32 exec_lo, exec_lo, s10
	s_cbranch_execz .LBB126_10
; %bb.8:
	v_mov_b32_e32 v3, s1
.LBB126_9:                              ; =>This Inner Loop Header: Depth=1
	ds_cmpstore_rtn_b32 v3, v1, v2, v3 offset:252
	s_waitcnt lgkmcnt(0)
	v_cmp_ne_u32_e32 vcc_lo, 0, v3
	v_cmp_le_i32_e64 s1, v3, v2
	s_delay_alu instid0(VALU_DEP_1) | instskip(NEXT) | instid1(SALU_CYCLE_1)
	s_and_b32 s1, vcc_lo, s1
	s_and_b32 s1, exec_lo, s1
	s_delay_alu instid0(SALU_CYCLE_1) | instskip(NEXT) | instid1(SALU_CYCLE_1)
	s_or_b32 s5, s1, s5
	s_and_not1_b32 exec_lo, exec_lo, s5
	s_cbranch_execnz .LBB126_9
.LBB126_10:
	s_or_b32 exec_lo, exec_lo, s4
	v_mov_b32_e32 v1, 0
	s_barrier
	buffer_gl0_inv
	ds_load_b32 v2, v1 offset:252
	s_and_saveexec_b32 s1, s0
	s_cbranch_execz .LBB126_12
; %bb.11:
	s_lshl_b64 s[4:5], s[8:9], 2
	s_delay_alu instid0(SALU_CYCLE_1)
	s_add_u32 s4, s6, s4
	s_addc_u32 s5, s7, s5
	s_waitcnt lgkmcnt(0)
	global_store_b32 v1, v2, s[4:5]
.LBB126_12:
	s_or_b32 exec_lo, exec_lo, s1
	s_waitcnt lgkmcnt(0)
	v_cmp_ne_u32_e32 vcc_lo, 0, v2
	s_mov_b32 s1, 0
	s_cbranch_vccnz .LBB126_258
; %bb.13:
	v_add_nc_u32_e32 v1, 0, v131
	scratch_load_b32 v2, v1, off
	s_waitcnt vmcnt(0)
	v_div_scale_f32 v3, null, v2, v2, 1.0
	v_div_scale_f32 v133, vcc_lo, 1.0, v2, 1.0
	s_delay_alu instid0(VALU_DEP_2) | instskip(SKIP_2) | instid1(VALU_DEP_1)
	v_rcp_f32_e32 v4, v3
	s_waitcnt_depctr 0xfff
	v_fma_f32 v132, -v3, v4, 1.0
	v_fmac_f32_e32 v4, v132, v4
	s_delay_alu instid0(VALU_DEP_1) | instskip(NEXT) | instid1(VALU_DEP_1)
	v_mul_f32_e32 v132, v133, v4
	v_fma_f32 v134, -v3, v132, v133
	s_delay_alu instid0(VALU_DEP_1) | instskip(NEXT) | instid1(VALU_DEP_1)
	v_fmac_f32_e32 v132, v134, v4
	v_fma_f32 v3, -v3, v132, v133
	s_delay_alu instid0(VALU_DEP_1) | instskip(NEXT) | instid1(VALU_DEP_1)
	v_div_fmas_f32 v3, v3, v4, v132
	v_div_fixup_f32 v2, v3, v2, 1.0
	scratch_store_b32 v1, v2, off
	scratch_load_b32 v3, off, off offset:4
	v_xor_b32_e32 v4, 0x80000000, v2
	v_or_b32_e32 v2, 0x100, v131
	s_waitcnt vmcnt(0)
	ds_store_2addr_stride64_b32 v131, v4, v3 offset1:1
	s_waitcnt lgkmcnt(0)
	s_waitcnt_vscnt null, 0x0
	s_barrier
	buffer_gl0_inv
	s_and_saveexec_b32 s1, s0
	s_cbranch_execz .LBB126_15
; %bb.14:
	scratch_load_b32 v3, v1, off
	ds_load_b32 v4, v2
	v_mov_b32_e32 v132, 0
	ds_load_b32 v132, v132 offset:4
	s_waitcnt vmcnt(0) lgkmcnt(1)
	v_fma_f32 v3, v3, v4, 0
	s_waitcnt lgkmcnt(0)
	s_delay_alu instid0(VALU_DEP_1)
	v_mul_f32_e32 v3, v3, v132
	scratch_store_b32 off, v3, off offset:4
.LBB126_15:
	s_or_b32 exec_lo, exec_lo, s1
	s_waitcnt_vscnt null, 0x0
	s_barrier
	buffer_gl0_inv
	scratch_load_b32 v3, off, off offset:8
	s_mov_b32 s1, exec_lo
	s_waitcnt vmcnt(0)
	ds_store_b32 v2, v3
	s_waitcnt lgkmcnt(0)
	s_barrier
	buffer_gl0_inv
	v_cmpx_gt_u32_e32 2, v0
	s_cbranch_execz .LBB126_17
; %bb.16:
	scratch_load_b32 v132, v1, off
	scratch_load_b32 v133, off, off offset:4
	ds_load_b32 v134, v2
	v_mov_b32_e32 v3, 0
	ds_load_2addr_b32 v[3:4], v3 offset0:2 offset1:65
	s_waitcnt vmcnt(1) lgkmcnt(1)
	v_fma_f32 v132, v132, v134, 0
	s_waitcnt vmcnt(0) lgkmcnt(0)
	s_delay_alu instid0(VALU_DEP_1) | instskip(NEXT) | instid1(VALU_DEP_1)
	v_fma_f32 v4, v133, v4, v132
	v_cndmask_b32_e64 v4, v132, v4, s0
	s_delay_alu instid0(VALU_DEP_1)
	v_mul_f32_e32 v3, v4, v3
	scratch_store_b32 off, v3, off offset:8
.LBB126_17:
	s_or_b32 exec_lo, exec_lo, s1
	s_waitcnt_vscnt null, 0x0
	s_barrier
	buffer_gl0_inv
	scratch_load_b32 v4, off, off offset:12
	v_add_nc_u32_e32 v3, -1, v0
	s_mov_b32 s0, exec_lo
	s_waitcnt vmcnt(0)
	ds_store_b32 v2, v4
	s_waitcnt lgkmcnt(0)
	s_barrier
	buffer_gl0_inv
	v_cmpx_gt_u32_e32 3, v0
	s_cbranch_execz .LBB126_21
; %bb.18:
	v_add_nc_u32_e32 v132, -1, v0
	v_or_b32_e32 v133, 0x100, v131
	v_add_nc_u32_e32 v134, 0, v131
	v_mov_b32_e32 v4, 0
	s_mov_b32 s1, 0
.LBB126_19:                             ; =>This Inner Loop Header: Depth=1
	scratch_load_b32 v135, v134, off
	ds_load_b32 v136, v133
	v_add_nc_u32_e32 v132, 1, v132
	v_add_nc_u32_e32 v133, 4, v133
	v_add_nc_u32_e32 v134, 4, v134
	s_delay_alu instid0(VALU_DEP_3)
	v_cmp_lt_u32_e32 vcc_lo, 1, v132
	s_or_b32 s1, vcc_lo, s1
	s_waitcnt vmcnt(0) lgkmcnt(0)
	v_fmac_f32_e32 v4, v135, v136
	s_and_not1_b32 exec_lo, exec_lo, s1
	s_cbranch_execnz .LBB126_19
; %bb.20:
	s_or_b32 exec_lo, exec_lo, s1
	v_mov_b32_e32 v132, 0
	ds_load_b32 v132, v132 offset:12
	s_waitcnt lgkmcnt(0)
	v_mul_f32_e32 v4, v4, v132
	scratch_store_b32 off, v4, off offset:12
.LBB126_21:
	s_or_b32 exec_lo, exec_lo, s0
	s_waitcnt_vscnt null, 0x0
	s_barrier
	buffer_gl0_inv
	scratch_load_b32 v4, off, off offset:16
	s_mov_b32 s0, exec_lo
	s_waitcnt vmcnt(0)
	ds_store_b32 v2, v4
	s_waitcnt lgkmcnt(0)
	s_barrier
	buffer_gl0_inv
	v_cmpx_gt_u32_e32 4, v0
	s_cbranch_execz .LBB126_25
; %bb.22:
	v_add_nc_u32_e32 v132, -1, v0
	v_or_b32_e32 v133, 0x100, v131
	v_add_nc_u32_e32 v134, 0, v131
	v_mov_b32_e32 v4, 0
	s_mov_b32 s1, 0
.LBB126_23:                             ; =>This Inner Loop Header: Depth=1
	scratch_load_b32 v135, v134, off
	ds_load_b32 v136, v133
	v_add_nc_u32_e32 v132, 1, v132
	v_add_nc_u32_e32 v133, 4, v133
	v_add_nc_u32_e32 v134, 4, v134
	s_delay_alu instid0(VALU_DEP_3)
	v_cmp_lt_u32_e32 vcc_lo, 2, v132
	s_or_b32 s1, vcc_lo, s1
	s_waitcnt vmcnt(0) lgkmcnt(0)
	v_fmac_f32_e32 v4, v135, v136
	s_and_not1_b32 exec_lo, exec_lo, s1
	s_cbranch_execnz .LBB126_23
; %bb.24:
	s_or_b32 exec_lo, exec_lo, s1
	v_mov_b32_e32 v132, 0
	ds_load_b32 v132, v132 offset:16
	s_waitcnt lgkmcnt(0)
	v_mul_f32_e32 v4, v4, v132
	scratch_store_b32 off, v4, off offset:16
.LBB126_25:
	s_or_b32 exec_lo, exec_lo, s0
	s_waitcnt_vscnt null, 0x0
	s_barrier
	buffer_gl0_inv
	scratch_load_b32 v4, off, off offset:20
	;; [unrolled: 40-line block ×21, first 2 shown]
	s_mov_b32 s0, exec_lo
	s_waitcnt vmcnt(0)
	ds_store_b32 v2, v4
	s_waitcnt lgkmcnt(0)
	s_barrier
	buffer_gl0_inv
	v_cmpx_gt_u32_e32 24, v0
	s_cbranch_execz .LBB126_105
; %bb.102:
	v_add_nc_u32_e32 v132, -1, v0
	v_or_b32_e32 v133, 0x100, v131
	v_add_nc_u32_e32 v134, 0, v131
	v_mov_b32_e32 v4, 0
	s_mov_b32 s1, 0
.LBB126_103:                            ; =>This Inner Loop Header: Depth=1
	scratch_load_b32 v135, v134, off
	ds_load_b32 v136, v133
	v_add_nc_u32_e32 v132, 1, v132
	v_add_nc_u32_e32 v133, 4, v133
	v_add_nc_u32_e32 v134, 4, v134
	s_delay_alu instid0(VALU_DEP_3)
	v_cmp_lt_u32_e32 vcc_lo, 22, v132
	s_or_b32 s1, vcc_lo, s1
	s_waitcnt vmcnt(0) lgkmcnt(0)
	v_fmac_f32_e32 v4, v135, v136
	s_and_not1_b32 exec_lo, exec_lo, s1
	s_cbranch_execnz .LBB126_103
; %bb.104:
	s_or_b32 exec_lo, exec_lo, s1
	v_mov_b32_e32 v132, 0
	ds_load_b32 v132, v132 offset:96
	s_waitcnt lgkmcnt(0)
	v_mul_f32_e32 v4, v4, v132
	scratch_store_b32 off, v4, off offset:96
.LBB126_105:
	s_or_b32 exec_lo, exec_lo, s0
	s_waitcnt_vscnt null, 0x0
	s_barrier
	buffer_gl0_inv
	scratch_load_b32 v4, off, off offset:100
	s_mov_b32 s0, exec_lo
	s_waitcnt vmcnt(0)
	ds_store_b32 v2, v4
	s_waitcnt lgkmcnt(0)
	s_barrier
	buffer_gl0_inv
	v_cmpx_gt_u32_e32 25, v0
	s_cbranch_execz .LBB126_109
; %bb.106:
	v_add_nc_u32_e32 v132, -1, v0
	v_or_b32_e32 v133, 0x100, v131
	v_add_nc_u32_e32 v134, 0, v131
	v_mov_b32_e32 v4, 0
	s_mov_b32 s1, 0
.LBB126_107:                            ; =>This Inner Loop Header: Depth=1
	scratch_load_b32 v135, v134, off
	ds_load_b32 v136, v133
	v_add_nc_u32_e32 v132, 1, v132
	v_add_nc_u32_e32 v133, 4, v133
	v_add_nc_u32_e32 v134, 4, v134
	s_delay_alu instid0(VALU_DEP_3)
	v_cmp_lt_u32_e32 vcc_lo, 23, v132
	s_or_b32 s1, vcc_lo, s1
	s_waitcnt vmcnt(0) lgkmcnt(0)
	v_fmac_f32_e32 v4, v135, v136
	s_and_not1_b32 exec_lo, exec_lo, s1
	s_cbranch_execnz .LBB126_107
; %bb.108:
	s_or_b32 exec_lo, exec_lo, s1
	v_mov_b32_e32 v132, 0
	ds_load_b32 v132, v132 offset:100
	s_waitcnt lgkmcnt(0)
	v_mul_f32_e32 v4, v4, v132
	scratch_store_b32 off, v4, off offset:100
.LBB126_109:
	s_or_b32 exec_lo, exec_lo, s0
	s_waitcnt_vscnt null, 0x0
	s_barrier
	buffer_gl0_inv
	scratch_load_b32 v4, off, off offset:104
	;; [unrolled: 40-line block ×37, first 2 shown]
	s_mov_b32 s0, exec_lo
	s_waitcnt vmcnt(0)
	ds_store_b32 v2, v4
	s_waitcnt lgkmcnt(0)
	s_barrier
	buffer_gl0_inv
	v_cmpx_gt_u32_e32 61, v0
	s_cbranch_execz .LBB126_253
; %bb.250:
	v_add_nc_u32_e32 v132, -1, v0
	v_or_b32_e32 v133, 0x100, v131
	v_dual_mov_b32 v4, 0 :: v_dual_add_nc_u32 v131, 0, v131
	s_mov_b32 s1, 0
.LBB126_251:                            ; =>This Inner Loop Header: Depth=1
	scratch_load_b32 v134, v131, off
	ds_load_b32 v135, v133
	v_add_nc_u32_e32 v132, 1, v132
	v_add_nc_u32_e32 v133, 4, v133
	;; [unrolled: 1-line block ×3, first 2 shown]
	s_delay_alu instid0(VALU_DEP_3)
	v_cmp_lt_u32_e32 vcc_lo, 59, v132
	s_or_b32 s1, vcc_lo, s1
	s_waitcnt vmcnt(0) lgkmcnt(0)
	v_fmac_f32_e32 v4, v134, v135
	s_and_not1_b32 exec_lo, exec_lo, s1
	s_cbranch_execnz .LBB126_251
; %bb.252:
	s_or_b32 exec_lo, exec_lo, s1
	v_mov_b32_e32 v131, 0
	ds_load_b32 v131, v131 offset:244
	s_waitcnt lgkmcnt(0)
	v_mul_f32_e32 v4, v4, v131
	scratch_store_b32 off, v4, off offset:244
.LBB126_253:
	s_or_b32 exec_lo, exec_lo, s0
	s_waitcnt_vscnt null, 0x0
	s_barrier
	buffer_gl0_inv
	scratch_load_b32 v4, off, off offset:248
	s_mov_b32 s0, exec_lo
	s_waitcnt vmcnt(0)
	ds_store_b32 v2, v4
	s_waitcnt lgkmcnt(0)
	s_barrier
	buffer_gl0_inv
	v_cmpx_ne_u32_e32 62, v0
	s_cbranch_execz .LBB126_257
; %bb.254:
	v_mov_b32_e32 v4, 0
	s_mov_b32 s1, 0
.LBB126_255:                            ; =>This Inner Loop Header: Depth=1
	scratch_load_b32 v131, v1, off
	ds_load_b32 v132, v2
	v_add_nc_u32_e32 v3, 1, v3
	v_add_nc_u32_e32 v2, 4, v2
	s_waitcnt vmcnt(0) lgkmcnt(0)
	v_dual_fmac_f32 v4, v131, v132 :: v_dual_add_nc_u32 v1, 4, v1
	s_delay_alu instid0(VALU_DEP_3) | instskip(SKIP_1) | instid1(SALU_CYCLE_1)
	v_cmp_lt_u32_e32 vcc_lo, 60, v3
	s_or_b32 s1, vcc_lo, s1
	s_and_not1_b32 exec_lo, exec_lo, s1
	s_cbranch_execnz .LBB126_255
; %bb.256:
	s_or_b32 exec_lo, exec_lo, s1
	v_mov_b32_e32 v1, 0
	ds_load_b32 v1, v1 offset:248
	s_waitcnt lgkmcnt(0)
	v_mul_f32_e32 v1, v4, v1
	scratch_store_b32 off, v1, off offset:248
.LBB126_257:
	s_or_b32 exec_lo, exec_lo, s0
	s_mov_b32 s1, -1
	s_waitcnt_vscnt null, 0x0
	s_barrier
	buffer_gl0_inv
.LBB126_258:
	s_and_b32 vcc_lo, exec_lo, s1
	s_cbranch_vccz .LBB126_260
; %bb.259:
	s_lshl_b64 s[0:1], s[8:9], 2
	v_mov_b32_e32 v1, 0
	s_add_u32 s0, s6, s0
	s_addc_u32 s1, s7, s1
	global_load_b32 v1, v1, s[0:1]
	s_waitcnt vmcnt(0)
	v_cmp_ne_u32_e32 vcc_lo, 0, v1
	s_cbranch_vccz .LBB126_261
.LBB126_260:
	s_endpgm
.LBB126_261:
	v_lshl_or_b32 v1, v0, 2, 0x100
	s_mov_b32 s0, exec_lo
	v_cmpx_eq_u32_e32 62, v0
	s_cbranch_execz .LBB126_263
; %bb.262:
	scratch_load_b32 v2, off, off offset:244
	v_mov_b32_e32 v3, 0
	scratch_store_b32 off, v3, off offset:244
	s_waitcnt vmcnt(0)
	ds_store_b32 v1, v2
.LBB126_263:
	s_or_b32 exec_lo, exec_lo, s0
	s_waitcnt lgkmcnt(0)
	s_waitcnt_vscnt null, 0x0
	s_barrier
	buffer_gl0_inv
	scratch_load_b64 v[3:4], off, off offset:244
	v_mov_b32_e32 v2, 0
	s_mov_b32 s0, exec_lo
	ds_load_b32 v131, v2 offset:504
	s_waitcnt vmcnt(0) lgkmcnt(0)
	v_fma_f32 v4, v4, v131, 0
	s_delay_alu instid0(VALU_DEP_1)
	v_sub_f32_e32 v3, v3, v4
	scratch_store_b32 off, v3, off offset:244
	v_cmpx_lt_u32_e32 60, v0
	s_cbranch_execz .LBB126_265
; %bb.264:
	scratch_load_b32 v3, off, off offset:240
	scratch_store_b32 off, v2, off offset:240
	s_waitcnt vmcnt(0)
	ds_store_b32 v1, v3
.LBB126_265:
	s_or_b32 exec_lo, exec_lo, s0
	s_waitcnt lgkmcnt(0)
	s_waitcnt_vscnt null, 0x0
	s_barrier
	buffer_gl0_inv
	scratch_load_b96 v[131:133], off, off offset:240
	ds_load_2addr_b32 v[2:3], v2 offset0:125 offset1:126
	s_mov_b32 s0, exec_lo
	s_waitcnt vmcnt(0) lgkmcnt(0)
	v_fma_f32 v2, v132, v2, 0
	s_delay_alu instid0(VALU_DEP_1) | instskip(NEXT) | instid1(VALU_DEP_1)
	v_fmac_f32_e32 v2, v133, v3
	v_sub_f32_e32 v2, v131, v2
	scratch_store_b32 off, v2, off offset:240
	v_cmpx_lt_u32_e32 59, v0
	s_cbranch_execz .LBB126_267
; %bb.266:
	scratch_load_b32 v2, off, off offset:236
	v_mov_b32_e32 v3, 0
	scratch_store_b32 off, v3, off offset:236
	s_waitcnt vmcnt(0)
	ds_store_b32 v1, v2
.LBB126_267:
	s_or_b32 exec_lo, exec_lo, s0
	s_waitcnt lgkmcnt(0)
	s_waitcnt_vscnt null, 0x0
	s_barrier
	buffer_gl0_inv
	scratch_load_b128 v[131:134], off, off offset:236
	v_mov_b32_e32 v2, 0
	s_mov_b32 s0, exec_lo
	ds_load_b96 v[135:137], v2 offset:496
	s_waitcnt vmcnt(0) lgkmcnt(0)
	v_fma_f32 v3, v132, v135, 0
	s_delay_alu instid0(VALU_DEP_1) | instskip(NEXT) | instid1(VALU_DEP_1)
	v_fmac_f32_e32 v3, v133, v136
	v_fmac_f32_e32 v3, v134, v137
	s_delay_alu instid0(VALU_DEP_1)
	v_sub_f32_e32 v3, v131, v3
	scratch_store_b32 off, v3, off offset:236
	v_cmpx_lt_u32_e32 58, v0
	s_cbranch_execz .LBB126_269
; %bb.268:
	scratch_load_b32 v3, off, off offset:232
	scratch_store_b32 off, v2, off offset:232
	s_waitcnt vmcnt(0)
	ds_store_b32 v1, v3
.LBB126_269:
	s_or_b32 exec_lo, exec_lo, s0
	s_waitcnt lgkmcnt(0)
	s_waitcnt_vscnt null, 0x0
	s_barrier
	buffer_gl0_inv
	s_clause 0x1
	scratch_load_b128 v[131:134], off, off offset:232
	scratch_load_b32 v137, off, off offset:248
	ds_load_2addr_b32 v[3:4], v2 offset0:123 offset1:124
	ds_load_2addr_b32 v[135:136], v2 offset0:125 offset1:126
	s_mov_b32 s0, exec_lo
	s_waitcnt vmcnt(1) lgkmcnt(1)
	v_fma_f32 v2, v132, v3, 0
	s_delay_alu instid0(VALU_DEP_1) | instskip(SKIP_1) | instid1(VALU_DEP_1)
	v_fmac_f32_e32 v2, v133, v4
	s_waitcnt lgkmcnt(0)
	v_fmac_f32_e32 v2, v134, v135
	s_waitcnt vmcnt(0)
	s_delay_alu instid0(VALU_DEP_1) | instskip(NEXT) | instid1(VALU_DEP_1)
	v_fmac_f32_e32 v2, v137, v136
	v_sub_f32_e32 v2, v131, v2
	scratch_store_b32 off, v2, off offset:232
	v_cmpx_lt_u32_e32 57, v0
	s_cbranch_execz .LBB126_271
; %bb.270:
	scratch_load_b32 v2, off, off offset:228
	v_mov_b32_e32 v3, 0
	scratch_store_b32 off, v3, off offset:228
	s_waitcnt vmcnt(0)
	ds_store_b32 v1, v2
.LBB126_271:
	s_or_b32 exec_lo, exec_lo, s0
	s_waitcnt lgkmcnt(0)
	s_waitcnt_vscnt null, 0x0
	s_barrier
	buffer_gl0_inv
	s_clause 0x1
	scratch_load_b128 v[131:134], off, off offset:228
	scratch_load_b64 v[3:4], off, off offset:244
	v_mov_b32_e32 v2, 0
	ds_load_2addr_b64 v[135:138], v2 offset0:61 offset1:62
	ds_load_b32 v139, v2 offset:504
	s_mov_b32 s0, exec_lo
	s_waitcnt vmcnt(1) lgkmcnt(1)
	v_fma_f32 v132, v132, v135, 0
	s_delay_alu instid0(VALU_DEP_1) | instskip(NEXT) | instid1(VALU_DEP_1)
	v_fmac_f32_e32 v132, v133, v136
	v_fmac_f32_e32 v132, v134, v137
	s_waitcnt vmcnt(0)
	s_delay_alu instid0(VALU_DEP_1) | instskip(SKIP_1) | instid1(VALU_DEP_1)
	v_fmac_f32_e32 v132, v3, v138
	s_waitcnt lgkmcnt(0)
	v_fmac_f32_e32 v132, v4, v139
	s_delay_alu instid0(VALU_DEP_1)
	v_sub_f32_e32 v3, v131, v132
	scratch_store_b32 off, v3, off offset:228
	v_cmpx_lt_u32_e32 56, v0
	s_cbranch_execz .LBB126_273
; %bb.272:
	scratch_load_b32 v3, off, off offset:224
	scratch_store_b32 off, v2, off offset:224
	s_waitcnt vmcnt(0)
	ds_store_b32 v1, v3
.LBB126_273:
	s_or_b32 exec_lo, exec_lo, s0
	s_waitcnt lgkmcnt(0)
	s_waitcnt_vscnt null, 0x0
	s_barrier
	buffer_gl0_inv
	s_clause 0x1
	scratch_load_b128 v[131:134], off, off offset:224
	scratch_load_b96 v[135:137], off, off offset:240
	ds_load_2addr_b32 v[3:4], v2 offset0:121 offset1:122
	ds_load_2addr_b32 v[138:139], v2 offset0:123 offset1:124
	;; [unrolled: 1-line block ×3, first 2 shown]
	s_mov_b32 s0, exec_lo
	s_waitcnt vmcnt(1) lgkmcnt(2)
	v_fma_f32 v2, v132, v3, 0
	s_delay_alu instid0(VALU_DEP_1) | instskip(SKIP_1) | instid1(VALU_DEP_1)
	v_fmac_f32_e32 v2, v133, v4
	s_waitcnt lgkmcnt(1)
	v_fmac_f32_e32 v2, v134, v138
	s_waitcnt vmcnt(0)
	s_delay_alu instid0(VALU_DEP_1) | instskip(SKIP_1) | instid1(VALU_DEP_1)
	v_fmac_f32_e32 v2, v135, v139
	s_waitcnt lgkmcnt(0)
	v_fmac_f32_e32 v2, v136, v140
	s_delay_alu instid0(VALU_DEP_1) | instskip(NEXT) | instid1(VALU_DEP_1)
	v_fmac_f32_e32 v2, v137, v141
	v_sub_f32_e32 v2, v131, v2
	scratch_store_b32 off, v2, off offset:224
	v_cmpx_lt_u32_e32 55, v0
	s_cbranch_execz .LBB126_275
; %bb.274:
	scratch_load_b32 v2, off, off offset:220
	v_mov_b32_e32 v3, 0
	scratch_store_b32 off, v3, off offset:220
	s_waitcnt vmcnt(0)
	ds_store_b32 v1, v2
.LBB126_275:
	s_or_b32 exec_lo, exec_lo, s0
	s_waitcnt lgkmcnt(0)
	s_waitcnt_vscnt null, 0x0
	s_barrier
	buffer_gl0_inv
	s_clause 0x1
	scratch_load_b128 v[131:134], off, off offset:220
	scratch_load_b128 v[135:138], off, off offset:236
	v_mov_b32_e32 v2, 0
	ds_load_b128 v[139:142], v2 offset:480
	ds_load_b96 v[143:145], v2 offset:496
	s_mov_b32 s0, exec_lo
	s_waitcnt vmcnt(1) lgkmcnt(1)
	v_fma_f32 v3, v132, v139, 0
	s_delay_alu instid0(VALU_DEP_1) | instskip(NEXT) | instid1(VALU_DEP_1)
	v_fmac_f32_e32 v3, v133, v140
	v_fmac_f32_e32 v3, v134, v141
	s_waitcnt vmcnt(0)
	s_delay_alu instid0(VALU_DEP_1) | instskip(SKIP_1) | instid1(VALU_DEP_1)
	v_fmac_f32_e32 v3, v135, v142
	s_waitcnt lgkmcnt(0)
	v_fmac_f32_e32 v3, v136, v143
	s_delay_alu instid0(VALU_DEP_1) | instskip(NEXT) | instid1(VALU_DEP_1)
	v_fmac_f32_e32 v3, v137, v144
	v_fmac_f32_e32 v3, v138, v145
	s_delay_alu instid0(VALU_DEP_1)
	v_sub_f32_e32 v3, v131, v3
	scratch_store_b32 off, v3, off offset:220
	v_cmpx_lt_u32_e32 54, v0
	s_cbranch_execz .LBB126_277
; %bb.276:
	scratch_load_b32 v3, off, off offset:216
	scratch_store_b32 off, v2, off offset:216
	s_waitcnt vmcnt(0)
	ds_store_b32 v1, v3
.LBB126_277:
	s_or_b32 exec_lo, exec_lo, s0
	s_waitcnt lgkmcnt(0)
	s_waitcnt_vscnt null, 0x0
	s_barrier
	buffer_gl0_inv
	s_clause 0x2
	scratch_load_b128 v[131:134], off, off offset:216
	scratch_load_b128 v[135:138], off, off offset:232
	scratch_load_b32 v145, off, off offset:248
	ds_load_2addr_b32 v[3:4], v2 offset0:119 offset1:120
	ds_load_2addr_b32 v[139:140], v2 offset0:121 offset1:122
	;; [unrolled: 1-line block ×4, first 2 shown]
	s_mov_b32 s0, exec_lo
	s_waitcnt vmcnt(2) lgkmcnt(3)
	v_fma_f32 v2, v132, v3, 0
	s_delay_alu instid0(VALU_DEP_1) | instskip(SKIP_1) | instid1(VALU_DEP_1)
	v_fmac_f32_e32 v2, v133, v4
	s_waitcnt lgkmcnt(2)
	v_fmac_f32_e32 v2, v134, v139
	s_waitcnt vmcnt(1)
	s_delay_alu instid0(VALU_DEP_1) | instskip(SKIP_1) | instid1(VALU_DEP_1)
	v_fmac_f32_e32 v2, v135, v140
	s_waitcnt lgkmcnt(1)
	v_fmac_f32_e32 v2, v136, v141
	s_delay_alu instid0(VALU_DEP_1) | instskip(SKIP_1) | instid1(VALU_DEP_1)
	v_fmac_f32_e32 v2, v137, v142
	s_waitcnt lgkmcnt(0)
	v_fmac_f32_e32 v2, v138, v143
	s_waitcnt vmcnt(0)
	s_delay_alu instid0(VALU_DEP_1) | instskip(NEXT) | instid1(VALU_DEP_1)
	v_fmac_f32_e32 v2, v145, v144
	v_sub_f32_e32 v2, v131, v2
	scratch_store_b32 off, v2, off offset:216
	v_cmpx_lt_u32_e32 53, v0
	s_cbranch_execz .LBB126_279
; %bb.278:
	scratch_load_b32 v2, off, off offset:212
	v_mov_b32_e32 v3, 0
	scratch_store_b32 off, v3, off offset:212
	s_waitcnt vmcnt(0)
	ds_store_b32 v1, v2
.LBB126_279:
	s_or_b32 exec_lo, exec_lo, s0
	s_waitcnt lgkmcnt(0)
	s_waitcnt_vscnt null, 0x0
	s_barrier
	buffer_gl0_inv
	s_clause 0x2
	scratch_load_b128 v[131:134], off, off offset:212
	scratch_load_b128 v[135:138], off, off offset:228
	scratch_load_b64 v[3:4], off, off offset:244
	v_mov_b32_e32 v2, 0
	ds_load_2addr_b64 v[139:142], v2 offset0:59 offset1:60
	ds_load_2addr_b64 v[143:146], v2 offset0:61 offset1:62
	s_mov_b32 s0, exec_lo
	s_waitcnt vmcnt(2) lgkmcnt(1)
	v_fma_f32 v132, v132, v139, 0
	s_delay_alu instid0(VALU_DEP_1) | instskip(SKIP_3) | instid1(VALU_DEP_1)
	v_fmac_f32_e32 v132, v133, v140
	ds_load_b32 v133, v2 offset:504
	v_fmac_f32_e32 v132, v134, v141
	s_waitcnt vmcnt(1)
	v_fmac_f32_e32 v132, v135, v142
	s_waitcnt lgkmcnt(1)
	s_delay_alu instid0(VALU_DEP_1) | instskip(NEXT) | instid1(VALU_DEP_1)
	v_fmac_f32_e32 v132, v136, v143
	v_fmac_f32_e32 v132, v137, v144
	s_delay_alu instid0(VALU_DEP_1) | instskip(SKIP_1) | instid1(VALU_DEP_1)
	v_fmac_f32_e32 v132, v138, v145
	s_waitcnt vmcnt(0)
	v_fmac_f32_e32 v132, v3, v146
	s_waitcnt lgkmcnt(0)
	s_delay_alu instid0(VALU_DEP_1) | instskip(NEXT) | instid1(VALU_DEP_1)
	v_fmac_f32_e32 v132, v4, v133
	v_sub_f32_e32 v3, v131, v132
	scratch_store_b32 off, v3, off offset:212
	v_cmpx_lt_u32_e32 52, v0
	s_cbranch_execz .LBB126_281
; %bb.280:
	scratch_load_b32 v3, off, off offset:208
	scratch_store_b32 off, v2, off offset:208
	s_waitcnt vmcnt(0)
	ds_store_b32 v1, v3
.LBB126_281:
	s_or_b32 exec_lo, exec_lo, s0
	s_waitcnt lgkmcnt(0)
	s_waitcnt_vscnt null, 0x0
	s_barrier
	buffer_gl0_inv
	s_clause 0x2
	scratch_load_b128 v[131:134], off, off offset:208
	scratch_load_b128 v[135:138], off, off offset:224
	scratch_load_b96 v[139:141], off, off offset:240
	ds_load_2addr_b32 v[3:4], v2 offset0:117 offset1:118
	ds_load_2addr_b32 v[142:143], v2 offset0:119 offset1:120
	;; [unrolled: 1-line block ×4, first 2 shown]
	s_mov_b32 s0, exec_lo
	s_waitcnt vmcnt(2) lgkmcnt(3)
	v_fma_f32 v132, v132, v3, 0
	ds_load_2addr_b32 v[2:3], v2 offset0:125 offset1:126
	v_fmac_f32_e32 v132, v133, v4
	s_waitcnt lgkmcnt(3)
	s_delay_alu instid0(VALU_DEP_1) | instskip(SKIP_1) | instid1(VALU_DEP_1)
	v_fmac_f32_e32 v132, v134, v142
	s_waitcnt vmcnt(1)
	v_fmac_f32_e32 v132, v135, v143
	s_waitcnt lgkmcnt(2)
	s_delay_alu instid0(VALU_DEP_1) | instskip(NEXT) | instid1(VALU_DEP_1)
	v_fmac_f32_e32 v132, v136, v144
	v_fmac_f32_e32 v132, v137, v145
	s_waitcnt lgkmcnt(1)
	s_delay_alu instid0(VALU_DEP_1) | instskip(SKIP_1) | instid1(VALU_DEP_1)
	v_fmac_f32_e32 v132, v138, v146
	s_waitcnt vmcnt(0)
	v_fmac_f32_e32 v132, v139, v147
	s_waitcnt lgkmcnt(0)
	s_delay_alu instid0(VALU_DEP_1) | instskip(NEXT) | instid1(VALU_DEP_1)
	v_fmac_f32_e32 v132, v140, v2
	v_fmac_f32_e32 v132, v141, v3
	s_delay_alu instid0(VALU_DEP_1)
	v_sub_f32_e32 v2, v131, v132
	scratch_store_b32 off, v2, off offset:208
	v_cmpx_lt_u32_e32 51, v0
	s_cbranch_execz .LBB126_283
; %bb.282:
	scratch_load_b32 v2, off, off offset:204
	v_mov_b32_e32 v3, 0
	scratch_store_b32 off, v3, off offset:204
	s_waitcnt vmcnt(0)
	ds_store_b32 v1, v2
.LBB126_283:
	s_or_b32 exec_lo, exec_lo, s0
	s_waitcnt lgkmcnt(0)
	s_waitcnt_vscnt null, 0x0
	s_barrier
	buffer_gl0_inv
	s_clause 0x2
	scratch_load_b128 v[131:134], off, off offset:204
	scratch_load_b128 v[135:138], off, off offset:220
	;; [unrolled: 1-line block ×3, first 2 shown]
	v_mov_b32_e32 v2, 0
	ds_load_b128 v[143:146], v2 offset:464
	ds_load_b128 v[147:150], v2 offset:480
	s_mov_b32 s0, exec_lo
	s_waitcnt vmcnt(2) lgkmcnt(1)
	v_fma_f32 v3, v132, v143, 0
	s_delay_alu instid0(VALU_DEP_1) | instskip(NEXT) | instid1(VALU_DEP_1)
	v_fmac_f32_e32 v3, v133, v144
	v_fmac_f32_e32 v3, v134, v145
	ds_load_b96 v[132:134], v2 offset:496
	s_waitcnt vmcnt(1)
	v_fmac_f32_e32 v3, v135, v146
	s_waitcnt lgkmcnt(1)
	s_delay_alu instid0(VALU_DEP_1) | instskip(NEXT) | instid1(VALU_DEP_1)
	v_fmac_f32_e32 v3, v136, v147
	v_fmac_f32_e32 v3, v137, v148
	s_delay_alu instid0(VALU_DEP_1) | instskip(SKIP_1) | instid1(VALU_DEP_1)
	v_fmac_f32_e32 v3, v138, v149
	s_waitcnt vmcnt(0)
	v_fmac_f32_e32 v3, v139, v150
	s_waitcnt lgkmcnt(0)
	s_delay_alu instid0(VALU_DEP_1) | instskip(NEXT) | instid1(VALU_DEP_1)
	v_fmac_f32_e32 v3, v140, v132
	v_fmac_f32_e32 v3, v141, v133
	s_delay_alu instid0(VALU_DEP_1) | instskip(NEXT) | instid1(VALU_DEP_1)
	v_fmac_f32_e32 v3, v142, v134
	v_sub_f32_e32 v3, v131, v3
	scratch_store_b32 off, v3, off offset:204
	v_cmpx_lt_u32_e32 50, v0
	s_cbranch_execz .LBB126_285
; %bb.284:
	scratch_load_b32 v3, off, off offset:200
	scratch_store_b32 off, v2, off offset:200
	s_waitcnt vmcnt(0)
	ds_store_b32 v1, v3
.LBB126_285:
	s_or_b32 exec_lo, exec_lo, s0
	s_waitcnt lgkmcnt(0)
	s_waitcnt_vscnt null, 0x0
	s_barrier
	buffer_gl0_inv
	s_clause 0x3
	scratch_load_b128 v[131:134], off, off offset:200
	scratch_load_b128 v[135:138], off, off offset:216
	;; [unrolled: 1-line block ×3, first 2 shown]
	scratch_load_b32 v149, off, off offset:248
	ds_load_2addr_b32 v[3:4], v2 offset0:115 offset1:116
	ds_load_2addr_b32 v[143:144], v2 offset0:117 offset1:118
	;; [unrolled: 1-line block ×4, first 2 shown]
	s_mov_b32 s0, exec_lo
	s_waitcnt vmcnt(3) lgkmcnt(3)
	v_fma_f32 v150, v132, v3, 0
	s_delay_alu instid0(VALU_DEP_1)
	v_fmac_f32_e32 v150, v133, v4
	ds_load_2addr_b32 v[3:4], v2 offset0:123 offset1:124
	ds_load_2addr_b32 v[132:133], v2 offset0:125 offset1:126
	s_waitcnt lgkmcnt(4)
	v_fmac_f32_e32 v150, v134, v143
	s_waitcnt vmcnt(2)
	s_delay_alu instid0(VALU_DEP_1) | instskip(SKIP_1) | instid1(VALU_DEP_1)
	v_fmac_f32_e32 v150, v135, v144
	s_waitcnt lgkmcnt(3)
	v_fmac_f32_e32 v150, v136, v145
	s_delay_alu instid0(VALU_DEP_1) | instskip(SKIP_1) | instid1(VALU_DEP_1)
	v_fmac_f32_e32 v150, v137, v146
	s_waitcnt lgkmcnt(2)
	v_fmac_f32_e32 v150, v138, v147
	s_waitcnt vmcnt(1)
	s_delay_alu instid0(VALU_DEP_1) | instskip(SKIP_1) | instid1(VALU_DEP_1)
	v_fmac_f32_e32 v150, v139, v148
	s_waitcnt lgkmcnt(1)
	v_fmac_f32_e32 v150, v140, v3
	s_delay_alu instid0(VALU_DEP_1) | instskip(SKIP_1) | instid1(VALU_DEP_1)
	v_fmac_f32_e32 v150, v141, v4
	s_waitcnt lgkmcnt(0)
	v_fmac_f32_e32 v150, v142, v132
	s_waitcnt vmcnt(0)
	s_delay_alu instid0(VALU_DEP_1) | instskip(NEXT) | instid1(VALU_DEP_1)
	v_fmac_f32_e32 v150, v149, v133
	v_sub_f32_e32 v2, v131, v150
	scratch_store_b32 off, v2, off offset:200
	v_cmpx_lt_u32_e32 49, v0
	s_cbranch_execz .LBB126_287
; %bb.286:
	scratch_load_b32 v2, off, off offset:196
	v_mov_b32_e32 v3, 0
	scratch_store_b32 off, v3, off offset:196
	s_waitcnt vmcnt(0)
	ds_store_b32 v1, v2
.LBB126_287:
	s_or_b32 exec_lo, exec_lo, s0
	s_waitcnt lgkmcnt(0)
	s_waitcnt_vscnt null, 0x0
	s_barrier
	buffer_gl0_inv
	s_clause 0x3
	scratch_load_b128 v[131:134], off, off offset:196
	scratch_load_b128 v[135:138], off, off offset:212
	;; [unrolled: 1-line block ×3, first 2 shown]
	scratch_load_b64 v[3:4], off, off offset:244
	v_mov_b32_e32 v2, 0
	ds_load_2addr_b64 v[143:146], v2 offset0:57 offset1:58
	ds_load_2addr_b64 v[147:150], v2 offset0:59 offset1:60
	s_mov_b32 s0, exec_lo
	s_waitcnt vmcnt(3) lgkmcnt(1)
	v_fma_f32 v143, v132, v143, 0
	s_delay_alu instid0(VALU_DEP_1) | instskip(NEXT) | instid1(VALU_DEP_1)
	v_fmac_f32_e32 v143, v133, v144
	v_fmac_f32_e32 v143, v134, v145
	s_waitcnt vmcnt(2)
	s_delay_alu instid0(VALU_DEP_1)
	v_fmac_f32_e32 v143, v135, v146
	ds_load_2addr_b64 v[132:135], v2 offset0:61 offset1:62
	s_waitcnt lgkmcnt(1)
	v_fmac_f32_e32 v143, v136, v147
	ds_load_b32 v136, v2 offset:504
	v_fmac_f32_e32 v143, v137, v148
	s_delay_alu instid0(VALU_DEP_1) | instskip(SKIP_1) | instid1(VALU_DEP_1)
	v_fmac_f32_e32 v143, v138, v149
	s_waitcnt vmcnt(1)
	v_fmac_f32_e32 v143, v139, v150
	s_waitcnt lgkmcnt(1)
	s_delay_alu instid0(VALU_DEP_1) | instskip(NEXT) | instid1(VALU_DEP_1)
	v_fmac_f32_e32 v143, v140, v132
	v_fmac_f32_e32 v143, v141, v133
	s_delay_alu instid0(VALU_DEP_1) | instskip(SKIP_1) | instid1(VALU_DEP_1)
	v_fmac_f32_e32 v143, v142, v134
	s_waitcnt vmcnt(0)
	v_fmac_f32_e32 v143, v3, v135
	s_waitcnt lgkmcnt(0)
	s_delay_alu instid0(VALU_DEP_1) | instskip(NEXT) | instid1(VALU_DEP_1)
	v_fmac_f32_e32 v143, v4, v136
	v_sub_f32_e32 v3, v131, v143
	scratch_store_b32 off, v3, off offset:196
	v_cmpx_lt_u32_e32 48, v0
	s_cbranch_execz .LBB126_289
; %bb.288:
	scratch_load_b32 v3, off, off offset:192
	scratch_store_b32 off, v2, off offset:192
	s_waitcnt vmcnt(0)
	ds_store_b32 v1, v3
.LBB126_289:
	s_or_b32 exec_lo, exec_lo, s0
	s_waitcnt lgkmcnt(0)
	s_waitcnt_vscnt null, 0x0
	s_barrier
	buffer_gl0_inv
	s_clause 0x3
	scratch_load_b128 v[131:134], off, off offset:192
	scratch_load_b128 v[135:138], off, off offset:208
	;; [unrolled: 1-line block ×3, first 2 shown]
	scratch_load_b96 v[143:145], off, off offset:240
	ds_load_2addr_b32 v[3:4], v2 offset0:113 offset1:114
	ds_load_2addr_b32 v[146:147], v2 offset0:115 offset1:116
	;; [unrolled: 1-line block ×4, first 2 shown]
	s_mov_b32 s0, exec_lo
	s_waitcnt vmcnt(3) lgkmcnt(3)
	v_fma_f32 v152, v132, v3, 0
	s_delay_alu instid0(VALU_DEP_1)
	v_fmac_f32_e32 v152, v133, v4
	ds_load_2addr_b32 v[3:4], v2 offset0:121 offset1:122
	ds_load_2addr_b32 v[132:133], v2 offset0:123 offset1:124
	s_waitcnt lgkmcnt(4)
	v_fmac_f32_e32 v152, v134, v146
	s_waitcnt vmcnt(2)
	s_delay_alu instid0(VALU_DEP_1) | instskip(SKIP_3) | instid1(VALU_DEP_1)
	v_fmac_f32_e32 v152, v135, v147
	ds_load_2addr_b32 v[134:135], v2 offset0:125 offset1:126
	s_waitcnt lgkmcnt(4)
	v_fmac_f32_e32 v152, v136, v148
	v_fmac_f32_e32 v152, v137, v149
	s_waitcnt lgkmcnt(3)
	s_delay_alu instid0(VALU_DEP_1) | instskip(SKIP_1) | instid1(VALU_DEP_1)
	v_fmac_f32_e32 v152, v138, v150
	s_waitcnt vmcnt(1)
	v_fmac_f32_e32 v152, v139, v151
	s_waitcnt lgkmcnt(2)
	s_delay_alu instid0(VALU_DEP_1) | instskip(NEXT) | instid1(VALU_DEP_1)
	v_fmac_f32_e32 v152, v140, v3
	v_fmac_f32_e32 v152, v141, v4
	s_waitcnt lgkmcnt(1)
	s_delay_alu instid0(VALU_DEP_1) | instskip(SKIP_1) | instid1(VALU_DEP_1)
	v_fmac_f32_e32 v152, v142, v132
	s_waitcnt vmcnt(0)
	v_fmac_f32_e32 v152, v143, v133
	s_waitcnt lgkmcnt(0)
	s_delay_alu instid0(VALU_DEP_1) | instskip(NEXT) | instid1(VALU_DEP_1)
	v_fmac_f32_e32 v152, v144, v134
	v_fmac_f32_e32 v152, v145, v135
	s_delay_alu instid0(VALU_DEP_1)
	v_sub_f32_e32 v2, v131, v152
	scratch_store_b32 off, v2, off offset:192
	v_cmpx_lt_u32_e32 47, v0
	s_cbranch_execz .LBB126_291
; %bb.290:
	scratch_load_b32 v2, off, off offset:188
	v_mov_b32_e32 v3, 0
	scratch_store_b32 off, v3, off offset:188
	s_waitcnt vmcnt(0)
	ds_store_b32 v1, v2
.LBB126_291:
	s_or_b32 exec_lo, exec_lo, s0
	s_waitcnt lgkmcnt(0)
	s_waitcnt_vscnt null, 0x0
	s_barrier
	buffer_gl0_inv
	s_clause 0x3
	scratch_load_b128 v[131:134], off, off offset:188
	scratch_load_b128 v[135:138], off, off offset:204
	;; [unrolled: 1-line block ×4, first 2 shown]
	v_mov_b32_e32 v2, 0
	ds_load_b128 v[147:150], v2 offset:448
	ds_load_b128 v[151:154], v2 offset:464
	s_mov_b32 s0, exec_lo
	s_waitcnt vmcnt(3) lgkmcnt(1)
	v_fma_f32 v3, v132, v147, 0
	s_delay_alu instid0(VALU_DEP_1) | instskip(NEXT) | instid1(VALU_DEP_1)
	v_fmac_f32_e32 v3, v133, v148
	v_fmac_f32_e32 v3, v134, v149
	s_waitcnt vmcnt(2)
	s_delay_alu instid0(VALU_DEP_1) | instskip(SKIP_3) | instid1(VALU_DEP_1)
	v_fmac_f32_e32 v3, v135, v150
	ds_load_b128 v[132:135], v2 offset:480
	s_waitcnt lgkmcnt(1)
	v_fmac_f32_e32 v3, v136, v151
	v_fmac_f32_e32 v3, v137, v152
	s_delay_alu instid0(VALU_DEP_1) | instskip(SKIP_4) | instid1(VALU_DEP_1)
	v_fmac_f32_e32 v3, v138, v153
	ds_load_b96 v[136:138], v2 offset:496
	s_waitcnt vmcnt(1)
	v_fmac_f32_e32 v3, v139, v154
	s_waitcnt lgkmcnt(1)
	v_fmac_f32_e32 v3, v140, v132
	s_delay_alu instid0(VALU_DEP_1) | instskip(NEXT) | instid1(VALU_DEP_1)
	v_fmac_f32_e32 v3, v141, v133
	v_fmac_f32_e32 v3, v142, v134
	s_waitcnt vmcnt(0)
	s_delay_alu instid0(VALU_DEP_1) | instskip(SKIP_1) | instid1(VALU_DEP_1)
	v_fmac_f32_e32 v3, v143, v135
	s_waitcnt lgkmcnt(0)
	v_fmac_f32_e32 v3, v144, v136
	s_delay_alu instid0(VALU_DEP_1) | instskip(NEXT) | instid1(VALU_DEP_1)
	v_fmac_f32_e32 v3, v145, v137
	v_fmac_f32_e32 v3, v146, v138
	s_delay_alu instid0(VALU_DEP_1)
	v_sub_f32_e32 v3, v131, v3
	scratch_store_b32 off, v3, off offset:188
	v_cmpx_lt_u32_e32 46, v0
	s_cbranch_execz .LBB126_293
; %bb.292:
	scratch_load_b32 v3, off, off offset:184
	scratch_store_b32 off, v2, off offset:184
	s_waitcnt vmcnt(0)
	ds_store_b32 v1, v3
.LBB126_293:
	s_or_b32 exec_lo, exec_lo, s0
	s_waitcnt lgkmcnt(0)
	s_waitcnt_vscnt null, 0x0
	s_barrier
	buffer_gl0_inv
	s_clause 0x4
	scratch_load_b128 v[131:134], off, off offset:184
	scratch_load_b128 v[135:138], off, off offset:200
	;; [unrolled: 1-line block ×4, first 2 shown]
	scratch_load_b32 v153, off, off offset:248
	ds_load_2addr_b32 v[3:4], v2 offset0:111 offset1:112
	ds_load_2addr_b32 v[147:148], v2 offset0:113 offset1:114
	;; [unrolled: 1-line block ×4, first 2 shown]
	s_mov_b32 s0, exec_lo
	s_waitcnt vmcnt(4) lgkmcnt(3)
	v_fma_f32 v154, v132, v3, 0
	s_delay_alu instid0(VALU_DEP_1)
	v_fmac_f32_e32 v154, v133, v4
	ds_load_2addr_b32 v[3:4], v2 offset0:119 offset1:120
	ds_load_2addr_b32 v[132:133], v2 offset0:121 offset1:122
	s_waitcnt lgkmcnt(4)
	v_fmac_f32_e32 v154, v134, v147
	s_waitcnt vmcnt(3)
	s_delay_alu instid0(VALU_DEP_1) | instskip(SKIP_1) | instid1(VALU_DEP_1)
	v_fmac_f32_e32 v154, v135, v148
	s_waitcnt lgkmcnt(3)
	v_fmac_f32_e32 v154, v136, v149
	s_delay_alu instid0(VALU_DEP_1)
	v_fmac_f32_e32 v154, v137, v150
	ds_load_2addr_b32 v[134:135], v2 offset0:123 offset1:124
	ds_load_2addr_b32 v[136:137], v2 offset0:125 offset1:126
	s_waitcnt lgkmcnt(4)
	v_fmac_f32_e32 v154, v138, v151
	s_waitcnt vmcnt(2)
	s_delay_alu instid0(VALU_DEP_1) | instskip(SKIP_1) | instid1(VALU_DEP_1)
	v_fmac_f32_e32 v154, v139, v152
	s_waitcnt lgkmcnt(3)
	v_fmac_f32_e32 v154, v140, v3
	s_delay_alu instid0(VALU_DEP_1) | instskip(SKIP_1) | instid1(VALU_DEP_1)
	v_fmac_f32_e32 v154, v141, v4
	s_waitcnt lgkmcnt(2)
	v_fmac_f32_e32 v154, v142, v132
	s_waitcnt vmcnt(1)
	s_delay_alu instid0(VALU_DEP_1) | instskip(SKIP_1) | instid1(VALU_DEP_1)
	v_fmac_f32_e32 v154, v143, v133
	s_waitcnt lgkmcnt(1)
	v_fmac_f32_e32 v154, v144, v134
	s_delay_alu instid0(VALU_DEP_1) | instskip(SKIP_1) | instid1(VALU_DEP_1)
	v_fmac_f32_e32 v154, v145, v135
	s_waitcnt lgkmcnt(0)
	v_fmac_f32_e32 v154, v146, v136
	s_waitcnt vmcnt(0)
	s_delay_alu instid0(VALU_DEP_1) | instskip(NEXT) | instid1(VALU_DEP_1)
	v_fmac_f32_e32 v154, v153, v137
	v_sub_f32_e32 v2, v131, v154
	scratch_store_b32 off, v2, off offset:184
	v_cmpx_lt_u32_e32 45, v0
	s_cbranch_execz .LBB126_295
; %bb.294:
	scratch_load_b32 v2, off, off offset:180
	v_mov_b32_e32 v3, 0
	scratch_store_b32 off, v3, off offset:180
	s_waitcnt vmcnt(0)
	ds_store_b32 v1, v2
.LBB126_295:
	s_or_b32 exec_lo, exec_lo, s0
	s_waitcnt lgkmcnt(0)
	s_waitcnt_vscnt null, 0x0
	s_barrier
	buffer_gl0_inv
	s_clause 0x4
	scratch_load_b128 v[131:134], off, off offset:180
	scratch_load_b128 v[135:138], off, off offset:196
	;; [unrolled: 1-line block ×4, first 2 shown]
	scratch_load_b64 v[3:4], off, off offset:244
	v_mov_b32_e32 v2, 0
	ds_load_2addr_b64 v[147:150], v2 offset0:55 offset1:56
	ds_load_2addr_b64 v[151:154], v2 offset0:57 offset1:58
	s_mov_b32 s0, exec_lo
	s_waitcnt vmcnt(4) lgkmcnt(1)
	v_fma_f32 v147, v132, v147, 0
	s_delay_alu instid0(VALU_DEP_1) | instskip(NEXT) | instid1(VALU_DEP_1)
	v_fmac_f32_e32 v147, v133, v148
	v_fmac_f32_e32 v147, v134, v149
	s_waitcnt vmcnt(3)
	s_delay_alu instid0(VALU_DEP_1) | instskip(SKIP_3) | instid1(VALU_DEP_1)
	v_fmac_f32_e32 v147, v135, v150
	ds_load_2addr_b64 v[132:135], v2 offset0:59 offset1:60
	s_waitcnt lgkmcnt(1)
	v_fmac_f32_e32 v147, v136, v151
	v_fmac_f32_e32 v147, v137, v152
	s_delay_alu instid0(VALU_DEP_1) | instskip(SKIP_1) | instid1(VALU_DEP_1)
	v_fmac_f32_e32 v147, v138, v153
	s_waitcnt vmcnt(2)
	v_fmac_f32_e32 v147, v139, v154
	ds_load_2addr_b64 v[136:139], v2 offset0:61 offset1:62
	s_waitcnt lgkmcnt(1)
	v_fmac_f32_e32 v147, v140, v132
	ds_load_b32 v132, v2 offset:504
	v_fmac_f32_e32 v147, v141, v133
	s_delay_alu instid0(VALU_DEP_1) | instskip(SKIP_1) | instid1(VALU_DEP_1)
	v_fmac_f32_e32 v147, v142, v134
	s_waitcnt vmcnt(1)
	v_fmac_f32_e32 v147, v143, v135
	s_waitcnt lgkmcnt(1)
	s_delay_alu instid0(VALU_DEP_1) | instskip(NEXT) | instid1(VALU_DEP_1)
	v_fmac_f32_e32 v147, v144, v136
	v_fmac_f32_e32 v147, v145, v137
	s_delay_alu instid0(VALU_DEP_1) | instskip(SKIP_1) | instid1(VALU_DEP_1)
	v_fmac_f32_e32 v147, v146, v138
	s_waitcnt vmcnt(0)
	v_fmac_f32_e32 v147, v3, v139
	s_waitcnt lgkmcnt(0)
	s_delay_alu instid0(VALU_DEP_1) | instskip(NEXT) | instid1(VALU_DEP_1)
	v_fmac_f32_e32 v147, v4, v132
	v_sub_f32_e32 v3, v131, v147
	scratch_store_b32 off, v3, off offset:180
	v_cmpx_lt_u32_e32 44, v0
	s_cbranch_execz .LBB126_297
; %bb.296:
	scratch_load_b32 v3, off, off offset:176
	scratch_store_b32 off, v2, off offset:176
	s_waitcnt vmcnt(0)
	ds_store_b32 v1, v3
.LBB126_297:
	s_or_b32 exec_lo, exec_lo, s0
	s_waitcnt lgkmcnt(0)
	s_waitcnt_vscnt null, 0x0
	s_barrier
	buffer_gl0_inv
	s_clause 0x4
	scratch_load_b128 v[131:134], off, off offset:176
	scratch_load_b128 v[135:138], off, off offset:192
	;; [unrolled: 1-line block ×4, first 2 shown]
	scratch_load_b96 v[147:149], off, off offset:240
	ds_load_2addr_b32 v[3:4], v2 offset0:109 offset1:110
	ds_load_2addr_b32 v[150:151], v2 offset0:111 offset1:112
	;; [unrolled: 1-line block ×4, first 2 shown]
	s_mov_b32 s0, exec_lo
	s_waitcnt vmcnt(4) lgkmcnt(3)
	v_fma_f32 v156, v132, v3, 0
	s_delay_alu instid0(VALU_DEP_1)
	v_fmac_f32_e32 v156, v133, v4
	ds_load_2addr_b32 v[3:4], v2 offset0:117 offset1:118
	ds_load_2addr_b32 v[132:133], v2 offset0:119 offset1:120
	s_waitcnt lgkmcnt(4)
	v_fmac_f32_e32 v156, v134, v150
	s_waitcnt vmcnt(3)
	s_delay_alu instid0(VALU_DEP_1) | instskip(SKIP_1) | instid1(VALU_DEP_1)
	v_fmac_f32_e32 v156, v135, v151
	s_waitcnt lgkmcnt(3)
	v_fmac_f32_e32 v156, v136, v152
	s_delay_alu instid0(VALU_DEP_1)
	v_fmac_f32_e32 v156, v137, v153
	ds_load_2addr_b32 v[134:135], v2 offset0:121 offset1:122
	ds_load_2addr_b32 v[136:137], v2 offset0:123 offset1:124
	s_waitcnt lgkmcnt(4)
	v_fmac_f32_e32 v156, v138, v154
	s_waitcnt vmcnt(2)
	s_delay_alu instid0(VALU_DEP_1) | instskip(SKIP_1) | instid1(VALU_DEP_1)
	v_fmac_f32_e32 v156, v139, v155
	s_waitcnt lgkmcnt(3)
	v_fmac_f32_e32 v156, v140, v3
	ds_load_2addr_b32 v[2:3], v2 offset0:125 offset1:126
	v_fmac_f32_e32 v156, v141, v4
	s_waitcnt lgkmcnt(3)
	s_delay_alu instid0(VALU_DEP_1) | instskip(SKIP_1) | instid1(VALU_DEP_1)
	v_fmac_f32_e32 v156, v142, v132
	s_waitcnt vmcnt(1)
	v_fmac_f32_e32 v156, v143, v133
	s_waitcnt lgkmcnt(2)
	s_delay_alu instid0(VALU_DEP_1) | instskip(NEXT) | instid1(VALU_DEP_1)
	v_fmac_f32_e32 v156, v144, v134
	v_fmac_f32_e32 v156, v145, v135
	s_waitcnt lgkmcnt(1)
	s_delay_alu instid0(VALU_DEP_1) | instskip(SKIP_1) | instid1(VALU_DEP_1)
	v_fmac_f32_e32 v156, v146, v136
	s_waitcnt vmcnt(0)
	v_fmac_f32_e32 v156, v147, v137
	s_waitcnt lgkmcnt(0)
	s_delay_alu instid0(VALU_DEP_1) | instskip(NEXT) | instid1(VALU_DEP_1)
	v_fmac_f32_e32 v156, v148, v2
	v_fmac_f32_e32 v156, v149, v3
	s_delay_alu instid0(VALU_DEP_1)
	v_sub_f32_e32 v2, v131, v156
	scratch_store_b32 off, v2, off offset:176
	v_cmpx_lt_u32_e32 43, v0
	s_cbranch_execz .LBB126_299
; %bb.298:
	scratch_load_b32 v2, off, off offset:172
	v_mov_b32_e32 v3, 0
	scratch_store_b32 off, v3, off offset:172
	s_waitcnt vmcnt(0)
	ds_store_b32 v1, v2
.LBB126_299:
	s_or_b32 exec_lo, exec_lo, s0
	s_waitcnt lgkmcnt(0)
	s_waitcnt_vscnt null, 0x0
	s_barrier
	buffer_gl0_inv
	s_clause 0x4
	scratch_load_b128 v[131:134], off, off offset:172
	scratch_load_b128 v[135:138], off, off offset:188
	;; [unrolled: 1-line block ×5, first 2 shown]
	v_mov_b32_e32 v2, 0
	ds_load_b128 v[151:154], v2 offset:432
	ds_load_b128 v[155:158], v2 offset:448
	s_mov_b32 s0, exec_lo
	s_waitcnt vmcnt(4) lgkmcnt(1)
	v_fma_f32 v3, v132, v151, 0
	s_delay_alu instid0(VALU_DEP_1) | instskip(NEXT) | instid1(VALU_DEP_1)
	v_fmac_f32_e32 v3, v133, v152
	v_fmac_f32_e32 v3, v134, v153
	s_waitcnt vmcnt(3)
	s_delay_alu instid0(VALU_DEP_1) | instskip(SKIP_3) | instid1(VALU_DEP_1)
	v_fmac_f32_e32 v3, v135, v154
	ds_load_b128 v[132:135], v2 offset:464
	s_waitcnt lgkmcnt(1)
	v_fmac_f32_e32 v3, v136, v155
	v_fmac_f32_e32 v3, v137, v156
	s_delay_alu instid0(VALU_DEP_1) | instskip(SKIP_1) | instid1(VALU_DEP_1)
	v_fmac_f32_e32 v3, v138, v157
	s_waitcnt vmcnt(2)
	v_fmac_f32_e32 v3, v139, v158
	ds_load_b128 v[136:139], v2 offset:480
	s_waitcnt lgkmcnt(1)
	v_fmac_f32_e32 v3, v140, v132
	s_delay_alu instid0(VALU_DEP_1) | instskip(NEXT) | instid1(VALU_DEP_1)
	v_fmac_f32_e32 v3, v141, v133
	v_fmac_f32_e32 v3, v142, v134
	ds_load_b96 v[132:134], v2 offset:496
	s_waitcnt vmcnt(1)
	v_fmac_f32_e32 v3, v143, v135
	s_waitcnt lgkmcnt(1)
	s_delay_alu instid0(VALU_DEP_1) | instskip(NEXT) | instid1(VALU_DEP_1)
	v_fmac_f32_e32 v3, v144, v136
	v_fmac_f32_e32 v3, v145, v137
	s_delay_alu instid0(VALU_DEP_1) | instskip(SKIP_1) | instid1(VALU_DEP_1)
	v_fmac_f32_e32 v3, v146, v138
	s_waitcnt vmcnt(0)
	v_fmac_f32_e32 v3, v147, v139
	s_waitcnt lgkmcnt(0)
	s_delay_alu instid0(VALU_DEP_1) | instskip(NEXT) | instid1(VALU_DEP_1)
	v_fmac_f32_e32 v3, v148, v132
	v_fmac_f32_e32 v3, v149, v133
	s_delay_alu instid0(VALU_DEP_1) | instskip(NEXT) | instid1(VALU_DEP_1)
	v_fmac_f32_e32 v3, v150, v134
	v_sub_f32_e32 v3, v131, v3
	scratch_store_b32 off, v3, off offset:172
	v_cmpx_lt_u32_e32 42, v0
	s_cbranch_execz .LBB126_301
; %bb.300:
	scratch_load_b32 v3, off, off offset:168
	scratch_store_b32 off, v2, off offset:168
	s_waitcnt vmcnt(0)
	ds_store_b32 v1, v3
.LBB126_301:
	s_or_b32 exec_lo, exec_lo, s0
	s_waitcnt lgkmcnt(0)
	s_waitcnt_vscnt null, 0x0
	s_barrier
	buffer_gl0_inv
	s_clause 0x5
	scratch_load_b128 v[131:134], off, off offset:168
	scratch_load_b128 v[135:138], off, off offset:184
	;; [unrolled: 1-line block ×5, first 2 shown]
	scratch_load_b32 v157, off, off offset:248
	ds_load_2addr_b32 v[3:4], v2 offset0:107 offset1:108
	ds_load_2addr_b32 v[151:152], v2 offset0:109 offset1:110
	;; [unrolled: 1-line block ×4, first 2 shown]
	s_mov_b32 s0, exec_lo
	s_waitcnt vmcnt(5) lgkmcnt(3)
	v_fma_f32 v158, v132, v3, 0
	s_delay_alu instid0(VALU_DEP_1)
	v_fmac_f32_e32 v158, v133, v4
	ds_load_2addr_b32 v[3:4], v2 offset0:115 offset1:116
	ds_load_2addr_b32 v[132:133], v2 offset0:117 offset1:118
	s_waitcnt lgkmcnt(4)
	v_fmac_f32_e32 v158, v134, v151
	s_waitcnt vmcnt(4)
	s_delay_alu instid0(VALU_DEP_1) | instskip(SKIP_1) | instid1(VALU_DEP_1)
	v_fmac_f32_e32 v158, v135, v152
	s_waitcnt lgkmcnt(3)
	v_fmac_f32_e32 v158, v136, v153
	s_delay_alu instid0(VALU_DEP_1)
	v_fmac_f32_e32 v158, v137, v154
	ds_load_2addr_b32 v[134:135], v2 offset0:119 offset1:120
	ds_load_2addr_b32 v[136:137], v2 offset0:121 offset1:122
	s_waitcnt lgkmcnt(4)
	v_fmac_f32_e32 v158, v138, v155
	s_waitcnt vmcnt(3)
	s_delay_alu instid0(VALU_DEP_1) | instskip(SKIP_1) | instid1(VALU_DEP_1)
	v_fmac_f32_e32 v158, v139, v156
	s_waitcnt lgkmcnt(3)
	v_fmac_f32_e32 v158, v140, v3
	s_delay_alu instid0(VALU_DEP_1) | instskip(SKIP_4) | instid1(VALU_DEP_1)
	v_fmac_f32_e32 v158, v141, v4
	ds_load_2addr_b32 v[3:4], v2 offset0:123 offset1:124
	s_waitcnt lgkmcnt(3)
	v_fmac_f32_e32 v158, v142, v132
	s_waitcnt vmcnt(2)
	v_fmac_f32_e32 v158, v143, v133
	ds_load_2addr_b32 v[132:133], v2 offset0:125 offset1:126
	s_waitcnt lgkmcnt(3)
	v_fmac_f32_e32 v158, v144, v134
	s_delay_alu instid0(VALU_DEP_1) | instskip(SKIP_1) | instid1(VALU_DEP_1)
	v_fmac_f32_e32 v158, v145, v135
	s_waitcnt lgkmcnt(2)
	v_fmac_f32_e32 v158, v146, v136
	s_waitcnt vmcnt(1)
	s_delay_alu instid0(VALU_DEP_1) | instskip(SKIP_1) | instid1(VALU_DEP_1)
	v_fmac_f32_e32 v158, v147, v137
	s_waitcnt lgkmcnt(1)
	v_fmac_f32_e32 v158, v148, v3
	s_delay_alu instid0(VALU_DEP_1) | instskip(SKIP_1) | instid1(VALU_DEP_1)
	v_fmac_f32_e32 v158, v149, v4
	s_waitcnt lgkmcnt(0)
	v_fmac_f32_e32 v158, v150, v132
	s_waitcnt vmcnt(0)
	s_delay_alu instid0(VALU_DEP_1) | instskip(NEXT) | instid1(VALU_DEP_1)
	v_fmac_f32_e32 v158, v157, v133
	v_sub_f32_e32 v2, v131, v158
	scratch_store_b32 off, v2, off offset:168
	v_cmpx_lt_u32_e32 41, v0
	s_cbranch_execz .LBB126_303
; %bb.302:
	scratch_load_b32 v2, off, off offset:164
	v_mov_b32_e32 v3, 0
	scratch_store_b32 off, v3, off offset:164
	s_waitcnt vmcnt(0)
	ds_store_b32 v1, v2
.LBB126_303:
	s_or_b32 exec_lo, exec_lo, s0
	s_waitcnt lgkmcnt(0)
	s_waitcnt_vscnt null, 0x0
	s_barrier
	buffer_gl0_inv
	s_clause 0x5
	scratch_load_b128 v[131:134], off, off offset:164
	scratch_load_b128 v[135:138], off, off offset:180
	scratch_load_b128 v[139:142], off, off offset:196
	scratch_load_b128 v[143:146], off, off offset:212
	scratch_load_b128 v[147:150], off, off offset:228
	scratch_load_b64 v[3:4], off, off offset:244
	v_mov_b32_e32 v2, 0
	ds_load_2addr_b64 v[151:154], v2 offset0:53 offset1:54
	ds_load_2addr_b64 v[155:158], v2 offset0:55 offset1:56
	s_mov_b32 s0, exec_lo
	s_waitcnt vmcnt(5) lgkmcnt(1)
	v_fma_f32 v151, v132, v151, 0
	s_delay_alu instid0(VALU_DEP_1) | instskip(NEXT) | instid1(VALU_DEP_1)
	v_fmac_f32_e32 v151, v133, v152
	v_fmac_f32_e32 v151, v134, v153
	s_waitcnt vmcnt(4)
	s_delay_alu instid0(VALU_DEP_1) | instskip(SKIP_3) | instid1(VALU_DEP_1)
	v_fmac_f32_e32 v151, v135, v154
	ds_load_2addr_b64 v[132:135], v2 offset0:57 offset1:58
	s_waitcnt lgkmcnt(1)
	v_fmac_f32_e32 v151, v136, v155
	v_fmac_f32_e32 v151, v137, v156
	s_delay_alu instid0(VALU_DEP_1) | instskip(SKIP_1) | instid1(VALU_DEP_1)
	v_fmac_f32_e32 v151, v138, v157
	s_waitcnt vmcnt(3)
	v_fmac_f32_e32 v151, v139, v158
	ds_load_2addr_b64 v[136:139], v2 offset0:59 offset1:60
	s_waitcnt lgkmcnt(1)
	v_fmac_f32_e32 v151, v140, v132
	s_delay_alu instid0(VALU_DEP_1) | instskip(NEXT) | instid1(VALU_DEP_1)
	v_fmac_f32_e32 v151, v141, v133
	v_fmac_f32_e32 v151, v142, v134
	s_waitcnt vmcnt(2)
	s_delay_alu instid0(VALU_DEP_1)
	v_fmac_f32_e32 v151, v143, v135
	ds_load_2addr_b64 v[132:135], v2 offset0:61 offset1:62
	s_waitcnt lgkmcnt(1)
	v_fmac_f32_e32 v151, v144, v136
	ds_load_b32 v136, v2 offset:504
	v_fmac_f32_e32 v151, v145, v137
	s_delay_alu instid0(VALU_DEP_1) | instskip(SKIP_1) | instid1(VALU_DEP_1)
	v_fmac_f32_e32 v151, v146, v138
	s_waitcnt vmcnt(1)
	v_fmac_f32_e32 v151, v147, v139
	s_waitcnt lgkmcnt(1)
	s_delay_alu instid0(VALU_DEP_1) | instskip(NEXT) | instid1(VALU_DEP_1)
	v_fmac_f32_e32 v151, v148, v132
	v_fmac_f32_e32 v151, v149, v133
	s_delay_alu instid0(VALU_DEP_1) | instskip(SKIP_1) | instid1(VALU_DEP_1)
	v_fmac_f32_e32 v151, v150, v134
	s_waitcnt vmcnt(0)
	v_fmac_f32_e32 v151, v3, v135
	s_waitcnt lgkmcnt(0)
	s_delay_alu instid0(VALU_DEP_1) | instskip(NEXT) | instid1(VALU_DEP_1)
	v_fmac_f32_e32 v151, v4, v136
	v_sub_f32_e32 v3, v131, v151
	scratch_store_b32 off, v3, off offset:164
	v_cmpx_lt_u32_e32 40, v0
	s_cbranch_execz .LBB126_305
; %bb.304:
	scratch_load_b32 v3, off, off offset:160
	scratch_store_b32 off, v2, off offset:160
	s_waitcnt vmcnt(0)
	ds_store_b32 v1, v3
.LBB126_305:
	s_or_b32 exec_lo, exec_lo, s0
	s_waitcnt lgkmcnt(0)
	s_waitcnt_vscnt null, 0x0
	s_barrier
	buffer_gl0_inv
	s_clause 0x5
	scratch_load_b128 v[131:134], off, off offset:160
	scratch_load_b128 v[135:138], off, off offset:176
	scratch_load_b128 v[139:142], off, off offset:192
	scratch_load_b128 v[143:146], off, off offset:208
	scratch_load_b128 v[147:150], off, off offset:224
	scratch_load_b96 v[151:153], off, off offset:240
	ds_load_2addr_b32 v[3:4], v2 offset0:105 offset1:106
	ds_load_2addr_b32 v[154:155], v2 offset0:107 offset1:108
	;; [unrolled: 1-line block ×4, first 2 shown]
	s_mov_b32 s0, exec_lo
	s_waitcnt vmcnt(5) lgkmcnt(3)
	v_fma_f32 v160, v132, v3, 0
	s_delay_alu instid0(VALU_DEP_1)
	v_fmac_f32_e32 v160, v133, v4
	ds_load_2addr_b32 v[3:4], v2 offset0:113 offset1:114
	ds_load_2addr_b32 v[132:133], v2 offset0:115 offset1:116
	s_waitcnt lgkmcnt(4)
	v_fmac_f32_e32 v160, v134, v154
	s_waitcnt vmcnt(4)
	s_delay_alu instid0(VALU_DEP_1) | instskip(SKIP_1) | instid1(VALU_DEP_1)
	v_fmac_f32_e32 v160, v135, v155
	s_waitcnt lgkmcnt(3)
	v_fmac_f32_e32 v160, v136, v156
	s_delay_alu instid0(VALU_DEP_1)
	v_fmac_f32_e32 v160, v137, v157
	ds_load_2addr_b32 v[134:135], v2 offset0:117 offset1:118
	ds_load_2addr_b32 v[136:137], v2 offset0:119 offset1:120
	s_waitcnt lgkmcnt(4)
	v_fmac_f32_e32 v160, v138, v158
	s_waitcnt vmcnt(3)
	s_delay_alu instid0(VALU_DEP_1) | instskip(SKIP_1) | instid1(VALU_DEP_1)
	v_fmac_f32_e32 v160, v139, v159
	s_waitcnt lgkmcnt(3)
	v_fmac_f32_e32 v160, v140, v3
	s_delay_alu instid0(VALU_DEP_1) | instskip(SKIP_4) | instid1(VALU_DEP_1)
	v_fmac_f32_e32 v160, v141, v4
	ds_load_2addr_b32 v[3:4], v2 offset0:121 offset1:122
	s_waitcnt lgkmcnt(3)
	v_fmac_f32_e32 v160, v142, v132
	s_waitcnt vmcnt(2)
	v_fmac_f32_e32 v160, v143, v133
	ds_load_2addr_b32 v[132:133], v2 offset0:123 offset1:124
	s_waitcnt lgkmcnt(3)
	v_fmac_f32_e32 v160, v144, v134
	s_delay_alu instid0(VALU_DEP_1) | instskip(SKIP_4) | instid1(VALU_DEP_1)
	v_fmac_f32_e32 v160, v145, v135
	ds_load_2addr_b32 v[134:135], v2 offset0:125 offset1:126
	s_waitcnt lgkmcnt(3)
	v_fmac_f32_e32 v160, v146, v136
	s_waitcnt vmcnt(1)
	v_fmac_f32_e32 v160, v147, v137
	s_waitcnt lgkmcnt(2)
	s_delay_alu instid0(VALU_DEP_1) | instskip(NEXT) | instid1(VALU_DEP_1)
	v_fmac_f32_e32 v160, v148, v3
	v_fmac_f32_e32 v160, v149, v4
	s_waitcnt lgkmcnt(1)
	s_delay_alu instid0(VALU_DEP_1) | instskip(SKIP_1) | instid1(VALU_DEP_1)
	v_fmac_f32_e32 v160, v150, v132
	s_waitcnt vmcnt(0)
	v_fmac_f32_e32 v160, v151, v133
	s_waitcnt lgkmcnt(0)
	s_delay_alu instid0(VALU_DEP_1) | instskip(NEXT) | instid1(VALU_DEP_1)
	v_fmac_f32_e32 v160, v152, v134
	v_fmac_f32_e32 v160, v153, v135
	s_delay_alu instid0(VALU_DEP_1)
	v_sub_f32_e32 v2, v131, v160
	scratch_store_b32 off, v2, off offset:160
	v_cmpx_lt_u32_e32 39, v0
	s_cbranch_execz .LBB126_307
; %bb.306:
	scratch_load_b32 v2, off, off offset:156
	v_mov_b32_e32 v3, 0
	scratch_store_b32 off, v3, off offset:156
	s_waitcnt vmcnt(0)
	ds_store_b32 v1, v2
.LBB126_307:
	s_or_b32 exec_lo, exec_lo, s0
	s_waitcnt lgkmcnt(0)
	s_waitcnt_vscnt null, 0x0
	s_barrier
	buffer_gl0_inv
	s_clause 0x5
	scratch_load_b128 v[131:134], off, off offset:156
	scratch_load_b128 v[135:138], off, off offset:172
	;; [unrolled: 1-line block ×6, first 2 shown]
	v_mov_b32_e32 v2, 0
	ds_load_b128 v[155:158], v2 offset:416
	ds_load_b128 v[159:162], v2 offset:432
	s_mov_b32 s0, exec_lo
	s_waitcnt vmcnt(5) lgkmcnt(1)
	v_fma_f32 v3, v132, v155, 0
	s_delay_alu instid0(VALU_DEP_1) | instskip(NEXT) | instid1(VALU_DEP_1)
	v_fmac_f32_e32 v3, v133, v156
	v_fmac_f32_e32 v3, v134, v157
	s_waitcnt vmcnt(4)
	s_delay_alu instid0(VALU_DEP_1) | instskip(SKIP_3) | instid1(VALU_DEP_1)
	v_fmac_f32_e32 v3, v135, v158
	ds_load_b128 v[132:135], v2 offset:448
	s_waitcnt lgkmcnt(1)
	v_fmac_f32_e32 v3, v136, v159
	v_fmac_f32_e32 v3, v137, v160
	s_delay_alu instid0(VALU_DEP_1) | instskip(SKIP_1) | instid1(VALU_DEP_1)
	v_fmac_f32_e32 v3, v138, v161
	s_waitcnt vmcnt(3)
	v_fmac_f32_e32 v3, v139, v162
	ds_load_b128 v[136:139], v2 offset:464
	s_waitcnt lgkmcnt(1)
	v_fmac_f32_e32 v3, v140, v132
	s_delay_alu instid0(VALU_DEP_1) | instskip(NEXT) | instid1(VALU_DEP_1)
	v_fmac_f32_e32 v3, v141, v133
	v_fmac_f32_e32 v3, v142, v134
	s_waitcnt vmcnt(2)
	s_delay_alu instid0(VALU_DEP_1) | instskip(SKIP_3) | instid1(VALU_DEP_1)
	v_fmac_f32_e32 v3, v143, v135
	ds_load_b128 v[132:135], v2 offset:480
	s_waitcnt lgkmcnt(1)
	v_fmac_f32_e32 v3, v144, v136
	v_fmac_f32_e32 v3, v145, v137
	s_delay_alu instid0(VALU_DEP_1) | instskip(SKIP_4) | instid1(VALU_DEP_1)
	v_fmac_f32_e32 v3, v146, v138
	ds_load_b96 v[136:138], v2 offset:496
	s_waitcnt vmcnt(1)
	v_fmac_f32_e32 v3, v147, v139
	s_waitcnt lgkmcnt(1)
	v_fmac_f32_e32 v3, v148, v132
	s_delay_alu instid0(VALU_DEP_1) | instskip(NEXT) | instid1(VALU_DEP_1)
	v_fmac_f32_e32 v3, v149, v133
	v_fmac_f32_e32 v3, v150, v134
	s_waitcnt vmcnt(0)
	s_delay_alu instid0(VALU_DEP_1) | instskip(SKIP_1) | instid1(VALU_DEP_1)
	v_fmac_f32_e32 v3, v151, v135
	s_waitcnt lgkmcnt(0)
	v_fmac_f32_e32 v3, v152, v136
	s_delay_alu instid0(VALU_DEP_1) | instskip(NEXT) | instid1(VALU_DEP_1)
	v_fmac_f32_e32 v3, v153, v137
	v_fmac_f32_e32 v3, v154, v138
	s_delay_alu instid0(VALU_DEP_1)
	v_sub_f32_e32 v3, v131, v3
	scratch_store_b32 off, v3, off offset:156
	v_cmpx_lt_u32_e32 38, v0
	s_cbranch_execz .LBB126_309
; %bb.308:
	scratch_load_b32 v3, off, off offset:152
	scratch_store_b32 off, v2, off offset:152
	s_waitcnt vmcnt(0)
	ds_store_b32 v1, v3
.LBB126_309:
	s_or_b32 exec_lo, exec_lo, s0
	s_waitcnt lgkmcnt(0)
	s_waitcnt_vscnt null, 0x0
	s_barrier
	buffer_gl0_inv
	s_clause 0x6
	scratch_load_b128 v[131:134], off, off offset:152
	scratch_load_b128 v[135:138], off, off offset:168
	;; [unrolled: 1-line block ×6, first 2 shown]
	scratch_load_b32 v161, off, off offset:248
	ds_load_2addr_b32 v[3:4], v2 offset0:103 offset1:104
	ds_load_2addr_b32 v[155:156], v2 offset0:105 offset1:106
	;; [unrolled: 1-line block ×4, first 2 shown]
	s_mov_b32 s0, exec_lo
	s_waitcnt vmcnt(6) lgkmcnt(3)
	v_fma_f32 v162, v132, v3, 0
	s_delay_alu instid0(VALU_DEP_1)
	v_fmac_f32_e32 v162, v133, v4
	ds_load_2addr_b32 v[3:4], v2 offset0:111 offset1:112
	ds_load_2addr_b32 v[132:133], v2 offset0:113 offset1:114
	s_waitcnt lgkmcnt(4)
	v_fmac_f32_e32 v162, v134, v155
	s_waitcnt vmcnt(5)
	s_delay_alu instid0(VALU_DEP_1) | instskip(SKIP_1) | instid1(VALU_DEP_1)
	v_fmac_f32_e32 v162, v135, v156
	s_waitcnt lgkmcnt(3)
	v_fmac_f32_e32 v162, v136, v157
	s_delay_alu instid0(VALU_DEP_1)
	v_fmac_f32_e32 v162, v137, v158
	ds_load_2addr_b32 v[134:135], v2 offset0:115 offset1:116
	ds_load_2addr_b32 v[136:137], v2 offset0:117 offset1:118
	s_waitcnt lgkmcnt(4)
	v_fmac_f32_e32 v162, v138, v159
	s_waitcnt vmcnt(4)
	s_delay_alu instid0(VALU_DEP_1) | instskip(SKIP_1) | instid1(VALU_DEP_1)
	v_fmac_f32_e32 v162, v139, v160
	s_waitcnt lgkmcnt(3)
	v_fmac_f32_e32 v162, v140, v3
	s_delay_alu instid0(VALU_DEP_1) | instskip(SKIP_4) | instid1(VALU_DEP_1)
	v_fmac_f32_e32 v162, v141, v4
	ds_load_2addr_b32 v[3:4], v2 offset0:119 offset1:120
	s_waitcnt lgkmcnt(3)
	v_fmac_f32_e32 v162, v142, v132
	s_waitcnt vmcnt(3)
	v_fmac_f32_e32 v162, v143, v133
	ds_load_2addr_b32 v[132:133], v2 offset0:121 offset1:122
	s_waitcnt lgkmcnt(3)
	v_fmac_f32_e32 v162, v144, v134
	s_delay_alu instid0(VALU_DEP_1) | instskip(SKIP_1) | instid1(VALU_DEP_1)
	v_fmac_f32_e32 v162, v145, v135
	s_waitcnt lgkmcnt(2)
	v_fmac_f32_e32 v162, v146, v136
	s_waitcnt vmcnt(2)
	s_delay_alu instid0(VALU_DEP_1) | instskip(SKIP_4) | instid1(VALU_DEP_1)
	v_fmac_f32_e32 v162, v147, v137
	ds_load_2addr_b32 v[134:135], v2 offset0:123 offset1:124
	ds_load_2addr_b32 v[136:137], v2 offset0:125 offset1:126
	s_waitcnt lgkmcnt(3)
	v_fmac_f32_e32 v162, v148, v3
	v_fmac_f32_e32 v162, v149, v4
	s_waitcnt lgkmcnt(2)
	s_delay_alu instid0(VALU_DEP_1) | instskip(SKIP_1) | instid1(VALU_DEP_1)
	v_fmac_f32_e32 v162, v150, v132
	s_waitcnt vmcnt(1)
	v_fmac_f32_e32 v162, v151, v133
	s_waitcnt lgkmcnt(1)
	s_delay_alu instid0(VALU_DEP_1) | instskip(NEXT) | instid1(VALU_DEP_1)
	v_fmac_f32_e32 v162, v152, v134
	v_fmac_f32_e32 v162, v153, v135
	s_waitcnt lgkmcnt(0)
	s_delay_alu instid0(VALU_DEP_1) | instskip(SKIP_1) | instid1(VALU_DEP_1)
	v_fmac_f32_e32 v162, v154, v136
	s_waitcnt vmcnt(0)
	v_fmac_f32_e32 v162, v161, v137
	s_delay_alu instid0(VALU_DEP_1)
	v_sub_f32_e32 v2, v131, v162
	scratch_store_b32 off, v2, off offset:152
	v_cmpx_lt_u32_e32 37, v0
	s_cbranch_execz .LBB126_311
; %bb.310:
	scratch_load_b32 v2, off, off offset:148
	v_mov_b32_e32 v3, 0
	scratch_store_b32 off, v3, off offset:148
	s_waitcnt vmcnt(0)
	ds_store_b32 v1, v2
.LBB126_311:
	s_or_b32 exec_lo, exec_lo, s0
	s_waitcnt lgkmcnt(0)
	s_waitcnt_vscnt null, 0x0
	s_barrier
	buffer_gl0_inv
	s_clause 0x6
	scratch_load_b128 v[131:134], off, off offset:148
	scratch_load_b128 v[135:138], off, off offset:164
	;; [unrolled: 1-line block ×6, first 2 shown]
	scratch_load_b64 v[3:4], off, off offset:244
	v_mov_b32_e32 v2, 0
	ds_load_2addr_b64 v[155:158], v2 offset0:51 offset1:52
	ds_load_2addr_b64 v[159:162], v2 offset0:53 offset1:54
	s_mov_b32 s0, exec_lo
	s_waitcnt vmcnt(6) lgkmcnt(1)
	v_fma_f32 v155, v132, v155, 0
	s_delay_alu instid0(VALU_DEP_1) | instskip(NEXT) | instid1(VALU_DEP_1)
	v_fmac_f32_e32 v155, v133, v156
	v_fmac_f32_e32 v155, v134, v157
	s_waitcnt vmcnt(5)
	s_delay_alu instid0(VALU_DEP_1) | instskip(SKIP_3) | instid1(VALU_DEP_1)
	v_fmac_f32_e32 v155, v135, v158
	ds_load_2addr_b64 v[132:135], v2 offset0:55 offset1:56
	s_waitcnt lgkmcnt(1)
	v_fmac_f32_e32 v155, v136, v159
	v_fmac_f32_e32 v155, v137, v160
	s_delay_alu instid0(VALU_DEP_1) | instskip(SKIP_1) | instid1(VALU_DEP_1)
	v_fmac_f32_e32 v155, v138, v161
	s_waitcnt vmcnt(4)
	v_fmac_f32_e32 v155, v139, v162
	ds_load_2addr_b64 v[136:139], v2 offset0:57 offset1:58
	s_waitcnt lgkmcnt(1)
	v_fmac_f32_e32 v155, v140, v132
	s_delay_alu instid0(VALU_DEP_1) | instskip(NEXT) | instid1(VALU_DEP_1)
	v_fmac_f32_e32 v155, v141, v133
	v_fmac_f32_e32 v155, v142, v134
	s_waitcnt vmcnt(3)
	s_delay_alu instid0(VALU_DEP_1) | instskip(SKIP_3) | instid1(VALU_DEP_1)
	v_fmac_f32_e32 v155, v143, v135
	ds_load_2addr_b64 v[132:135], v2 offset0:59 offset1:60
	s_waitcnt lgkmcnt(1)
	v_fmac_f32_e32 v155, v144, v136
	v_fmac_f32_e32 v155, v145, v137
	s_delay_alu instid0(VALU_DEP_1) | instskip(SKIP_1) | instid1(VALU_DEP_1)
	v_fmac_f32_e32 v155, v146, v138
	s_waitcnt vmcnt(2)
	v_fmac_f32_e32 v155, v147, v139
	ds_load_2addr_b64 v[136:139], v2 offset0:61 offset1:62
	s_waitcnt lgkmcnt(1)
	v_fmac_f32_e32 v155, v148, v132
	ds_load_b32 v132, v2 offset:504
	v_fmac_f32_e32 v155, v149, v133
	s_delay_alu instid0(VALU_DEP_1) | instskip(SKIP_1) | instid1(VALU_DEP_1)
	v_fmac_f32_e32 v155, v150, v134
	s_waitcnt vmcnt(1)
	v_fmac_f32_e32 v155, v151, v135
	s_waitcnt lgkmcnt(1)
	s_delay_alu instid0(VALU_DEP_1) | instskip(NEXT) | instid1(VALU_DEP_1)
	v_fmac_f32_e32 v155, v152, v136
	v_fmac_f32_e32 v155, v153, v137
	s_delay_alu instid0(VALU_DEP_1) | instskip(SKIP_1) | instid1(VALU_DEP_1)
	v_fmac_f32_e32 v155, v154, v138
	s_waitcnt vmcnt(0)
	v_fmac_f32_e32 v155, v3, v139
	s_waitcnt lgkmcnt(0)
	s_delay_alu instid0(VALU_DEP_1) | instskip(NEXT) | instid1(VALU_DEP_1)
	v_fmac_f32_e32 v155, v4, v132
	v_sub_f32_e32 v3, v131, v155
	scratch_store_b32 off, v3, off offset:148
	v_cmpx_lt_u32_e32 36, v0
	s_cbranch_execz .LBB126_313
; %bb.312:
	scratch_load_b32 v3, off, off offset:144
	scratch_store_b32 off, v2, off offset:144
	s_waitcnt vmcnt(0)
	ds_store_b32 v1, v3
.LBB126_313:
	s_or_b32 exec_lo, exec_lo, s0
	s_waitcnt lgkmcnt(0)
	s_waitcnt_vscnt null, 0x0
	s_barrier
	buffer_gl0_inv
	s_clause 0x6
	scratch_load_b128 v[131:134], off, off offset:144
	scratch_load_b128 v[135:138], off, off offset:160
	;; [unrolled: 1-line block ×6, first 2 shown]
	scratch_load_b96 v[155:157], off, off offset:240
	ds_load_2addr_b32 v[3:4], v2 offset0:101 offset1:102
	ds_load_2addr_b32 v[158:159], v2 offset0:103 offset1:104
	;; [unrolled: 1-line block ×4, first 2 shown]
	s_mov_b32 s0, exec_lo
	s_waitcnt vmcnt(6) lgkmcnt(3)
	v_fma_f32 v164, v132, v3, 0
	s_delay_alu instid0(VALU_DEP_1)
	v_fmac_f32_e32 v164, v133, v4
	ds_load_2addr_b32 v[3:4], v2 offset0:109 offset1:110
	ds_load_2addr_b32 v[132:133], v2 offset0:111 offset1:112
	s_waitcnt lgkmcnt(4)
	v_fmac_f32_e32 v164, v134, v158
	s_waitcnt vmcnt(5)
	s_delay_alu instid0(VALU_DEP_1) | instskip(SKIP_1) | instid1(VALU_DEP_1)
	v_fmac_f32_e32 v164, v135, v159
	s_waitcnt lgkmcnt(3)
	v_fmac_f32_e32 v164, v136, v160
	s_delay_alu instid0(VALU_DEP_1)
	v_fmac_f32_e32 v164, v137, v161
	ds_load_2addr_b32 v[134:135], v2 offset0:113 offset1:114
	ds_load_2addr_b32 v[136:137], v2 offset0:115 offset1:116
	s_waitcnt lgkmcnt(4)
	v_fmac_f32_e32 v164, v138, v162
	s_waitcnt vmcnt(4)
	s_delay_alu instid0(VALU_DEP_1) | instskip(SKIP_1) | instid1(VALU_DEP_1)
	v_fmac_f32_e32 v164, v139, v163
	s_waitcnt lgkmcnt(3)
	v_fmac_f32_e32 v164, v140, v3
	s_delay_alu instid0(VALU_DEP_1) | instskip(SKIP_4) | instid1(VALU_DEP_1)
	v_fmac_f32_e32 v164, v141, v4
	ds_load_2addr_b32 v[3:4], v2 offset0:117 offset1:118
	s_waitcnt lgkmcnt(3)
	v_fmac_f32_e32 v164, v142, v132
	s_waitcnt vmcnt(3)
	v_fmac_f32_e32 v164, v143, v133
	ds_load_2addr_b32 v[132:133], v2 offset0:119 offset1:120
	s_waitcnt lgkmcnt(3)
	v_fmac_f32_e32 v164, v144, v134
	s_delay_alu instid0(VALU_DEP_1) | instskip(SKIP_1) | instid1(VALU_DEP_1)
	v_fmac_f32_e32 v164, v145, v135
	s_waitcnt lgkmcnt(2)
	v_fmac_f32_e32 v164, v146, v136
	s_waitcnt vmcnt(2)
	s_delay_alu instid0(VALU_DEP_1)
	v_fmac_f32_e32 v164, v147, v137
	ds_load_2addr_b32 v[134:135], v2 offset0:121 offset1:122
	ds_load_2addr_b32 v[136:137], v2 offset0:123 offset1:124
	s_waitcnt lgkmcnt(3)
	v_fmac_f32_e32 v164, v148, v3
	ds_load_2addr_b32 v[2:3], v2 offset0:125 offset1:126
	v_fmac_f32_e32 v164, v149, v4
	s_waitcnt lgkmcnt(3)
	s_delay_alu instid0(VALU_DEP_1) | instskip(SKIP_1) | instid1(VALU_DEP_1)
	v_fmac_f32_e32 v164, v150, v132
	s_waitcnt vmcnt(1)
	v_fmac_f32_e32 v164, v151, v133
	s_waitcnt lgkmcnt(2)
	s_delay_alu instid0(VALU_DEP_1) | instskip(NEXT) | instid1(VALU_DEP_1)
	v_fmac_f32_e32 v164, v152, v134
	v_fmac_f32_e32 v164, v153, v135
	s_waitcnt lgkmcnt(1)
	s_delay_alu instid0(VALU_DEP_1) | instskip(SKIP_1) | instid1(VALU_DEP_1)
	v_fmac_f32_e32 v164, v154, v136
	s_waitcnt vmcnt(0)
	v_fmac_f32_e32 v164, v155, v137
	s_waitcnt lgkmcnt(0)
	s_delay_alu instid0(VALU_DEP_1) | instskip(NEXT) | instid1(VALU_DEP_1)
	v_fmac_f32_e32 v164, v156, v2
	v_fmac_f32_e32 v164, v157, v3
	s_delay_alu instid0(VALU_DEP_1)
	v_sub_f32_e32 v2, v131, v164
	scratch_store_b32 off, v2, off offset:144
	v_cmpx_lt_u32_e32 35, v0
	s_cbranch_execz .LBB126_315
; %bb.314:
	scratch_load_b32 v2, off, off offset:140
	v_mov_b32_e32 v3, 0
	scratch_store_b32 off, v3, off offset:140
	s_waitcnt vmcnt(0)
	ds_store_b32 v1, v2
.LBB126_315:
	s_or_b32 exec_lo, exec_lo, s0
	s_waitcnt lgkmcnt(0)
	s_waitcnt_vscnt null, 0x0
	s_barrier
	buffer_gl0_inv
	s_clause 0x6
	scratch_load_b128 v[131:134], off, off offset:140
	scratch_load_b128 v[135:138], off, off offset:156
	;; [unrolled: 1-line block ×7, first 2 shown]
	v_mov_b32_e32 v2, 0
	ds_load_b128 v[159:162], v2 offset:400
	ds_load_b128 v[163:166], v2 offset:416
	s_mov_b32 s0, exec_lo
	s_waitcnt vmcnt(6) lgkmcnt(1)
	v_fma_f32 v3, v132, v159, 0
	s_delay_alu instid0(VALU_DEP_1) | instskip(NEXT) | instid1(VALU_DEP_1)
	v_fmac_f32_e32 v3, v133, v160
	v_fmac_f32_e32 v3, v134, v161
	s_waitcnt vmcnt(5)
	s_delay_alu instid0(VALU_DEP_1) | instskip(SKIP_3) | instid1(VALU_DEP_1)
	v_fmac_f32_e32 v3, v135, v162
	ds_load_b128 v[132:135], v2 offset:432
	s_waitcnt lgkmcnt(1)
	v_fmac_f32_e32 v3, v136, v163
	v_fmac_f32_e32 v3, v137, v164
	s_delay_alu instid0(VALU_DEP_1) | instskip(SKIP_1) | instid1(VALU_DEP_1)
	v_fmac_f32_e32 v3, v138, v165
	s_waitcnt vmcnt(4)
	v_fmac_f32_e32 v3, v139, v166
	ds_load_b128 v[136:139], v2 offset:448
	s_waitcnt lgkmcnt(1)
	v_fmac_f32_e32 v3, v140, v132
	s_delay_alu instid0(VALU_DEP_1) | instskip(NEXT) | instid1(VALU_DEP_1)
	v_fmac_f32_e32 v3, v141, v133
	v_fmac_f32_e32 v3, v142, v134
	s_waitcnt vmcnt(3)
	s_delay_alu instid0(VALU_DEP_1) | instskip(SKIP_3) | instid1(VALU_DEP_1)
	v_fmac_f32_e32 v3, v143, v135
	ds_load_b128 v[132:135], v2 offset:464
	s_waitcnt lgkmcnt(1)
	v_fmac_f32_e32 v3, v144, v136
	v_fmac_f32_e32 v3, v145, v137
	s_delay_alu instid0(VALU_DEP_1) | instskip(SKIP_1) | instid1(VALU_DEP_1)
	v_fmac_f32_e32 v3, v146, v138
	s_waitcnt vmcnt(2)
	v_fmac_f32_e32 v3, v147, v139
	ds_load_b128 v[136:139], v2 offset:480
	s_waitcnt lgkmcnt(1)
	v_fmac_f32_e32 v3, v148, v132
	s_delay_alu instid0(VALU_DEP_1) | instskip(NEXT) | instid1(VALU_DEP_1)
	v_fmac_f32_e32 v3, v149, v133
	v_fmac_f32_e32 v3, v150, v134
	ds_load_b96 v[132:134], v2 offset:496
	s_waitcnt vmcnt(1)
	v_fmac_f32_e32 v3, v151, v135
	s_waitcnt lgkmcnt(1)
	s_delay_alu instid0(VALU_DEP_1) | instskip(NEXT) | instid1(VALU_DEP_1)
	v_fmac_f32_e32 v3, v152, v136
	v_fmac_f32_e32 v3, v153, v137
	s_delay_alu instid0(VALU_DEP_1) | instskip(SKIP_1) | instid1(VALU_DEP_1)
	v_fmac_f32_e32 v3, v154, v138
	s_waitcnt vmcnt(0)
	v_fmac_f32_e32 v3, v155, v139
	s_waitcnt lgkmcnt(0)
	s_delay_alu instid0(VALU_DEP_1) | instskip(NEXT) | instid1(VALU_DEP_1)
	v_fmac_f32_e32 v3, v156, v132
	v_fmac_f32_e32 v3, v157, v133
	s_delay_alu instid0(VALU_DEP_1) | instskip(NEXT) | instid1(VALU_DEP_1)
	v_fmac_f32_e32 v3, v158, v134
	v_sub_f32_e32 v3, v131, v3
	scratch_store_b32 off, v3, off offset:140
	v_cmpx_lt_u32_e32 34, v0
	s_cbranch_execz .LBB126_317
; %bb.316:
	scratch_load_b32 v3, off, off offset:136
	scratch_store_b32 off, v2, off offset:136
	s_waitcnt vmcnt(0)
	ds_store_b32 v1, v3
.LBB126_317:
	s_or_b32 exec_lo, exec_lo, s0
	s_waitcnt lgkmcnt(0)
	s_waitcnt_vscnt null, 0x0
	s_barrier
	buffer_gl0_inv
	s_clause 0x7
	scratch_load_b128 v[131:134], off, off offset:136
	scratch_load_b128 v[135:138], off, off offset:152
	scratch_load_b128 v[139:142], off, off offset:168
	scratch_load_b128 v[143:146], off, off offset:184
	scratch_load_b128 v[147:150], off, off offset:200
	scratch_load_b128 v[151:154], off, off offset:216
	scratch_load_b128 v[155:158], off, off offset:232
	scratch_load_b32 v165, off, off offset:248
	ds_load_2addr_b32 v[3:4], v2 offset0:99 offset1:100
	ds_load_2addr_b32 v[159:160], v2 offset0:101 offset1:102
	;; [unrolled: 1-line block ×4, first 2 shown]
	s_mov_b32 s0, exec_lo
	s_waitcnt vmcnt(7) lgkmcnt(3)
	v_fma_f32 v166, v132, v3, 0
	s_delay_alu instid0(VALU_DEP_1)
	v_fmac_f32_e32 v166, v133, v4
	ds_load_2addr_b32 v[3:4], v2 offset0:107 offset1:108
	ds_load_2addr_b32 v[132:133], v2 offset0:109 offset1:110
	s_waitcnt lgkmcnt(4)
	v_fmac_f32_e32 v166, v134, v159
	s_waitcnt vmcnt(6)
	s_delay_alu instid0(VALU_DEP_1) | instskip(SKIP_1) | instid1(VALU_DEP_1)
	v_fmac_f32_e32 v166, v135, v160
	s_waitcnt lgkmcnt(3)
	v_fmac_f32_e32 v166, v136, v161
	s_delay_alu instid0(VALU_DEP_1)
	v_fmac_f32_e32 v166, v137, v162
	ds_load_2addr_b32 v[134:135], v2 offset0:111 offset1:112
	ds_load_2addr_b32 v[136:137], v2 offset0:113 offset1:114
	s_waitcnt lgkmcnt(4)
	v_fmac_f32_e32 v166, v138, v163
	s_waitcnt vmcnt(5)
	s_delay_alu instid0(VALU_DEP_1) | instskip(SKIP_1) | instid1(VALU_DEP_1)
	v_fmac_f32_e32 v166, v139, v164
	s_waitcnt lgkmcnt(3)
	v_fmac_f32_e32 v166, v140, v3
	s_delay_alu instid0(VALU_DEP_1) | instskip(SKIP_4) | instid1(VALU_DEP_1)
	v_fmac_f32_e32 v166, v141, v4
	ds_load_2addr_b32 v[3:4], v2 offset0:115 offset1:116
	s_waitcnt lgkmcnt(3)
	v_fmac_f32_e32 v166, v142, v132
	s_waitcnt vmcnt(4)
	v_fmac_f32_e32 v166, v143, v133
	ds_load_2addr_b32 v[132:133], v2 offset0:117 offset1:118
	s_waitcnt lgkmcnt(3)
	v_fmac_f32_e32 v166, v144, v134
	s_delay_alu instid0(VALU_DEP_1) | instskip(SKIP_1) | instid1(VALU_DEP_1)
	v_fmac_f32_e32 v166, v145, v135
	s_waitcnt lgkmcnt(2)
	v_fmac_f32_e32 v166, v146, v136
	s_waitcnt vmcnt(3)
	s_delay_alu instid0(VALU_DEP_1) | instskip(SKIP_4) | instid1(VALU_DEP_1)
	v_fmac_f32_e32 v166, v147, v137
	ds_load_2addr_b32 v[134:135], v2 offset0:119 offset1:120
	ds_load_2addr_b32 v[136:137], v2 offset0:121 offset1:122
	s_waitcnt lgkmcnt(3)
	v_fmac_f32_e32 v166, v148, v3
	v_fmac_f32_e32 v166, v149, v4
	ds_load_2addr_b32 v[3:4], v2 offset0:123 offset1:124
	s_waitcnt lgkmcnt(3)
	v_fmac_f32_e32 v166, v150, v132
	s_waitcnt vmcnt(2)
	s_delay_alu instid0(VALU_DEP_1) | instskip(SKIP_3) | instid1(VALU_DEP_1)
	v_fmac_f32_e32 v166, v151, v133
	ds_load_2addr_b32 v[132:133], v2 offset0:125 offset1:126
	s_waitcnt lgkmcnt(3)
	v_fmac_f32_e32 v166, v152, v134
	v_fmac_f32_e32 v166, v153, v135
	s_waitcnt lgkmcnt(2)
	s_delay_alu instid0(VALU_DEP_1) | instskip(SKIP_1) | instid1(VALU_DEP_1)
	v_fmac_f32_e32 v166, v154, v136
	s_waitcnt vmcnt(1)
	v_fmac_f32_e32 v166, v155, v137
	s_waitcnt lgkmcnt(1)
	s_delay_alu instid0(VALU_DEP_1) | instskip(NEXT) | instid1(VALU_DEP_1)
	v_fmac_f32_e32 v166, v156, v3
	v_fmac_f32_e32 v166, v157, v4
	s_waitcnt lgkmcnt(0)
	s_delay_alu instid0(VALU_DEP_1) | instskip(SKIP_1) | instid1(VALU_DEP_1)
	v_fmac_f32_e32 v166, v158, v132
	s_waitcnt vmcnt(0)
	v_fmac_f32_e32 v166, v165, v133
	s_delay_alu instid0(VALU_DEP_1)
	v_sub_f32_e32 v2, v131, v166
	scratch_store_b32 off, v2, off offset:136
	v_cmpx_lt_u32_e32 33, v0
	s_cbranch_execz .LBB126_319
; %bb.318:
	scratch_load_b32 v2, off, off offset:132
	v_mov_b32_e32 v3, 0
	scratch_store_b32 off, v3, off offset:132
	s_waitcnt vmcnt(0)
	ds_store_b32 v1, v2
.LBB126_319:
	s_or_b32 exec_lo, exec_lo, s0
	s_waitcnt lgkmcnt(0)
	s_waitcnt_vscnt null, 0x0
	s_barrier
	buffer_gl0_inv
	s_clause 0x7
	scratch_load_b128 v[131:134], off, off offset:132
	scratch_load_b128 v[135:138], off, off offset:148
	;; [unrolled: 1-line block ×7, first 2 shown]
	scratch_load_b64 v[3:4], off, off offset:244
	v_mov_b32_e32 v2, 0
	ds_load_2addr_b64 v[159:162], v2 offset0:49 offset1:50
	ds_load_2addr_b64 v[163:166], v2 offset0:51 offset1:52
	s_mov_b32 s0, exec_lo
	s_waitcnt vmcnt(7) lgkmcnt(1)
	v_fma_f32 v159, v132, v159, 0
	s_delay_alu instid0(VALU_DEP_1) | instskip(NEXT) | instid1(VALU_DEP_1)
	v_fmac_f32_e32 v159, v133, v160
	v_fmac_f32_e32 v159, v134, v161
	s_waitcnt vmcnt(6)
	s_delay_alu instid0(VALU_DEP_1) | instskip(SKIP_3) | instid1(VALU_DEP_1)
	v_fmac_f32_e32 v159, v135, v162
	ds_load_2addr_b64 v[132:135], v2 offset0:53 offset1:54
	s_waitcnt lgkmcnt(1)
	v_fmac_f32_e32 v159, v136, v163
	v_fmac_f32_e32 v159, v137, v164
	s_delay_alu instid0(VALU_DEP_1) | instskip(SKIP_1) | instid1(VALU_DEP_1)
	v_fmac_f32_e32 v159, v138, v165
	s_waitcnt vmcnt(5)
	v_fmac_f32_e32 v159, v139, v166
	ds_load_2addr_b64 v[136:139], v2 offset0:55 offset1:56
	s_waitcnt lgkmcnt(1)
	v_fmac_f32_e32 v159, v140, v132
	s_delay_alu instid0(VALU_DEP_1) | instskip(NEXT) | instid1(VALU_DEP_1)
	v_fmac_f32_e32 v159, v141, v133
	v_fmac_f32_e32 v159, v142, v134
	s_waitcnt vmcnt(4)
	s_delay_alu instid0(VALU_DEP_1) | instskip(SKIP_3) | instid1(VALU_DEP_1)
	v_fmac_f32_e32 v159, v143, v135
	ds_load_2addr_b64 v[132:135], v2 offset0:57 offset1:58
	s_waitcnt lgkmcnt(1)
	v_fmac_f32_e32 v159, v144, v136
	v_fmac_f32_e32 v159, v145, v137
	s_delay_alu instid0(VALU_DEP_1) | instskip(SKIP_1) | instid1(VALU_DEP_1)
	v_fmac_f32_e32 v159, v146, v138
	s_waitcnt vmcnt(3)
	v_fmac_f32_e32 v159, v147, v139
	ds_load_2addr_b64 v[136:139], v2 offset0:59 offset1:60
	s_waitcnt lgkmcnt(1)
	v_fmac_f32_e32 v159, v148, v132
	s_delay_alu instid0(VALU_DEP_1) | instskip(NEXT) | instid1(VALU_DEP_1)
	v_fmac_f32_e32 v159, v149, v133
	v_fmac_f32_e32 v159, v150, v134
	s_waitcnt vmcnt(2)
	s_delay_alu instid0(VALU_DEP_1)
	v_fmac_f32_e32 v159, v151, v135
	ds_load_2addr_b64 v[132:135], v2 offset0:61 offset1:62
	s_waitcnt lgkmcnt(1)
	v_fmac_f32_e32 v159, v152, v136
	ds_load_b32 v136, v2 offset:504
	v_fmac_f32_e32 v159, v153, v137
	s_delay_alu instid0(VALU_DEP_1) | instskip(SKIP_1) | instid1(VALU_DEP_1)
	v_fmac_f32_e32 v159, v154, v138
	s_waitcnt vmcnt(1)
	v_fmac_f32_e32 v159, v155, v139
	s_waitcnt lgkmcnt(1)
	s_delay_alu instid0(VALU_DEP_1) | instskip(NEXT) | instid1(VALU_DEP_1)
	v_fmac_f32_e32 v159, v156, v132
	v_fmac_f32_e32 v159, v157, v133
	s_delay_alu instid0(VALU_DEP_1) | instskip(SKIP_1) | instid1(VALU_DEP_1)
	v_fmac_f32_e32 v159, v158, v134
	s_waitcnt vmcnt(0)
	v_fmac_f32_e32 v159, v3, v135
	s_waitcnt lgkmcnt(0)
	s_delay_alu instid0(VALU_DEP_1) | instskip(NEXT) | instid1(VALU_DEP_1)
	v_fmac_f32_e32 v159, v4, v136
	v_sub_f32_e32 v3, v131, v159
	scratch_store_b32 off, v3, off offset:132
	v_cmpx_lt_u32_e32 32, v0
	s_cbranch_execz .LBB126_321
; %bb.320:
	scratch_load_b32 v3, off, off offset:128
	scratch_store_b32 off, v2, off offset:128
	s_waitcnt vmcnt(0)
	ds_store_b32 v1, v3
.LBB126_321:
	s_or_b32 exec_lo, exec_lo, s0
	s_waitcnt lgkmcnt(0)
	s_waitcnt_vscnt null, 0x0
	s_barrier
	buffer_gl0_inv
	s_clause 0x7
	scratch_load_b128 v[131:134], off, off offset:128
	scratch_load_b128 v[135:138], off, off offset:144
	;; [unrolled: 1-line block ×7, first 2 shown]
	scratch_load_b96 v[159:161], off, off offset:240
	ds_load_2addr_b32 v[3:4], v2 offset0:97 offset1:98
	ds_load_2addr_b32 v[162:163], v2 offset0:99 offset1:100
	;; [unrolled: 1-line block ×4, first 2 shown]
	s_mov_b32 s0, exec_lo
	s_waitcnt vmcnt(7) lgkmcnt(3)
	v_fma_f32 v168, v132, v3, 0
	s_delay_alu instid0(VALU_DEP_1)
	v_fmac_f32_e32 v168, v133, v4
	ds_load_2addr_b32 v[3:4], v2 offset0:105 offset1:106
	ds_load_2addr_b32 v[132:133], v2 offset0:107 offset1:108
	s_waitcnt lgkmcnt(4)
	v_fmac_f32_e32 v168, v134, v162
	s_waitcnt vmcnt(6)
	s_delay_alu instid0(VALU_DEP_1) | instskip(SKIP_1) | instid1(VALU_DEP_1)
	v_fmac_f32_e32 v168, v135, v163
	s_waitcnt lgkmcnt(3)
	v_fmac_f32_e32 v168, v136, v164
	s_delay_alu instid0(VALU_DEP_1)
	v_fmac_f32_e32 v168, v137, v165
	ds_load_2addr_b32 v[134:135], v2 offset0:109 offset1:110
	ds_load_2addr_b32 v[136:137], v2 offset0:111 offset1:112
	s_waitcnt lgkmcnt(4)
	v_fmac_f32_e32 v168, v138, v166
	s_waitcnt vmcnt(5)
	s_delay_alu instid0(VALU_DEP_1) | instskip(SKIP_1) | instid1(VALU_DEP_1)
	v_fmac_f32_e32 v168, v139, v167
	s_waitcnt lgkmcnt(3)
	v_fmac_f32_e32 v168, v140, v3
	s_delay_alu instid0(VALU_DEP_1) | instskip(SKIP_4) | instid1(VALU_DEP_1)
	v_fmac_f32_e32 v168, v141, v4
	ds_load_2addr_b32 v[3:4], v2 offset0:113 offset1:114
	s_waitcnt lgkmcnt(3)
	v_fmac_f32_e32 v168, v142, v132
	s_waitcnt vmcnt(4)
	v_fmac_f32_e32 v168, v143, v133
	ds_load_2addr_b32 v[132:133], v2 offset0:115 offset1:116
	s_waitcnt lgkmcnt(3)
	v_fmac_f32_e32 v168, v144, v134
	s_delay_alu instid0(VALU_DEP_1) | instskip(SKIP_1) | instid1(VALU_DEP_1)
	v_fmac_f32_e32 v168, v145, v135
	s_waitcnt lgkmcnt(2)
	v_fmac_f32_e32 v168, v146, v136
	s_waitcnt vmcnt(3)
	s_delay_alu instid0(VALU_DEP_1) | instskip(SKIP_4) | instid1(VALU_DEP_1)
	v_fmac_f32_e32 v168, v147, v137
	ds_load_2addr_b32 v[134:135], v2 offset0:117 offset1:118
	ds_load_2addr_b32 v[136:137], v2 offset0:119 offset1:120
	s_waitcnt lgkmcnt(3)
	v_fmac_f32_e32 v168, v148, v3
	v_fmac_f32_e32 v168, v149, v4
	ds_load_2addr_b32 v[3:4], v2 offset0:121 offset1:122
	s_waitcnt lgkmcnt(3)
	v_fmac_f32_e32 v168, v150, v132
	s_waitcnt vmcnt(2)
	s_delay_alu instid0(VALU_DEP_1) | instskip(SKIP_3) | instid1(VALU_DEP_1)
	v_fmac_f32_e32 v168, v151, v133
	ds_load_2addr_b32 v[132:133], v2 offset0:123 offset1:124
	s_waitcnt lgkmcnt(3)
	v_fmac_f32_e32 v168, v152, v134
	v_fmac_f32_e32 v168, v153, v135
	ds_load_2addr_b32 v[134:135], v2 offset0:125 offset1:126
	s_waitcnt lgkmcnt(3)
	v_fmac_f32_e32 v168, v154, v136
	s_waitcnt vmcnt(1)
	s_delay_alu instid0(VALU_DEP_1) | instskip(SKIP_1) | instid1(VALU_DEP_1)
	v_fmac_f32_e32 v168, v155, v137
	s_waitcnt lgkmcnt(2)
	v_fmac_f32_e32 v168, v156, v3
	s_delay_alu instid0(VALU_DEP_1) | instskip(SKIP_1) | instid1(VALU_DEP_1)
	v_fmac_f32_e32 v168, v157, v4
	s_waitcnt lgkmcnt(1)
	v_fmac_f32_e32 v168, v158, v132
	s_waitcnt vmcnt(0)
	s_delay_alu instid0(VALU_DEP_1) | instskip(SKIP_1) | instid1(VALU_DEP_1)
	v_fmac_f32_e32 v168, v159, v133
	s_waitcnt lgkmcnt(0)
	v_fmac_f32_e32 v168, v160, v134
	s_delay_alu instid0(VALU_DEP_1) | instskip(NEXT) | instid1(VALU_DEP_1)
	v_fmac_f32_e32 v168, v161, v135
	v_sub_f32_e32 v2, v131, v168
	scratch_store_b32 off, v2, off offset:128
	v_cmpx_lt_u32_e32 31, v0
	s_cbranch_execz .LBB126_323
; %bb.322:
	scratch_load_b32 v2, off, off offset:124
	v_mov_b32_e32 v3, 0
	scratch_store_b32 off, v3, off offset:124
	s_waitcnt vmcnt(0)
	ds_store_b32 v1, v2
.LBB126_323:
	s_or_b32 exec_lo, exec_lo, s0
	s_waitcnt lgkmcnt(0)
	s_waitcnt_vscnt null, 0x0
	s_barrier
	buffer_gl0_inv
	s_clause 0x7
	scratch_load_b128 v[131:134], off, off offset:124
	scratch_load_b128 v[135:138], off, off offset:140
	;; [unrolled: 1-line block ×8, first 2 shown]
	v_mov_b32_e32 v2, 0
	ds_load_b128 v[163:166], v2 offset:384
	ds_load_b128 v[167:170], v2 offset:400
	s_mov_b32 s0, exec_lo
	s_waitcnt vmcnt(7) lgkmcnt(1)
	v_fma_f32 v3, v132, v163, 0
	s_delay_alu instid0(VALU_DEP_1) | instskip(NEXT) | instid1(VALU_DEP_1)
	v_fmac_f32_e32 v3, v133, v164
	v_fmac_f32_e32 v3, v134, v165
	s_waitcnt vmcnt(6)
	s_delay_alu instid0(VALU_DEP_1) | instskip(SKIP_3) | instid1(VALU_DEP_1)
	v_fmac_f32_e32 v3, v135, v166
	ds_load_b128 v[132:135], v2 offset:416
	s_waitcnt lgkmcnt(1)
	v_fmac_f32_e32 v3, v136, v167
	v_fmac_f32_e32 v3, v137, v168
	s_delay_alu instid0(VALU_DEP_1) | instskip(SKIP_1) | instid1(VALU_DEP_1)
	v_fmac_f32_e32 v3, v138, v169
	s_waitcnt vmcnt(5)
	v_fmac_f32_e32 v3, v139, v170
	ds_load_b128 v[136:139], v2 offset:432
	s_waitcnt lgkmcnt(1)
	v_fmac_f32_e32 v3, v140, v132
	s_delay_alu instid0(VALU_DEP_1) | instskip(NEXT) | instid1(VALU_DEP_1)
	v_fmac_f32_e32 v3, v141, v133
	v_fmac_f32_e32 v3, v142, v134
	s_waitcnt vmcnt(4)
	s_delay_alu instid0(VALU_DEP_1) | instskip(SKIP_3) | instid1(VALU_DEP_1)
	v_fmac_f32_e32 v3, v143, v135
	ds_load_b128 v[132:135], v2 offset:448
	s_waitcnt lgkmcnt(1)
	v_fmac_f32_e32 v3, v144, v136
	v_fmac_f32_e32 v3, v145, v137
	s_delay_alu instid0(VALU_DEP_1) | instskip(SKIP_1) | instid1(VALU_DEP_1)
	v_fmac_f32_e32 v3, v146, v138
	s_waitcnt vmcnt(3)
	v_fmac_f32_e32 v3, v147, v139
	ds_load_b128 v[136:139], v2 offset:464
	s_waitcnt lgkmcnt(1)
	v_fmac_f32_e32 v3, v148, v132
	s_delay_alu instid0(VALU_DEP_1) | instskip(NEXT) | instid1(VALU_DEP_1)
	v_fmac_f32_e32 v3, v149, v133
	v_fmac_f32_e32 v3, v150, v134
	s_waitcnt vmcnt(2)
	s_delay_alu instid0(VALU_DEP_1) | instskip(SKIP_3) | instid1(VALU_DEP_1)
	v_fmac_f32_e32 v3, v151, v135
	ds_load_b128 v[132:135], v2 offset:480
	s_waitcnt lgkmcnt(1)
	v_fmac_f32_e32 v3, v152, v136
	v_fmac_f32_e32 v3, v153, v137
	s_delay_alu instid0(VALU_DEP_1) | instskip(SKIP_4) | instid1(VALU_DEP_1)
	v_fmac_f32_e32 v3, v154, v138
	ds_load_b96 v[136:138], v2 offset:496
	s_waitcnt vmcnt(1)
	v_fmac_f32_e32 v3, v155, v139
	s_waitcnt lgkmcnt(1)
	v_fmac_f32_e32 v3, v156, v132
	s_delay_alu instid0(VALU_DEP_1) | instskip(NEXT) | instid1(VALU_DEP_1)
	v_fmac_f32_e32 v3, v157, v133
	v_fmac_f32_e32 v3, v158, v134
	s_waitcnt vmcnt(0)
	s_delay_alu instid0(VALU_DEP_1) | instskip(SKIP_1) | instid1(VALU_DEP_1)
	v_fmac_f32_e32 v3, v159, v135
	s_waitcnt lgkmcnt(0)
	v_fmac_f32_e32 v3, v160, v136
	s_delay_alu instid0(VALU_DEP_1) | instskip(NEXT) | instid1(VALU_DEP_1)
	v_fmac_f32_e32 v3, v161, v137
	v_fmac_f32_e32 v3, v162, v138
	s_delay_alu instid0(VALU_DEP_1)
	v_sub_f32_e32 v3, v131, v3
	scratch_store_b32 off, v3, off offset:124
	v_cmpx_lt_u32_e32 30, v0
	s_cbranch_execz .LBB126_325
; %bb.324:
	scratch_load_b32 v3, off, off offset:120
	scratch_store_b32 off, v2, off offset:120
	s_waitcnt vmcnt(0)
	ds_store_b32 v1, v3
.LBB126_325:
	s_or_b32 exec_lo, exec_lo, s0
	s_waitcnt lgkmcnt(0)
	s_waitcnt_vscnt null, 0x0
	s_barrier
	buffer_gl0_inv
	s_clause 0x8
	scratch_load_b128 v[131:134], off, off offset:120
	scratch_load_b128 v[135:138], off, off offset:136
	;; [unrolled: 1-line block ×8, first 2 shown]
	scratch_load_b32 v169, off, off offset:248
	ds_load_2addr_b32 v[3:4], v2 offset0:95 offset1:96
	ds_load_2addr_b32 v[163:164], v2 offset0:97 offset1:98
	;; [unrolled: 1-line block ×4, first 2 shown]
	s_mov_b32 s0, exec_lo
	s_waitcnt vmcnt(8) lgkmcnt(3)
	v_fma_f32 v170, v132, v3, 0
	s_delay_alu instid0(VALU_DEP_1)
	v_fmac_f32_e32 v170, v133, v4
	ds_load_2addr_b32 v[3:4], v2 offset0:103 offset1:104
	ds_load_2addr_b32 v[132:133], v2 offset0:105 offset1:106
	s_waitcnt lgkmcnt(4)
	v_fmac_f32_e32 v170, v134, v163
	s_waitcnt vmcnt(7)
	s_delay_alu instid0(VALU_DEP_1) | instskip(SKIP_1) | instid1(VALU_DEP_1)
	v_fmac_f32_e32 v170, v135, v164
	s_waitcnt lgkmcnt(3)
	v_fmac_f32_e32 v170, v136, v165
	s_delay_alu instid0(VALU_DEP_1)
	v_fmac_f32_e32 v170, v137, v166
	ds_load_2addr_b32 v[134:135], v2 offset0:107 offset1:108
	ds_load_2addr_b32 v[136:137], v2 offset0:109 offset1:110
	s_waitcnt lgkmcnt(4)
	v_fmac_f32_e32 v170, v138, v167
	s_waitcnt vmcnt(6)
	s_delay_alu instid0(VALU_DEP_1) | instskip(SKIP_1) | instid1(VALU_DEP_1)
	v_fmac_f32_e32 v170, v139, v168
	s_waitcnt lgkmcnt(3)
	v_fmac_f32_e32 v170, v140, v3
	s_delay_alu instid0(VALU_DEP_1) | instskip(SKIP_4) | instid1(VALU_DEP_1)
	v_fmac_f32_e32 v170, v141, v4
	ds_load_2addr_b32 v[3:4], v2 offset0:111 offset1:112
	s_waitcnt lgkmcnt(3)
	v_fmac_f32_e32 v170, v142, v132
	s_waitcnt vmcnt(5)
	v_fmac_f32_e32 v170, v143, v133
	ds_load_2addr_b32 v[132:133], v2 offset0:113 offset1:114
	s_waitcnt lgkmcnt(3)
	v_fmac_f32_e32 v170, v144, v134
	s_delay_alu instid0(VALU_DEP_1) | instskip(SKIP_1) | instid1(VALU_DEP_1)
	v_fmac_f32_e32 v170, v145, v135
	s_waitcnt lgkmcnt(2)
	v_fmac_f32_e32 v170, v146, v136
	s_waitcnt vmcnt(4)
	s_delay_alu instid0(VALU_DEP_1) | instskip(SKIP_4) | instid1(VALU_DEP_1)
	v_fmac_f32_e32 v170, v147, v137
	ds_load_2addr_b32 v[134:135], v2 offset0:115 offset1:116
	ds_load_2addr_b32 v[136:137], v2 offset0:117 offset1:118
	s_waitcnt lgkmcnt(3)
	v_fmac_f32_e32 v170, v148, v3
	v_fmac_f32_e32 v170, v149, v4
	ds_load_2addr_b32 v[3:4], v2 offset0:119 offset1:120
	s_waitcnt lgkmcnt(3)
	v_fmac_f32_e32 v170, v150, v132
	s_waitcnt vmcnt(3)
	s_delay_alu instid0(VALU_DEP_1) | instskip(SKIP_3) | instid1(VALU_DEP_1)
	v_fmac_f32_e32 v170, v151, v133
	ds_load_2addr_b32 v[132:133], v2 offset0:121 offset1:122
	s_waitcnt lgkmcnt(3)
	v_fmac_f32_e32 v170, v152, v134
	v_fmac_f32_e32 v170, v153, v135
	s_waitcnt lgkmcnt(2)
	s_delay_alu instid0(VALU_DEP_1) | instskip(SKIP_1) | instid1(VALU_DEP_1)
	v_fmac_f32_e32 v170, v154, v136
	s_waitcnt vmcnt(2)
	v_fmac_f32_e32 v170, v155, v137
	ds_load_2addr_b32 v[134:135], v2 offset0:123 offset1:124
	ds_load_2addr_b32 v[136:137], v2 offset0:125 offset1:126
	s_waitcnt lgkmcnt(3)
	v_fmac_f32_e32 v170, v156, v3
	s_delay_alu instid0(VALU_DEP_1) | instskip(SKIP_1) | instid1(VALU_DEP_1)
	v_fmac_f32_e32 v170, v157, v4
	s_waitcnt lgkmcnt(2)
	v_fmac_f32_e32 v170, v158, v132
	s_waitcnt vmcnt(1)
	s_delay_alu instid0(VALU_DEP_1) | instskip(SKIP_1) | instid1(VALU_DEP_1)
	v_fmac_f32_e32 v170, v159, v133
	s_waitcnt lgkmcnt(1)
	v_fmac_f32_e32 v170, v160, v134
	s_delay_alu instid0(VALU_DEP_1) | instskip(SKIP_1) | instid1(VALU_DEP_1)
	v_fmac_f32_e32 v170, v161, v135
	s_waitcnt lgkmcnt(0)
	v_fmac_f32_e32 v170, v162, v136
	s_waitcnt vmcnt(0)
	s_delay_alu instid0(VALU_DEP_1) | instskip(NEXT) | instid1(VALU_DEP_1)
	v_fmac_f32_e32 v170, v169, v137
	v_sub_f32_e32 v2, v131, v170
	scratch_store_b32 off, v2, off offset:120
	v_cmpx_lt_u32_e32 29, v0
	s_cbranch_execz .LBB126_327
; %bb.326:
	scratch_load_b32 v2, off, off offset:116
	v_mov_b32_e32 v3, 0
	scratch_store_b32 off, v3, off offset:116
	s_waitcnt vmcnt(0)
	ds_store_b32 v1, v2
.LBB126_327:
	s_or_b32 exec_lo, exec_lo, s0
	s_waitcnt lgkmcnt(0)
	s_waitcnt_vscnt null, 0x0
	s_barrier
	buffer_gl0_inv
	s_clause 0x8
	scratch_load_b128 v[131:134], off, off offset:116
	scratch_load_b128 v[135:138], off, off offset:132
	scratch_load_b128 v[139:142], off, off offset:148
	scratch_load_b128 v[143:146], off, off offset:164
	scratch_load_b128 v[147:150], off, off offset:180
	scratch_load_b128 v[151:154], off, off offset:196
	scratch_load_b128 v[155:158], off, off offset:212
	scratch_load_b128 v[159:162], off, off offset:228
	scratch_load_b64 v[3:4], off, off offset:244
	v_mov_b32_e32 v2, 0
	ds_load_2addr_b64 v[163:166], v2 offset0:47 offset1:48
	ds_load_2addr_b64 v[167:170], v2 offset0:49 offset1:50
	s_mov_b32 s0, exec_lo
	s_waitcnt vmcnt(8) lgkmcnt(1)
	v_fma_f32 v163, v132, v163, 0
	s_delay_alu instid0(VALU_DEP_1) | instskip(NEXT) | instid1(VALU_DEP_1)
	v_fmac_f32_e32 v163, v133, v164
	v_fmac_f32_e32 v163, v134, v165
	s_waitcnt vmcnt(7)
	s_delay_alu instid0(VALU_DEP_1) | instskip(SKIP_3) | instid1(VALU_DEP_1)
	v_fmac_f32_e32 v163, v135, v166
	ds_load_2addr_b64 v[132:135], v2 offset0:51 offset1:52
	s_waitcnt lgkmcnt(1)
	v_fmac_f32_e32 v163, v136, v167
	v_fmac_f32_e32 v163, v137, v168
	s_delay_alu instid0(VALU_DEP_1) | instskip(SKIP_1) | instid1(VALU_DEP_1)
	v_fmac_f32_e32 v163, v138, v169
	s_waitcnt vmcnt(6)
	v_fmac_f32_e32 v163, v139, v170
	ds_load_2addr_b64 v[136:139], v2 offset0:53 offset1:54
	s_waitcnt lgkmcnt(1)
	v_fmac_f32_e32 v163, v140, v132
	s_delay_alu instid0(VALU_DEP_1) | instskip(NEXT) | instid1(VALU_DEP_1)
	v_fmac_f32_e32 v163, v141, v133
	v_fmac_f32_e32 v163, v142, v134
	s_waitcnt vmcnt(5)
	s_delay_alu instid0(VALU_DEP_1) | instskip(SKIP_3) | instid1(VALU_DEP_1)
	v_fmac_f32_e32 v163, v143, v135
	ds_load_2addr_b64 v[132:135], v2 offset0:55 offset1:56
	s_waitcnt lgkmcnt(1)
	v_fmac_f32_e32 v163, v144, v136
	v_fmac_f32_e32 v163, v145, v137
	s_delay_alu instid0(VALU_DEP_1) | instskip(SKIP_1) | instid1(VALU_DEP_1)
	v_fmac_f32_e32 v163, v146, v138
	s_waitcnt vmcnt(4)
	v_fmac_f32_e32 v163, v147, v139
	ds_load_2addr_b64 v[136:139], v2 offset0:57 offset1:58
	s_waitcnt lgkmcnt(1)
	v_fmac_f32_e32 v163, v148, v132
	;; [unrolled: 17-line block ×3, first 2 shown]
	ds_load_b32 v132, v2 offset:504
	v_fmac_f32_e32 v163, v157, v133
	s_delay_alu instid0(VALU_DEP_1) | instskip(SKIP_1) | instid1(VALU_DEP_1)
	v_fmac_f32_e32 v163, v158, v134
	s_waitcnt vmcnt(1)
	v_fmac_f32_e32 v163, v159, v135
	s_waitcnt lgkmcnt(1)
	s_delay_alu instid0(VALU_DEP_1) | instskip(NEXT) | instid1(VALU_DEP_1)
	v_fmac_f32_e32 v163, v160, v136
	v_fmac_f32_e32 v163, v161, v137
	s_delay_alu instid0(VALU_DEP_1) | instskip(SKIP_1) | instid1(VALU_DEP_1)
	v_fmac_f32_e32 v163, v162, v138
	s_waitcnt vmcnt(0)
	v_fmac_f32_e32 v163, v3, v139
	s_waitcnt lgkmcnt(0)
	s_delay_alu instid0(VALU_DEP_1) | instskip(NEXT) | instid1(VALU_DEP_1)
	v_fmac_f32_e32 v163, v4, v132
	v_sub_f32_e32 v3, v131, v163
	scratch_store_b32 off, v3, off offset:116
	v_cmpx_lt_u32_e32 28, v0
	s_cbranch_execz .LBB126_329
; %bb.328:
	scratch_load_b32 v3, off, off offset:112
	scratch_store_b32 off, v2, off offset:112
	s_waitcnt vmcnt(0)
	ds_store_b32 v1, v3
.LBB126_329:
	s_or_b32 exec_lo, exec_lo, s0
	s_waitcnt lgkmcnt(0)
	s_waitcnt_vscnt null, 0x0
	s_barrier
	buffer_gl0_inv
	s_clause 0x8
	scratch_load_b128 v[131:134], off, off offset:112
	scratch_load_b128 v[135:138], off, off offset:128
	;; [unrolled: 1-line block ×8, first 2 shown]
	scratch_load_b96 v[163:165], off, off offset:240
	ds_load_2addr_b32 v[3:4], v2 offset0:93 offset1:94
	ds_load_2addr_b32 v[166:167], v2 offset0:95 offset1:96
	;; [unrolled: 1-line block ×4, first 2 shown]
	s_mov_b32 s0, exec_lo
	s_waitcnt vmcnt(8) lgkmcnt(3)
	v_fma_f32 v172, v132, v3, 0
	s_delay_alu instid0(VALU_DEP_1)
	v_fmac_f32_e32 v172, v133, v4
	ds_load_2addr_b32 v[3:4], v2 offset0:101 offset1:102
	ds_load_2addr_b32 v[132:133], v2 offset0:103 offset1:104
	s_waitcnt lgkmcnt(4)
	v_fmac_f32_e32 v172, v134, v166
	s_waitcnt vmcnt(7)
	s_delay_alu instid0(VALU_DEP_1) | instskip(SKIP_1) | instid1(VALU_DEP_1)
	v_fmac_f32_e32 v172, v135, v167
	s_waitcnt lgkmcnt(3)
	v_fmac_f32_e32 v172, v136, v168
	s_delay_alu instid0(VALU_DEP_1)
	v_fmac_f32_e32 v172, v137, v169
	ds_load_2addr_b32 v[134:135], v2 offset0:105 offset1:106
	ds_load_2addr_b32 v[136:137], v2 offset0:107 offset1:108
	s_waitcnt lgkmcnt(4)
	v_fmac_f32_e32 v172, v138, v170
	s_waitcnt vmcnt(6)
	s_delay_alu instid0(VALU_DEP_1) | instskip(SKIP_1) | instid1(VALU_DEP_1)
	v_fmac_f32_e32 v172, v139, v171
	s_waitcnt lgkmcnt(3)
	v_fmac_f32_e32 v172, v140, v3
	s_delay_alu instid0(VALU_DEP_1) | instskip(SKIP_4) | instid1(VALU_DEP_1)
	v_fmac_f32_e32 v172, v141, v4
	ds_load_2addr_b32 v[3:4], v2 offset0:109 offset1:110
	s_waitcnt lgkmcnt(3)
	v_fmac_f32_e32 v172, v142, v132
	s_waitcnt vmcnt(5)
	v_fmac_f32_e32 v172, v143, v133
	ds_load_2addr_b32 v[132:133], v2 offset0:111 offset1:112
	s_waitcnt lgkmcnt(3)
	v_fmac_f32_e32 v172, v144, v134
	s_delay_alu instid0(VALU_DEP_1) | instskip(SKIP_1) | instid1(VALU_DEP_1)
	v_fmac_f32_e32 v172, v145, v135
	s_waitcnt lgkmcnt(2)
	v_fmac_f32_e32 v172, v146, v136
	s_waitcnt vmcnt(4)
	s_delay_alu instid0(VALU_DEP_1) | instskip(SKIP_4) | instid1(VALU_DEP_1)
	v_fmac_f32_e32 v172, v147, v137
	ds_load_2addr_b32 v[134:135], v2 offset0:113 offset1:114
	ds_load_2addr_b32 v[136:137], v2 offset0:115 offset1:116
	s_waitcnt lgkmcnt(3)
	v_fmac_f32_e32 v172, v148, v3
	v_fmac_f32_e32 v172, v149, v4
	ds_load_2addr_b32 v[3:4], v2 offset0:117 offset1:118
	s_waitcnt lgkmcnt(3)
	v_fmac_f32_e32 v172, v150, v132
	s_waitcnt vmcnt(3)
	s_delay_alu instid0(VALU_DEP_1) | instskip(SKIP_3) | instid1(VALU_DEP_1)
	v_fmac_f32_e32 v172, v151, v133
	ds_load_2addr_b32 v[132:133], v2 offset0:119 offset1:120
	s_waitcnt lgkmcnt(3)
	v_fmac_f32_e32 v172, v152, v134
	v_fmac_f32_e32 v172, v153, v135
	s_waitcnt lgkmcnt(2)
	s_delay_alu instid0(VALU_DEP_1) | instskip(SKIP_1) | instid1(VALU_DEP_1)
	v_fmac_f32_e32 v172, v154, v136
	s_waitcnt vmcnt(2)
	v_fmac_f32_e32 v172, v155, v137
	ds_load_2addr_b32 v[134:135], v2 offset0:121 offset1:122
	ds_load_2addr_b32 v[136:137], v2 offset0:123 offset1:124
	s_waitcnt lgkmcnt(3)
	v_fmac_f32_e32 v172, v156, v3
	ds_load_2addr_b32 v[2:3], v2 offset0:125 offset1:126
	v_fmac_f32_e32 v172, v157, v4
	s_waitcnt lgkmcnt(3)
	s_delay_alu instid0(VALU_DEP_1) | instskip(SKIP_1) | instid1(VALU_DEP_1)
	v_fmac_f32_e32 v172, v158, v132
	s_waitcnt vmcnt(1)
	v_fmac_f32_e32 v172, v159, v133
	s_waitcnt lgkmcnt(2)
	s_delay_alu instid0(VALU_DEP_1) | instskip(NEXT) | instid1(VALU_DEP_1)
	v_fmac_f32_e32 v172, v160, v134
	v_fmac_f32_e32 v172, v161, v135
	s_waitcnt lgkmcnt(1)
	s_delay_alu instid0(VALU_DEP_1) | instskip(SKIP_1) | instid1(VALU_DEP_1)
	v_fmac_f32_e32 v172, v162, v136
	s_waitcnt vmcnt(0)
	v_fmac_f32_e32 v172, v163, v137
	s_waitcnt lgkmcnt(0)
	s_delay_alu instid0(VALU_DEP_1) | instskip(NEXT) | instid1(VALU_DEP_1)
	v_fmac_f32_e32 v172, v164, v2
	v_fmac_f32_e32 v172, v165, v3
	s_delay_alu instid0(VALU_DEP_1)
	v_sub_f32_e32 v2, v131, v172
	scratch_store_b32 off, v2, off offset:112
	v_cmpx_lt_u32_e32 27, v0
	s_cbranch_execz .LBB126_331
; %bb.330:
	scratch_load_b32 v2, off, off offset:108
	v_mov_b32_e32 v3, 0
	scratch_store_b32 off, v3, off offset:108
	s_waitcnt vmcnt(0)
	ds_store_b32 v1, v2
.LBB126_331:
	s_or_b32 exec_lo, exec_lo, s0
	s_waitcnt lgkmcnt(0)
	s_waitcnt_vscnt null, 0x0
	s_barrier
	buffer_gl0_inv
	s_clause 0x8
	scratch_load_b128 v[131:134], off, off offset:108
	scratch_load_b128 v[135:138], off, off offset:124
	;; [unrolled: 1-line block ×9, first 2 shown]
	v_mov_b32_e32 v2, 0
	ds_load_b128 v[167:170], v2 offset:368
	ds_load_b128 v[171:174], v2 offset:384
	s_mov_b32 s0, exec_lo
	s_waitcnt vmcnt(8) lgkmcnt(1)
	v_fma_f32 v3, v132, v167, 0
	s_delay_alu instid0(VALU_DEP_1) | instskip(NEXT) | instid1(VALU_DEP_1)
	v_fmac_f32_e32 v3, v133, v168
	v_fmac_f32_e32 v3, v134, v169
	s_waitcnt vmcnt(7)
	s_delay_alu instid0(VALU_DEP_1) | instskip(SKIP_3) | instid1(VALU_DEP_1)
	v_fmac_f32_e32 v3, v135, v170
	ds_load_b128 v[132:135], v2 offset:400
	s_waitcnt lgkmcnt(1)
	v_fmac_f32_e32 v3, v136, v171
	v_fmac_f32_e32 v3, v137, v172
	s_delay_alu instid0(VALU_DEP_1) | instskip(SKIP_1) | instid1(VALU_DEP_1)
	v_fmac_f32_e32 v3, v138, v173
	s_waitcnt vmcnt(6)
	v_fmac_f32_e32 v3, v139, v174
	ds_load_b128 v[136:139], v2 offset:416
	s_waitcnt lgkmcnt(1)
	v_fmac_f32_e32 v3, v140, v132
	s_delay_alu instid0(VALU_DEP_1) | instskip(NEXT) | instid1(VALU_DEP_1)
	v_fmac_f32_e32 v3, v141, v133
	v_fmac_f32_e32 v3, v142, v134
	s_waitcnt vmcnt(5)
	s_delay_alu instid0(VALU_DEP_1) | instskip(SKIP_3) | instid1(VALU_DEP_1)
	v_fmac_f32_e32 v3, v143, v135
	ds_load_b128 v[132:135], v2 offset:432
	s_waitcnt lgkmcnt(1)
	v_fmac_f32_e32 v3, v144, v136
	v_fmac_f32_e32 v3, v145, v137
	s_delay_alu instid0(VALU_DEP_1) | instskip(SKIP_1) | instid1(VALU_DEP_1)
	v_fmac_f32_e32 v3, v146, v138
	s_waitcnt vmcnt(4)
	v_fmac_f32_e32 v3, v147, v139
	ds_load_b128 v[136:139], v2 offset:448
	s_waitcnt lgkmcnt(1)
	v_fmac_f32_e32 v3, v148, v132
	;; [unrolled: 17-line block ×3, first 2 shown]
	s_delay_alu instid0(VALU_DEP_1) | instskip(NEXT) | instid1(VALU_DEP_1)
	v_fmac_f32_e32 v3, v157, v133
	v_fmac_f32_e32 v3, v158, v134
	ds_load_b96 v[132:134], v2 offset:496
	s_waitcnt vmcnt(1)
	v_fmac_f32_e32 v3, v159, v135
	s_waitcnt lgkmcnt(1)
	s_delay_alu instid0(VALU_DEP_1) | instskip(NEXT) | instid1(VALU_DEP_1)
	v_fmac_f32_e32 v3, v160, v136
	v_fmac_f32_e32 v3, v161, v137
	s_delay_alu instid0(VALU_DEP_1) | instskip(SKIP_1) | instid1(VALU_DEP_1)
	v_fmac_f32_e32 v3, v162, v138
	s_waitcnt vmcnt(0)
	v_fmac_f32_e32 v3, v163, v139
	s_waitcnt lgkmcnt(0)
	s_delay_alu instid0(VALU_DEP_1) | instskip(NEXT) | instid1(VALU_DEP_1)
	v_fmac_f32_e32 v3, v164, v132
	v_fmac_f32_e32 v3, v165, v133
	s_delay_alu instid0(VALU_DEP_1) | instskip(NEXT) | instid1(VALU_DEP_1)
	v_fmac_f32_e32 v3, v166, v134
	v_sub_f32_e32 v3, v131, v3
	scratch_store_b32 off, v3, off offset:108
	v_cmpx_lt_u32_e32 26, v0
	s_cbranch_execz .LBB126_333
; %bb.332:
	scratch_load_b32 v3, off, off offset:104
	scratch_store_b32 off, v2, off offset:104
	s_waitcnt vmcnt(0)
	ds_store_b32 v1, v3
.LBB126_333:
	s_or_b32 exec_lo, exec_lo, s0
	s_waitcnt lgkmcnt(0)
	s_waitcnt_vscnt null, 0x0
	s_barrier
	buffer_gl0_inv
	s_clause 0x9
	scratch_load_b128 v[131:134], off, off offset:104
	scratch_load_b128 v[135:138], off, off offset:120
	;; [unrolled: 1-line block ×9, first 2 shown]
	scratch_load_b32 v173, off, off offset:248
	ds_load_2addr_b32 v[3:4], v2 offset0:91 offset1:92
	ds_load_2addr_b32 v[167:168], v2 offset0:93 offset1:94
	;; [unrolled: 1-line block ×4, first 2 shown]
	s_mov_b32 s0, exec_lo
	s_waitcnt vmcnt(9) lgkmcnt(3)
	v_fma_f32 v174, v132, v3, 0
	s_delay_alu instid0(VALU_DEP_1)
	v_fmac_f32_e32 v174, v133, v4
	ds_load_2addr_b32 v[3:4], v2 offset0:99 offset1:100
	ds_load_2addr_b32 v[132:133], v2 offset0:101 offset1:102
	s_waitcnt lgkmcnt(4)
	v_fmac_f32_e32 v174, v134, v167
	s_waitcnt vmcnt(8)
	s_delay_alu instid0(VALU_DEP_1) | instskip(SKIP_1) | instid1(VALU_DEP_1)
	v_fmac_f32_e32 v174, v135, v168
	s_waitcnt lgkmcnt(3)
	v_fmac_f32_e32 v174, v136, v169
	s_delay_alu instid0(VALU_DEP_1)
	v_fmac_f32_e32 v174, v137, v170
	ds_load_2addr_b32 v[134:135], v2 offset0:103 offset1:104
	ds_load_2addr_b32 v[136:137], v2 offset0:105 offset1:106
	s_waitcnt lgkmcnt(4)
	v_fmac_f32_e32 v174, v138, v171
	s_waitcnt vmcnt(7)
	s_delay_alu instid0(VALU_DEP_1) | instskip(SKIP_1) | instid1(VALU_DEP_1)
	v_fmac_f32_e32 v174, v139, v172
	s_waitcnt lgkmcnt(3)
	v_fmac_f32_e32 v174, v140, v3
	s_delay_alu instid0(VALU_DEP_1) | instskip(SKIP_4) | instid1(VALU_DEP_1)
	v_fmac_f32_e32 v174, v141, v4
	ds_load_2addr_b32 v[3:4], v2 offset0:107 offset1:108
	s_waitcnt lgkmcnt(3)
	v_fmac_f32_e32 v174, v142, v132
	s_waitcnt vmcnt(6)
	v_fmac_f32_e32 v174, v143, v133
	ds_load_2addr_b32 v[132:133], v2 offset0:109 offset1:110
	s_waitcnt lgkmcnt(3)
	v_fmac_f32_e32 v174, v144, v134
	s_delay_alu instid0(VALU_DEP_1) | instskip(SKIP_1) | instid1(VALU_DEP_1)
	v_fmac_f32_e32 v174, v145, v135
	s_waitcnt lgkmcnt(2)
	v_fmac_f32_e32 v174, v146, v136
	s_waitcnt vmcnt(5)
	s_delay_alu instid0(VALU_DEP_1) | instskip(SKIP_4) | instid1(VALU_DEP_1)
	v_fmac_f32_e32 v174, v147, v137
	ds_load_2addr_b32 v[134:135], v2 offset0:111 offset1:112
	ds_load_2addr_b32 v[136:137], v2 offset0:113 offset1:114
	s_waitcnt lgkmcnt(3)
	v_fmac_f32_e32 v174, v148, v3
	v_fmac_f32_e32 v174, v149, v4
	ds_load_2addr_b32 v[3:4], v2 offset0:115 offset1:116
	s_waitcnt lgkmcnt(3)
	v_fmac_f32_e32 v174, v150, v132
	s_waitcnt vmcnt(4)
	s_delay_alu instid0(VALU_DEP_1) | instskip(SKIP_3) | instid1(VALU_DEP_1)
	v_fmac_f32_e32 v174, v151, v133
	ds_load_2addr_b32 v[132:133], v2 offset0:117 offset1:118
	s_waitcnt lgkmcnt(3)
	v_fmac_f32_e32 v174, v152, v134
	v_fmac_f32_e32 v174, v153, v135
	s_waitcnt lgkmcnt(2)
	s_delay_alu instid0(VALU_DEP_1) | instskip(SKIP_1) | instid1(VALU_DEP_1)
	v_fmac_f32_e32 v174, v154, v136
	s_waitcnt vmcnt(3)
	v_fmac_f32_e32 v174, v155, v137
	ds_load_2addr_b32 v[134:135], v2 offset0:119 offset1:120
	ds_load_2addr_b32 v[136:137], v2 offset0:121 offset1:122
	s_waitcnt lgkmcnt(3)
	v_fmac_f32_e32 v174, v156, v3
	s_delay_alu instid0(VALU_DEP_1) | instskip(SKIP_4) | instid1(VALU_DEP_1)
	v_fmac_f32_e32 v174, v157, v4
	ds_load_2addr_b32 v[3:4], v2 offset0:123 offset1:124
	s_waitcnt lgkmcnt(3)
	v_fmac_f32_e32 v174, v158, v132
	s_waitcnt vmcnt(2)
	v_fmac_f32_e32 v174, v159, v133
	ds_load_2addr_b32 v[132:133], v2 offset0:125 offset1:126
	s_waitcnt lgkmcnt(3)
	v_fmac_f32_e32 v174, v160, v134
	s_delay_alu instid0(VALU_DEP_1) | instskip(SKIP_1) | instid1(VALU_DEP_1)
	v_fmac_f32_e32 v174, v161, v135
	s_waitcnt lgkmcnt(2)
	v_fmac_f32_e32 v174, v162, v136
	s_waitcnt vmcnt(1)
	s_delay_alu instid0(VALU_DEP_1) | instskip(SKIP_1) | instid1(VALU_DEP_1)
	v_fmac_f32_e32 v174, v163, v137
	s_waitcnt lgkmcnt(1)
	v_fmac_f32_e32 v174, v164, v3
	s_delay_alu instid0(VALU_DEP_1) | instskip(SKIP_1) | instid1(VALU_DEP_1)
	v_fmac_f32_e32 v174, v165, v4
	s_waitcnt lgkmcnt(0)
	v_fmac_f32_e32 v174, v166, v132
	s_waitcnt vmcnt(0)
	s_delay_alu instid0(VALU_DEP_1) | instskip(NEXT) | instid1(VALU_DEP_1)
	v_fmac_f32_e32 v174, v173, v133
	v_sub_f32_e32 v2, v131, v174
	scratch_store_b32 off, v2, off offset:104
	v_cmpx_lt_u32_e32 25, v0
	s_cbranch_execz .LBB126_335
; %bb.334:
	scratch_load_b32 v2, off, off offset:100
	v_mov_b32_e32 v3, 0
	scratch_store_b32 off, v3, off offset:100
	s_waitcnt vmcnt(0)
	ds_store_b32 v1, v2
.LBB126_335:
	s_or_b32 exec_lo, exec_lo, s0
	s_waitcnt lgkmcnt(0)
	s_waitcnt_vscnt null, 0x0
	s_barrier
	buffer_gl0_inv
	s_clause 0x9
	scratch_load_b128 v[131:134], off, off offset:100
	scratch_load_b128 v[135:138], off, off offset:116
	;; [unrolled: 1-line block ×9, first 2 shown]
	scratch_load_b64 v[3:4], off, off offset:244
	v_mov_b32_e32 v2, 0
	ds_load_2addr_b64 v[167:170], v2 offset0:45 offset1:46
	ds_load_2addr_b64 v[171:174], v2 offset0:47 offset1:48
	s_mov_b32 s0, exec_lo
	s_waitcnt vmcnt(9) lgkmcnt(1)
	v_fma_f32 v167, v132, v167, 0
	s_delay_alu instid0(VALU_DEP_1) | instskip(NEXT) | instid1(VALU_DEP_1)
	v_fmac_f32_e32 v167, v133, v168
	v_fmac_f32_e32 v167, v134, v169
	s_waitcnt vmcnt(8)
	s_delay_alu instid0(VALU_DEP_1) | instskip(SKIP_3) | instid1(VALU_DEP_1)
	v_fmac_f32_e32 v167, v135, v170
	ds_load_2addr_b64 v[132:135], v2 offset0:49 offset1:50
	s_waitcnt lgkmcnt(1)
	v_fmac_f32_e32 v167, v136, v171
	v_fmac_f32_e32 v167, v137, v172
	s_delay_alu instid0(VALU_DEP_1) | instskip(SKIP_1) | instid1(VALU_DEP_1)
	v_fmac_f32_e32 v167, v138, v173
	s_waitcnt vmcnt(7)
	v_fmac_f32_e32 v167, v139, v174
	ds_load_2addr_b64 v[136:139], v2 offset0:51 offset1:52
	s_waitcnt lgkmcnt(1)
	v_fmac_f32_e32 v167, v140, v132
	s_delay_alu instid0(VALU_DEP_1) | instskip(NEXT) | instid1(VALU_DEP_1)
	v_fmac_f32_e32 v167, v141, v133
	v_fmac_f32_e32 v167, v142, v134
	s_waitcnt vmcnt(6)
	s_delay_alu instid0(VALU_DEP_1) | instskip(SKIP_3) | instid1(VALU_DEP_1)
	v_fmac_f32_e32 v167, v143, v135
	ds_load_2addr_b64 v[132:135], v2 offset0:53 offset1:54
	s_waitcnt lgkmcnt(1)
	v_fmac_f32_e32 v167, v144, v136
	v_fmac_f32_e32 v167, v145, v137
	s_delay_alu instid0(VALU_DEP_1) | instskip(SKIP_1) | instid1(VALU_DEP_1)
	v_fmac_f32_e32 v167, v146, v138
	s_waitcnt vmcnt(5)
	v_fmac_f32_e32 v167, v147, v139
	ds_load_2addr_b64 v[136:139], v2 offset0:55 offset1:56
	s_waitcnt lgkmcnt(1)
	v_fmac_f32_e32 v167, v148, v132
	;; [unrolled: 17-line block ×3, first 2 shown]
	s_delay_alu instid0(VALU_DEP_1) | instskip(NEXT) | instid1(VALU_DEP_1)
	v_fmac_f32_e32 v167, v157, v133
	v_fmac_f32_e32 v167, v158, v134
	s_waitcnt vmcnt(2)
	s_delay_alu instid0(VALU_DEP_1)
	v_fmac_f32_e32 v167, v159, v135
	ds_load_2addr_b64 v[132:135], v2 offset0:61 offset1:62
	s_waitcnt lgkmcnt(1)
	v_fmac_f32_e32 v167, v160, v136
	ds_load_b32 v136, v2 offset:504
	v_fmac_f32_e32 v167, v161, v137
	s_delay_alu instid0(VALU_DEP_1) | instskip(SKIP_1) | instid1(VALU_DEP_1)
	v_fmac_f32_e32 v167, v162, v138
	s_waitcnt vmcnt(1)
	v_fmac_f32_e32 v167, v163, v139
	s_waitcnt lgkmcnt(1)
	s_delay_alu instid0(VALU_DEP_1) | instskip(NEXT) | instid1(VALU_DEP_1)
	v_fmac_f32_e32 v167, v164, v132
	v_fmac_f32_e32 v167, v165, v133
	s_delay_alu instid0(VALU_DEP_1) | instskip(SKIP_1) | instid1(VALU_DEP_1)
	v_fmac_f32_e32 v167, v166, v134
	s_waitcnt vmcnt(0)
	v_fmac_f32_e32 v167, v3, v135
	s_waitcnt lgkmcnt(0)
	s_delay_alu instid0(VALU_DEP_1) | instskip(NEXT) | instid1(VALU_DEP_1)
	v_fmac_f32_e32 v167, v4, v136
	v_sub_f32_e32 v3, v131, v167
	scratch_store_b32 off, v3, off offset:100
	v_cmpx_lt_u32_e32 24, v0
	s_cbranch_execz .LBB126_337
; %bb.336:
	scratch_load_b32 v3, off, off offset:96
	scratch_store_b32 off, v2, off offset:96
	s_waitcnt vmcnt(0)
	ds_store_b32 v1, v3
.LBB126_337:
	s_or_b32 exec_lo, exec_lo, s0
	s_waitcnt lgkmcnt(0)
	s_waitcnt_vscnt null, 0x0
	s_barrier
	buffer_gl0_inv
	s_clause 0x9
	scratch_load_b128 v[131:134], off, off offset:96
	scratch_load_b128 v[135:138], off, off offset:112
	;; [unrolled: 1-line block ×9, first 2 shown]
	scratch_load_b96 v[167:169], off, off offset:240
	ds_load_2addr_b32 v[3:4], v2 offset0:89 offset1:90
	ds_load_2addr_b32 v[170:171], v2 offset0:91 offset1:92
	;; [unrolled: 1-line block ×4, first 2 shown]
	s_mov_b32 s0, exec_lo
	s_waitcnt vmcnt(9) lgkmcnt(3)
	v_fma_f32 v176, v132, v3, 0
	s_delay_alu instid0(VALU_DEP_1)
	v_fmac_f32_e32 v176, v133, v4
	ds_load_2addr_b32 v[3:4], v2 offset0:97 offset1:98
	ds_load_2addr_b32 v[132:133], v2 offset0:99 offset1:100
	s_waitcnt lgkmcnt(4)
	v_fmac_f32_e32 v176, v134, v170
	s_waitcnt vmcnt(8)
	s_delay_alu instid0(VALU_DEP_1) | instskip(SKIP_1) | instid1(VALU_DEP_1)
	v_fmac_f32_e32 v176, v135, v171
	s_waitcnt lgkmcnt(3)
	v_fmac_f32_e32 v176, v136, v172
	s_delay_alu instid0(VALU_DEP_1)
	v_fmac_f32_e32 v176, v137, v173
	ds_load_2addr_b32 v[134:135], v2 offset0:101 offset1:102
	ds_load_2addr_b32 v[136:137], v2 offset0:103 offset1:104
	s_waitcnt lgkmcnt(4)
	v_fmac_f32_e32 v176, v138, v174
	s_waitcnt vmcnt(7)
	s_delay_alu instid0(VALU_DEP_1) | instskip(SKIP_1) | instid1(VALU_DEP_1)
	v_fmac_f32_e32 v176, v139, v175
	s_waitcnt lgkmcnt(3)
	v_fmac_f32_e32 v176, v140, v3
	s_delay_alu instid0(VALU_DEP_1) | instskip(SKIP_4) | instid1(VALU_DEP_1)
	v_fmac_f32_e32 v176, v141, v4
	ds_load_2addr_b32 v[3:4], v2 offset0:105 offset1:106
	s_waitcnt lgkmcnt(3)
	v_fmac_f32_e32 v176, v142, v132
	s_waitcnt vmcnt(6)
	v_fmac_f32_e32 v176, v143, v133
	ds_load_2addr_b32 v[132:133], v2 offset0:107 offset1:108
	s_waitcnt lgkmcnt(3)
	v_fmac_f32_e32 v176, v144, v134
	s_delay_alu instid0(VALU_DEP_1) | instskip(SKIP_1) | instid1(VALU_DEP_1)
	v_fmac_f32_e32 v176, v145, v135
	s_waitcnt lgkmcnt(2)
	v_fmac_f32_e32 v176, v146, v136
	s_waitcnt vmcnt(5)
	s_delay_alu instid0(VALU_DEP_1) | instskip(SKIP_4) | instid1(VALU_DEP_1)
	v_fmac_f32_e32 v176, v147, v137
	ds_load_2addr_b32 v[134:135], v2 offset0:109 offset1:110
	ds_load_2addr_b32 v[136:137], v2 offset0:111 offset1:112
	s_waitcnt lgkmcnt(3)
	v_fmac_f32_e32 v176, v148, v3
	v_fmac_f32_e32 v176, v149, v4
	ds_load_2addr_b32 v[3:4], v2 offset0:113 offset1:114
	s_waitcnt lgkmcnt(3)
	v_fmac_f32_e32 v176, v150, v132
	s_waitcnt vmcnt(4)
	s_delay_alu instid0(VALU_DEP_1) | instskip(SKIP_3) | instid1(VALU_DEP_1)
	v_fmac_f32_e32 v176, v151, v133
	ds_load_2addr_b32 v[132:133], v2 offset0:115 offset1:116
	s_waitcnt lgkmcnt(3)
	v_fmac_f32_e32 v176, v152, v134
	v_fmac_f32_e32 v176, v153, v135
	s_waitcnt lgkmcnt(2)
	s_delay_alu instid0(VALU_DEP_1) | instskip(SKIP_1) | instid1(VALU_DEP_1)
	v_fmac_f32_e32 v176, v154, v136
	s_waitcnt vmcnt(3)
	v_fmac_f32_e32 v176, v155, v137
	ds_load_2addr_b32 v[134:135], v2 offset0:117 offset1:118
	ds_load_2addr_b32 v[136:137], v2 offset0:119 offset1:120
	s_waitcnt lgkmcnt(3)
	v_fmac_f32_e32 v176, v156, v3
	s_delay_alu instid0(VALU_DEP_1) | instskip(SKIP_4) | instid1(VALU_DEP_1)
	v_fmac_f32_e32 v176, v157, v4
	ds_load_2addr_b32 v[3:4], v2 offset0:121 offset1:122
	s_waitcnt lgkmcnt(3)
	v_fmac_f32_e32 v176, v158, v132
	s_waitcnt vmcnt(2)
	v_fmac_f32_e32 v176, v159, v133
	ds_load_2addr_b32 v[132:133], v2 offset0:123 offset1:124
	s_waitcnt lgkmcnt(3)
	v_fmac_f32_e32 v176, v160, v134
	s_delay_alu instid0(VALU_DEP_1) | instskip(SKIP_4) | instid1(VALU_DEP_1)
	v_fmac_f32_e32 v176, v161, v135
	ds_load_2addr_b32 v[134:135], v2 offset0:125 offset1:126
	s_waitcnt lgkmcnt(3)
	v_fmac_f32_e32 v176, v162, v136
	s_waitcnt vmcnt(1)
	v_fmac_f32_e32 v176, v163, v137
	s_waitcnt lgkmcnt(2)
	s_delay_alu instid0(VALU_DEP_1) | instskip(NEXT) | instid1(VALU_DEP_1)
	v_fmac_f32_e32 v176, v164, v3
	v_fmac_f32_e32 v176, v165, v4
	s_waitcnt lgkmcnt(1)
	s_delay_alu instid0(VALU_DEP_1) | instskip(SKIP_1) | instid1(VALU_DEP_1)
	v_fmac_f32_e32 v176, v166, v132
	s_waitcnt vmcnt(0)
	v_fmac_f32_e32 v176, v167, v133
	s_waitcnt lgkmcnt(0)
	s_delay_alu instid0(VALU_DEP_1) | instskip(NEXT) | instid1(VALU_DEP_1)
	v_fmac_f32_e32 v176, v168, v134
	v_fmac_f32_e32 v176, v169, v135
	s_delay_alu instid0(VALU_DEP_1)
	v_sub_f32_e32 v2, v131, v176
	scratch_store_b32 off, v2, off offset:96
	v_cmpx_lt_u32_e32 23, v0
	s_cbranch_execz .LBB126_339
; %bb.338:
	scratch_load_b32 v2, off, off offset:92
	v_mov_b32_e32 v3, 0
	scratch_store_b32 off, v3, off offset:92
	s_waitcnt vmcnt(0)
	ds_store_b32 v1, v2
.LBB126_339:
	s_or_b32 exec_lo, exec_lo, s0
	s_waitcnt lgkmcnt(0)
	s_waitcnt_vscnt null, 0x0
	s_barrier
	buffer_gl0_inv
	s_clause 0x9
	scratch_load_b128 v[131:134], off, off offset:92
	scratch_load_b128 v[135:138], off, off offset:108
	;; [unrolled: 1-line block ×10, first 2 shown]
	v_mov_b32_e32 v2, 0
	ds_load_b128 v[171:174], v2 offset:352
	ds_load_b128 v[175:178], v2 offset:368
	s_mov_b32 s0, exec_lo
	s_waitcnt vmcnt(9) lgkmcnt(1)
	v_fma_f32 v3, v132, v171, 0
	s_delay_alu instid0(VALU_DEP_1) | instskip(NEXT) | instid1(VALU_DEP_1)
	v_fmac_f32_e32 v3, v133, v172
	v_fmac_f32_e32 v3, v134, v173
	s_waitcnt vmcnt(8)
	s_delay_alu instid0(VALU_DEP_1) | instskip(SKIP_3) | instid1(VALU_DEP_1)
	v_fmac_f32_e32 v3, v135, v174
	ds_load_b128 v[132:135], v2 offset:384
	s_waitcnt lgkmcnt(1)
	v_fmac_f32_e32 v3, v136, v175
	v_fmac_f32_e32 v3, v137, v176
	s_delay_alu instid0(VALU_DEP_1) | instskip(SKIP_1) | instid1(VALU_DEP_1)
	v_fmac_f32_e32 v3, v138, v177
	s_waitcnt vmcnt(7)
	v_fmac_f32_e32 v3, v139, v178
	ds_load_b128 v[136:139], v2 offset:400
	s_waitcnt lgkmcnt(1)
	v_fmac_f32_e32 v3, v140, v132
	s_delay_alu instid0(VALU_DEP_1) | instskip(NEXT) | instid1(VALU_DEP_1)
	v_fmac_f32_e32 v3, v141, v133
	v_fmac_f32_e32 v3, v142, v134
	s_waitcnt vmcnt(6)
	s_delay_alu instid0(VALU_DEP_1) | instskip(SKIP_3) | instid1(VALU_DEP_1)
	v_fmac_f32_e32 v3, v143, v135
	ds_load_b128 v[132:135], v2 offset:416
	s_waitcnt lgkmcnt(1)
	v_fmac_f32_e32 v3, v144, v136
	v_fmac_f32_e32 v3, v145, v137
	s_delay_alu instid0(VALU_DEP_1) | instskip(SKIP_1) | instid1(VALU_DEP_1)
	v_fmac_f32_e32 v3, v146, v138
	s_waitcnt vmcnt(5)
	v_fmac_f32_e32 v3, v147, v139
	ds_load_b128 v[136:139], v2 offset:432
	s_waitcnt lgkmcnt(1)
	v_fmac_f32_e32 v3, v148, v132
	;; [unrolled: 17-line block ×3, first 2 shown]
	s_delay_alu instid0(VALU_DEP_1) | instskip(NEXT) | instid1(VALU_DEP_1)
	v_fmac_f32_e32 v3, v157, v133
	v_fmac_f32_e32 v3, v158, v134
	s_waitcnt vmcnt(2)
	s_delay_alu instid0(VALU_DEP_1) | instskip(SKIP_3) | instid1(VALU_DEP_1)
	v_fmac_f32_e32 v3, v159, v135
	ds_load_b128 v[132:135], v2 offset:480
	s_waitcnt lgkmcnt(1)
	v_fmac_f32_e32 v3, v160, v136
	v_fmac_f32_e32 v3, v161, v137
	s_delay_alu instid0(VALU_DEP_1) | instskip(SKIP_4) | instid1(VALU_DEP_1)
	v_fmac_f32_e32 v3, v162, v138
	ds_load_b96 v[136:138], v2 offset:496
	s_waitcnt vmcnt(1)
	v_fmac_f32_e32 v3, v163, v139
	s_waitcnt lgkmcnt(1)
	v_fmac_f32_e32 v3, v164, v132
	s_delay_alu instid0(VALU_DEP_1) | instskip(NEXT) | instid1(VALU_DEP_1)
	v_fmac_f32_e32 v3, v165, v133
	v_fmac_f32_e32 v3, v166, v134
	s_waitcnt vmcnt(0)
	s_delay_alu instid0(VALU_DEP_1) | instskip(SKIP_1) | instid1(VALU_DEP_1)
	v_fmac_f32_e32 v3, v167, v135
	s_waitcnt lgkmcnt(0)
	v_fmac_f32_e32 v3, v168, v136
	s_delay_alu instid0(VALU_DEP_1) | instskip(NEXT) | instid1(VALU_DEP_1)
	v_fmac_f32_e32 v3, v169, v137
	v_fmac_f32_e32 v3, v170, v138
	s_delay_alu instid0(VALU_DEP_1)
	v_sub_f32_e32 v3, v131, v3
	scratch_store_b32 off, v3, off offset:92
	v_cmpx_lt_u32_e32 22, v0
	s_cbranch_execz .LBB126_341
; %bb.340:
	scratch_load_b32 v3, off, off offset:88
	scratch_store_b32 off, v2, off offset:88
	s_waitcnt vmcnt(0)
	ds_store_b32 v1, v3
.LBB126_341:
	s_or_b32 exec_lo, exec_lo, s0
	s_waitcnt lgkmcnt(0)
	s_waitcnt_vscnt null, 0x0
	s_barrier
	buffer_gl0_inv
	s_clause 0xa
	scratch_load_b128 v[131:134], off, off offset:88
	scratch_load_b128 v[135:138], off, off offset:104
	;; [unrolled: 1-line block ×10, first 2 shown]
	scratch_load_b32 v177, off, off offset:248
	ds_load_2addr_b32 v[3:4], v2 offset0:87 offset1:88
	ds_load_2addr_b32 v[171:172], v2 offset0:89 offset1:90
	ds_load_2addr_b32 v[173:174], v2 offset0:91 offset1:92
	ds_load_2addr_b32 v[175:176], v2 offset0:93 offset1:94
	s_mov_b32 s0, exec_lo
	s_waitcnt vmcnt(10) lgkmcnt(3)
	v_fma_f32 v178, v132, v3, 0
	s_delay_alu instid0(VALU_DEP_1)
	v_fmac_f32_e32 v178, v133, v4
	ds_load_2addr_b32 v[3:4], v2 offset0:95 offset1:96
	ds_load_2addr_b32 v[132:133], v2 offset0:97 offset1:98
	s_waitcnt lgkmcnt(4)
	v_fmac_f32_e32 v178, v134, v171
	s_waitcnt vmcnt(9)
	s_delay_alu instid0(VALU_DEP_1) | instskip(SKIP_1) | instid1(VALU_DEP_1)
	v_fmac_f32_e32 v178, v135, v172
	s_waitcnt lgkmcnt(3)
	v_fmac_f32_e32 v178, v136, v173
	s_delay_alu instid0(VALU_DEP_1)
	v_fmac_f32_e32 v178, v137, v174
	ds_load_2addr_b32 v[134:135], v2 offset0:99 offset1:100
	ds_load_2addr_b32 v[136:137], v2 offset0:101 offset1:102
	s_waitcnt lgkmcnt(4)
	v_fmac_f32_e32 v178, v138, v175
	s_waitcnt vmcnt(8)
	s_delay_alu instid0(VALU_DEP_1) | instskip(SKIP_1) | instid1(VALU_DEP_1)
	v_fmac_f32_e32 v178, v139, v176
	s_waitcnt lgkmcnt(3)
	v_fmac_f32_e32 v178, v140, v3
	s_delay_alu instid0(VALU_DEP_1) | instskip(SKIP_4) | instid1(VALU_DEP_1)
	v_fmac_f32_e32 v178, v141, v4
	ds_load_2addr_b32 v[3:4], v2 offset0:103 offset1:104
	s_waitcnt lgkmcnt(3)
	v_fmac_f32_e32 v178, v142, v132
	s_waitcnt vmcnt(7)
	v_fmac_f32_e32 v178, v143, v133
	ds_load_2addr_b32 v[132:133], v2 offset0:105 offset1:106
	s_waitcnt lgkmcnt(3)
	v_fmac_f32_e32 v178, v144, v134
	s_delay_alu instid0(VALU_DEP_1) | instskip(SKIP_1) | instid1(VALU_DEP_1)
	v_fmac_f32_e32 v178, v145, v135
	s_waitcnt lgkmcnt(2)
	v_fmac_f32_e32 v178, v146, v136
	s_waitcnt vmcnt(6)
	s_delay_alu instid0(VALU_DEP_1) | instskip(SKIP_4) | instid1(VALU_DEP_1)
	v_fmac_f32_e32 v178, v147, v137
	ds_load_2addr_b32 v[134:135], v2 offset0:107 offset1:108
	ds_load_2addr_b32 v[136:137], v2 offset0:109 offset1:110
	s_waitcnt lgkmcnt(3)
	v_fmac_f32_e32 v178, v148, v3
	v_fmac_f32_e32 v178, v149, v4
	ds_load_2addr_b32 v[3:4], v2 offset0:111 offset1:112
	s_waitcnt lgkmcnt(3)
	v_fmac_f32_e32 v178, v150, v132
	s_waitcnt vmcnt(5)
	s_delay_alu instid0(VALU_DEP_1) | instskip(SKIP_3) | instid1(VALU_DEP_1)
	v_fmac_f32_e32 v178, v151, v133
	ds_load_2addr_b32 v[132:133], v2 offset0:113 offset1:114
	s_waitcnt lgkmcnt(3)
	v_fmac_f32_e32 v178, v152, v134
	v_fmac_f32_e32 v178, v153, v135
	s_waitcnt lgkmcnt(2)
	s_delay_alu instid0(VALU_DEP_1) | instskip(SKIP_1) | instid1(VALU_DEP_1)
	v_fmac_f32_e32 v178, v154, v136
	s_waitcnt vmcnt(4)
	v_fmac_f32_e32 v178, v155, v137
	ds_load_2addr_b32 v[134:135], v2 offset0:115 offset1:116
	ds_load_2addr_b32 v[136:137], v2 offset0:117 offset1:118
	s_waitcnt lgkmcnt(3)
	v_fmac_f32_e32 v178, v156, v3
	s_delay_alu instid0(VALU_DEP_1) | instskip(SKIP_4) | instid1(VALU_DEP_1)
	v_fmac_f32_e32 v178, v157, v4
	ds_load_2addr_b32 v[3:4], v2 offset0:119 offset1:120
	s_waitcnt lgkmcnt(3)
	v_fmac_f32_e32 v178, v158, v132
	s_waitcnt vmcnt(3)
	v_fmac_f32_e32 v178, v159, v133
	ds_load_2addr_b32 v[132:133], v2 offset0:121 offset1:122
	s_waitcnt lgkmcnt(3)
	v_fmac_f32_e32 v178, v160, v134
	s_delay_alu instid0(VALU_DEP_1) | instskip(SKIP_1) | instid1(VALU_DEP_1)
	v_fmac_f32_e32 v178, v161, v135
	s_waitcnt lgkmcnt(2)
	v_fmac_f32_e32 v178, v162, v136
	s_waitcnt vmcnt(2)
	s_delay_alu instid0(VALU_DEP_1) | instskip(SKIP_4) | instid1(VALU_DEP_1)
	v_fmac_f32_e32 v178, v163, v137
	ds_load_2addr_b32 v[134:135], v2 offset0:123 offset1:124
	ds_load_2addr_b32 v[136:137], v2 offset0:125 offset1:126
	s_waitcnt lgkmcnt(3)
	v_fmac_f32_e32 v178, v164, v3
	v_fmac_f32_e32 v178, v165, v4
	s_waitcnt lgkmcnt(2)
	s_delay_alu instid0(VALU_DEP_1) | instskip(SKIP_1) | instid1(VALU_DEP_1)
	v_fmac_f32_e32 v178, v166, v132
	s_waitcnt vmcnt(1)
	v_fmac_f32_e32 v178, v167, v133
	s_waitcnt lgkmcnt(1)
	s_delay_alu instid0(VALU_DEP_1) | instskip(NEXT) | instid1(VALU_DEP_1)
	v_fmac_f32_e32 v178, v168, v134
	v_fmac_f32_e32 v178, v169, v135
	s_waitcnt lgkmcnt(0)
	s_delay_alu instid0(VALU_DEP_1) | instskip(SKIP_1) | instid1(VALU_DEP_1)
	v_fmac_f32_e32 v178, v170, v136
	s_waitcnt vmcnt(0)
	v_fmac_f32_e32 v178, v177, v137
	s_delay_alu instid0(VALU_DEP_1)
	v_sub_f32_e32 v2, v131, v178
	scratch_store_b32 off, v2, off offset:88
	v_cmpx_lt_u32_e32 21, v0
	s_cbranch_execz .LBB126_343
; %bb.342:
	scratch_load_b32 v2, off, off offset:84
	v_mov_b32_e32 v3, 0
	scratch_store_b32 off, v3, off offset:84
	s_waitcnt vmcnt(0)
	ds_store_b32 v1, v2
.LBB126_343:
	s_or_b32 exec_lo, exec_lo, s0
	s_waitcnt lgkmcnt(0)
	s_waitcnt_vscnt null, 0x0
	s_barrier
	buffer_gl0_inv
	s_clause 0xa
	scratch_load_b128 v[131:134], off, off offset:84
	scratch_load_b128 v[135:138], off, off offset:100
	;; [unrolled: 1-line block ×10, first 2 shown]
	scratch_load_b64 v[3:4], off, off offset:244
	v_mov_b32_e32 v2, 0
	ds_load_2addr_b64 v[171:174], v2 offset0:43 offset1:44
	ds_load_2addr_b64 v[175:178], v2 offset0:45 offset1:46
	s_mov_b32 s0, exec_lo
	s_waitcnt vmcnt(10) lgkmcnt(1)
	v_fma_f32 v171, v132, v171, 0
	s_delay_alu instid0(VALU_DEP_1) | instskip(NEXT) | instid1(VALU_DEP_1)
	v_fmac_f32_e32 v171, v133, v172
	v_fmac_f32_e32 v171, v134, v173
	s_waitcnt vmcnt(9)
	s_delay_alu instid0(VALU_DEP_1) | instskip(SKIP_3) | instid1(VALU_DEP_1)
	v_fmac_f32_e32 v171, v135, v174
	ds_load_2addr_b64 v[132:135], v2 offset0:47 offset1:48
	s_waitcnt lgkmcnt(1)
	v_fmac_f32_e32 v171, v136, v175
	v_fmac_f32_e32 v171, v137, v176
	s_delay_alu instid0(VALU_DEP_1) | instskip(SKIP_1) | instid1(VALU_DEP_1)
	v_fmac_f32_e32 v171, v138, v177
	s_waitcnt vmcnt(8)
	v_fmac_f32_e32 v171, v139, v178
	ds_load_2addr_b64 v[136:139], v2 offset0:49 offset1:50
	s_waitcnt lgkmcnt(1)
	v_fmac_f32_e32 v171, v140, v132
	s_delay_alu instid0(VALU_DEP_1) | instskip(NEXT) | instid1(VALU_DEP_1)
	v_fmac_f32_e32 v171, v141, v133
	v_fmac_f32_e32 v171, v142, v134
	s_waitcnt vmcnt(7)
	s_delay_alu instid0(VALU_DEP_1) | instskip(SKIP_3) | instid1(VALU_DEP_1)
	v_fmac_f32_e32 v171, v143, v135
	ds_load_2addr_b64 v[132:135], v2 offset0:51 offset1:52
	s_waitcnt lgkmcnt(1)
	v_fmac_f32_e32 v171, v144, v136
	v_fmac_f32_e32 v171, v145, v137
	s_delay_alu instid0(VALU_DEP_1) | instskip(SKIP_1) | instid1(VALU_DEP_1)
	v_fmac_f32_e32 v171, v146, v138
	s_waitcnt vmcnt(6)
	v_fmac_f32_e32 v171, v147, v139
	ds_load_2addr_b64 v[136:139], v2 offset0:53 offset1:54
	s_waitcnt lgkmcnt(1)
	v_fmac_f32_e32 v171, v148, v132
	;; [unrolled: 17-line block ×4, first 2 shown]
	ds_load_b32 v132, v2 offset:504
	v_fmac_f32_e32 v171, v165, v133
	s_delay_alu instid0(VALU_DEP_1) | instskip(SKIP_1) | instid1(VALU_DEP_1)
	v_fmac_f32_e32 v171, v166, v134
	s_waitcnt vmcnt(1)
	v_fmac_f32_e32 v171, v167, v135
	s_waitcnt lgkmcnt(1)
	s_delay_alu instid0(VALU_DEP_1) | instskip(NEXT) | instid1(VALU_DEP_1)
	v_fmac_f32_e32 v171, v168, v136
	v_fmac_f32_e32 v171, v169, v137
	s_delay_alu instid0(VALU_DEP_1) | instskip(SKIP_1) | instid1(VALU_DEP_1)
	v_fmac_f32_e32 v171, v170, v138
	s_waitcnt vmcnt(0)
	v_fmac_f32_e32 v171, v3, v139
	s_waitcnt lgkmcnt(0)
	s_delay_alu instid0(VALU_DEP_1) | instskip(NEXT) | instid1(VALU_DEP_1)
	v_fmac_f32_e32 v171, v4, v132
	v_sub_f32_e32 v3, v131, v171
	scratch_store_b32 off, v3, off offset:84
	v_cmpx_lt_u32_e32 20, v0
	s_cbranch_execz .LBB126_345
; %bb.344:
	scratch_load_b32 v3, off, off offset:80
	scratch_store_b32 off, v2, off offset:80
	s_waitcnt vmcnt(0)
	ds_store_b32 v1, v3
.LBB126_345:
	s_or_b32 exec_lo, exec_lo, s0
	s_waitcnt lgkmcnt(0)
	s_waitcnt_vscnt null, 0x0
	s_barrier
	buffer_gl0_inv
	s_clause 0xa
	scratch_load_b128 v[131:134], off, off offset:80
	scratch_load_b128 v[135:138], off, off offset:96
	;; [unrolled: 1-line block ×10, first 2 shown]
	scratch_load_b96 v[171:173], off, off offset:240
	ds_load_2addr_b32 v[3:4], v2 offset0:85 offset1:86
	ds_load_2addr_b32 v[174:175], v2 offset0:87 offset1:88
	;; [unrolled: 1-line block ×4, first 2 shown]
	s_mov_b32 s0, exec_lo
	s_waitcnt vmcnt(10) lgkmcnt(3)
	v_fma_f32 v180, v132, v3, 0
	s_delay_alu instid0(VALU_DEP_1)
	v_fmac_f32_e32 v180, v133, v4
	ds_load_2addr_b32 v[3:4], v2 offset0:93 offset1:94
	ds_load_2addr_b32 v[132:133], v2 offset0:95 offset1:96
	s_waitcnt lgkmcnt(4)
	v_fmac_f32_e32 v180, v134, v174
	s_waitcnt vmcnt(9)
	s_delay_alu instid0(VALU_DEP_1) | instskip(SKIP_1) | instid1(VALU_DEP_1)
	v_fmac_f32_e32 v180, v135, v175
	s_waitcnt lgkmcnt(3)
	v_fmac_f32_e32 v180, v136, v176
	s_delay_alu instid0(VALU_DEP_1)
	v_fmac_f32_e32 v180, v137, v177
	ds_load_2addr_b32 v[134:135], v2 offset0:97 offset1:98
	ds_load_2addr_b32 v[136:137], v2 offset0:99 offset1:100
	s_waitcnt lgkmcnt(4)
	v_fmac_f32_e32 v180, v138, v178
	s_waitcnt vmcnt(8)
	s_delay_alu instid0(VALU_DEP_1) | instskip(SKIP_1) | instid1(VALU_DEP_1)
	v_fmac_f32_e32 v180, v139, v179
	s_waitcnt lgkmcnt(3)
	v_fmac_f32_e32 v180, v140, v3
	s_delay_alu instid0(VALU_DEP_1) | instskip(SKIP_4) | instid1(VALU_DEP_1)
	v_fmac_f32_e32 v180, v141, v4
	ds_load_2addr_b32 v[3:4], v2 offset0:101 offset1:102
	s_waitcnt lgkmcnt(3)
	v_fmac_f32_e32 v180, v142, v132
	s_waitcnt vmcnt(7)
	v_fmac_f32_e32 v180, v143, v133
	ds_load_2addr_b32 v[132:133], v2 offset0:103 offset1:104
	s_waitcnt lgkmcnt(3)
	v_fmac_f32_e32 v180, v144, v134
	s_delay_alu instid0(VALU_DEP_1) | instskip(SKIP_1) | instid1(VALU_DEP_1)
	v_fmac_f32_e32 v180, v145, v135
	s_waitcnt lgkmcnt(2)
	v_fmac_f32_e32 v180, v146, v136
	s_waitcnt vmcnt(6)
	s_delay_alu instid0(VALU_DEP_1) | instskip(SKIP_4) | instid1(VALU_DEP_1)
	v_fmac_f32_e32 v180, v147, v137
	ds_load_2addr_b32 v[134:135], v2 offset0:105 offset1:106
	ds_load_2addr_b32 v[136:137], v2 offset0:107 offset1:108
	s_waitcnt lgkmcnt(3)
	v_fmac_f32_e32 v180, v148, v3
	v_fmac_f32_e32 v180, v149, v4
	ds_load_2addr_b32 v[3:4], v2 offset0:109 offset1:110
	s_waitcnt lgkmcnt(3)
	v_fmac_f32_e32 v180, v150, v132
	s_waitcnt vmcnt(5)
	s_delay_alu instid0(VALU_DEP_1) | instskip(SKIP_3) | instid1(VALU_DEP_1)
	v_fmac_f32_e32 v180, v151, v133
	ds_load_2addr_b32 v[132:133], v2 offset0:111 offset1:112
	s_waitcnt lgkmcnt(3)
	v_fmac_f32_e32 v180, v152, v134
	v_fmac_f32_e32 v180, v153, v135
	s_waitcnt lgkmcnt(2)
	s_delay_alu instid0(VALU_DEP_1) | instskip(SKIP_1) | instid1(VALU_DEP_1)
	v_fmac_f32_e32 v180, v154, v136
	s_waitcnt vmcnt(4)
	v_fmac_f32_e32 v180, v155, v137
	ds_load_2addr_b32 v[134:135], v2 offset0:113 offset1:114
	ds_load_2addr_b32 v[136:137], v2 offset0:115 offset1:116
	s_waitcnt lgkmcnt(3)
	v_fmac_f32_e32 v180, v156, v3
	s_delay_alu instid0(VALU_DEP_1) | instskip(SKIP_4) | instid1(VALU_DEP_1)
	v_fmac_f32_e32 v180, v157, v4
	ds_load_2addr_b32 v[3:4], v2 offset0:117 offset1:118
	s_waitcnt lgkmcnt(3)
	v_fmac_f32_e32 v180, v158, v132
	s_waitcnt vmcnt(3)
	v_fmac_f32_e32 v180, v159, v133
	ds_load_2addr_b32 v[132:133], v2 offset0:119 offset1:120
	s_waitcnt lgkmcnt(3)
	v_fmac_f32_e32 v180, v160, v134
	s_delay_alu instid0(VALU_DEP_1) | instskip(SKIP_1) | instid1(VALU_DEP_1)
	v_fmac_f32_e32 v180, v161, v135
	s_waitcnt lgkmcnt(2)
	v_fmac_f32_e32 v180, v162, v136
	s_waitcnt vmcnt(2)
	s_delay_alu instid0(VALU_DEP_1)
	v_fmac_f32_e32 v180, v163, v137
	ds_load_2addr_b32 v[134:135], v2 offset0:121 offset1:122
	ds_load_2addr_b32 v[136:137], v2 offset0:123 offset1:124
	s_waitcnt lgkmcnt(3)
	v_fmac_f32_e32 v180, v164, v3
	ds_load_2addr_b32 v[2:3], v2 offset0:125 offset1:126
	v_fmac_f32_e32 v180, v165, v4
	s_waitcnt lgkmcnt(3)
	s_delay_alu instid0(VALU_DEP_1) | instskip(SKIP_1) | instid1(VALU_DEP_1)
	v_fmac_f32_e32 v180, v166, v132
	s_waitcnt vmcnt(1)
	v_fmac_f32_e32 v180, v167, v133
	s_waitcnt lgkmcnt(2)
	s_delay_alu instid0(VALU_DEP_1) | instskip(NEXT) | instid1(VALU_DEP_1)
	v_fmac_f32_e32 v180, v168, v134
	v_fmac_f32_e32 v180, v169, v135
	s_waitcnt lgkmcnt(1)
	s_delay_alu instid0(VALU_DEP_1) | instskip(SKIP_1) | instid1(VALU_DEP_1)
	v_fmac_f32_e32 v180, v170, v136
	s_waitcnt vmcnt(0)
	v_fmac_f32_e32 v180, v171, v137
	s_waitcnt lgkmcnt(0)
	s_delay_alu instid0(VALU_DEP_1) | instskip(NEXT) | instid1(VALU_DEP_1)
	v_fmac_f32_e32 v180, v172, v2
	v_fmac_f32_e32 v180, v173, v3
	s_delay_alu instid0(VALU_DEP_1)
	v_sub_f32_e32 v2, v131, v180
	scratch_store_b32 off, v2, off offset:80
	v_cmpx_lt_u32_e32 19, v0
	s_cbranch_execz .LBB126_347
; %bb.346:
	scratch_load_b32 v2, off, off offset:76
	v_mov_b32_e32 v3, 0
	scratch_store_b32 off, v3, off offset:76
	s_waitcnt vmcnt(0)
	ds_store_b32 v1, v2
.LBB126_347:
	s_or_b32 exec_lo, exec_lo, s0
	s_waitcnt lgkmcnt(0)
	s_waitcnt_vscnt null, 0x0
	s_barrier
	buffer_gl0_inv
	s_clause 0xa
	scratch_load_b128 v[131:134], off, off offset:76
	scratch_load_b128 v[135:138], off, off offset:92
	;; [unrolled: 1-line block ×11, first 2 shown]
	v_mov_b32_e32 v2, 0
	ds_load_b128 v[175:178], v2 offset:336
	ds_load_b128 v[179:182], v2 offset:352
	s_mov_b32 s0, exec_lo
	s_waitcnt vmcnt(10) lgkmcnt(1)
	v_fma_f32 v3, v132, v175, 0
	s_delay_alu instid0(VALU_DEP_1) | instskip(NEXT) | instid1(VALU_DEP_1)
	v_fmac_f32_e32 v3, v133, v176
	v_fmac_f32_e32 v3, v134, v177
	s_waitcnt vmcnt(9)
	s_delay_alu instid0(VALU_DEP_1) | instskip(SKIP_3) | instid1(VALU_DEP_1)
	v_fmac_f32_e32 v3, v135, v178
	ds_load_b128 v[132:135], v2 offset:368
	s_waitcnt lgkmcnt(1)
	v_fmac_f32_e32 v3, v136, v179
	v_fmac_f32_e32 v3, v137, v180
	s_delay_alu instid0(VALU_DEP_1) | instskip(SKIP_1) | instid1(VALU_DEP_1)
	v_fmac_f32_e32 v3, v138, v181
	s_waitcnt vmcnt(8)
	v_fmac_f32_e32 v3, v139, v182
	ds_load_b128 v[136:139], v2 offset:384
	s_waitcnt lgkmcnt(1)
	v_fmac_f32_e32 v3, v140, v132
	s_delay_alu instid0(VALU_DEP_1) | instskip(NEXT) | instid1(VALU_DEP_1)
	v_fmac_f32_e32 v3, v141, v133
	v_fmac_f32_e32 v3, v142, v134
	s_waitcnt vmcnt(7)
	s_delay_alu instid0(VALU_DEP_1) | instskip(SKIP_3) | instid1(VALU_DEP_1)
	v_fmac_f32_e32 v3, v143, v135
	ds_load_b128 v[132:135], v2 offset:400
	s_waitcnt lgkmcnt(1)
	v_fmac_f32_e32 v3, v144, v136
	v_fmac_f32_e32 v3, v145, v137
	s_delay_alu instid0(VALU_DEP_1) | instskip(SKIP_1) | instid1(VALU_DEP_1)
	v_fmac_f32_e32 v3, v146, v138
	s_waitcnt vmcnt(6)
	v_fmac_f32_e32 v3, v147, v139
	ds_load_b128 v[136:139], v2 offset:416
	s_waitcnt lgkmcnt(1)
	v_fmac_f32_e32 v3, v148, v132
	;; [unrolled: 17-line block ×4, first 2 shown]
	s_delay_alu instid0(VALU_DEP_1) | instskip(NEXT) | instid1(VALU_DEP_1)
	v_fmac_f32_e32 v3, v165, v133
	v_fmac_f32_e32 v3, v166, v134
	ds_load_b96 v[132:134], v2 offset:496
	s_waitcnt vmcnt(1)
	v_fmac_f32_e32 v3, v167, v135
	s_waitcnt lgkmcnt(1)
	s_delay_alu instid0(VALU_DEP_1) | instskip(NEXT) | instid1(VALU_DEP_1)
	v_fmac_f32_e32 v3, v168, v136
	v_fmac_f32_e32 v3, v169, v137
	s_delay_alu instid0(VALU_DEP_1) | instskip(SKIP_1) | instid1(VALU_DEP_1)
	v_fmac_f32_e32 v3, v170, v138
	s_waitcnt vmcnt(0)
	v_fmac_f32_e32 v3, v171, v139
	s_waitcnt lgkmcnt(0)
	s_delay_alu instid0(VALU_DEP_1) | instskip(NEXT) | instid1(VALU_DEP_1)
	v_fmac_f32_e32 v3, v172, v132
	v_fmac_f32_e32 v3, v173, v133
	s_delay_alu instid0(VALU_DEP_1) | instskip(NEXT) | instid1(VALU_DEP_1)
	v_fmac_f32_e32 v3, v174, v134
	v_sub_f32_e32 v3, v131, v3
	scratch_store_b32 off, v3, off offset:76
	v_cmpx_lt_u32_e32 18, v0
	s_cbranch_execz .LBB126_349
; %bb.348:
	scratch_load_b32 v3, off, off offset:72
	scratch_store_b32 off, v2, off offset:72
	s_waitcnt vmcnt(0)
	ds_store_b32 v1, v3
.LBB126_349:
	s_or_b32 exec_lo, exec_lo, s0
	s_waitcnt lgkmcnt(0)
	s_waitcnt_vscnt null, 0x0
	s_barrier
	buffer_gl0_inv
	s_clause 0xb
	scratch_load_b128 v[131:134], off, off offset:72
	scratch_load_b128 v[135:138], off, off offset:88
	;; [unrolled: 1-line block ×11, first 2 shown]
	scratch_load_b32 v181, off, off offset:248
	ds_load_2addr_b32 v[3:4], v2 offset0:83 offset1:84
	ds_load_2addr_b32 v[175:176], v2 offset0:85 offset1:86
	;; [unrolled: 1-line block ×4, first 2 shown]
	s_mov_b32 s0, exec_lo
	s_waitcnt vmcnt(11) lgkmcnt(3)
	v_fma_f32 v182, v132, v3, 0
	s_delay_alu instid0(VALU_DEP_1)
	v_fmac_f32_e32 v182, v133, v4
	ds_load_2addr_b32 v[3:4], v2 offset0:91 offset1:92
	ds_load_2addr_b32 v[132:133], v2 offset0:93 offset1:94
	s_waitcnt lgkmcnt(4)
	v_fmac_f32_e32 v182, v134, v175
	s_waitcnt vmcnt(10)
	s_delay_alu instid0(VALU_DEP_1) | instskip(SKIP_1) | instid1(VALU_DEP_1)
	v_fmac_f32_e32 v182, v135, v176
	s_waitcnt lgkmcnt(3)
	v_fmac_f32_e32 v182, v136, v177
	s_delay_alu instid0(VALU_DEP_1)
	v_fmac_f32_e32 v182, v137, v178
	ds_load_2addr_b32 v[134:135], v2 offset0:95 offset1:96
	ds_load_2addr_b32 v[136:137], v2 offset0:97 offset1:98
	s_waitcnt lgkmcnt(4)
	v_fmac_f32_e32 v182, v138, v179
	s_waitcnt vmcnt(9)
	s_delay_alu instid0(VALU_DEP_1) | instskip(SKIP_1) | instid1(VALU_DEP_1)
	v_fmac_f32_e32 v182, v139, v180
	s_waitcnt lgkmcnt(3)
	v_fmac_f32_e32 v182, v140, v3
	s_delay_alu instid0(VALU_DEP_1) | instskip(SKIP_4) | instid1(VALU_DEP_1)
	v_fmac_f32_e32 v182, v141, v4
	ds_load_2addr_b32 v[3:4], v2 offset0:99 offset1:100
	s_waitcnt lgkmcnt(3)
	v_fmac_f32_e32 v182, v142, v132
	s_waitcnt vmcnt(8)
	v_fmac_f32_e32 v182, v143, v133
	ds_load_2addr_b32 v[132:133], v2 offset0:101 offset1:102
	s_waitcnt lgkmcnt(3)
	v_fmac_f32_e32 v182, v144, v134
	s_delay_alu instid0(VALU_DEP_1) | instskip(SKIP_1) | instid1(VALU_DEP_1)
	v_fmac_f32_e32 v182, v145, v135
	s_waitcnt lgkmcnt(2)
	v_fmac_f32_e32 v182, v146, v136
	s_waitcnt vmcnt(7)
	s_delay_alu instid0(VALU_DEP_1) | instskip(SKIP_4) | instid1(VALU_DEP_1)
	v_fmac_f32_e32 v182, v147, v137
	ds_load_2addr_b32 v[134:135], v2 offset0:103 offset1:104
	ds_load_2addr_b32 v[136:137], v2 offset0:105 offset1:106
	s_waitcnt lgkmcnt(3)
	v_fmac_f32_e32 v182, v148, v3
	v_fmac_f32_e32 v182, v149, v4
	ds_load_2addr_b32 v[3:4], v2 offset0:107 offset1:108
	s_waitcnt lgkmcnt(3)
	v_fmac_f32_e32 v182, v150, v132
	s_waitcnt vmcnt(6)
	s_delay_alu instid0(VALU_DEP_1) | instskip(SKIP_3) | instid1(VALU_DEP_1)
	v_fmac_f32_e32 v182, v151, v133
	ds_load_2addr_b32 v[132:133], v2 offset0:109 offset1:110
	s_waitcnt lgkmcnt(3)
	v_fmac_f32_e32 v182, v152, v134
	v_fmac_f32_e32 v182, v153, v135
	s_waitcnt lgkmcnt(2)
	s_delay_alu instid0(VALU_DEP_1) | instskip(SKIP_1) | instid1(VALU_DEP_1)
	v_fmac_f32_e32 v182, v154, v136
	s_waitcnt vmcnt(5)
	v_fmac_f32_e32 v182, v155, v137
	ds_load_2addr_b32 v[134:135], v2 offset0:111 offset1:112
	ds_load_2addr_b32 v[136:137], v2 offset0:113 offset1:114
	s_waitcnt lgkmcnt(3)
	v_fmac_f32_e32 v182, v156, v3
	s_delay_alu instid0(VALU_DEP_1) | instskip(SKIP_4) | instid1(VALU_DEP_1)
	v_fmac_f32_e32 v182, v157, v4
	ds_load_2addr_b32 v[3:4], v2 offset0:115 offset1:116
	s_waitcnt lgkmcnt(3)
	v_fmac_f32_e32 v182, v158, v132
	s_waitcnt vmcnt(4)
	v_fmac_f32_e32 v182, v159, v133
	ds_load_2addr_b32 v[132:133], v2 offset0:117 offset1:118
	s_waitcnt lgkmcnt(3)
	v_fmac_f32_e32 v182, v160, v134
	s_delay_alu instid0(VALU_DEP_1) | instskip(SKIP_1) | instid1(VALU_DEP_1)
	v_fmac_f32_e32 v182, v161, v135
	s_waitcnt lgkmcnt(2)
	v_fmac_f32_e32 v182, v162, v136
	s_waitcnt vmcnt(3)
	s_delay_alu instid0(VALU_DEP_1) | instskip(SKIP_4) | instid1(VALU_DEP_1)
	v_fmac_f32_e32 v182, v163, v137
	ds_load_2addr_b32 v[134:135], v2 offset0:119 offset1:120
	ds_load_2addr_b32 v[136:137], v2 offset0:121 offset1:122
	s_waitcnt lgkmcnt(3)
	v_fmac_f32_e32 v182, v164, v3
	v_fmac_f32_e32 v182, v165, v4
	ds_load_2addr_b32 v[3:4], v2 offset0:123 offset1:124
	s_waitcnt lgkmcnt(3)
	v_fmac_f32_e32 v182, v166, v132
	s_waitcnt vmcnt(2)
	s_delay_alu instid0(VALU_DEP_1) | instskip(SKIP_3) | instid1(VALU_DEP_1)
	v_fmac_f32_e32 v182, v167, v133
	ds_load_2addr_b32 v[132:133], v2 offset0:125 offset1:126
	s_waitcnt lgkmcnt(3)
	v_fmac_f32_e32 v182, v168, v134
	v_fmac_f32_e32 v182, v169, v135
	s_waitcnt lgkmcnt(2)
	s_delay_alu instid0(VALU_DEP_1) | instskip(SKIP_1) | instid1(VALU_DEP_1)
	v_fmac_f32_e32 v182, v170, v136
	s_waitcnt vmcnt(1)
	v_fmac_f32_e32 v182, v171, v137
	s_waitcnt lgkmcnt(1)
	s_delay_alu instid0(VALU_DEP_1) | instskip(NEXT) | instid1(VALU_DEP_1)
	v_fmac_f32_e32 v182, v172, v3
	v_fmac_f32_e32 v182, v173, v4
	s_waitcnt lgkmcnt(0)
	s_delay_alu instid0(VALU_DEP_1) | instskip(SKIP_1) | instid1(VALU_DEP_1)
	v_fmac_f32_e32 v182, v174, v132
	s_waitcnt vmcnt(0)
	v_fmac_f32_e32 v182, v181, v133
	s_delay_alu instid0(VALU_DEP_1)
	v_sub_f32_e32 v2, v131, v182
	scratch_store_b32 off, v2, off offset:72
	v_cmpx_lt_u32_e32 17, v0
	s_cbranch_execz .LBB126_351
; %bb.350:
	scratch_load_b32 v2, off, off offset:68
	v_mov_b32_e32 v3, 0
	scratch_store_b32 off, v3, off offset:68
	s_waitcnt vmcnt(0)
	ds_store_b32 v1, v2
.LBB126_351:
	s_or_b32 exec_lo, exec_lo, s0
	s_waitcnt lgkmcnt(0)
	s_waitcnt_vscnt null, 0x0
	s_barrier
	buffer_gl0_inv
	s_clause 0xb
	scratch_load_b128 v[131:134], off, off offset:68
	scratch_load_b128 v[135:138], off, off offset:84
	;; [unrolled: 1-line block ×11, first 2 shown]
	scratch_load_b64 v[3:4], off, off offset:244
	v_mov_b32_e32 v2, 0
	ds_load_2addr_b64 v[175:178], v2 offset0:41 offset1:42
	ds_load_2addr_b64 v[179:182], v2 offset0:43 offset1:44
	s_mov_b32 s0, exec_lo
	s_waitcnt vmcnt(11) lgkmcnt(1)
	v_fma_f32 v175, v132, v175, 0
	s_delay_alu instid0(VALU_DEP_1) | instskip(NEXT) | instid1(VALU_DEP_1)
	v_fmac_f32_e32 v175, v133, v176
	v_fmac_f32_e32 v175, v134, v177
	s_waitcnt vmcnt(10)
	s_delay_alu instid0(VALU_DEP_1) | instskip(SKIP_3) | instid1(VALU_DEP_1)
	v_fmac_f32_e32 v175, v135, v178
	ds_load_2addr_b64 v[132:135], v2 offset0:45 offset1:46
	s_waitcnt lgkmcnt(1)
	v_fmac_f32_e32 v175, v136, v179
	v_fmac_f32_e32 v175, v137, v180
	s_delay_alu instid0(VALU_DEP_1) | instskip(SKIP_1) | instid1(VALU_DEP_1)
	v_fmac_f32_e32 v175, v138, v181
	s_waitcnt vmcnt(9)
	v_fmac_f32_e32 v175, v139, v182
	ds_load_2addr_b64 v[136:139], v2 offset0:47 offset1:48
	s_waitcnt lgkmcnt(1)
	v_fmac_f32_e32 v175, v140, v132
	s_delay_alu instid0(VALU_DEP_1) | instskip(NEXT) | instid1(VALU_DEP_1)
	v_fmac_f32_e32 v175, v141, v133
	v_fmac_f32_e32 v175, v142, v134
	s_waitcnt vmcnt(8)
	s_delay_alu instid0(VALU_DEP_1) | instskip(SKIP_3) | instid1(VALU_DEP_1)
	v_fmac_f32_e32 v175, v143, v135
	ds_load_2addr_b64 v[132:135], v2 offset0:49 offset1:50
	s_waitcnt lgkmcnt(1)
	v_fmac_f32_e32 v175, v144, v136
	v_fmac_f32_e32 v175, v145, v137
	s_delay_alu instid0(VALU_DEP_1) | instskip(SKIP_1) | instid1(VALU_DEP_1)
	v_fmac_f32_e32 v175, v146, v138
	s_waitcnt vmcnt(7)
	v_fmac_f32_e32 v175, v147, v139
	ds_load_2addr_b64 v[136:139], v2 offset0:51 offset1:52
	s_waitcnt lgkmcnt(1)
	v_fmac_f32_e32 v175, v148, v132
	;; [unrolled: 17-line block ×4, first 2 shown]
	s_delay_alu instid0(VALU_DEP_1) | instskip(NEXT) | instid1(VALU_DEP_1)
	v_fmac_f32_e32 v175, v165, v133
	v_fmac_f32_e32 v175, v166, v134
	s_waitcnt vmcnt(2)
	s_delay_alu instid0(VALU_DEP_1)
	v_fmac_f32_e32 v175, v167, v135
	ds_load_2addr_b64 v[132:135], v2 offset0:61 offset1:62
	s_waitcnt lgkmcnt(1)
	v_fmac_f32_e32 v175, v168, v136
	ds_load_b32 v136, v2 offset:504
	v_fmac_f32_e32 v175, v169, v137
	s_delay_alu instid0(VALU_DEP_1) | instskip(SKIP_1) | instid1(VALU_DEP_1)
	v_fmac_f32_e32 v175, v170, v138
	s_waitcnt vmcnt(1)
	v_fmac_f32_e32 v175, v171, v139
	s_waitcnt lgkmcnt(1)
	s_delay_alu instid0(VALU_DEP_1) | instskip(NEXT) | instid1(VALU_DEP_1)
	v_fmac_f32_e32 v175, v172, v132
	v_fmac_f32_e32 v175, v173, v133
	s_delay_alu instid0(VALU_DEP_1) | instskip(SKIP_1) | instid1(VALU_DEP_1)
	v_fmac_f32_e32 v175, v174, v134
	s_waitcnt vmcnt(0)
	v_fmac_f32_e32 v175, v3, v135
	s_waitcnt lgkmcnt(0)
	s_delay_alu instid0(VALU_DEP_1) | instskip(NEXT) | instid1(VALU_DEP_1)
	v_fmac_f32_e32 v175, v4, v136
	v_sub_f32_e32 v3, v131, v175
	scratch_store_b32 off, v3, off offset:68
	v_cmpx_lt_u32_e32 16, v0
	s_cbranch_execz .LBB126_353
; %bb.352:
	scratch_load_b32 v3, off, off offset:64
	scratch_store_b32 off, v2, off offset:64
	s_waitcnt vmcnt(0)
	ds_store_b32 v1, v3
.LBB126_353:
	s_or_b32 exec_lo, exec_lo, s0
	s_waitcnt lgkmcnt(0)
	s_waitcnt_vscnt null, 0x0
	s_barrier
	buffer_gl0_inv
	s_clause 0xb
	scratch_load_b128 v[131:134], off, off offset:64
	scratch_load_b128 v[135:138], off, off offset:80
	;; [unrolled: 1-line block ×11, first 2 shown]
	scratch_load_b96 v[175:177], off, off offset:240
	ds_load_2addr_b32 v[3:4], v2 offset0:81 offset1:82
	ds_load_2addr_b32 v[178:179], v2 offset0:83 offset1:84
	;; [unrolled: 1-line block ×4, first 2 shown]
	s_mov_b32 s0, exec_lo
	s_waitcnt vmcnt(11) lgkmcnt(3)
	v_fma_f32 v184, v132, v3, 0
	s_delay_alu instid0(VALU_DEP_1)
	v_fmac_f32_e32 v184, v133, v4
	ds_load_2addr_b32 v[3:4], v2 offset0:89 offset1:90
	ds_load_2addr_b32 v[132:133], v2 offset0:91 offset1:92
	s_waitcnt lgkmcnt(4)
	v_fmac_f32_e32 v184, v134, v178
	s_waitcnt vmcnt(10)
	s_delay_alu instid0(VALU_DEP_1) | instskip(SKIP_1) | instid1(VALU_DEP_1)
	v_fmac_f32_e32 v184, v135, v179
	s_waitcnt lgkmcnt(3)
	v_fmac_f32_e32 v184, v136, v180
	s_delay_alu instid0(VALU_DEP_1)
	v_fmac_f32_e32 v184, v137, v181
	ds_load_2addr_b32 v[134:135], v2 offset0:93 offset1:94
	ds_load_2addr_b32 v[136:137], v2 offset0:95 offset1:96
	s_waitcnt lgkmcnt(4)
	v_fmac_f32_e32 v184, v138, v182
	s_waitcnt vmcnt(9)
	s_delay_alu instid0(VALU_DEP_1) | instskip(SKIP_1) | instid1(VALU_DEP_1)
	v_fmac_f32_e32 v184, v139, v183
	s_waitcnt lgkmcnt(3)
	v_fmac_f32_e32 v184, v140, v3
	s_delay_alu instid0(VALU_DEP_1) | instskip(SKIP_4) | instid1(VALU_DEP_1)
	v_fmac_f32_e32 v184, v141, v4
	ds_load_2addr_b32 v[3:4], v2 offset0:97 offset1:98
	s_waitcnt lgkmcnt(3)
	v_fmac_f32_e32 v184, v142, v132
	s_waitcnt vmcnt(8)
	v_fmac_f32_e32 v184, v143, v133
	ds_load_2addr_b32 v[132:133], v2 offset0:99 offset1:100
	s_waitcnt lgkmcnt(3)
	v_fmac_f32_e32 v184, v144, v134
	s_delay_alu instid0(VALU_DEP_1) | instskip(SKIP_1) | instid1(VALU_DEP_1)
	v_fmac_f32_e32 v184, v145, v135
	s_waitcnt lgkmcnt(2)
	v_fmac_f32_e32 v184, v146, v136
	s_waitcnt vmcnt(7)
	s_delay_alu instid0(VALU_DEP_1) | instskip(SKIP_4) | instid1(VALU_DEP_1)
	v_fmac_f32_e32 v184, v147, v137
	ds_load_2addr_b32 v[134:135], v2 offset0:101 offset1:102
	ds_load_2addr_b32 v[136:137], v2 offset0:103 offset1:104
	s_waitcnt lgkmcnt(3)
	v_fmac_f32_e32 v184, v148, v3
	v_fmac_f32_e32 v184, v149, v4
	ds_load_2addr_b32 v[3:4], v2 offset0:105 offset1:106
	s_waitcnt lgkmcnt(3)
	v_fmac_f32_e32 v184, v150, v132
	s_waitcnt vmcnt(6)
	s_delay_alu instid0(VALU_DEP_1) | instskip(SKIP_3) | instid1(VALU_DEP_1)
	v_fmac_f32_e32 v184, v151, v133
	ds_load_2addr_b32 v[132:133], v2 offset0:107 offset1:108
	s_waitcnt lgkmcnt(3)
	v_fmac_f32_e32 v184, v152, v134
	v_fmac_f32_e32 v184, v153, v135
	s_waitcnt lgkmcnt(2)
	s_delay_alu instid0(VALU_DEP_1) | instskip(SKIP_1) | instid1(VALU_DEP_1)
	v_fmac_f32_e32 v184, v154, v136
	s_waitcnt vmcnt(5)
	v_fmac_f32_e32 v184, v155, v137
	ds_load_2addr_b32 v[134:135], v2 offset0:109 offset1:110
	ds_load_2addr_b32 v[136:137], v2 offset0:111 offset1:112
	s_waitcnt lgkmcnt(3)
	v_fmac_f32_e32 v184, v156, v3
	s_delay_alu instid0(VALU_DEP_1) | instskip(SKIP_4) | instid1(VALU_DEP_1)
	v_fmac_f32_e32 v184, v157, v4
	ds_load_2addr_b32 v[3:4], v2 offset0:113 offset1:114
	s_waitcnt lgkmcnt(3)
	v_fmac_f32_e32 v184, v158, v132
	s_waitcnt vmcnt(4)
	v_fmac_f32_e32 v184, v159, v133
	ds_load_2addr_b32 v[132:133], v2 offset0:115 offset1:116
	s_waitcnt lgkmcnt(3)
	v_fmac_f32_e32 v184, v160, v134
	s_delay_alu instid0(VALU_DEP_1) | instskip(SKIP_1) | instid1(VALU_DEP_1)
	v_fmac_f32_e32 v184, v161, v135
	s_waitcnt lgkmcnt(2)
	v_fmac_f32_e32 v184, v162, v136
	s_waitcnt vmcnt(3)
	s_delay_alu instid0(VALU_DEP_1) | instskip(SKIP_4) | instid1(VALU_DEP_1)
	v_fmac_f32_e32 v184, v163, v137
	ds_load_2addr_b32 v[134:135], v2 offset0:117 offset1:118
	ds_load_2addr_b32 v[136:137], v2 offset0:119 offset1:120
	s_waitcnt lgkmcnt(3)
	v_fmac_f32_e32 v184, v164, v3
	v_fmac_f32_e32 v184, v165, v4
	ds_load_2addr_b32 v[3:4], v2 offset0:121 offset1:122
	s_waitcnt lgkmcnt(3)
	v_fmac_f32_e32 v184, v166, v132
	s_waitcnt vmcnt(2)
	s_delay_alu instid0(VALU_DEP_1) | instskip(SKIP_3) | instid1(VALU_DEP_1)
	v_fmac_f32_e32 v184, v167, v133
	ds_load_2addr_b32 v[132:133], v2 offset0:123 offset1:124
	s_waitcnt lgkmcnt(3)
	v_fmac_f32_e32 v184, v168, v134
	v_fmac_f32_e32 v184, v169, v135
	ds_load_2addr_b32 v[134:135], v2 offset0:125 offset1:126
	s_waitcnt lgkmcnt(3)
	v_fmac_f32_e32 v184, v170, v136
	s_waitcnt vmcnt(1)
	s_delay_alu instid0(VALU_DEP_1) | instskip(SKIP_1) | instid1(VALU_DEP_1)
	v_fmac_f32_e32 v184, v171, v137
	s_waitcnt lgkmcnt(2)
	v_fmac_f32_e32 v184, v172, v3
	s_delay_alu instid0(VALU_DEP_1) | instskip(SKIP_1) | instid1(VALU_DEP_1)
	v_fmac_f32_e32 v184, v173, v4
	s_waitcnt lgkmcnt(1)
	v_fmac_f32_e32 v184, v174, v132
	s_waitcnt vmcnt(0)
	s_delay_alu instid0(VALU_DEP_1) | instskip(SKIP_1) | instid1(VALU_DEP_1)
	v_fmac_f32_e32 v184, v175, v133
	s_waitcnt lgkmcnt(0)
	v_fmac_f32_e32 v184, v176, v134
	s_delay_alu instid0(VALU_DEP_1) | instskip(NEXT) | instid1(VALU_DEP_1)
	v_fmac_f32_e32 v184, v177, v135
	v_sub_f32_e32 v2, v131, v184
	scratch_store_b32 off, v2, off offset:64
	v_cmpx_lt_u32_e32 15, v0
	s_cbranch_execz .LBB126_355
; %bb.354:
	scratch_load_b32 v2, off, off offset:60
	v_mov_b32_e32 v3, 0
	scratch_store_b32 off, v3, off offset:60
	s_waitcnt vmcnt(0)
	ds_store_b32 v1, v2
.LBB126_355:
	s_or_b32 exec_lo, exec_lo, s0
	s_waitcnt lgkmcnt(0)
	s_waitcnt_vscnt null, 0x0
	s_barrier
	buffer_gl0_inv
	s_clause 0xb
	scratch_load_b128 v[131:134], off, off offset:60
	scratch_load_b128 v[135:138], off, off offset:76
	;; [unrolled: 1-line block ×12, first 2 shown]
	v_mov_b32_e32 v2, 0
	ds_load_b128 v[179:182], v2 offset:320
	ds_load_b128 v[183:186], v2 offset:336
	s_mov_b32 s0, exec_lo
	s_waitcnt vmcnt(11) lgkmcnt(1)
	v_fma_f32 v3, v132, v179, 0
	s_delay_alu instid0(VALU_DEP_1) | instskip(NEXT) | instid1(VALU_DEP_1)
	v_fmac_f32_e32 v3, v133, v180
	v_fmac_f32_e32 v3, v134, v181
	s_waitcnt vmcnt(10)
	s_delay_alu instid0(VALU_DEP_1) | instskip(SKIP_3) | instid1(VALU_DEP_1)
	v_fmac_f32_e32 v3, v135, v182
	ds_load_b128 v[132:135], v2 offset:352
	s_waitcnt lgkmcnt(1)
	v_fmac_f32_e32 v3, v136, v183
	v_fmac_f32_e32 v3, v137, v184
	s_delay_alu instid0(VALU_DEP_1) | instskip(SKIP_1) | instid1(VALU_DEP_1)
	v_fmac_f32_e32 v3, v138, v185
	s_waitcnt vmcnt(9)
	v_fmac_f32_e32 v3, v139, v186
	ds_load_b128 v[136:139], v2 offset:368
	s_waitcnt lgkmcnt(1)
	v_fmac_f32_e32 v3, v140, v132
	s_delay_alu instid0(VALU_DEP_1) | instskip(NEXT) | instid1(VALU_DEP_1)
	v_fmac_f32_e32 v3, v141, v133
	v_fmac_f32_e32 v3, v142, v134
	s_waitcnt vmcnt(8)
	s_delay_alu instid0(VALU_DEP_1) | instskip(SKIP_3) | instid1(VALU_DEP_1)
	v_fmac_f32_e32 v3, v143, v135
	ds_load_b128 v[132:135], v2 offset:384
	s_waitcnt lgkmcnt(1)
	v_fmac_f32_e32 v3, v144, v136
	v_fmac_f32_e32 v3, v145, v137
	s_delay_alu instid0(VALU_DEP_1) | instskip(SKIP_1) | instid1(VALU_DEP_1)
	v_fmac_f32_e32 v3, v146, v138
	s_waitcnt vmcnt(7)
	v_fmac_f32_e32 v3, v147, v139
	ds_load_b128 v[136:139], v2 offset:400
	s_waitcnt lgkmcnt(1)
	v_fmac_f32_e32 v3, v148, v132
	;; [unrolled: 17-line block ×4, first 2 shown]
	s_delay_alu instid0(VALU_DEP_1) | instskip(NEXT) | instid1(VALU_DEP_1)
	v_fmac_f32_e32 v3, v165, v133
	v_fmac_f32_e32 v3, v166, v134
	s_waitcnt vmcnt(2)
	s_delay_alu instid0(VALU_DEP_1) | instskip(SKIP_3) | instid1(VALU_DEP_1)
	v_fmac_f32_e32 v3, v167, v135
	ds_load_b128 v[132:135], v2 offset:480
	s_waitcnt lgkmcnt(1)
	v_fmac_f32_e32 v3, v168, v136
	v_fmac_f32_e32 v3, v169, v137
	s_delay_alu instid0(VALU_DEP_1) | instskip(SKIP_4) | instid1(VALU_DEP_1)
	v_fmac_f32_e32 v3, v170, v138
	ds_load_b96 v[136:138], v2 offset:496
	s_waitcnt vmcnt(1)
	v_fmac_f32_e32 v3, v171, v139
	s_waitcnt lgkmcnt(1)
	v_fmac_f32_e32 v3, v172, v132
	s_delay_alu instid0(VALU_DEP_1) | instskip(NEXT) | instid1(VALU_DEP_1)
	v_fmac_f32_e32 v3, v173, v133
	v_fmac_f32_e32 v3, v174, v134
	s_waitcnt vmcnt(0)
	s_delay_alu instid0(VALU_DEP_1) | instskip(SKIP_1) | instid1(VALU_DEP_1)
	v_fmac_f32_e32 v3, v175, v135
	s_waitcnt lgkmcnt(0)
	v_fmac_f32_e32 v3, v176, v136
	s_delay_alu instid0(VALU_DEP_1) | instskip(NEXT) | instid1(VALU_DEP_1)
	v_fmac_f32_e32 v3, v177, v137
	v_fmac_f32_e32 v3, v178, v138
	s_delay_alu instid0(VALU_DEP_1)
	v_sub_f32_e32 v3, v131, v3
	scratch_store_b32 off, v3, off offset:60
	v_cmpx_lt_u32_e32 14, v0
	s_cbranch_execz .LBB126_357
; %bb.356:
	scratch_load_b32 v3, off, off offset:56
	scratch_store_b32 off, v2, off offset:56
	s_waitcnt vmcnt(0)
	ds_store_b32 v1, v3
.LBB126_357:
	s_or_b32 exec_lo, exec_lo, s0
	s_waitcnt lgkmcnt(0)
	s_waitcnt_vscnt null, 0x0
	s_barrier
	buffer_gl0_inv
	s_clause 0xc
	scratch_load_b128 v[131:134], off, off offset:56
	scratch_load_b128 v[135:138], off, off offset:72
	scratch_load_b128 v[139:142], off, off offset:88
	scratch_load_b128 v[143:146], off, off offset:104
	scratch_load_b128 v[147:150], off, off offset:120
	scratch_load_b128 v[151:154], off, off offset:136
	scratch_load_b128 v[155:158], off, off offset:152
	scratch_load_b128 v[159:162], off, off offset:168
	scratch_load_b128 v[163:166], off, off offset:184
	scratch_load_b128 v[167:170], off, off offset:200
	scratch_load_b128 v[171:174], off, off offset:216
	scratch_load_b128 v[175:178], off, off offset:232
	scratch_load_b32 v185, off, off offset:248
	ds_load_2addr_b32 v[3:4], v2 offset0:79 offset1:80
	ds_load_2addr_b32 v[179:180], v2 offset0:81 offset1:82
	;; [unrolled: 1-line block ×4, first 2 shown]
	s_mov_b32 s0, exec_lo
	s_waitcnt vmcnt(12) lgkmcnt(3)
	v_fma_f32 v186, v132, v3, 0
	s_delay_alu instid0(VALU_DEP_1)
	v_fmac_f32_e32 v186, v133, v4
	ds_load_2addr_b32 v[3:4], v2 offset0:87 offset1:88
	ds_load_2addr_b32 v[132:133], v2 offset0:89 offset1:90
	s_waitcnt lgkmcnt(4)
	v_fmac_f32_e32 v186, v134, v179
	s_waitcnt vmcnt(11)
	s_delay_alu instid0(VALU_DEP_1) | instskip(SKIP_1) | instid1(VALU_DEP_1)
	v_fmac_f32_e32 v186, v135, v180
	s_waitcnt lgkmcnt(3)
	v_fmac_f32_e32 v186, v136, v181
	s_delay_alu instid0(VALU_DEP_1)
	v_fmac_f32_e32 v186, v137, v182
	ds_load_2addr_b32 v[134:135], v2 offset0:91 offset1:92
	ds_load_2addr_b32 v[136:137], v2 offset0:93 offset1:94
	s_waitcnt lgkmcnt(4)
	v_fmac_f32_e32 v186, v138, v183
	s_waitcnt vmcnt(10)
	s_delay_alu instid0(VALU_DEP_1) | instskip(SKIP_1) | instid1(VALU_DEP_1)
	v_fmac_f32_e32 v186, v139, v184
	s_waitcnt lgkmcnt(3)
	v_fmac_f32_e32 v186, v140, v3
	s_delay_alu instid0(VALU_DEP_1) | instskip(SKIP_4) | instid1(VALU_DEP_1)
	v_fmac_f32_e32 v186, v141, v4
	ds_load_2addr_b32 v[3:4], v2 offset0:95 offset1:96
	s_waitcnt lgkmcnt(3)
	v_fmac_f32_e32 v186, v142, v132
	s_waitcnt vmcnt(9)
	v_fmac_f32_e32 v186, v143, v133
	ds_load_2addr_b32 v[132:133], v2 offset0:97 offset1:98
	s_waitcnt lgkmcnt(3)
	v_fmac_f32_e32 v186, v144, v134
	s_delay_alu instid0(VALU_DEP_1) | instskip(SKIP_1) | instid1(VALU_DEP_1)
	v_fmac_f32_e32 v186, v145, v135
	s_waitcnt lgkmcnt(2)
	v_fmac_f32_e32 v186, v146, v136
	s_waitcnt vmcnt(8)
	s_delay_alu instid0(VALU_DEP_1) | instskip(SKIP_4) | instid1(VALU_DEP_1)
	v_fmac_f32_e32 v186, v147, v137
	ds_load_2addr_b32 v[134:135], v2 offset0:99 offset1:100
	ds_load_2addr_b32 v[136:137], v2 offset0:101 offset1:102
	s_waitcnt lgkmcnt(3)
	v_fmac_f32_e32 v186, v148, v3
	v_fmac_f32_e32 v186, v149, v4
	ds_load_2addr_b32 v[3:4], v2 offset0:103 offset1:104
	s_waitcnt lgkmcnt(3)
	v_fmac_f32_e32 v186, v150, v132
	s_waitcnt vmcnt(7)
	s_delay_alu instid0(VALU_DEP_1) | instskip(SKIP_3) | instid1(VALU_DEP_1)
	v_fmac_f32_e32 v186, v151, v133
	ds_load_2addr_b32 v[132:133], v2 offset0:105 offset1:106
	s_waitcnt lgkmcnt(3)
	v_fmac_f32_e32 v186, v152, v134
	v_fmac_f32_e32 v186, v153, v135
	s_waitcnt lgkmcnt(2)
	s_delay_alu instid0(VALU_DEP_1) | instskip(SKIP_1) | instid1(VALU_DEP_1)
	v_fmac_f32_e32 v186, v154, v136
	s_waitcnt vmcnt(6)
	v_fmac_f32_e32 v186, v155, v137
	ds_load_2addr_b32 v[134:135], v2 offset0:107 offset1:108
	ds_load_2addr_b32 v[136:137], v2 offset0:109 offset1:110
	s_waitcnt lgkmcnt(3)
	v_fmac_f32_e32 v186, v156, v3
	s_delay_alu instid0(VALU_DEP_1) | instskip(SKIP_4) | instid1(VALU_DEP_1)
	v_fmac_f32_e32 v186, v157, v4
	ds_load_2addr_b32 v[3:4], v2 offset0:111 offset1:112
	s_waitcnt lgkmcnt(3)
	v_fmac_f32_e32 v186, v158, v132
	s_waitcnt vmcnt(5)
	v_fmac_f32_e32 v186, v159, v133
	ds_load_2addr_b32 v[132:133], v2 offset0:113 offset1:114
	s_waitcnt lgkmcnt(3)
	v_fmac_f32_e32 v186, v160, v134
	s_delay_alu instid0(VALU_DEP_1) | instskip(SKIP_1) | instid1(VALU_DEP_1)
	v_fmac_f32_e32 v186, v161, v135
	s_waitcnt lgkmcnt(2)
	v_fmac_f32_e32 v186, v162, v136
	s_waitcnt vmcnt(4)
	s_delay_alu instid0(VALU_DEP_1) | instskip(SKIP_4) | instid1(VALU_DEP_1)
	v_fmac_f32_e32 v186, v163, v137
	ds_load_2addr_b32 v[134:135], v2 offset0:115 offset1:116
	ds_load_2addr_b32 v[136:137], v2 offset0:117 offset1:118
	s_waitcnt lgkmcnt(3)
	v_fmac_f32_e32 v186, v164, v3
	v_fmac_f32_e32 v186, v165, v4
	ds_load_2addr_b32 v[3:4], v2 offset0:119 offset1:120
	s_waitcnt lgkmcnt(3)
	v_fmac_f32_e32 v186, v166, v132
	s_waitcnt vmcnt(3)
	s_delay_alu instid0(VALU_DEP_1) | instskip(SKIP_3) | instid1(VALU_DEP_1)
	v_fmac_f32_e32 v186, v167, v133
	ds_load_2addr_b32 v[132:133], v2 offset0:121 offset1:122
	s_waitcnt lgkmcnt(3)
	v_fmac_f32_e32 v186, v168, v134
	v_fmac_f32_e32 v186, v169, v135
	s_waitcnt lgkmcnt(2)
	s_delay_alu instid0(VALU_DEP_1) | instskip(SKIP_1) | instid1(VALU_DEP_1)
	v_fmac_f32_e32 v186, v170, v136
	s_waitcnt vmcnt(2)
	v_fmac_f32_e32 v186, v171, v137
	ds_load_2addr_b32 v[134:135], v2 offset0:123 offset1:124
	ds_load_2addr_b32 v[136:137], v2 offset0:125 offset1:126
	s_waitcnt lgkmcnt(3)
	v_fmac_f32_e32 v186, v172, v3
	s_delay_alu instid0(VALU_DEP_1) | instskip(SKIP_1) | instid1(VALU_DEP_1)
	v_fmac_f32_e32 v186, v173, v4
	s_waitcnt lgkmcnt(2)
	v_fmac_f32_e32 v186, v174, v132
	s_waitcnt vmcnt(1)
	s_delay_alu instid0(VALU_DEP_1) | instskip(SKIP_1) | instid1(VALU_DEP_1)
	v_fmac_f32_e32 v186, v175, v133
	s_waitcnt lgkmcnt(1)
	v_fmac_f32_e32 v186, v176, v134
	s_delay_alu instid0(VALU_DEP_1) | instskip(SKIP_1) | instid1(VALU_DEP_1)
	v_fmac_f32_e32 v186, v177, v135
	s_waitcnt lgkmcnt(0)
	v_fmac_f32_e32 v186, v178, v136
	s_waitcnt vmcnt(0)
	s_delay_alu instid0(VALU_DEP_1) | instskip(NEXT) | instid1(VALU_DEP_1)
	v_fmac_f32_e32 v186, v185, v137
	v_sub_f32_e32 v2, v131, v186
	scratch_store_b32 off, v2, off offset:56
	v_cmpx_lt_u32_e32 13, v0
	s_cbranch_execz .LBB126_359
; %bb.358:
	scratch_load_b32 v2, off, off offset:52
	v_mov_b32_e32 v3, 0
	scratch_store_b32 off, v3, off offset:52
	s_waitcnt vmcnt(0)
	ds_store_b32 v1, v2
.LBB126_359:
	s_or_b32 exec_lo, exec_lo, s0
	s_waitcnt lgkmcnt(0)
	s_waitcnt_vscnt null, 0x0
	s_barrier
	buffer_gl0_inv
	s_clause 0xc
	scratch_load_b128 v[131:134], off, off offset:52
	scratch_load_b128 v[135:138], off, off offset:68
	;; [unrolled: 1-line block ×12, first 2 shown]
	scratch_load_b64 v[3:4], off, off offset:244
	v_mov_b32_e32 v2, 0
	ds_load_2addr_b64 v[179:182], v2 offset0:39 offset1:40
	ds_load_2addr_b64 v[183:186], v2 offset0:41 offset1:42
	s_mov_b32 s0, exec_lo
	s_waitcnt vmcnt(12) lgkmcnt(1)
	v_fma_f32 v179, v132, v179, 0
	s_delay_alu instid0(VALU_DEP_1) | instskip(NEXT) | instid1(VALU_DEP_1)
	v_fmac_f32_e32 v179, v133, v180
	v_fmac_f32_e32 v179, v134, v181
	s_waitcnt vmcnt(11)
	s_delay_alu instid0(VALU_DEP_1) | instskip(SKIP_3) | instid1(VALU_DEP_1)
	v_fmac_f32_e32 v179, v135, v182
	ds_load_2addr_b64 v[132:135], v2 offset0:43 offset1:44
	s_waitcnt lgkmcnt(1)
	v_fmac_f32_e32 v179, v136, v183
	v_fmac_f32_e32 v179, v137, v184
	s_delay_alu instid0(VALU_DEP_1) | instskip(SKIP_1) | instid1(VALU_DEP_1)
	v_fmac_f32_e32 v179, v138, v185
	s_waitcnt vmcnt(10)
	v_fmac_f32_e32 v179, v139, v186
	ds_load_2addr_b64 v[136:139], v2 offset0:45 offset1:46
	s_waitcnt lgkmcnt(1)
	v_fmac_f32_e32 v179, v140, v132
	s_delay_alu instid0(VALU_DEP_1) | instskip(NEXT) | instid1(VALU_DEP_1)
	v_fmac_f32_e32 v179, v141, v133
	v_fmac_f32_e32 v179, v142, v134
	s_waitcnt vmcnt(9)
	s_delay_alu instid0(VALU_DEP_1) | instskip(SKIP_3) | instid1(VALU_DEP_1)
	v_fmac_f32_e32 v179, v143, v135
	ds_load_2addr_b64 v[132:135], v2 offset0:47 offset1:48
	s_waitcnt lgkmcnt(1)
	v_fmac_f32_e32 v179, v144, v136
	v_fmac_f32_e32 v179, v145, v137
	s_delay_alu instid0(VALU_DEP_1) | instskip(SKIP_1) | instid1(VALU_DEP_1)
	v_fmac_f32_e32 v179, v146, v138
	s_waitcnt vmcnt(8)
	v_fmac_f32_e32 v179, v147, v139
	ds_load_2addr_b64 v[136:139], v2 offset0:49 offset1:50
	s_waitcnt lgkmcnt(1)
	v_fmac_f32_e32 v179, v148, v132
	;; [unrolled: 17-line block ×5, first 2 shown]
	ds_load_b32 v132, v2 offset:504
	v_fmac_f32_e32 v179, v173, v133
	s_delay_alu instid0(VALU_DEP_1) | instskip(SKIP_1) | instid1(VALU_DEP_1)
	v_fmac_f32_e32 v179, v174, v134
	s_waitcnt vmcnt(1)
	v_fmac_f32_e32 v179, v175, v135
	s_waitcnt lgkmcnt(1)
	s_delay_alu instid0(VALU_DEP_1) | instskip(NEXT) | instid1(VALU_DEP_1)
	v_fmac_f32_e32 v179, v176, v136
	v_fmac_f32_e32 v179, v177, v137
	s_delay_alu instid0(VALU_DEP_1) | instskip(SKIP_1) | instid1(VALU_DEP_1)
	v_fmac_f32_e32 v179, v178, v138
	s_waitcnt vmcnt(0)
	v_fmac_f32_e32 v179, v3, v139
	s_waitcnt lgkmcnt(0)
	s_delay_alu instid0(VALU_DEP_1) | instskip(NEXT) | instid1(VALU_DEP_1)
	v_fmac_f32_e32 v179, v4, v132
	v_sub_f32_e32 v3, v131, v179
	scratch_store_b32 off, v3, off offset:52
	v_cmpx_lt_u32_e32 12, v0
	s_cbranch_execz .LBB126_361
; %bb.360:
	scratch_load_b32 v3, off, off offset:48
	scratch_store_b32 off, v2, off offset:48
	s_waitcnt vmcnt(0)
	ds_store_b32 v1, v3
.LBB126_361:
	s_or_b32 exec_lo, exec_lo, s0
	s_waitcnt lgkmcnt(0)
	s_waitcnt_vscnt null, 0x0
	s_barrier
	buffer_gl0_inv
	s_clause 0xc
	scratch_load_b128 v[131:134], off, off offset:48
	scratch_load_b128 v[135:138], off, off offset:64
	;; [unrolled: 1-line block ×12, first 2 shown]
	scratch_load_b96 v[179:181], off, off offset:240
	ds_load_2addr_b32 v[3:4], v2 offset0:77 offset1:78
	ds_load_2addr_b32 v[182:183], v2 offset0:79 offset1:80
	;; [unrolled: 1-line block ×4, first 2 shown]
	s_mov_b32 s0, exec_lo
	s_waitcnt vmcnt(12) lgkmcnt(3)
	v_fma_f32 v188, v132, v3, 0
	s_delay_alu instid0(VALU_DEP_1)
	v_fmac_f32_e32 v188, v133, v4
	ds_load_2addr_b32 v[3:4], v2 offset0:85 offset1:86
	ds_load_2addr_b32 v[132:133], v2 offset0:87 offset1:88
	s_waitcnt lgkmcnt(4)
	v_fmac_f32_e32 v188, v134, v182
	s_waitcnt vmcnt(11)
	s_delay_alu instid0(VALU_DEP_1) | instskip(SKIP_1) | instid1(VALU_DEP_1)
	v_fmac_f32_e32 v188, v135, v183
	s_waitcnt lgkmcnt(3)
	v_fmac_f32_e32 v188, v136, v184
	s_delay_alu instid0(VALU_DEP_1)
	v_fmac_f32_e32 v188, v137, v185
	ds_load_2addr_b32 v[134:135], v2 offset0:89 offset1:90
	ds_load_2addr_b32 v[136:137], v2 offset0:91 offset1:92
	s_waitcnt lgkmcnt(4)
	v_fmac_f32_e32 v188, v138, v186
	s_waitcnt vmcnt(10)
	s_delay_alu instid0(VALU_DEP_1) | instskip(SKIP_1) | instid1(VALU_DEP_1)
	v_fmac_f32_e32 v188, v139, v187
	s_waitcnt lgkmcnt(3)
	v_fmac_f32_e32 v188, v140, v3
	s_delay_alu instid0(VALU_DEP_1) | instskip(SKIP_4) | instid1(VALU_DEP_1)
	v_fmac_f32_e32 v188, v141, v4
	ds_load_2addr_b32 v[3:4], v2 offset0:93 offset1:94
	s_waitcnt lgkmcnt(3)
	v_fmac_f32_e32 v188, v142, v132
	s_waitcnt vmcnt(9)
	v_fmac_f32_e32 v188, v143, v133
	ds_load_2addr_b32 v[132:133], v2 offset0:95 offset1:96
	s_waitcnt lgkmcnt(3)
	v_fmac_f32_e32 v188, v144, v134
	s_delay_alu instid0(VALU_DEP_1) | instskip(SKIP_1) | instid1(VALU_DEP_1)
	v_fmac_f32_e32 v188, v145, v135
	s_waitcnt lgkmcnt(2)
	v_fmac_f32_e32 v188, v146, v136
	s_waitcnt vmcnt(8)
	s_delay_alu instid0(VALU_DEP_1) | instskip(SKIP_4) | instid1(VALU_DEP_1)
	v_fmac_f32_e32 v188, v147, v137
	ds_load_2addr_b32 v[134:135], v2 offset0:97 offset1:98
	ds_load_2addr_b32 v[136:137], v2 offset0:99 offset1:100
	s_waitcnt lgkmcnt(3)
	v_fmac_f32_e32 v188, v148, v3
	v_fmac_f32_e32 v188, v149, v4
	ds_load_2addr_b32 v[3:4], v2 offset0:101 offset1:102
	s_waitcnt lgkmcnt(3)
	v_fmac_f32_e32 v188, v150, v132
	s_waitcnt vmcnt(7)
	s_delay_alu instid0(VALU_DEP_1) | instskip(SKIP_3) | instid1(VALU_DEP_1)
	v_fmac_f32_e32 v188, v151, v133
	ds_load_2addr_b32 v[132:133], v2 offset0:103 offset1:104
	s_waitcnt lgkmcnt(3)
	v_fmac_f32_e32 v188, v152, v134
	v_fmac_f32_e32 v188, v153, v135
	s_waitcnt lgkmcnt(2)
	s_delay_alu instid0(VALU_DEP_1) | instskip(SKIP_1) | instid1(VALU_DEP_1)
	v_fmac_f32_e32 v188, v154, v136
	s_waitcnt vmcnt(6)
	v_fmac_f32_e32 v188, v155, v137
	ds_load_2addr_b32 v[134:135], v2 offset0:105 offset1:106
	ds_load_2addr_b32 v[136:137], v2 offset0:107 offset1:108
	s_waitcnt lgkmcnt(3)
	v_fmac_f32_e32 v188, v156, v3
	s_delay_alu instid0(VALU_DEP_1) | instskip(SKIP_4) | instid1(VALU_DEP_1)
	v_fmac_f32_e32 v188, v157, v4
	ds_load_2addr_b32 v[3:4], v2 offset0:109 offset1:110
	s_waitcnt lgkmcnt(3)
	v_fmac_f32_e32 v188, v158, v132
	s_waitcnt vmcnt(5)
	v_fmac_f32_e32 v188, v159, v133
	ds_load_2addr_b32 v[132:133], v2 offset0:111 offset1:112
	s_waitcnt lgkmcnt(3)
	v_fmac_f32_e32 v188, v160, v134
	s_delay_alu instid0(VALU_DEP_1) | instskip(SKIP_1) | instid1(VALU_DEP_1)
	v_fmac_f32_e32 v188, v161, v135
	s_waitcnt lgkmcnt(2)
	v_fmac_f32_e32 v188, v162, v136
	s_waitcnt vmcnt(4)
	s_delay_alu instid0(VALU_DEP_1) | instskip(SKIP_4) | instid1(VALU_DEP_1)
	v_fmac_f32_e32 v188, v163, v137
	ds_load_2addr_b32 v[134:135], v2 offset0:113 offset1:114
	ds_load_2addr_b32 v[136:137], v2 offset0:115 offset1:116
	s_waitcnt lgkmcnt(3)
	v_fmac_f32_e32 v188, v164, v3
	v_fmac_f32_e32 v188, v165, v4
	ds_load_2addr_b32 v[3:4], v2 offset0:117 offset1:118
	s_waitcnt lgkmcnt(3)
	v_fmac_f32_e32 v188, v166, v132
	s_waitcnt vmcnt(3)
	s_delay_alu instid0(VALU_DEP_1) | instskip(SKIP_3) | instid1(VALU_DEP_1)
	v_fmac_f32_e32 v188, v167, v133
	ds_load_2addr_b32 v[132:133], v2 offset0:119 offset1:120
	s_waitcnt lgkmcnt(3)
	v_fmac_f32_e32 v188, v168, v134
	v_fmac_f32_e32 v188, v169, v135
	s_waitcnt lgkmcnt(2)
	s_delay_alu instid0(VALU_DEP_1) | instskip(SKIP_1) | instid1(VALU_DEP_1)
	v_fmac_f32_e32 v188, v170, v136
	s_waitcnt vmcnt(2)
	v_fmac_f32_e32 v188, v171, v137
	ds_load_2addr_b32 v[134:135], v2 offset0:121 offset1:122
	ds_load_2addr_b32 v[136:137], v2 offset0:123 offset1:124
	s_waitcnt lgkmcnt(3)
	v_fmac_f32_e32 v188, v172, v3
	ds_load_2addr_b32 v[2:3], v2 offset0:125 offset1:126
	v_fmac_f32_e32 v188, v173, v4
	s_waitcnt lgkmcnt(3)
	s_delay_alu instid0(VALU_DEP_1) | instskip(SKIP_1) | instid1(VALU_DEP_1)
	v_fmac_f32_e32 v188, v174, v132
	s_waitcnt vmcnt(1)
	v_fmac_f32_e32 v188, v175, v133
	s_waitcnt lgkmcnt(2)
	s_delay_alu instid0(VALU_DEP_1) | instskip(NEXT) | instid1(VALU_DEP_1)
	v_fmac_f32_e32 v188, v176, v134
	v_fmac_f32_e32 v188, v177, v135
	s_waitcnt lgkmcnt(1)
	s_delay_alu instid0(VALU_DEP_1) | instskip(SKIP_1) | instid1(VALU_DEP_1)
	v_fmac_f32_e32 v188, v178, v136
	s_waitcnt vmcnt(0)
	v_fmac_f32_e32 v188, v179, v137
	s_waitcnt lgkmcnt(0)
	s_delay_alu instid0(VALU_DEP_1) | instskip(NEXT) | instid1(VALU_DEP_1)
	v_fmac_f32_e32 v188, v180, v2
	v_fmac_f32_e32 v188, v181, v3
	s_delay_alu instid0(VALU_DEP_1)
	v_sub_f32_e32 v2, v131, v188
	scratch_store_b32 off, v2, off offset:48
	v_cmpx_lt_u32_e32 11, v0
	s_cbranch_execz .LBB126_363
; %bb.362:
	scratch_load_b32 v2, off, off offset:44
	v_mov_b32_e32 v3, 0
	scratch_store_b32 off, v3, off offset:44
	s_waitcnt vmcnt(0)
	ds_store_b32 v1, v2
.LBB126_363:
	s_or_b32 exec_lo, exec_lo, s0
	s_waitcnt lgkmcnt(0)
	s_waitcnt_vscnt null, 0x0
	s_barrier
	buffer_gl0_inv
	s_clause 0xc
	scratch_load_b128 v[131:134], off, off offset:44
	scratch_load_b128 v[135:138], off, off offset:60
	;; [unrolled: 1-line block ×13, first 2 shown]
	v_mov_b32_e32 v2, 0
	ds_load_b128 v[183:186], v2 offset:304
	ds_load_b128 v[187:190], v2 offset:320
	s_mov_b32 s0, exec_lo
	s_waitcnt vmcnt(12) lgkmcnt(1)
	v_fma_f32 v3, v132, v183, 0
	s_delay_alu instid0(VALU_DEP_1) | instskip(NEXT) | instid1(VALU_DEP_1)
	v_fmac_f32_e32 v3, v133, v184
	v_fmac_f32_e32 v3, v134, v185
	s_waitcnt vmcnt(11)
	s_delay_alu instid0(VALU_DEP_1) | instskip(SKIP_3) | instid1(VALU_DEP_1)
	v_fmac_f32_e32 v3, v135, v186
	ds_load_b128 v[132:135], v2 offset:336
	s_waitcnt lgkmcnt(1)
	v_fmac_f32_e32 v3, v136, v187
	v_fmac_f32_e32 v3, v137, v188
	s_delay_alu instid0(VALU_DEP_1) | instskip(SKIP_1) | instid1(VALU_DEP_1)
	v_fmac_f32_e32 v3, v138, v189
	s_waitcnt vmcnt(10)
	v_fmac_f32_e32 v3, v139, v190
	ds_load_b128 v[136:139], v2 offset:352
	s_waitcnt lgkmcnt(1)
	v_fmac_f32_e32 v3, v140, v132
	s_delay_alu instid0(VALU_DEP_1) | instskip(NEXT) | instid1(VALU_DEP_1)
	v_fmac_f32_e32 v3, v141, v133
	v_fmac_f32_e32 v3, v142, v134
	s_waitcnt vmcnt(9)
	s_delay_alu instid0(VALU_DEP_1) | instskip(SKIP_3) | instid1(VALU_DEP_1)
	v_fmac_f32_e32 v3, v143, v135
	ds_load_b128 v[132:135], v2 offset:368
	s_waitcnt lgkmcnt(1)
	v_fmac_f32_e32 v3, v144, v136
	v_fmac_f32_e32 v3, v145, v137
	s_delay_alu instid0(VALU_DEP_1) | instskip(SKIP_1) | instid1(VALU_DEP_1)
	v_fmac_f32_e32 v3, v146, v138
	s_waitcnt vmcnt(8)
	v_fmac_f32_e32 v3, v147, v139
	ds_load_b128 v[136:139], v2 offset:384
	s_waitcnt lgkmcnt(1)
	v_fmac_f32_e32 v3, v148, v132
	;; [unrolled: 17-line block ×5, first 2 shown]
	s_delay_alu instid0(VALU_DEP_1) | instskip(NEXT) | instid1(VALU_DEP_1)
	v_fmac_f32_e32 v3, v173, v133
	v_fmac_f32_e32 v3, v174, v134
	ds_load_b96 v[132:134], v2 offset:496
	s_waitcnt vmcnt(1)
	v_fmac_f32_e32 v3, v175, v135
	s_waitcnt lgkmcnt(1)
	s_delay_alu instid0(VALU_DEP_1) | instskip(NEXT) | instid1(VALU_DEP_1)
	v_fmac_f32_e32 v3, v176, v136
	v_fmac_f32_e32 v3, v177, v137
	s_delay_alu instid0(VALU_DEP_1) | instskip(SKIP_1) | instid1(VALU_DEP_1)
	v_fmac_f32_e32 v3, v178, v138
	s_waitcnt vmcnt(0)
	v_fmac_f32_e32 v3, v179, v139
	s_waitcnt lgkmcnt(0)
	s_delay_alu instid0(VALU_DEP_1) | instskip(NEXT) | instid1(VALU_DEP_1)
	v_fmac_f32_e32 v3, v180, v132
	v_fmac_f32_e32 v3, v181, v133
	s_delay_alu instid0(VALU_DEP_1) | instskip(NEXT) | instid1(VALU_DEP_1)
	v_fmac_f32_e32 v3, v182, v134
	v_sub_f32_e32 v3, v131, v3
	scratch_store_b32 off, v3, off offset:44
	v_cmpx_lt_u32_e32 10, v0
	s_cbranch_execz .LBB126_365
; %bb.364:
	scratch_load_b32 v3, off, off offset:40
	scratch_store_b32 off, v2, off offset:40
	s_waitcnt vmcnt(0)
	ds_store_b32 v1, v3
.LBB126_365:
	s_or_b32 exec_lo, exec_lo, s0
	s_waitcnt lgkmcnt(0)
	s_waitcnt_vscnt null, 0x0
	s_barrier
	buffer_gl0_inv
	s_clause 0xd
	scratch_load_b128 v[131:134], off, off offset:40
	scratch_load_b128 v[135:138], off, off offset:56
	scratch_load_b128 v[139:142], off, off offset:72
	scratch_load_b128 v[143:146], off, off offset:88
	scratch_load_b128 v[147:150], off, off offset:104
	scratch_load_b128 v[151:154], off, off offset:120
	scratch_load_b128 v[155:158], off, off offset:136
	scratch_load_b128 v[159:162], off, off offset:152
	scratch_load_b128 v[163:166], off, off offset:168
	scratch_load_b128 v[167:170], off, off offset:184
	scratch_load_b128 v[171:174], off, off offset:200
	scratch_load_b128 v[175:178], off, off offset:216
	scratch_load_b128 v[179:182], off, off offset:232
	scratch_load_b32 v189, off, off offset:248
	ds_load_2addr_b32 v[3:4], v2 offset0:75 offset1:76
	ds_load_2addr_b32 v[183:184], v2 offset0:77 offset1:78
	;; [unrolled: 1-line block ×4, first 2 shown]
	s_mov_b32 s0, exec_lo
	s_waitcnt vmcnt(13) lgkmcnt(3)
	v_fma_f32 v190, v132, v3, 0
	s_delay_alu instid0(VALU_DEP_1)
	v_fmac_f32_e32 v190, v133, v4
	ds_load_2addr_b32 v[3:4], v2 offset0:83 offset1:84
	ds_load_2addr_b32 v[132:133], v2 offset0:85 offset1:86
	s_waitcnt lgkmcnt(4)
	v_fmac_f32_e32 v190, v134, v183
	s_waitcnt vmcnt(12)
	s_delay_alu instid0(VALU_DEP_1) | instskip(SKIP_1) | instid1(VALU_DEP_1)
	v_fmac_f32_e32 v190, v135, v184
	s_waitcnt lgkmcnt(3)
	v_fmac_f32_e32 v190, v136, v185
	s_delay_alu instid0(VALU_DEP_1)
	v_fmac_f32_e32 v190, v137, v186
	ds_load_2addr_b32 v[134:135], v2 offset0:87 offset1:88
	ds_load_2addr_b32 v[136:137], v2 offset0:89 offset1:90
	s_waitcnt lgkmcnt(4)
	v_fmac_f32_e32 v190, v138, v187
	s_waitcnt vmcnt(11)
	s_delay_alu instid0(VALU_DEP_1) | instskip(SKIP_1) | instid1(VALU_DEP_1)
	v_fmac_f32_e32 v190, v139, v188
	s_waitcnt lgkmcnt(3)
	v_fmac_f32_e32 v190, v140, v3
	s_delay_alu instid0(VALU_DEP_1) | instskip(SKIP_4) | instid1(VALU_DEP_1)
	v_fmac_f32_e32 v190, v141, v4
	ds_load_2addr_b32 v[3:4], v2 offset0:91 offset1:92
	s_waitcnt lgkmcnt(3)
	v_fmac_f32_e32 v190, v142, v132
	s_waitcnt vmcnt(10)
	v_fmac_f32_e32 v190, v143, v133
	ds_load_2addr_b32 v[132:133], v2 offset0:93 offset1:94
	s_waitcnt lgkmcnt(3)
	v_fmac_f32_e32 v190, v144, v134
	s_delay_alu instid0(VALU_DEP_1) | instskip(SKIP_1) | instid1(VALU_DEP_1)
	v_fmac_f32_e32 v190, v145, v135
	s_waitcnt lgkmcnt(2)
	v_fmac_f32_e32 v190, v146, v136
	s_waitcnt vmcnt(9)
	s_delay_alu instid0(VALU_DEP_1) | instskip(SKIP_4) | instid1(VALU_DEP_1)
	v_fmac_f32_e32 v190, v147, v137
	ds_load_2addr_b32 v[134:135], v2 offset0:95 offset1:96
	ds_load_2addr_b32 v[136:137], v2 offset0:97 offset1:98
	s_waitcnt lgkmcnt(3)
	v_fmac_f32_e32 v190, v148, v3
	v_fmac_f32_e32 v190, v149, v4
	ds_load_2addr_b32 v[3:4], v2 offset0:99 offset1:100
	s_waitcnt lgkmcnt(3)
	v_fmac_f32_e32 v190, v150, v132
	s_waitcnt vmcnt(8)
	s_delay_alu instid0(VALU_DEP_1) | instskip(SKIP_3) | instid1(VALU_DEP_1)
	v_fmac_f32_e32 v190, v151, v133
	ds_load_2addr_b32 v[132:133], v2 offset0:101 offset1:102
	s_waitcnt lgkmcnt(3)
	v_fmac_f32_e32 v190, v152, v134
	v_fmac_f32_e32 v190, v153, v135
	s_waitcnt lgkmcnt(2)
	s_delay_alu instid0(VALU_DEP_1) | instskip(SKIP_1) | instid1(VALU_DEP_1)
	v_fmac_f32_e32 v190, v154, v136
	s_waitcnt vmcnt(7)
	v_fmac_f32_e32 v190, v155, v137
	ds_load_2addr_b32 v[134:135], v2 offset0:103 offset1:104
	ds_load_2addr_b32 v[136:137], v2 offset0:105 offset1:106
	s_waitcnt lgkmcnt(3)
	v_fmac_f32_e32 v190, v156, v3
	s_delay_alu instid0(VALU_DEP_1) | instskip(SKIP_4) | instid1(VALU_DEP_1)
	v_fmac_f32_e32 v190, v157, v4
	ds_load_2addr_b32 v[3:4], v2 offset0:107 offset1:108
	s_waitcnt lgkmcnt(3)
	v_fmac_f32_e32 v190, v158, v132
	s_waitcnt vmcnt(6)
	v_fmac_f32_e32 v190, v159, v133
	ds_load_2addr_b32 v[132:133], v2 offset0:109 offset1:110
	s_waitcnt lgkmcnt(3)
	v_fmac_f32_e32 v190, v160, v134
	s_delay_alu instid0(VALU_DEP_1) | instskip(SKIP_1) | instid1(VALU_DEP_1)
	v_fmac_f32_e32 v190, v161, v135
	s_waitcnt lgkmcnt(2)
	v_fmac_f32_e32 v190, v162, v136
	s_waitcnt vmcnt(5)
	s_delay_alu instid0(VALU_DEP_1) | instskip(SKIP_4) | instid1(VALU_DEP_1)
	v_fmac_f32_e32 v190, v163, v137
	ds_load_2addr_b32 v[134:135], v2 offset0:111 offset1:112
	ds_load_2addr_b32 v[136:137], v2 offset0:113 offset1:114
	s_waitcnt lgkmcnt(3)
	v_fmac_f32_e32 v190, v164, v3
	v_fmac_f32_e32 v190, v165, v4
	ds_load_2addr_b32 v[3:4], v2 offset0:115 offset1:116
	s_waitcnt lgkmcnt(3)
	v_fmac_f32_e32 v190, v166, v132
	s_waitcnt vmcnt(4)
	s_delay_alu instid0(VALU_DEP_1) | instskip(SKIP_3) | instid1(VALU_DEP_1)
	v_fmac_f32_e32 v190, v167, v133
	ds_load_2addr_b32 v[132:133], v2 offset0:117 offset1:118
	s_waitcnt lgkmcnt(3)
	v_fmac_f32_e32 v190, v168, v134
	v_fmac_f32_e32 v190, v169, v135
	s_waitcnt lgkmcnt(2)
	s_delay_alu instid0(VALU_DEP_1) | instskip(SKIP_1) | instid1(VALU_DEP_1)
	v_fmac_f32_e32 v190, v170, v136
	s_waitcnt vmcnt(3)
	v_fmac_f32_e32 v190, v171, v137
	ds_load_2addr_b32 v[134:135], v2 offset0:119 offset1:120
	ds_load_2addr_b32 v[136:137], v2 offset0:121 offset1:122
	s_waitcnt lgkmcnt(3)
	v_fmac_f32_e32 v190, v172, v3
	s_delay_alu instid0(VALU_DEP_1) | instskip(SKIP_4) | instid1(VALU_DEP_1)
	v_fmac_f32_e32 v190, v173, v4
	ds_load_2addr_b32 v[3:4], v2 offset0:123 offset1:124
	s_waitcnt lgkmcnt(3)
	v_fmac_f32_e32 v190, v174, v132
	s_waitcnt vmcnt(2)
	v_fmac_f32_e32 v190, v175, v133
	ds_load_2addr_b32 v[132:133], v2 offset0:125 offset1:126
	s_waitcnt lgkmcnt(3)
	v_fmac_f32_e32 v190, v176, v134
	s_delay_alu instid0(VALU_DEP_1) | instskip(SKIP_1) | instid1(VALU_DEP_1)
	v_fmac_f32_e32 v190, v177, v135
	s_waitcnt lgkmcnt(2)
	v_fmac_f32_e32 v190, v178, v136
	s_waitcnt vmcnt(1)
	s_delay_alu instid0(VALU_DEP_1) | instskip(SKIP_1) | instid1(VALU_DEP_1)
	v_fmac_f32_e32 v190, v179, v137
	s_waitcnt lgkmcnt(1)
	v_fmac_f32_e32 v190, v180, v3
	s_delay_alu instid0(VALU_DEP_1) | instskip(SKIP_1) | instid1(VALU_DEP_1)
	v_fmac_f32_e32 v190, v181, v4
	s_waitcnt lgkmcnt(0)
	v_fmac_f32_e32 v190, v182, v132
	s_waitcnt vmcnt(0)
	s_delay_alu instid0(VALU_DEP_1) | instskip(NEXT) | instid1(VALU_DEP_1)
	v_fmac_f32_e32 v190, v189, v133
	v_sub_f32_e32 v2, v131, v190
	scratch_store_b32 off, v2, off offset:40
	v_cmpx_lt_u32_e32 9, v0
	s_cbranch_execz .LBB126_367
; %bb.366:
	scratch_load_b32 v2, off, off offset:36
	v_mov_b32_e32 v3, 0
	scratch_store_b32 off, v3, off offset:36
	s_waitcnt vmcnt(0)
	ds_store_b32 v1, v2
.LBB126_367:
	s_or_b32 exec_lo, exec_lo, s0
	s_waitcnt lgkmcnt(0)
	s_waitcnt_vscnt null, 0x0
	s_barrier
	buffer_gl0_inv
	s_clause 0xd
	scratch_load_b128 v[131:134], off, off offset:36
	scratch_load_b128 v[135:138], off, off offset:52
	;; [unrolled: 1-line block ×13, first 2 shown]
	scratch_load_b64 v[3:4], off, off offset:244
	v_mov_b32_e32 v2, 0
	ds_load_2addr_b64 v[183:186], v2 offset0:37 offset1:38
	ds_load_2addr_b64 v[187:190], v2 offset0:39 offset1:40
	s_mov_b32 s0, exec_lo
	s_waitcnt vmcnt(13) lgkmcnt(1)
	v_fma_f32 v183, v132, v183, 0
	s_delay_alu instid0(VALU_DEP_1) | instskip(NEXT) | instid1(VALU_DEP_1)
	v_fmac_f32_e32 v183, v133, v184
	v_fmac_f32_e32 v183, v134, v185
	s_waitcnt vmcnt(12)
	s_delay_alu instid0(VALU_DEP_1) | instskip(SKIP_3) | instid1(VALU_DEP_1)
	v_fmac_f32_e32 v183, v135, v186
	ds_load_2addr_b64 v[132:135], v2 offset0:41 offset1:42
	s_waitcnt lgkmcnt(1)
	v_fmac_f32_e32 v183, v136, v187
	v_fmac_f32_e32 v183, v137, v188
	s_delay_alu instid0(VALU_DEP_1) | instskip(SKIP_1) | instid1(VALU_DEP_1)
	v_fmac_f32_e32 v183, v138, v189
	s_waitcnt vmcnt(11)
	v_fmac_f32_e32 v183, v139, v190
	ds_load_2addr_b64 v[136:139], v2 offset0:43 offset1:44
	s_waitcnt lgkmcnt(1)
	v_fmac_f32_e32 v183, v140, v132
	s_delay_alu instid0(VALU_DEP_1) | instskip(NEXT) | instid1(VALU_DEP_1)
	v_fmac_f32_e32 v183, v141, v133
	v_fmac_f32_e32 v183, v142, v134
	s_waitcnt vmcnt(10)
	s_delay_alu instid0(VALU_DEP_1) | instskip(SKIP_3) | instid1(VALU_DEP_1)
	v_fmac_f32_e32 v183, v143, v135
	ds_load_2addr_b64 v[132:135], v2 offset0:45 offset1:46
	s_waitcnt lgkmcnt(1)
	v_fmac_f32_e32 v183, v144, v136
	v_fmac_f32_e32 v183, v145, v137
	s_delay_alu instid0(VALU_DEP_1) | instskip(SKIP_1) | instid1(VALU_DEP_1)
	v_fmac_f32_e32 v183, v146, v138
	s_waitcnt vmcnt(9)
	v_fmac_f32_e32 v183, v147, v139
	ds_load_2addr_b64 v[136:139], v2 offset0:47 offset1:48
	s_waitcnt lgkmcnt(1)
	v_fmac_f32_e32 v183, v148, v132
	;; [unrolled: 17-line block ×5, first 2 shown]
	s_delay_alu instid0(VALU_DEP_1) | instskip(NEXT) | instid1(VALU_DEP_1)
	v_fmac_f32_e32 v183, v173, v133
	v_fmac_f32_e32 v183, v174, v134
	s_waitcnt vmcnt(2)
	s_delay_alu instid0(VALU_DEP_1)
	v_fmac_f32_e32 v183, v175, v135
	ds_load_2addr_b64 v[132:135], v2 offset0:61 offset1:62
	s_waitcnt lgkmcnt(1)
	v_fmac_f32_e32 v183, v176, v136
	ds_load_b32 v136, v2 offset:504
	v_fmac_f32_e32 v183, v177, v137
	s_delay_alu instid0(VALU_DEP_1) | instskip(SKIP_1) | instid1(VALU_DEP_1)
	v_fmac_f32_e32 v183, v178, v138
	s_waitcnt vmcnt(1)
	v_fmac_f32_e32 v183, v179, v139
	s_waitcnt lgkmcnt(1)
	s_delay_alu instid0(VALU_DEP_1) | instskip(NEXT) | instid1(VALU_DEP_1)
	v_fmac_f32_e32 v183, v180, v132
	v_fmac_f32_e32 v183, v181, v133
	s_delay_alu instid0(VALU_DEP_1) | instskip(SKIP_1) | instid1(VALU_DEP_1)
	v_fmac_f32_e32 v183, v182, v134
	s_waitcnt vmcnt(0)
	v_fmac_f32_e32 v183, v3, v135
	s_waitcnt lgkmcnt(0)
	s_delay_alu instid0(VALU_DEP_1) | instskip(NEXT) | instid1(VALU_DEP_1)
	v_fmac_f32_e32 v183, v4, v136
	v_sub_f32_e32 v3, v131, v183
	scratch_store_b32 off, v3, off offset:36
	v_cmpx_lt_u32_e32 8, v0
	s_cbranch_execz .LBB126_369
; %bb.368:
	scratch_load_b32 v3, off, off offset:32
	scratch_store_b32 off, v2, off offset:32
	s_waitcnt vmcnt(0)
	ds_store_b32 v1, v3
.LBB126_369:
	s_or_b32 exec_lo, exec_lo, s0
	s_waitcnt lgkmcnt(0)
	s_waitcnt_vscnt null, 0x0
	s_barrier
	buffer_gl0_inv
	s_clause 0xd
	scratch_load_b128 v[131:134], off, off offset:32
	scratch_load_b128 v[135:138], off, off offset:48
	;; [unrolled: 1-line block ×13, first 2 shown]
	scratch_load_b96 v[183:185], off, off offset:240
	ds_load_2addr_b32 v[3:4], v2 offset0:73 offset1:74
	ds_load_2addr_b32 v[186:187], v2 offset0:75 offset1:76
	;; [unrolled: 1-line block ×3, first 2 shown]
	s_mov_b32 s0, exec_lo
	s_waitcnt vmcnt(13) lgkmcnt(2)
	v_fma_f32 v190, v132, v3, 0
	s_delay_alu instid0(VALU_DEP_1)
	v_fmac_f32_e32 v190, v133, v4
	ds_load_2addr_b32 v[3:4], v2 offset0:79 offset1:80
	ds_load_2addr_b32 v[132:133], v2 offset0:81 offset1:82
	s_waitcnt lgkmcnt(3)
	v_fmac_f32_e32 v190, v134, v186
	s_waitcnt vmcnt(12)
	s_delay_alu instid0(VALU_DEP_1) | instskip(SKIP_3) | instid1(VALU_DEP_1)
	v_fmac_f32_e32 v190, v135, v187
	ds_load_2addr_b32 v[134:135], v2 offset0:83 offset1:84
	s_waitcnt lgkmcnt(3)
	v_fmac_f32_e32 v190, v136, v188
	v_fmac_f32_e32 v190, v137, v189
	s_waitcnt lgkmcnt(2)
	s_delay_alu instid0(VALU_DEP_1) | instskip(SKIP_1) | instid1(VALU_DEP_1)
	v_fmac_f32_e32 v190, v138, v3
	s_waitcnt vmcnt(11)
	v_fmac_f32_e32 v190, v139, v4
	ds_load_2addr_b32 v[3:4], v2 offset0:85 offset1:86
	s_waitcnt lgkmcnt(2)
	v_fmac_f32_e32 v190, v140, v132
	s_delay_alu instid0(VALU_DEP_1) | instskip(SKIP_4) | instid1(VALU_DEP_1)
	v_fmac_f32_e32 v190, v141, v133
	ds_load_2addr_b32 v[132:133], v2 offset0:87 offset1:88
	s_waitcnt lgkmcnt(2)
	v_fmac_f32_e32 v190, v142, v134
	s_waitcnt vmcnt(10)
	v_fmac_f32_e32 v190, v143, v135
	ds_load_2addr_b32 v[134:135], v2 offset0:89 offset1:90
	s_waitcnt lgkmcnt(2)
	v_fmac_f32_e32 v190, v144, v3
	s_delay_alu instid0(VALU_DEP_1) | instskip(SKIP_4) | instid1(VALU_DEP_1)
	v_fmac_f32_e32 v190, v145, v4
	ds_load_2addr_b32 v[3:4], v2 offset0:91 offset1:92
	s_waitcnt lgkmcnt(2)
	;; [unrolled: 10-line block ×10, first 2 shown]
	v_fmac_f32_e32 v190, v178, v134
	s_waitcnt vmcnt(1)
	v_fmac_f32_e32 v190, v179, v135
	ds_load_2addr_b32 v[134:135], v2 offset0:125 offset1:126
	s_waitcnt lgkmcnt(2)
	v_fmac_f32_e32 v190, v180, v3
	s_delay_alu instid0(VALU_DEP_1) | instskip(SKIP_1) | instid1(VALU_DEP_1)
	v_fmac_f32_e32 v190, v181, v4
	s_waitcnt lgkmcnt(1)
	v_fmac_f32_e32 v190, v182, v132
	s_waitcnt vmcnt(0)
	s_delay_alu instid0(VALU_DEP_1) | instskip(SKIP_1) | instid1(VALU_DEP_1)
	v_fmac_f32_e32 v190, v183, v133
	s_waitcnt lgkmcnt(0)
	v_fmac_f32_e32 v190, v184, v134
	s_delay_alu instid0(VALU_DEP_1) | instskip(NEXT) | instid1(VALU_DEP_1)
	v_fmac_f32_e32 v190, v185, v135
	v_sub_f32_e32 v2, v131, v190
	scratch_store_b32 off, v2, off offset:32
	v_cmpx_lt_u32_e32 7, v0
	s_cbranch_execz .LBB126_371
; %bb.370:
	scratch_load_b32 v2, off, off offset:28
	v_mov_b32_e32 v3, 0
	scratch_store_b32 off, v3, off offset:28
	s_waitcnt vmcnt(0)
	ds_store_b32 v1, v2
.LBB126_371:
	s_or_b32 exec_lo, exec_lo, s0
	s_waitcnt lgkmcnt(0)
	s_waitcnt_vscnt null, 0x0
	s_barrier
	buffer_gl0_inv
	s_clause 0xd
	scratch_load_b128 v[131:134], off, off offset:28
	scratch_load_b128 v[135:138], off, off offset:44
	;; [unrolled: 1-line block ×14, first 2 shown]
	v_mov_b32_e32 v2, 0
	ds_load_b128 v[187:190], v2 offset:288
	ds_load_b128 v[191:194], v2 offset:304
	s_mov_b32 s0, exec_lo
	s_waitcnt vmcnt(13) lgkmcnt(1)
	v_fma_f32 v3, v132, v187, 0
	s_delay_alu instid0(VALU_DEP_1) | instskip(NEXT) | instid1(VALU_DEP_1)
	v_fmac_f32_e32 v3, v133, v188
	v_fmac_f32_e32 v3, v134, v189
	s_waitcnt vmcnt(12)
	s_delay_alu instid0(VALU_DEP_1) | instskip(SKIP_3) | instid1(VALU_DEP_1)
	v_fmac_f32_e32 v3, v135, v190
	ds_load_b128 v[132:135], v2 offset:320
	s_waitcnt lgkmcnt(1)
	v_fmac_f32_e32 v3, v136, v191
	v_fmac_f32_e32 v3, v137, v192
	s_delay_alu instid0(VALU_DEP_1) | instskip(SKIP_1) | instid1(VALU_DEP_1)
	v_fmac_f32_e32 v3, v138, v193
	s_waitcnt vmcnt(11)
	v_fmac_f32_e32 v3, v139, v194
	ds_load_b128 v[136:139], v2 offset:336
	s_waitcnt lgkmcnt(1)
	v_fmac_f32_e32 v3, v140, v132
	s_delay_alu instid0(VALU_DEP_1) | instskip(NEXT) | instid1(VALU_DEP_1)
	v_fmac_f32_e32 v3, v141, v133
	v_fmac_f32_e32 v3, v142, v134
	s_waitcnt vmcnt(10)
	s_delay_alu instid0(VALU_DEP_1) | instskip(SKIP_3) | instid1(VALU_DEP_1)
	v_fmac_f32_e32 v3, v143, v135
	ds_load_b128 v[132:135], v2 offset:352
	s_waitcnt lgkmcnt(1)
	v_fmac_f32_e32 v3, v144, v136
	v_fmac_f32_e32 v3, v145, v137
	s_delay_alu instid0(VALU_DEP_1) | instskip(SKIP_1) | instid1(VALU_DEP_1)
	v_fmac_f32_e32 v3, v146, v138
	s_waitcnt vmcnt(9)
	v_fmac_f32_e32 v3, v147, v139
	ds_load_b128 v[136:139], v2 offset:368
	s_waitcnt lgkmcnt(1)
	v_fmac_f32_e32 v3, v148, v132
	;; [unrolled: 17-line block ×5, first 2 shown]
	s_delay_alu instid0(VALU_DEP_1) | instskip(NEXT) | instid1(VALU_DEP_1)
	v_fmac_f32_e32 v3, v173, v133
	v_fmac_f32_e32 v3, v174, v134
	s_waitcnt vmcnt(2)
	s_delay_alu instid0(VALU_DEP_1) | instskip(SKIP_3) | instid1(VALU_DEP_1)
	v_fmac_f32_e32 v3, v175, v135
	ds_load_b128 v[132:135], v2 offset:480
	s_waitcnt lgkmcnt(1)
	v_fmac_f32_e32 v3, v176, v136
	v_fmac_f32_e32 v3, v177, v137
	s_delay_alu instid0(VALU_DEP_1) | instskip(SKIP_4) | instid1(VALU_DEP_1)
	v_fmac_f32_e32 v3, v178, v138
	ds_load_b96 v[136:138], v2 offset:496
	s_waitcnt vmcnt(1)
	v_fmac_f32_e32 v3, v179, v139
	s_waitcnt lgkmcnt(1)
	v_fmac_f32_e32 v3, v180, v132
	s_delay_alu instid0(VALU_DEP_1) | instskip(NEXT) | instid1(VALU_DEP_1)
	v_fmac_f32_e32 v3, v181, v133
	v_fmac_f32_e32 v3, v182, v134
	s_waitcnt vmcnt(0)
	s_delay_alu instid0(VALU_DEP_1) | instskip(SKIP_1) | instid1(VALU_DEP_1)
	v_fmac_f32_e32 v3, v183, v135
	s_waitcnt lgkmcnt(0)
	v_fmac_f32_e32 v3, v184, v136
	s_delay_alu instid0(VALU_DEP_1) | instskip(NEXT) | instid1(VALU_DEP_1)
	v_fmac_f32_e32 v3, v185, v137
	v_fmac_f32_e32 v3, v186, v138
	s_delay_alu instid0(VALU_DEP_1)
	v_sub_f32_e32 v3, v131, v3
	scratch_store_b32 off, v3, off offset:28
	v_cmpx_lt_u32_e32 6, v0
	s_cbranch_execz .LBB126_373
; %bb.372:
	scratch_load_b32 v3, off, off offset:24
	scratch_store_b32 off, v2, off offset:24
	s_waitcnt vmcnt(0)
	ds_store_b32 v1, v3
.LBB126_373:
	s_or_b32 exec_lo, exec_lo, s0
	s_waitcnt lgkmcnt(0)
	s_waitcnt_vscnt null, 0x0
	s_barrier
	buffer_gl0_inv
	s_clause 0xe
	scratch_load_b128 v[131:134], off, off offset:24
	scratch_load_b128 v[135:138], off, off offset:40
	;; [unrolled: 1-line block ×14, first 2 shown]
	scratch_load_b32 v193, off, off offset:248
	ds_load_2addr_b32 v[3:4], v2 offset0:71 offset1:72
	ds_load_2addr_b32 v[187:188], v2 offset0:73 offset1:74
	;; [unrolled: 1-line block ×4, first 2 shown]
	s_mov_b32 s0, exec_lo
	s_waitcnt vmcnt(14) lgkmcnt(3)
	v_fma_f32 v194, v132, v3, 0
	s_delay_alu instid0(VALU_DEP_1)
	v_fmac_f32_e32 v194, v133, v4
	ds_load_2addr_b32 v[3:4], v2 offset0:79 offset1:80
	ds_load_2addr_b32 v[132:133], v2 offset0:81 offset1:82
	s_waitcnt lgkmcnt(4)
	v_fmac_f32_e32 v194, v134, v187
	s_waitcnt vmcnt(13)
	s_delay_alu instid0(VALU_DEP_1) | instskip(SKIP_1) | instid1(VALU_DEP_1)
	v_fmac_f32_e32 v194, v135, v188
	s_waitcnt lgkmcnt(3)
	v_fmac_f32_e32 v194, v136, v189
	s_delay_alu instid0(VALU_DEP_1)
	v_fmac_f32_e32 v194, v137, v190
	ds_load_2addr_b32 v[134:135], v2 offset0:83 offset1:84
	ds_load_2addr_b32 v[136:137], v2 offset0:85 offset1:86
	s_waitcnt lgkmcnt(4)
	v_fmac_f32_e32 v194, v138, v191
	s_waitcnt vmcnt(12)
	s_delay_alu instid0(VALU_DEP_1) | instskip(SKIP_1) | instid1(VALU_DEP_1)
	v_fmac_f32_e32 v194, v139, v192
	s_waitcnt lgkmcnt(3)
	v_fmac_f32_e32 v194, v140, v3
	s_delay_alu instid0(VALU_DEP_1) | instskip(SKIP_4) | instid1(VALU_DEP_1)
	v_fmac_f32_e32 v194, v141, v4
	ds_load_2addr_b32 v[3:4], v2 offset0:87 offset1:88
	s_waitcnt lgkmcnt(3)
	v_fmac_f32_e32 v194, v142, v132
	s_waitcnt vmcnt(11)
	v_fmac_f32_e32 v194, v143, v133
	ds_load_2addr_b32 v[132:133], v2 offset0:89 offset1:90
	s_waitcnt lgkmcnt(3)
	v_fmac_f32_e32 v194, v144, v134
	s_delay_alu instid0(VALU_DEP_1) | instskip(SKIP_1) | instid1(VALU_DEP_1)
	v_fmac_f32_e32 v194, v145, v135
	s_waitcnt lgkmcnt(2)
	v_fmac_f32_e32 v194, v146, v136
	s_waitcnt vmcnt(10)
	s_delay_alu instid0(VALU_DEP_1) | instskip(SKIP_4) | instid1(VALU_DEP_1)
	v_fmac_f32_e32 v194, v147, v137
	ds_load_2addr_b32 v[134:135], v2 offset0:91 offset1:92
	ds_load_2addr_b32 v[136:137], v2 offset0:93 offset1:94
	s_waitcnt lgkmcnt(3)
	v_fmac_f32_e32 v194, v148, v3
	v_fmac_f32_e32 v194, v149, v4
	ds_load_2addr_b32 v[3:4], v2 offset0:95 offset1:96
	s_waitcnt lgkmcnt(3)
	v_fmac_f32_e32 v194, v150, v132
	s_waitcnt vmcnt(9)
	s_delay_alu instid0(VALU_DEP_1) | instskip(SKIP_3) | instid1(VALU_DEP_1)
	v_fmac_f32_e32 v194, v151, v133
	ds_load_2addr_b32 v[132:133], v2 offset0:97 offset1:98
	s_waitcnt lgkmcnt(3)
	v_fmac_f32_e32 v194, v152, v134
	v_fmac_f32_e32 v194, v153, v135
	s_waitcnt lgkmcnt(2)
	s_delay_alu instid0(VALU_DEP_1) | instskip(SKIP_1) | instid1(VALU_DEP_1)
	v_fmac_f32_e32 v194, v154, v136
	s_waitcnt vmcnt(8)
	v_fmac_f32_e32 v194, v155, v137
	ds_load_2addr_b32 v[134:135], v2 offset0:99 offset1:100
	ds_load_2addr_b32 v[136:137], v2 offset0:101 offset1:102
	s_waitcnt lgkmcnt(3)
	v_fmac_f32_e32 v194, v156, v3
	s_delay_alu instid0(VALU_DEP_1) | instskip(SKIP_4) | instid1(VALU_DEP_1)
	v_fmac_f32_e32 v194, v157, v4
	ds_load_2addr_b32 v[3:4], v2 offset0:103 offset1:104
	s_waitcnt lgkmcnt(3)
	v_fmac_f32_e32 v194, v158, v132
	s_waitcnt vmcnt(7)
	v_fmac_f32_e32 v194, v159, v133
	ds_load_2addr_b32 v[132:133], v2 offset0:105 offset1:106
	s_waitcnt lgkmcnt(3)
	v_fmac_f32_e32 v194, v160, v134
	s_delay_alu instid0(VALU_DEP_1) | instskip(SKIP_1) | instid1(VALU_DEP_1)
	v_fmac_f32_e32 v194, v161, v135
	s_waitcnt lgkmcnt(2)
	v_fmac_f32_e32 v194, v162, v136
	s_waitcnt vmcnt(6)
	s_delay_alu instid0(VALU_DEP_1) | instskip(SKIP_4) | instid1(VALU_DEP_1)
	v_fmac_f32_e32 v194, v163, v137
	ds_load_2addr_b32 v[134:135], v2 offset0:107 offset1:108
	ds_load_2addr_b32 v[136:137], v2 offset0:109 offset1:110
	s_waitcnt lgkmcnt(3)
	v_fmac_f32_e32 v194, v164, v3
	v_fmac_f32_e32 v194, v165, v4
	ds_load_2addr_b32 v[3:4], v2 offset0:111 offset1:112
	s_waitcnt lgkmcnt(3)
	v_fmac_f32_e32 v194, v166, v132
	s_waitcnt vmcnt(5)
	s_delay_alu instid0(VALU_DEP_1) | instskip(SKIP_3) | instid1(VALU_DEP_1)
	v_fmac_f32_e32 v194, v167, v133
	ds_load_2addr_b32 v[132:133], v2 offset0:113 offset1:114
	s_waitcnt lgkmcnt(3)
	v_fmac_f32_e32 v194, v168, v134
	v_fmac_f32_e32 v194, v169, v135
	s_waitcnt lgkmcnt(2)
	s_delay_alu instid0(VALU_DEP_1) | instskip(SKIP_1) | instid1(VALU_DEP_1)
	v_fmac_f32_e32 v194, v170, v136
	s_waitcnt vmcnt(4)
	v_fmac_f32_e32 v194, v171, v137
	ds_load_2addr_b32 v[134:135], v2 offset0:115 offset1:116
	ds_load_2addr_b32 v[136:137], v2 offset0:117 offset1:118
	s_waitcnt lgkmcnt(3)
	v_fmac_f32_e32 v194, v172, v3
	s_delay_alu instid0(VALU_DEP_1) | instskip(SKIP_4) | instid1(VALU_DEP_1)
	v_fmac_f32_e32 v194, v173, v4
	ds_load_2addr_b32 v[3:4], v2 offset0:119 offset1:120
	s_waitcnt lgkmcnt(3)
	v_fmac_f32_e32 v194, v174, v132
	s_waitcnt vmcnt(3)
	v_fmac_f32_e32 v194, v175, v133
	ds_load_2addr_b32 v[132:133], v2 offset0:121 offset1:122
	s_waitcnt lgkmcnt(3)
	v_fmac_f32_e32 v194, v176, v134
	s_delay_alu instid0(VALU_DEP_1) | instskip(SKIP_1) | instid1(VALU_DEP_1)
	v_fmac_f32_e32 v194, v177, v135
	s_waitcnt lgkmcnt(2)
	v_fmac_f32_e32 v194, v178, v136
	s_waitcnt vmcnt(2)
	s_delay_alu instid0(VALU_DEP_1) | instskip(SKIP_4) | instid1(VALU_DEP_1)
	v_fmac_f32_e32 v194, v179, v137
	ds_load_2addr_b32 v[134:135], v2 offset0:123 offset1:124
	ds_load_2addr_b32 v[136:137], v2 offset0:125 offset1:126
	s_waitcnt lgkmcnt(3)
	v_fmac_f32_e32 v194, v180, v3
	v_fmac_f32_e32 v194, v181, v4
	s_waitcnt lgkmcnt(2)
	s_delay_alu instid0(VALU_DEP_1) | instskip(SKIP_1) | instid1(VALU_DEP_1)
	v_fmac_f32_e32 v194, v182, v132
	s_waitcnt vmcnt(1)
	v_fmac_f32_e32 v194, v183, v133
	s_waitcnt lgkmcnt(1)
	s_delay_alu instid0(VALU_DEP_1) | instskip(NEXT) | instid1(VALU_DEP_1)
	v_fmac_f32_e32 v194, v184, v134
	v_fmac_f32_e32 v194, v185, v135
	s_waitcnt lgkmcnt(0)
	s_delay_alu instid0(VALU_DEP_1) | instskip(SKIP_1) | instid1(VALU_DEP_1)
	v_fmac_f32_e32 v194, v186, v136
	s_waitcnt vmcnt(0)
	v_fmac_f32_e32 v194, v193, v137
	s_delay_alu instid0(VALU_DEP_1)
	v_sub_f32_e32 v2, v131, v194
	scratch_store_b32 off, v2, off offset:24
	v_cmpx_lt_u32_e32 5, v0
	s_cbranch_execz .LBB126_375
; %bb.374:
	scratch_load_b32 v2, off, off offset:20
	v_mov_b32_e32 v3, 0
	scratch_store_b32 off, v3, off offset:20
	s_waitcnt vmcnt(0)
	ds_store_b32 v1, v2
.LBB126_375:
	s_or_b32 exec_lo, exec_lo, s0
	s_waitcnt lgkmcnt(0)
	s_waitcnt_vscnt null, 0x0
	s_barrier
	buffer_gl0_inv
	s_clause 0xe
	scratch_load_b128 v[131:134], off, off offset:20
	scratch_load_b128 v[135:138], off, off offset:36
	;; [unrolled: 1-line block ×14, first 2 shown]
	scratch_load_b64 v[3:4], off, off offset:244
	v_mov_b32_e32 v2, 0
	ds_load_2addr_b64 v[187:190], v2 offset0:35 offset1:36
	ds_load_2addr_b64 v[191:194], v2 offset0:37 offset1:38
	s_mov_b32 s0, exec_lo
	s_waitcnt vmcnt(14) lgkmcnt(1)
	v_fma_f32 v187, v132, v187, 0
	s_delay_alu instid0(VALU_DEP_1) | instskip(NEXT) | instid1(VALU_DEP_1)
	v_fmac_f32_e32 v187, v133, v188
	v_fmac_f32_e32 v187, v134, v189
	s_waitcnt vmcnt(13)
	s_delay_alu instid0(VALU_DEP_1) | instskip(SKIP_3) | instid1(VALU_DEP_1)
	v_fmac_f32_e32 v187, v135, v190
	ds_load_2addr_b64 v[132:135], v2 offset0:39 offset1:40
	s_waitcnt lgkmcnt(1)
	v_fmac_f32_e32 v187, v136, v191
	v_fmac_f32_e32 v187, v137, v192
	s_delay_alu instid0(VALU_DEP_1) | instskip(SKIP_1) | instid1(VALU_DEP_1)
	v_fmac_f32_e32 v187, v138, v193
	s_waitcnt vmcnt(12)
	v_fmac_f32_e32 v187, v139, v194
	ds_load_2addr_b64 v[136:139], v2 offset0:41 offset1:42
	s_waitcnt lgkmcnt(1)
	v_fmac_f32_e32 v187, v140, v132
	s_delay_alu instid0(VALU_DEP_1) | instskip(NEXT) | instid1(VALU_DEP_1)
	v_fmac_f32_e32 v187, v141, v133
	v_fmac_f32_e32 v187, v142, v134
	s_waitcnt vmcnt(11)
	s_delay_alu instid0(VALU_DEP_1) | instskip(SKIP_3) | instid1(VALU_DEP_1)
	v_fmac_f32_e32 v187, v143, v135
	ds_load_2addr_b64 v[132:135], v2 offset0:43 offset1:44
	s_waitcnt lgkmcnt(1)
	v_fmac_f32_e32 v187, v144, v136
	v_fmac_f32_e32 v187, v145, v137
	s_delay_alu instid0(VALU_DEP_1) | instskip(SKIP_1) | instid1(VALU_DEP_1)
	v_fmac_f32_e32 v187, v146, v138
	s_waitcnt vmcnt(10)
	v_fmac_f32_e32 v187, v147, v139
	ds_load_2addr_b64 v[136:139], v2 offset0:45 offset1:46
	s_waitcnt lgkmcnt(1)
	v_fmac_f32_e32 v187, v148, v132
	;; [unrolled: 17-line block ×6, first 2 shown]
	ds_load_b32 v132, v2 offset:504
	v_fmac_f32_e32 v187, v181, v133
	s_delay_alu instid0(VALU_DEP_1) | instskip(SKIP_1) | instid1(VALU_DEP_1)
	v_fmac_f32_e32 v187, v182, v134
	s_waitcnt vmcnt(1)
	v_fmac_f32_e32 v187, v183, v135
	s_waitcnt lgkmcnt(1)
	s_delay_alu instid0(VALU_DEP_1) | instskip(NEXT) | instid1(VALU_DEP_1)
	v_fmac_f32_e32 v187, v184, v136
	v_fmac_f32_e32 v187, v185, v137
	s_delay_alu instid0(VALU_DEP_1) | instskip(SKIP_1) | instid1(VALU_DEP_1)
	v_fmac_f32_e32 v187, v186, v138
	s_waitcnt vmcnt(0)
	v_fmac_f32_e32 v187, v3, v139
	s_waitcnt lgkmcnt(0)
	s_delay_alu instid0(VALU_DEP_1) | instskip(NEXT) | instid1(VALU_DEP_1)
	v_fmac_f32_e32 v187, v4, v132
	v_sub_f32_e32 v3, v131, v187
	scratch_store_b32 off, v3, off offset:20
	v_cmpx_lt_u32_e32 4, v0
	s_cbranch_execz .LBB126_377
; %bb.376:
	scratch_load_b32 v3, off, off offset:16
	scratch_store_b32 off, v2, off offset:16
	s_waitcnt vmcnt(0)
	ds_store_b32 v1, v3
.LBB126_377:
	s_or_b32 exec_lo, exec_lo, s0
	s_waitcnt lgkmcnt(0)
	s_waitcnt_vscnt null, 0x0
	s_barrier
	buffer_gl0_inv
	s_clause 0xe
	scratch_load_b128 v[131:134], off, off offset:16
	scratch_load_b128 v[135:138], off, off offset:32
	;; [unrolled: 1-line block ×14, first 2 shown]
	scratch_load_b96 v[187:189], off, off offset:240
	ds_load_2addr_b32 v[3:4], v2 offset0:69 offset1:70
	ds_load_2addr_b32 v[190:191], v2 offset0:71 offset1:72
	;; [unrolled: 1-line block ×4, first 2 shown]
	s_mov_b32 s0, exec_lo
	s_waitcnt vmcnt(14) lgkmcnt(3)
	v_fma_f32 v196, v132, v3, 0
	s_delay_alu instid0(VALU_DEP_1)
	v_fmac_f32_e32 v196, v133, v4
	ds_load_2addr_b32 v[3:4], v2 offset0:77 offset1:78
	ds_load_2addr_b32 v[132:133], v2 offset0:79 offset1:80
	s_waitcnt lgkmcnt(4)
	v_fmac_f32_e32 v196, v134, v190
	s_waitcnt vmcnt(13)
	s_delay_alu instid0(VALU_DEP_1) | instskip(SKIP_1) | instid1(VALU_DEP_1)
	v_fmac_f32_e32 v196, v135, v191
	s_waitcnt lgkmcnt(3)
	v_fmac_f32_e32 v196, v136, v192
	s_delay_alu instid0(VALU_DEP_1)
	v_fmac_f32_e32 v196, v137, v193
	ds_load_2addr_b32 v[134:135], v2 offset0:81 offset1:82
	ds_load_2addr_b32 v[136:137], v2 offset0:83 offset1:84
	s_waitcnt lgkmcnt(4)
	v_fmac_f32_e32 v196, v138, v194
	s_waitcnt vmcnt(12)
	s_delay_alu instid0(VALU_DEP_1) | instskip(SKIP_1) | instid1(VALU_DEP_1)
	v_fmac_f32_e32 v196, v139, v195
	s_waitcnt lgkmcnt(3)
	v_fmac_f32_e32 v196, v140, v3
	s_delay_alu instid0(VALU_DEP_1) | instskip(SKIP_4) | instid1(VALU_DEP_1)
	v_fmac_f32_e32 v196, v141, v4
	ds_load_2addr_b32 v[3:4], v2 offset0:85 offset1:86
	s_waitcnt lgkmcnt(3)
	v_fmac_f32_e32 v196, v142, v132
	s_waitcnt vmcnt(11)
	v_fmac_f32_e32 v196, v143, v133
	ds_load_2addr_b32 v[132:133], v2 offset0:87 offset1:88
	s_waitcnt lgkmcnt(3)
	v_fmac_f32_e32 v196, v144, v134
	s_delay_alu instid0(VALU_DEP_1) | instskip(SKIP_1) | instid1(VALU_DEP_1)
	v_fmac_f32_e32 v196, v145, v135
	s_waitcnt lgkmcnt(2)
	v_fmac_f32_e32 v196, v146, v136
	s_waitcnt vmcnt(10)
	s_delay_alu instid0(VALU_DEP_1) | instskip(SKIP_4) | instid1(VALU_DEP_1)
	v_fmac_f32_e32 v196, v147, v137
	ds_load_2addr_b32 v[134:135], v2 offset0:89 offset1:90
	ds_load_2addr_b32 v[136:137], v2 offset0:91 offset1:92
	s_waitcnt lgkmcnt(3)
	v_fmac_f32_e32 v196, v148, v3
	v_fmac_f32_e32 v196, v149, v4
	ds_load_2addr_b32 v[3:4], v2 offset0:93 offset1:94
	s_waitcnt lgkmcnt(3)
	v_fmac_f32_e32 v196, v150, v132
	s_waitcnt vmcnt(9)
	s_delay_alu instid0(VALU_DEP_1) | instskip(SKIP_3) | instid1(VALU_DEP_1)
	v_fmac_f32_e32 v196, v151, v133
	ds_load_2addr_b32 v[132:133], v2 offset0:95 offset1:96
	s_waitcnt lgkmcnt(3)
	v_fmac_f32_e32 v196, v152, v134
	v_fmac_f32_e32 v196, v153, v135
	s_waitcnt lgkmcnt(2)
	s_delay_alu instid0(VALU_DEP_1) | instskip(SKIP_1) | instid1(VALU_DEP_1)
	v_fmac_f32_e32 v196, v154, v136
	s_waitcnt vmcnt(8)
	v_fmac_f32_e32 v196, v155, v137
	ds_load_2addr_b32 v[134:135], v2 offset0:97 offset1:98
	ds_load_2addr_b32 v[136:137], v2 offset0:99 offset1:100
	s_waitcnt lgkmcnt(3)
	v_fmac_f32_e32 v196, v156, v3
	s_delay_alu instid0(VALU_DEP_1) | instskip(SKIP_4) | instid1(VALU_DEP_1)
	v_fmac_f32_e32 v196, v157, v4
	ds_load_2addr_b32 v[3:4], v2 offset0:101 offset1:102
	s_waitcnt lgkmcnt(3)
	v_fmac_f32_e32 v196, v158, v132
	s_waitcnt vmcnt(7)
	v_fmac_f32_e32 v196, v159, v133
	ds_load_2addr_b32 v[132:133], v2 offset0:103 offset1:104
	s_waitcnt lgkmcnt(3)
	v_fmac_f32_e32 v196, v160, v134
	s_delay_alu instid0(VALU_DEP_1) | instskip(SKIP_1) | instid1(VALU_DEP_1)
	v_fmac_f32_e32 v196, v161, v135
	s_waitcnt lgkmcnt(2)
	v_fmac_f32_e32 v196, v162, v136
	s_waitcnt vmcnt(6)
	s_delay_alu instid0(VALU_DEP_1) | instskip(SKIP_4) | instid1(VALU_DEP_1)
	v_fmac_f32_e32 v196, v163, v137
	ds_load_2addr_b32 v[134:135], v2 offset0:105 offset1:106
	ds_load_2addr_b32 v[136:137], v2 offset0:107 offset1:108
	s_waitcnt lgkmcnt(3)
	v_fmac_f32_e32 v196, v164, v3
	v_fmac_f32_e32 v196, v165, v4
	ds_load_2addr_b32 v[3:4], v2 offset0:109 offset1:110
	s_waitcnt lgkmcnt(3)
	v_fmac_f32_e32 v196, v166, v132
	s_waitcnt vmcnt(5)
	s_delay_alu instid0(VALU_DEP_1) | instskip(SKIP_3) | instid1(VALU_DEP_1)
	v_fmac_f32_e32 v196, v167, v133
	ds_load_2addr_b32 v[132:133], v2 offset0:111 offset1:112
	s_waitcnt lgkmcnt(3)
	v_fmac_f32_e32 v196, v168, v134
	v_fmac_f32_e32 v196, v169, v135
	s_waitcnt lgkmcnt(2)
	s_delay_alu instid0(VALU_DEP_1) | instskip(SKIP_1) | instid1(VALU_DEP_1)
	v_fmac_f32_e32 v196, v170, v136
	s_waitcnt vmcnt(4)
	v_fmac_f32_e32 v196, v171, v137
	ds_load_2addr_b32 v[134:135], v2 offset0:113 offset1:114
	ds_load_2addr_b32 v[136:137], v2 offset0:115 offset1:116
	s_waitcnt lgkmcnt(3)
	v_fmac_f32_e32 v196, v172, v3
	s_delay_alu instid0(VALU_DEP_1) | instskip(SKIP_4) | instid1(VALU_DEP_1)
	v_fmac_f32_e32 v196, v173, v4
	ds_load_2addr_b32 v[3:4], v2 offset0:117 offset1:118
	s_waitcnt lgkmcnt(3)
	v_fmac_f32_e32 v196, v174, v132
	s_waitcnt vmcnt(3)
	v_fmac_f32_e32 v196, v175, v133
	ds_load_2addr_b32 v[132:133], v2 offset0:119 offset1:120
	s_waitcnt lgkmcnt(3)
	v_fmac_f32_e32 v196, v176, v134
	s_delay_alu instid0(VALU_DEP_1) | instskip(SKIP_1) | instid1(VALU_DEP_1)
	v_fmac_f32_e32 v196, v177, v135
	s_waitcnt lgkmcnt(2)
	v_fmac_f32_e32 v196, v178, v136
	s_waitcnt vmcnt(2)
	s_delay_alu instid0(VALU_DEP_1)
	v_fmac_f32_e32 v196, v179, v137
	ds_load_2addr_b32 v[134:135], v2 offset0:121 offset1:122
	ds_load_2addr_b32 v[136:137], v2 offset0:123 offset1:124
	s_waitcnt lgkmcnt(3)
	v_fmac_f32_e32 v196, v180, v3
	ds_load_2addr_b32 v[2:3], v2 offset0:125 offset1:126
	v_fmac_f32_e32 v196, v181, v4
	s_waitcnt lgkmcnt(3)
	s_delay_alu instid0(VALU_DEP_1) | instskip(SKIP_1) | instid1(VALU_DEP_1)
	v_fmac_f32_e32 v196, v182, v132
	s_waitcnt vmcnt(1)
	v_fmac_f32_e32 v196, v183, v133
	s_waitcnt lgkmcnt(2)
	s_delay_alu instid0(VALU_DEP_1) | instskip(NEXT) | instid1(VALU_DEP_1)
	v_fmac_f32_e32 v196, v184, v134
	v_fmac_f32_e32 v196, v185, v135
	s_waitcnt lgkmcnt(1)
	s_delay_alu instid0(VALU_DEP_1) | instskip(SKIP_1) | instid1(VALU_DEP_1)
	v_fmac_f32_e32 v196, v186, v136
	s_waitcnt vmcnt(0)
	v_fmac_f32_e32 v196, v187, v137
	s_waitcnt lgkmcnt(0)
	s_delay_alu instid0(VALU_DEP_1) | instskip(NEXT) | instid1(VALU_DEP_1)
	v_fmac_f32_e32 v196, v188, v2
	v_fmac_f32_e32 v196, v189, v3
	s_delay_alu instid0(VALU_DEP_1)
	v_sub_f32_e32 v2, v131, v196
	scratch_store_b32 off, v2, off offset:16
	v_cmpx_lt_u32_e32 3, v0
	s_cbranch_execz .LBB126_379
; %bb.378:
	scratch_load_b32 v2, off, off offset:12
	v_mov_b32_e32 v3, 0
	scratch_store_b32 off, v3, off offset:12
	s_waitcnt vmcnt(0)
	ds_store_b32 v1, v2
.LBB126_379:
	s_or_b32 exec_lo, exec_lo, s0
	s_waitcnt lgkmcnt(0)
	s_waitcnt_vscnt null, 0x0
	s_barrier
	buffer_gl0_inv
	s_clause 0xe
	scratch_load_b128 v[131:134], off, off offset:12
	scratch_load_b128 v[135:138], off, off offset:28
	;; [unrolled: 1-line block ×15, first 2 shown]
	v_mov_b32_e32 v2, 0
	ds_load_b128 v[191:194], v2 offset:272
	ds_load_b128 v[195:198], v2 offset:288
	s_mov_b32 s0, exec_lo
	s_waitcnt vmcnt(14) lgkmcnt(1)
	v_fma_f32 v3, v132, v191, 0
	s_delay_alu instid0(VALU_DEP_1) | instskip(NEXT) | instid1(VALU_DEP_1)
	v_fmac_f32_e32 v3, v133, v192
	v_fmac_f32_e32 v3, v134, v193
	s_waitcnt vmcnt(13)
	s_delay_alu instid0(VALU_DEP_1) | instskip(SKIP_3) | instid1(VALU_DEP_1)
	v_fmac_f32_e32 v3, v135, v194
	ds_load_b128 v[132:135], v2 offset:304
	s_waitcnt lgkmcnt(1)
	v_fmac_f32_e32 v3, v136, v195
	v_fmac_f32_e32 v3, v137, v196
	s_delay_alu instid0(VALU_DEP_1) | instskip(SKIP_1) | instid1(VALU_DEP_1)
	v_fmac_f32_e32 v3, v138, v197
	s_waitcnt vmcnt(12)
	v_fmac_f32_e32 v3, v139, v198
	ds_load_b128 v[136:139], v2 offset:320
	s_waitcnt lgkmcnt(1)
	v_fmac_f32_e32 v3, v140, v132
	s_delay_alu instid0(VALU_DEP_1) | instskip(NEXT) | instid1(VALU_DEP_1)
	v_fmac_f32_e32 v3, v141, v133
	v_fmac_f32_e32 v3, v142, v134
	s_waitcnt vmcnt(11)
	s_delay_alu instid0(VALU_DEP_1) | instskip(SKIP_3) | instid1(VALU_DEP_1)
	v_fmac_f32_e32 v3, v143, v135
	ds_load_b128 v[132:135], v2 offset:336
	s_waitcnt lgkmcnt(1)
	v_fmac_f32_e32 v3, v144, v136
	v_fmac_f32_e32 v3, v145, v137
	s_delay_alu instid0(VALU_DEP_1) | instskip(SKIP_1) | instid1(VALU_DEP_1)
	v_fmac_f32_e32 v3, v146, v138
	s_waitcnt vmcnt(10)
	v_fmac_f32_e32 v3, v147, v139
	ds_load_b128 v[136:139], v2 offset:352
	s_waitcnt lgkmcnt(1)
	v_fmac_f32_e32 v3, v148, v132
	s_delay_alu instid0(VALU_DEP_1) | instskip(NEXT) | instid1(VALU_DEP_1)
	v_fmac_f32_e32 v3, v149, v133
	v_fmac_f32_e32 v3, v150, v134
	s_waitcnt vmcnt(9)
	s_delay_alu instid0(VALU_DEP_1) | instskip(SKIP_3) | instid1(VALU_DEP_1)
	v_fmac_f32_e32 v3, v151, v135
	ds_load_b128 v[132:135], v2 offset:368
	s_waitcnt lgkmcnt(1)
	v_fmac_f32_e32 v3, v152, v136
	v_fmac_f32_e32 v3, v153, v137
	s_delay_alu instid0(VALU_DEP_1) | instskip(SKIP_1) | instid1(VALU_DEP_1)
	v_fmac_f32_e32 v3, v154, v138
	s_waitcnt vmcnt(8)
	v_fmac_f32_e32 v3, v155, v139
	ds_load_b128 v[136:139], v2 offset:384
	s_waitcnt lgkmcnt(1)
	v_fmac_f32_e32 v3, v156, v132
	s_delay_alu instid0(VALU_DEP_1) | instskip(NEXT) | instid1(VALU_DEP_1)
	v_fmac_f32_e32 v3, v157, v133
	v_fmac_f32_e32 v3, v158, v134
	s_waitcnt vmcnt(7)
	s_delay_alu instid0(VALU_DEP_1) | instskip(SKIP_3) | instid1(VALU_DEP_1)
	v_fmac_f32_e32 v3, v159, v135
	ds_load_b128 v[132:135], v2 offset:400
	s_waitcnt lgkmcnt(1)
	v_fmac_f32_e32 v3, v160, v136
	v_fmac_f32_e32 v3, v161, v137
	s_delay_alu instid0(VALU_DEP_1) | instskip(SKIP_1) | instid1(VALU_DEP_1)
	v_fmac_f32_e32 v3, v162, v138
	s_waitcnt vmcnt(6)
	v_fmac_f32_e32 v3, v163, v139
	ds_load_b128 v[136:139], v2 offset:416
	s_waitcnt lgkmcnt(1)
	v_fmac_f32_e32 v3, v164, v132
	s_delay_alu instid0(VALU_DEP_1) | instskip(NEXT) | instid1(VALU_DEP_1)
	v_fmac_f32_e32 v3, v165, v133
	v_fmac_f32_e32 v3, v166, v134
	s_waitcnt vmcnt(5)
	s_delay_alu instid0(VALU_DEP_1) | instskip(SKIP_3) | instid1(VALU_DEP_1)
	v_fmac_f32_e32 v3, v167, v135
	ds_load_b128 v[132:135], v2 offset:432
	s_waitcnt lgkmcnt(1)
	v_fmac_f32_e32 v3, v168, v136
	v_fmac_f32_e32 v3, v169, v137
	s_delay_alu instid0(VALU_DEP_1) | instskip(SKIP_1) | instid1(VALU_DEP_1)
	v_fmac_f32_e32 v3, v170, v138
	s_waitcnt vmcnt(4)
	v_fmac_f32_e32 v3, v171, v139
	ds_load_b128 v[136:139], v2 offset:448
	s_waitcnt lgkmcnt(1)
	v_fmac_f32_e32 v3, v172, v132
	s_delay_alu instid0(VALU_DEP_1) | instskip(NEXT) | instid1(VALU_DEP_1)
	v_fmac_f32_e32 v3, v173, v133
	v_fmac_f32_e32 v3, v174, v134
	s_waitcnt vmcnt(3)
	s_delay_alu instid0(VALU_DEP_1) | instskip(SKIP_3) | instid1(VALU_DEP_1)
	v_fmac_f32_e32 v3, v175, v135
	ds_load_b128 v[132:135], v2 offset:464
	s_waitcnt lgkmcnt(1)
	v_fmac_f32_e32 v3, v176, v136
	v_fmac_f32_e32 v3, v177, v137
	s_delay_alu instid0(VALU_DEP_1) | instskip(SKIP_1) | instid1(VALU_DEP_1)
	v_fmac_f32_e32 v3, v178, v138
	s_waitcnt vmcnt(2)
	v_fmac_f32_e32 v3, v179, v139
	ds_load_b128 v[136:139], v2 offset:480
	s_waitcnt lgkmcnt(1)
	v_fmac_f32_e32 v3, v180, v132
	s_delay_alu instid0(VALU_DEP_1) | instskip(NEXT) | instid1(VALU_DEP_1)
	v_fmac_f32_e32 v3, v181, v133
	v_fmac_f32_e32 v3, v182, v134
	ds_load_b96 v[132:134], v2 offset:496
	s_waitcnt vmcnt(1)
	v_fmac_f32_e32 v3, v183, v135
	s_waitcnt lgkmcnt(1)
	s_delay_alu instid0(VALU_DEP_1) | instskip(NEXT) | instid1(VALU_DEP_1)
	v_fmac_f32_e32 v3, v184, v136
	v_fmac_f32_e32 v3, v185, v137
	s_delay_alu instid0(VALU_DEP_1) | instskip(SKIP_1) | instid1(VALU_DEP_1)
	v_fmac_f32_e32 v3, v186, v138
	s_waitcnt vmcnt(0)
	v_fmac_f32_e32 v3, v187, v139
	s_waitcnt lgkmcnt(0)
	s_delay_alu instid0(VALU_DEP_1) | instskip(NEXT) | instid1(VALU_DEP_1)
	v_fmac_f32_e32 v3, v188, v132
	v_fmac_f32_e32 v3, v189, v133
	s_delay_alu instid0(VALU_DEP_1) | instskip(NEXT) | instid1(VALU_DEP_1)
	v_fmac_f32_e32 v3, v190, v134
	v_sub_f32_e32 v3, v131, v3
	scratch_store_b32 off, v3, off offset:12
	v_cmpx_lt_u32_e32 2, v0
	s_cbranch_execz .LBB126_381
; %bb.380:
	scratch_load_b32 v3, off, off offset:8
	scratch_store_b32 off, v2, off offset:8
	s_waitcnt vmcnt(0)
	ds_store_b32 v1, v3
.LBB126_381:
	s_or_b32 exec_lo, exec_lo, s0
	s_waitcnt lgkmcnt(0)
	s_waitcnt_vscnt null, 0x0
	s_barrier
	buffer_gl0_inv
	s_clause 0xf
	scratch_load_b128 v[131:134], off, off offset:8
	scratch_load_b128 v[135:138], off, off offset:24
	;; [unrolled: 1-line block ×15, first 2 shown]
	scratch_load_b32 v197, off, off offset:248
	ds_load_2addr_b32 v[3:4], v2 offset0:67 offset1:68
	ds_load_2addr_b32 v[191:192], v2 offset0:69 offset1:70
	;; [unrolled: 1-line block ×4, first 2 shown]
	s_mov_b32 s0, exec_lo
	s_waitcnt vmcnt(15) lgkmcnt(3)
	v_fma_f32 v198, v132, v3, 0
	s_delay_alu instid0(VALU_DEP_1)
	v_fmac_f32_e32 v198, v133, v4
	ds_load_2addr_b32 v[3:4], v2 offset0:75 offset1:76
	ds_load_2addr_b32 v[132:133], v2 offset0:77 offset1:78
	s_waitcnt lgkmcnt(4)
	v_fmac_f32_e32 v198, v134, v191
	s_waitcnt vmcnt(14)
	s_delay_alu instid0(VALU_DEP_1) | instskip(SKIP_1) | instid1(VALU_DEP_1)
	v_fmac_f32_e32 v198, v135, v192
	s_waitcnt lgkmcnt(3)
	v_fmac_f32_e32 v198, v136, v193
	s_delay_alu instid0(VALU_DEP_1)
	v_fmac_f32_e32 v198, v137, v194
	ds_load_2addr_b32 v[134:135], v2 offset0:79 offset1:80
	ds_load_2addr_b32 v[136:137], v2 offset0:81 offset1:82
	s_waitcnt lgkmcnt(4)
	v_fmac_f32_e32 v198, v138, v195
	s_waitcnt vmcnt(13)
	s_delay_alu instid0(VALU_DEP_1) | instskip(SKIP_1) | instid1(VALU_DEP_1)
	v_fmac_f32_e32 v198, v139, v196
	s_waitcnt lgkmcnt(3)
	v_fmac_f32_e32 v198, v140, v3
	s_delay_alu instid0(VALU_DEP_1) | instskip(SKIP_4) | instid1(VALU_DEP_1)
	v_fmac_f32_e32 v198, v141, v4
	ds_load_2addr_b32 v[3:4], v2 offset0:83 offset1:84
	s_waitcnt lgkmcnt(3)
	v_fmac_f32_e32 v198, v142, v132
	s_waitcnt vmcnt(12)
	v_fmac_f32_e32 v198, v143, v133
	ds_load_2addr_b32 v[132:133], v2 offset0:85 offset1:86
	s_waitcnt lgkmcnt(3)
	v_fmac_f32_e32 v198, v144, v134
	s_delay_alu instid0(VALU_DEP_1) | instskip(SKIP_1) | instid1(VALU_DEP_1)
	v_fmac_f32_e32 v198, v145, v135
	s_waitcnt lgkmcnt(2)
	v_fmac_f32_e32 v198, v146, v136
	s_waitcnt vmcnt(11)
	s_delay_alu instid0(VALU_DEP_1) | instskip(SKIP_4) | instid1(VALU_DEP_1)
	v_fmac_f32_e32 v198, v147, v137
	ds_load_2addr_b32 v[134:135], v2 offset0:87 offset1:88
	ds_load_2addr_b32 v[136:137], v2 offset0:89 offset1:90
	s_waitcnt lgkmcnt(3)
	v_fmac_f32_e32 v198, v148, v3
	v_fmac_f32_e32 v198, v149, v4
	ds_load_2addr_b32 v[3:4], v2 offset0:91 offset1:92
	s_waitcnt lgkmcnt(3)
	v_fmac_f32_e32 v198, v150, v132
	s_waitcnt vmcnt(10)
	s_delay_alu instid0(VALU_DEP_1) | instskip(SKIP_3) | instid1(VALU_DEP_1)
	v_fmac_f32_e32 v198, v151, v133
	ds_load_2addr_b32 v[132:133], v2 offset0:93 offset1:94
	s_waitcnt lgkmcnt(3)
	v_fmac_f32_e32 v198, v152, v134
	v_fmac_f32_e32 v198, v153, v135
	s_waitcnt lgkmcnt(2)
	s_delay_alu instid0(VALU_DEP_1) | instskip(SKIP_1) | instid1(VALU_DEP_1)
	v_fmac_f32_e32 v198, v154, v136
	s_waitcnt vmcnt(9)
	v_fmac_f32_e32 v198, v155, v137
	ds_load_2addr_b32 v[134:135], v2 offset0:95 offset1:96
	ds_load_2addr_b32 v[136:137], v2 offset0:97 offset1:98
	s_waitcnt lgkmcnt(3)
	v_fmac_f32_e32 v198, v156, v3
	s_delay_alu instid0(VALU_DEP_1) | instskip(SKIP_4) | instid1(VALU_DEP_1)
	v_fmac_f32_e32 v198, v157, v4
	ds_load_2addr_b32 v[3:4], v2 offset0:99 offset1:100
	s_waitcnt lgkmcnt(3)
	v_fmac_f32_e32 v198, v158, v132
	s_waitcnt vmcnt(8)
	v_fmac_f32_e32 v198, v159, v133
	ds_load_2addr_b32 v[132:133], v2 offset0:101 offset1:102
	s_waitcnt lgkmcnt(3)
	v_fmac_f32_e32 v198, v160, v134
	s_delay_alu instid0(VALU_DEP_1) | instskip(SKIP_1) | instid1(VALU_DEP_1)
	v_fmac_f32_e32 v198, v161, v135
	s_waitcnt lgkmcnt(2)
	v_fmac_f32_e32 v198, v162, v136
	s_waitcnt vmcnt(7)
	s_delay_alu instid0(VALU_DEP_1) | instskip(SKIP_4) | instid1(VALU_DEP_1)
	v_fmac_f32_e32 v198, v163, v137
	ds_load_2addr_b32 v[134:135], v2 offset0:103 offset1:104
	ds_load_2addr_b32 v[136:137], v2 offset0:105 offset1:106
	s_waitcnt lgkmcnt(3)
	v_fmac_f32_e32 v198, v164, v3
	v_fmac_f32_e32 v198, v165, v4
	ds_load_2addr_b32 v[3:4], v2 offset0:107 offset1:108
	s_waitcnt lgkmcnt(3)
	v_fmac_f32_e32 v198, v166, v132
	s_waitcnt vmcnt(6)
	s_delay_alu instid0(VALU_DEP_1) | instskip(SKIP_3) | instid1(VALU_DEP_1)
	v_fmac_f32_e32 v198, v167, v133
	ds_load_2addr_b32 v[132:133], v2 offset0:109 offset1:110
	s_waitcnt lgkmcnt(3)
	v_fmac_f32_e32 v198, v168, v134
	v_fmac_f32_e32 v198, v169, v135
	s_waitcnt lgkmcnt(2)
	s_delay_alu instid0(VALU_DEP_1) | instskip(SKIP_1) | instid1(VALU_DEP_1)
	v_fmac_f32_e32 v198, v170, v136
	s_waitcnt vmcnt(5)
	v_fmac_f32_e32 v198, v171, v137
	ds_load_2addr_b32 v[134:135], v2 offset0:111 offset1:112
	ds_load_2addr_b32 v[136:137], v2 offset0:113 offset1:114
	s_waitcnt lgkmcnt(3)
	v_fmac_f32_e32 v198, v172, v3
	s_delay_alu instid0(VALU_DEP_1) | instskip(SKIP_4) | instid1(VALU_DEP_1)
	v_fmac_f32_e32 v198, v173, v4
	ds_load_2addr_b32 v[3:4], v2 offset0:115 offset1:116
	s_waitcnt lgkmcnt(3)
	v_fmac_f32_e32 v198, v174, v132
	s_waitcnt vmcnt(4)
	v_fmac_f32_e32 v198, v175, v133
	ds_load_2addr_b32 v[132:133], v2 offset0:117 offset1:118
	s_waitcnt lgkmcnt(3)
	v_fmac_f32_e32 v198, v176, v134
	s_delay_alu instid0(VALU_DEP_1) | instskip(SKIP_1) | instid1(VALU_DEP_1)
	v_fmac_f32_e32 v198, v177, v135
	s_waitcnt lgkmcnt(2)
	v_fmac_f32_e32 v198, v178, v136
	s_waitcnt vmcnt(3)
	s_delay_alu instid0(VALU_DEP_1) | instskip(SKIP_4) | instid1(VALU_DEP_1)
	v_fmac_f32_e32 v198, v179, v137
	ds_load_2addr_b32 v[134:135], v2 offset0:119 offset1:120
	ds_load_2addr_b32 v[136:137], v2 offset0:121 offset1:122
	s_waitcnt lgkmcnt(3)
	v_fmac_f32_e32 v198, v180, v3
	v_fmac_f32_e32 v198, v181, v4
	ds_load_2addr_b32 v[3:4], v2 offset0:123 offset1:124
	s_waitcnt lgkmcnt(3)
	v_fmac_f32_e32 v198, v182, v132
	s_waitcnt vmcnt(2)
	s_delay_alu instid0(VALU_DEP_1) | instskip(SKIP_3) | instid1(VALU_DEP_1)
	v_fmac_f32_e32 v198, v183, v133
	ds_load_2addr_b32 v[132:133], v2 offset0:125 offset1:126
	s_waitcnt lgkmcnt(3)
	v_fmac_f32_e32 v198, v184, v134
	v_fmac_f32_e32 v198, v185, v135
	s_waitcnt lgkmcnt(2)
	s_delay_alu instid0(VALU_DEP_1) | instskip(SKIP_1) | instid1(VALU_DEP_1)
	v_fmac_f32_e32 v198, v186, v136
	s_waitcnt vmcnt(1)
	v_fmac_f32_e32 v198, v187, v137
	s_waitcnt lgkmcnt(1)
	s_delay_alu instid0(VALU_DEP_1) | instskip(NEXT) | instid1(VALU_DEP_1)
	v_fmac_f32_e32 v198, v188, v3
	v_fmac_f32_e32 v198, v189, v4
	s_waitcnt lgkmcnt(0)
	s_delay_alu instid0(VALU_DEP_1) | instskip(SKIP_1) | instid1(VALU_DEP_1)
	v_fmac_f32_e32 v198, v190, v132
	s_waitcnt vmcnt(0)
	v_fmac_f32_e32 v198, v197, v133
	s_delay_alu instid0(VALU_DEP_1)
	v_sub_f32_e32 v2, v131, v198
	scratch_store_b32 off, v2, off offset:8
	v_cmpx_lt_u32_e32 1, v0
	s_cbranch_execz .LBB126_383
; %bb.382:
	scratch_load_b32 v2, off, off offset:4
	v_mov_b32_e32 v3, 0
	scratch_store_b32 off, v3, off offset:4
	s_waitcnt vmcnt(0)
	ds_store_b32 v1, v2
.LBB126_383:
	s_or_b32 exec_lo, exec_lo, s0
	s_waitcnt lgkmcnt(0)
	s_waitcnt_vscnt null, 0x0
	s_barrier
	buffer_gl0_inv
	s_clause 0xe
	scratch_load_b128 v[131:134], off, off offset:4
	scratch_load_b128 v[135:138], off, off offset:20
	;; [unrolled: 1-line block ×15, first 2 shown]
	v_mov_b32_e32 v3, 0
	scratch_load_b64 v[199:200], off, off offset:244
	s_mov_b32 s0, exec_lo
	ds_load_2addr_b64 v[191:194], v3 offset0:33 offset1:34
	ds_load_2addr_b64 v[195:198], v3 offset0:35 offset1:36
	s_waitcnt vmcnt(15) lgkmcnt(1)
	v_fma_f32 v2, v132, v191, 0
	s_delay_alu instid0(VALU_DEP_1) | instskip(SKIP_3) | instid1(VALU_DEP_1)
	v_fmac_f32_e32 v2, v133, v192
	ds_load_b32 v4, v3 offset:504
	v_fmac_f32_e32 v2, v134, v193
	s_waitcnt vmcnt(14)
	v_fmac_f32_e32 v2, v135, v194
	ds_load_2addr_b64 v[132:135], v3 offset0:37 offset1:38
	s_waitcnt lgkmcnt(2)
	v_fmac_f32_e32 v2, v136, v195
	s_delay_alu instid0(VALU_DEP_1) | instskip(NEXT) | instid1(VALU_DEP_1)
	v_fmac_f32_e32 v2, v137, v196
	v_fmac_f32_e32 v2, v138, v197
	s_waitcnt vmcnt(13)
	s_delay_alu instid0(VALU_DEP_1) | instskip(SKIP_3) | instid1(VALU_DEP_1)
	v_fmac_f32_e32 v2, v139, v198
	ds_load_2addr_b64 v[136:139], v3 offset0:39 offset1:40
	s_waitcnt lgkmcnt(1)
	v_fmac_f32_e32 v2, v140, v132
	v_fmac_f32_e32 v2, v141, v133
	s_delay_alu instid0(VALU_DEP_1) | instskip(SKIP_1) | instid1(VALU_DEP_1)
	v_fmac_f32_e32 v2, v142, v134
	s_waitcnt vmcnt(12)
	v_fmac_f32_e32 v2, v143, v135
	ds_load_2addr_b64 v[132:135], v3 offset0:41 offset1:42
	s_waitcnt lgkmcnt(1)
	v_fmac_f32_e32 v2, v144, v136
	s_delay_alu instid0(VALU_DEP_1) | instskip(NEXT) | instid1(VALU_DEP_1)
	v_fmac_f32_e32 v2, v145, v137
	v_fmac_f32_e32 v2, v146, v138
	s_waitcnt vmcnt(11)
	s_delay_alu instid0(VALU_DEP_1) | instskip(SKIP_3) | instid1(VALU_DEP_1)
	v_fmac_f32_e32 v2, v147, v139
	ds_load_2addr_b64 v[136:139], v3 offset0:43 offset1:44
	s_waitcnt lgkmcnt(1)
	v_fmac_f32_e32 v2, v148, v132
	v_fmac_f32_e32 v2, v149, v133
	s_delay_alu instid0(VALU_DEP_1) | instskip(SKIP_1) | instid1(VALU_DEP_1)
	;; [unrolled: 17-line block ×6, first 2 shown]
	v_fmac_f32_e32 v2, v182, v134
	s_waitcnt vmcnt(2)
	v_fmac_f32_e32 v2, v183, v135
	ds_load_2addr_b64 v[132:135], v3 offset0:61 offset1:62
	s_waitcnt lgkmcnt(1)
	v_fmac_f32_e32 v2, v184, v136
	s_delay_alu instid0(VALU_DEP_1) | instskip(NEXT) | instid1(VALU_DEP_1)
	v_fmac_f32_e32 v2, v185, v137
	v_fmac_f32_e32 v2, v186, v138
	s_waitcnt vmcnt(1)
	s_delay_alu instid0(VALU_DEP_1) | instskip(SKIP_1) | instid1(VALU_DEP_1)
	v_fmac_f32_e32 v2, v187, v139
	s_waitcnt lgkmcnt(0)
	v_fmac_f32_e32 v2, v188, v132
	s_delay_alu instid0(VALU_DEP_1) | instskip(NEXT) | instid1(VALU_DEP_1)
	v_fmac_f32_e32 v2, v189, v133
	v_fmac_f32_e32 v2, v190, v134
	s_waitcnt vmcnt(0)
	s_delay_alu instid0(VALU_DEP_1) | instskip(NEXT) | instid1(VALU_DEP_1)
	v_fmac_f32_e32 v2, v199, v135
	v_fmac_f32_e32 v2, v200, v4
	s_delay_alu instid0(VALU_DEP_1)
	v_sub_f32_e32 v2, v131, v2
	scratch_store_b32 off, v2, off offset:4
	v_cmpx_ne_u32_e32 0, v0
	s_cbranch_execz .LBB126_385
; %bb.384:
	scratch_load_b32 v0, off, off
	scratch_store_b32 off, v3, off
	s_waitcnt vmcnt(0)
	ds_store_b32 v1, v0
.LBB126_385:
	s_or_b32 exec_lo, exec_lo, s0
	s_waitcnt lgkmcnt(0)
	s_waitcnt_vscnt null, 0x0
	s_barrier
	buffer_gl0_inv
	s_clause 0xf
	scratch_load_b128 v[131:134], off, off
	scratch_load_b128 v[135:138], off, off offset:16
	scratch_load_b128 v[139:142], off, off offset:32
	;; [unrolled: 1-line block ×14, first 2 shown]
	scratch_load_b96 v[0:2], off, off offset:240
	ds_load_2addr_b32 v[191:192], v3 offset0:65 offset1:66
	ds_load_2addr_b32 v[193:194], v3 offset0:67 offset1:68
	ds_load_2addr_b32 v[195:196], v3 offset0:69 offset1:70
	ds_load_2addr_b32 v[197:198], v3 offset0:71 offset1:72
	s_and_b32 vcc_lo, exec_lo, s12
	s_waitcnt vmcnt(15) lgkmcnt(3)
	v_fma_f32 v191, v132, v191, 0
	s_delay_alu instid0(VALU_DEP_1) | instskip(SKIP_4) | instid1(VALU_DEP_1)
	v_fmac_f32_e32 v191, v133, v192
	ds_load_2addr_b32 v[132:133], v3 offset0:73 offset1:74
	s_waitcnt lgkmcnt(3)
	v_fmac_f32_e32 v191, v134, v193
	s_waitcnt vmcnt(14)
	v_fmac_f32_e32 v191, v135, v194
	ds_load_2addr_b32 v[134:135], v3 offset0:75 offset1:76
	s_waitcnt lgkmcnt(3)
	v_fmac_f32_e32 v191, v136, v195
	s_delay_alu instid0(VALU_DEP_1) | instskip(SKIP_1) | instid1(VALU_DEP_1)
	v_fmac_f32_e32 v191, v137, v196
	s_waitcnt lgkmcnt(2)
	v_fmac_f32_e32 v191, v138, v197
	s_waitcnt vmcnt(13)
	s_delay_alu instid0(VALU_DEP_1) | instskip(SKIP_4) | instid1(VALU_DEP_1)
	v_fmac_f32_e32 v191, v139, v198
	ds_load_2addr_b32 v[136:137], v3 offset0:77 offset1:78
	ds_load_2addr_b32 v[138:139], v3 offset0:79 offset1:80
	s_waitcnt lgkmcnt(3)
	v_fmac_f32_e32 v191, v140, v132
	v_fmac_f32_e32 v191, v141, v133
	ds_load_2addr_b32 v[132:133], v3 offset0:81 offset1:82
	s_waitcnt lgkmcnt(3)
	v_fmac_f32_e32 v191, v142, v134
	s_waitcnt vmcnt(12)
	s_delay_alu instid0(VALU_DEP_1) | instskip(SKIP_3) | instid1(VALU_DEP_1)
	v_fmac_f32_e32 v191, v143, v135
	ds_load_2addr_b32 v[134:135], v3 offset0:83 offset1:84
	s_waitcnt lgkmcnt(3)
	v_fmac_f32_e32 v191, v144, v136
	v_fmac_f32_e32 v191, v145, v137
	s_waitcnt lgkmcnt(2)
	s_delay_alu instid0(VALU_DEP_1) | instskip(SKIP_1) | instid1(VALU_DEP_1)
	v_fmac_f32_e32 v191, v146, v138
	s_waitcnt vmcnt(11)
	v_fmac_f32_e32 v191, v147, v139
	ds_load_2addr_b32 v[136:137], v3 offset0:85 offset1:86
	ds_load_2addr_b32 v[138:139], v3 offset0:87 offset1:88
	s_waitcnt lgkmcnt(3)
	v_fmac_f32_e32 v191, v148, v132
	s_delay_alu instid0(VALU_DEP_1) | instskip(SKIP_4) | instid1(VALU_DEP_1)
	v_fmac_f32_e32 v191, v149, v133
	ds_load_2addr_b32 v[132:133], v3 offset0:89 offset1:90
	s_waitcnt lgkmcnt(3)
	v_fmac_f32_e32 v191, v150, v134
	s_waitcnt vmcnt(10)
	v_fmac_f32_e32 v191, v151, v135
	ds_load_2addr_b32 v[134:135], v3 offset0:91 offset1:92
	s_waitcnt lgkmcnt(3)
	v_fmac_f32_e32 v191, v152, v136
	s_delay_alu instid0(VALU_DEP_1) | instskip(SKIP_1) | instid1(VALU_DEP_1)
	v_fmac_f32_e32 v191, v153, v137
	s_waitcnt lgkmcnt(2)
	v_fmac_f32_e32 v191, v154, v138
	s_waitcnt vmcnt(9)
	s_delay_alu instid0(VALU_DEP_1) | instskip(SKIP_4) | instid1(VALU_DEP_1)
	v_fmac_f32_e32 v191, v155, v139
	ds_load_2addr_b32 v[136:137], v3 offset0:93 offset1:94
	ds_load_2addr_b32 v[138:139], v3 offset0:95 offset1:96
	s_waitcnt lgkmcnt(3)
	v_fmac_f32_e32 v191, v156, v132
	v_fmac_f32_e32 v191, v157, v133
	ds_load_2addr_b32 v[132:133], v3 offset0:97 offset1:98
	s_waitcnt lgkmcnt(3)
	v_fmac_f32_e32 v191, v158, v134
	s_waitcnt vmcnt(8)
	s_delay_alu instid0(VALU_DEP_1) | instskip(SKIP_3) | instid1(VALU_DEP_1)
	v_fmac_f32_e32 v191, v159, v135
	ds_load_2addr_b32 v[134:135], v3 offset0:99 offset1:100
	s_waitcnt lgkmcnt(3)
	v_fmac_f32_e32 v191, v160, v136
	v_fmac_f32_e32 v191, v161, v137
	s_waitcnt lgkmcnt(2)
	s_delay_alu instid0(VALU_DEP_1) | instskip(SKIP_1) | instid1(VALU_DEP_1)
	v_fmac_f32_e32 v191, v162, v138
	s_waitcnt vmcnt(7)
	v_fmac_f32_e32 v191, v163, v139
	ds_load_2addr_b32 v[136:137], v3 offset0:101 offset1:102
	ds_load_2addr_b32 v[138:139], v3 offset0:103 offset1:104
	s_waitcnt lgkmcnt(3)
	v_fmac_f32_e32 v191, v164, v132
	;; [unrolled: 41-line block ×3, first 2 shown]
	s_delay_alu instid0(VALU_DEP_1) | instskip(SKIP_4) | instid1(VALU_DEP_1)
	v_fmac_f32_e32 v191, v181, v133
	ds_load_2addr_b32 v[132:133], v3 offset0:121 offset1:122
	s_waitcnt lgkmcnt(3)
	v_fmac_f32_e32 v191, v182, v134
	s_waitcnt vmcnt(2)
	v_fmac_f32_e32 v191, v183, v135
	ds_load_2addr_b32 v[134:135], v3 offset0:123 offset1:124
	ds_load_2addr_b32 v[3:4], v3 offset0:125 offset1:126
	s_waitcnt lgkmcnt(4)
	v_fmac_f32_e32 v191, v184, v136
	s_delay_alu instid0(VALU_DEP_1) | instskip(SKIP_1) | instid1(VALU_DEP_1)
	v_fmac_f32_e32 v191, v185, v137
	s_waitcnt lgkmcnt(3)
	v_fmac_f32_e32 v191, v186, v138
	s_waitcnt vmcnt(1)
	s_delay_alu instid0(VALU_DEP_1) | instskip(SKIP_1) | instid1(VALU_DEP_1)
	v_fmac_f32_e32 v191, v187, v139
	s_waitcnt lgkmcnt(2)
	v_fmac_f32_e32 v191, v188, v132
	s_delay_alu instid0(VALU_DEP_1) | instskip(SKIP_1) | instid1(VALU_DEP_1)
	v_fmac_f32_e32 v191, v189, v133
	s_waitcnt lgkmcnt(1)
	v_fmac_f32_e32 v191, v190, v134
	s_waitcnt vmcnt(0)
	s_delay_alu instid0(VALU_DEP_1) | instskip(SKIP_1) | instid1(VALU_DEP_1)
	v_fmac_f32_e32 v191, v0, v135
	s_waitcnt lgkmcnt(0)
	v_fmac_f32_e32 v191, v1, v3
	s_delay_alu instid0(VALU_DEP_1) | instskip(NEXT) | instid1(VALU_DEP_1)
	v_fmac_f32_e32 v191, v2, v4
	v_sub_f32_e32 v0, v131, v191
	scratch_store_b32 off, v0, off
	s_cbranch_vccz .LBB126_511
; %bb.386:
	v_dual_mov_b32 v2, s2 :: v_dual_mov_b32 v3, s3
	s_mov_b32 s0, exec_lo
	flat_load_b32 v0, v[2:3] offset:244
	s_waitcnt vmcnt(0) lgkmcnt(0)
	v_cmpx_ne_u32_e32 62, v0
	s_cbranch_execz .LBB126_388
; %bb.387:
	v_lshl_add_u32 v0, v0, 2, 0
	scratch_load_b32 v2, v0, off offset:-4
	s_waitcnt vmcnt(0)
	scratch_store_b32 off, v2, off offset:244
	scratch_store_b32 v0, v1, off offset:-4
.LBB126_388:
	s_or_b32 exec_lo, exec_lo, s0
	v_dual_mov_b32 v0, s2 :: v_dual_mov_b32 v1, s3
	s_mov_b32 s0, exec_lo
	flat_load_b32 v0, v[0:1] offset:240
	s_waitcnt vmcnt(0) lgkmcnt(0)
	v_cmpx_ne_u32_e32 61, v0
	s_cbranch_execz .LBB126_390
; %bb.389:
	v_lshl_add_u32 v0, v0, 2, 0
	scratch_load_b32 v1, v0, off offset:-4
	scratch_load_b32 v2, off, off offset:240
	s_waitcnt vmcnt(1)
	scratch_store_b32 off, v1, off offset:240
	s_waitcnt vmcnt(0)
	scratch_store_b32 v0, v2, off offset:-4
.LBB126_390:
	s_or_b32 exec_lo, exec_lo, s0
	v_dual_mov_b32 v0, s2 :: v_dual_mov_b32 v1, s3
	s_mov_b32 s0, exec_lo
	flat_load_b32 v0, v[0:1] offset:236
	s_waitcnt vmcnt(0) lgkmcnt(0)
	v_cmpx_ne_u32_e32 60, v0
	s_cbranch_execz .LBB126_392
; %bb.391:
	v_lshl_add_u32 v0, v0, 2, 0
	scratch_load_b32 v1, v0, off offset:-4
	scratch_load_b32 v2, off, off offset:236
	s_waitcnt vmcnt(1)
	scratch_store_b32 off, v1, off offset:236
	s_waitcnt vmcnt(0)
	scratch_store_b32 v0, v2, off offset:-4
.LBB126_392:
	;; [unrolled: 16-line block ×60, first 2 shown]
	s_or_b32 exec_lo, exec_lo, s0
	v_dual_mov_b32 v0, s2 :: v_dual_mov_b32 v1, s3
	s_mov_b32 s0, exec_lo
	flat_load_b32 v1, v[0:1]
	scratch_load_b32 v0, off, off
	s_waitcnt vmcnt(1) lgkmcnt(0)
	v_cmpx_ne_u32_e32 1, v1
	s_cbranch_execz .LBB126_510
; %bb.509:
	v_lshl_add_u32 v1, v1, 2, 0
	scratch_load_b32 v2, v1, off offset:-4
	s_waitcnt vmcnt(0)
	scratch_store_b32 off, v2, off
	scratch_store_b32 v1, v0, off offset:-4
	scratch_load_b32 v0, off, off
.LBB126_510:
	s_or_b32 exec_lo, exec_lo, s0
.LBB126_511:
	s_clause 0xf
	scratch_load_b128 v[1:4], off, off offset:4
	scratch_load_b128 v[131:134], off, off offset:20
	;; [unrolled: 1-line block ×15, first 2 shown]
	scratch_load_b64 v[187:188], off, off offset:244
	s_waitcnt vmcnt(16)
	global_store_b32 v[5:6], v0, off
	s_waitcnt vmcnt(15)
	s_clause 0x3
	global_store_b32 v[7:8], v1, off
	global_store_b32 v[9:10], v2, off
	global_store_b32 v[11:12], v3, off
	global_store_b32 v[13:14], v4, off
	s_waitcnt vmcnt(14)
	s_clause 0x3
	global_store_b32 v[15:16], v131, off
	global_store_b32 v[17:18], v132, off
	global_store_b32 v[19:20], v133, off
	;; [unrolled: 6-line block ×15, first 2 shown]
	global_store_b32 v[127:128], v186, off
	s_waitcnt vmcnt(0)
	s_clause 0x1
	global_store_b32 v[129:130], v187, off
	global_store_b32 v[73:74], v188, off
	s_endpgm
	.section	.rodata,"a",@progbits
	.p2align	6, 0x0
	.amdhsa_kernel _ZN9rocsolver6v33100L18getri_kernel_smallILi63EfPKPfEEvT1_iilPiilS6_bb
		.amdhsa_group_segment_fixed_size 508
		.amdhsa_private_segment_fixed_size 256
		.amdhsa_kernarg_size 60
		.amdhsa_user_sgpr_count 15
		.amdhsa_user_sgpr_dispatch_ptr 0
		.amdhsa_user_sgpr_queue_ptr 0
		.amdhsa_user_sgpr_kernarg_segment_ptr 1
		.amdhsa_user_sgpr_dispatch_id 0
		.amdhsa_user_sgpr_private_segment_size 0
		.amdhsa_wavefront_size32 1
		.amdhsa_uses_dynamic_stack 0
		.amdhsa_enable_private_segment 1
		.amdhsa_system_sgpr_workgroup_id_x 1
		.amdhsa_system_sgpr_workgroup_id_y 0
		.amdhsa_system_sgpr_workgroup_id_z 0
		.amdhsa_system_sgpr_workgroup_info 0
		.amdhsa_system_vgpr_workitem_id 0
		.amdhsa_next_free_vgpr 201
		.amdhsa_next_free_sgpr 17
		.amdhsa_reserve_vcc 1
		.amdhsa_float_round_mode_32 0
		.amdhsa_float_round_mode_16_64 0
		.amdhsa_float_denorm_mode_32 3
		.amdhsa_float_denorm_mode_16_64 3
		.amdhsa_dx10_clamp 1
		.amdhsa_ieee_mode 1
		.amdhsa_fp16_overflow 0
		.amdhsa_workgroup_processor_mode 1
		.amdhsa_memory_ordered 1
		.amdhsa_forward_progress 0
		.amdhsa_shared_vgpr_count 0
		.amdhsa_exception_fp_ieee_invalid_op 0
		.amdhsa_exception_fp_denorm_src 0
		.amdhsa_exception_fp_ieee_div_zero 0
		.amdhsa_exception_fp_ieee_overflow 0
		.amdhsa_exception_fp_ieee_underflow 0
		.amdhsa_exception_fp_ieee_inexact 0
		.amdhsa_exception_int_div_zero 0
	.end_amdhsa_kernel
	.section	.text._ZN9rocsolver6v33100L18getri_kernel_smallILi63EfPKPfEEvT1_iilPiilS6_bb,"axG",@progbits,_ZN9rocsolver6v33100L18getri_kernel_smallILi63EfPKPfEEvT1_iilPiilS6_bb,comdat
.Lfunc_end126:
	.size	_ZN9rocsolver6v33100L18getri_kernel_smallILi63EfPKPfEEvT1_iilPiilS6_bb, .Lfunc_end126-_ZN9rocsolver6v33100L18getri_kernel_smallILi63EfPKPfEEvT1_iilPiilS6_bb
                                        ; -- End function
	.section	.AMDGPU.csdata,"",@progbits
; Kernel info:
; codeLenInByte = 51824
; NumSgprs: 19
; NumVgprs: 201
; ScratchSize: 256
; MemoryBound: 0
; FloatMode: 240
; IeeeMode: 1
; LDSByteSize: 508 bytes/workgroup (compile time only)
; SGPRBlocks: 2
; VGPRBlocks: 25
; NumSGPRsForWavesPerEU: 19
; NumVGPRsForWavesPerEU: 201
; Occupancy: 7
; WaveLimiterHint : 1
; COMPUTE_PGM_RSRC2:SCRATCH_EN: 1
; COMPUTE_PGM_RSRC2:USER_SGPR: 15
; COMPUTE_PGM_RSRC2:TRAP_HANDLER: 0
; COMPUTE_PGM_RSRC2:TGID_X_EN: 1
; COMPUTE_PGM_RSRC2:TGID_Y_EN: 0
; COMPUTE_PGM_RSRC2:TGID_Z_EN: 0
; COMPUTE_PGM_RSRC2:TIDIG_COMP_CNT: 0
	.section	.text._ZN9rocsolver6v33100L18getri_kernel_smallILi64EfPKPfEEvT1_iilPiilS6_bb,"axG",@progbits,_ZN9rocsolver6v33100L18getri_kernel_smallILi64EfPKPfEEvT1_iilPiilS6_bb,comdat
	.globl	_ZN9rocsolver6v33100L18getri_kernel_smallILi64EfPKPfEEvT1_iilPiilS6_bb ; -- Begin function _ZN9rocsolver6v33100L18getri_kernel_smallILi64EfPKPfEEvT1_iilPiilS6_bb
	.p2align	8
	.type	_ZN9rocsolver6v33100L18getri_kernel_smallILi64EfPKPfEEvT1_iilPiilS6_bb,@function
_ZN9rocsolver6v33100L18getri_kernel_smallILi64EfPKPfEEvT1_iilPiilS6_bb: ; @_ZN9rocsolver6v33100L18getri_kernel_smallILi64EfPKPfEEvT1_iilPiilS6_bb
; %bb.0:
	s_mov_b32 s2, exec_lo
	v_cmpx_gt_u32_e32 64, v0
	s_cbranch_execz .LBB127_264
; %bb.1:
	s_clause 0x1
	s_load_b32 s13, s[0:1], 0x38
	s_load_b64 s[2:3], s[0:1], 0x0
	s_mov_b32 s8, s15
	s_load_b128 s[4:7], s[0:1], 0x28
	s_waitcnt lgkmcnt(0)
	s_bitcmp1_b32 s13, 8
	s_cselect_b32 s12, -1, 0
	s_ashr_i32 s9, s15, 31
	s_delay_alu instid0(SALU_CYCLE_1) | instskip(NEXT) | instid1(SALU_CYCLE_1)
	s_lshl_b64 s[10:11], s[8:9], 3
	s_add_u32 s2, s2, s10
	s_addc_u32 s3, s3, s11
	s_load_b64 s[10:11], s[2:3], 0x0
	s_bfe_u32 s2, s13, 0x10008
	s_delay_alu instid0(SALU_CYCLE_1)
	s_cmp_eq_u32 s2, 0
                                        ; implicit-def: $sgpr2_sgpr3
	s_cbranch_scc1 .LBB127_3
; %bb.2:
	s_clause 0x1
	s_load_b32 s2, s[0:1], 0x20
	s_load_b64 s[14:15], s[0:1], 0x18
	s_mul_i32 s3, s8, s5
	s_mul_hi_u32 s5, s8, s4
	s_mul_i32 s16, s9, s4
	s_add_i32 s3, s5, s3
	s_mul_i32 s4, s8, s4
	s_add_i32 s5, s3, s16
	s_delay_alu instid0(SALU_CYCLE_1)
	s_lshl_b64 s[4:5], s[4:5], 2
	s_waitcnt lgkmcnt(0)
	s_ashr_i32 s3, s2, 31
	s_add_u32 s4, s14, s4
	s_addc_u32 s5, s15, s5
	s_lshl_b64 s[2:3], s[2:3], 2
	s_delay_alu instid0(SALU_CYCLE_1)
	s_add_u32 s2, s4, s2
	s_addc_u32 s3, s5, s3
.LBB127_3:
	s_load_b64 s[0:1], s[0:1], 0x8
	v_lshlrev_b32_e32 v133, 2, v0
	s_waitcnt lgkmcnt(0)
	v_add3_u32 v2, s1, s1, v0
	s_ashr_i32 s5, s0, 31
	s_mov_b32 s4, s0
	s_mov_b32 s14, s1
	s_lshl_b64 s[4:5], s[4:5], 2
	v_add_nc_u32_e32 v9, s1, v2
	v_ashrrev_i32_e32 v3, 31, v2
	s_add_u32 s4, s10, s4
	s_addc_u32 s5, s11, s5
	v_add_co_u32 v5, s0, s4, v133
	v_add_nc_u32_e32 v11, s1, v9
	v_ashrrev_i32_e32 v10, 31, v9
	s_ashr_i32 s15, s1, 31
	v_add_co_ci_u32_e64 v6, null, s5, 0, s0
	s_delay_alu instid0(VALU_DEP_3)
	v_add_nc_u32_e32 v13, s1, v11
	v_lshlrev_b64 v[2:3], 2, v[2:3]
	s_lshl_b64 s[10:11], s[14:15], 2
	v_lshlrev_b64 v[54:55], 2, v[9:10]
	v_add_co_u32 v7, vcc_lo, v5, s10
	v_add_nc_u32_e32 v15, s1, v13
	v_ashrrev_i32_e32 v12, 31, v11
	v_add_co_ci_u32_e32 v8, vcc_lo, s11, v6, vcc_lo
	v_add_co_u32 v9, vcc_lo, s4, v2
	s_delay_alu instid0(VALU_DEP_4) | instskip(SKIP_3) | instid1(VALU_DEP_4)
	v_add_nc_u32_e32 v17, s1, v15
	v_ashrrev_i32_e32 v14, 31, v13
	v_add_co_ci_u32_e32 v10, vcc_lo, s5, v3, vcc_lo
	v_lshlrev_b64 v[2:3], 2, v[11:12]
	v_add_nc_u32_e32 v19, s1, v17
	v_add_co_u32 v11, vcc_lo, s4, v54
	v_add_co_ci_u32_e32 v12, vcc_lo, s5, v55, vcc_lo
	s_delay_alu instid0(VALU_DEP_3) | instskip(SKIP_3) | instid1(VALU_DEP_4)
	v_add_nc_u32_e32 v21, s1, v19
	v_lshlrev_b64 v[54:55], 2, v[13:14]
	v_ashrrev_i32_e32 v16, 31, v15
	v_add_co_u32 v13, vcc_lo, s4, v2
	v_add_nc_u32_e32 v23, s1, v21
	v_ashrrev_i32_e32 v18, 31, v17
	v_add_co_ci_u32_e32 v14, vcc_lo, s5, v3, vcc_lo
	v_lshlrev_b64 v[2:3], 2, v[15:16]
	s_delay_alu instid0(VALU_DEP_4) | instskip(SKIP_2) | instid1(VALU_DEP_3)
	v_add_nc_u32_e32 v25, s1, v23
	v_add_co_u32 v15, vcc_lo, s4, v54
	v_add_co_ci_u32_e32 v16, vcc_lo, s5, v55, vcc_lo
	v_add_nc_u32_e32 v27, s1, v25
	v_lshlrev_b64 v[54:55], 2, v[17:18]
	v_ashrrev_i32_e32 v20, 31, v19
	v_add_co_u32 v17, vcc_lo, s4, v2
	s_delay_alu instid0(VALU_DEP_4) | instskip(SKIP_3) | instid1(VALU_DEP_4)
	v_add_nc_u32_e32 v29, s1, v27
	v_ashrrev_i32_e32 v22, 31, v21
	v_add_co_ci_u32_e32 v18, vcc_lo, s5, v3, vcc_lo
	v_lshlrev_b64 v[2:3], 2, v[19:20]
	v_add_nc_u32_e32 v31, s1, v29
	v_add_co_u32 v19, vcc_lo, s4, v54
	v_ashrrev_i32_e32 v24, 31, v23
	v_add_co_ci_u32_e32 v20, vcc_lo, s5, v55, vcc_lo
	s_delay_alu instid0(VALU_DEP_4) | instskip(SKIP_3) | instid1(VALU_DEP_4)
	v_add_nc_u32_e32 v33, s1, v31
	v_lshlrev_b64 v[54:55], 2, v[21:22]
	v_add_co_u32 v21, vcc_lo, s4, v2
	v_lshlrev_b64 v[69:70], 2, v[23:24]
	v_add_nc_u32_e32 v35, s1, v33
	v_ashrrev_i32_e32 v26, 31, v25
	v_add_co_ci_u32_e32 v22, vcc_lo, s5, v3, vcc_lo
	v_add_co_u32 v23, vcc_lo, s4, v54
	s_delay_alu instid0(VALU_DEP_4) | instskip(SKIP_3) | instid1(VALU_DEP_4)
	v_add_nc_u32_e32 v37, s1, v35
	v_ashrrev_i32_e32 v28, 31, v27
	v_add_co_ci_u32_e32 v24, vcc_lo, s5, v55, vcc_lo
	v_lshlrev_b64 v[54:55], 2, v[25:26]
	v_add_nc_u32_e32 v39, s1, v37
	v_add_co_u32 v25, vcc_lo, s4, v69
	v_add_co_ci_u32_e32 v26, vcc_lo, s5, v70, vcc_lo
	s_delay_alu instid0(VALU_DEP_3) | instskip(SKIP_3) | instid1(VALU_DEP_4)
	v_add_nc_u32_e32 v41, s1, v39
	v_lshlrev_b64 v[69:70], 2, v[27:28]
	v_ashrrev_i32_e32 v30, 31, v29
	v_add_co_u32 v27, vcc_lo, s4, v54
	v_add_nc_u32_e32 v43, s1, v41
	v_ashrrev_i32_e32 v32, 31, v31
	v_add_co_ci_u32_e32 v28, vcc_lo, s5, v55, vcc_lo
	v_lshlrev_b64 v[54:55], 2, v[29:30]
	s_delay_alu instid0(VALU_DEP_4) | instskip(SKIP_2) | instid1(VALU_DEP_3)
	v_add_nc_u32_e32 v45, s1, v43
	v_add_co_u32 v29, vcc_lo, s4, v69
	v_add_co_ci_u32_e32 v30, vcc_lo, s5, v70, vcc_lo
	v_add_nc_u32_e32 v47, s1, v45
	v_lshlrev_b64 v[69:70], 2, v[31:32]
	v_ashrrev_i32_e32 v34, 31, v33
	v_add_co_u32 v31, vcc_lo, s4, v54
	s_delay_alu instid0(VALU_DEP_4) | instskip(SKIP_3) | instid1(VALU_DEP_4)
	v_add_nc_u32_e32 v49, s1, v47
	v_ashrrev_i32_e32 v36, 31, v35
	v_add_co_ci_u32_e32 v32, vcc_lo, s5, v55, vcc_lo
	v_lshlrev_b64 v[54:55], 2, v[33:34]
	v_add_nc_u32_e32 v51, s1, v49
	v_add_co_u32 v33, vcc_lo, s4, v69
	v_add_co_ci_u32_e32 v34, vcc_lo, s5, v70, vcc_lo
	s_delay_alu instid0(VALU_DEP_3) | instskip(SKIP_3) | instid1(VALU_DEP_4)
	v_add_nc_u32_e32 v53, s1, v51
	v_lshlrev_b64 v[69:70], 2, v[35:36]
	v_ashrrev_i32_e32 v38, 31, v37
	v_add_co_u32 v35, vcc_lo, s4, v54
	v_add_nc_u32_e32 v56, s1, v53
	v_ashrrev_i32_e32 v40, 31, v39
	v_add_co_ci_u32_e32 v36, vcc_lo, s5, v55, vcc_lo
	v_lshlrev_b64 v[54:55], 2, v[37:38]
	s_delay_alu instid0(VALU_DEP_4) | instskip(SKIP_2) | instid1(VALU_DEP_3)
	v_add_nc_u32_e32 v58, s1, v56
	v_add_co_u32 v37, vcc_lo, s4, v69
	v_add_co_ci_u32_e32 v38, vcc_lo, s5, v70, vcc_lo
	v_add_nc_u32_e32 v60, s1, v58
	v_lshlrev_b64 v[69:70], 2, v[39:40]
	v_ashrrev_i32_e32 v42, 31, v41
	v_add_co_u32 v39, vcc_lo, s4, v54
	s_delay_alu instid0(VALU_DEP_4) | instskip(SKIP_3) | instid1(VALU_DEP_4)
	v_add_nc_u32_e32 v62, s1, v60
	v_ashrrev_i32_e32 v44, 31, v43
	v_add_co_ci_u32_e32 v40, vcc_lo, s5, v55, vcc_lo
	v_lshlrev_b64 v[54:55], 2, v[41:42]
	v_add_nc_u32_e32 v64, s1, v62
	v_add_co_u32 v41, vcc_lo, s4, v69
	v_add_co_ci_u32_e32 v42, vcc_lo, s5, v70, vcc_lo
	s_delay_alu instid0(VALU_DEP_3) | instskip(SKIP_3) | instid1(VALU_DEP_4)
	v_add_nc_u32_e32 v66, s1, v64
	v_lshlrev_b64 v[69:70], 2, v[43:44]
	v_ashrrev_i32_e32 v46, 31, v45
	v_add_co_u32 v43, vcc_lo, s4, v54
	v_add_nc_u32_e32 v68, s1, v66
	v_ashrrev_i32_e32 v48, 31, v47
	v_add_co_ci_u32_e32 v44, vcc_lo, s5, v55, vcc_lo
	v_lshlrev_b64 v[54:55], 2, v[45:46]
	s_delay_alu instid0(VALU_DEP_4) | instskip(SKIP_3) | instid1(VALU_DEP_4)
	v_add_nc_u32_e32 v71, s1, v68
	v_add_co_u32 v45, vcc_lo, s4, v69
	v_ashrrev_i32_e32 v50, 31, v49
	v_add_co_ci_u32_e32 v46, vcc_lo, s5, v70, vcc_lo
	v_add_nc_u32_e32 v73, s1, v71
	v_lshlrev_b64 v[69:70], 2, v[47:48]
	v_add_co_u32 v47, vcc_lo, s4, v54
	v_lshlrev_b64 v[86:87], 2, v[49:50]
	s_delay_alu instid0(VALU_DEP_4) | instskip(SKIP_3) | instid1(VALU_DEP_4)
	v_add_nc_u32_e32 v75, s1, v73
	v_ashrrev_i32_e32 v52, 31, v51
	v_add_co_ci_u32_e32 v48, vcc_lo, s5, v55, vcc_lo
	v_add_co_u32 v49, vcc_lo, s4, v69
	v_add_nc_u32_e32 v77, s1, v75
	v_ashrrev_i32_e32 v54, 31, v53
	v_add_co_ci_u32_e32 v50, vcc_lo, s5, v70, vcc_lo
	v_lshlrev_b64 v[69:70], 2, v[51:52]
	s_delay_alu instid0(VALU_DEP_4) | instskip(SKIP_2) | instid1(VALU_DEP_3)
	v_add_nc_u32_e32 v79, s1, v77
	v_add_co_u32 v51, vcc_lo, s4, v86
	v_add_co_ci_u32_e32 v52, vcc_lo, s5, v87, vcc_lo
	v_add_nc_u32_e32 v81, s1, v79
	v_lshlrev_b64 v[86:87], 2, v[53:54]
	v_ashrrev_i32_e32 v57, 31, v56
	v_add_co_u32 v53, vcc_lo, s4, v69
	s_delay_alu instid0(VALU_DEP_4) | instskip(SKIP_3) | instid1(VALU_DEP_4)
	v_add_nc_u32_e32 v83, s1, v81
	v_ashrrev_i32_e32 v59, 31, v58
	v_add_co_ci_u32_e32 v54, vcc_lo, s5, v70, vcc_lo
	v_lshlrev_b64 v[69:70], 2, v[56:57]
	v_add_nc_u32_e32 v85, s1, v83
	v_add_co_u32 v55, vcc_lo, s4, v86
	v_add_co_ci_u32_e32 v56, vcc_lo, s5, v87, vcc_lo
	s_delay_alu instid0(VALU_DEP_3) | instskip(SKIP_3) | instid1(VALU_DEP_4)
	v_add_nc_u32_e32 v89, s1, v85
	v_lshlrev_b64 v[86:87], 2, v[58:59]
	v_ashrrev_i32_e32 v61, 31, v60
	v_add_co_u32 v57, vcc_lo, s4, v69
	v_add_nc_u32_e32 v91, s1, v89
	v_ashrrev_i32_e32 v63, 31, v62
	v_add_co_ci_u32_e32 v58, vcc_lo, s5, v70, vcc_lo
	v_lshlrev_b64 v[69:70], 2, v[60:61]
	s_delay_alu instid0(VALU_DEP_4) | instskip(SKIP_2) | instid1(VALU_DEP_3)
	v_add_nc_u32_e32 v93, s1, v91
	v_add_co_u32 v59, vcc_lo, s4, v86
	v_add_co_ci_u32_e32 v60, vcc_lo, s5, v87, vcc_lo
	v_add_nc_u32_e32 v95, s1, v93
	v_lshlrev_b64 v[86:87], 2, v[62:63]
	v_ashrrev_i32_e32 v65, 31, v64
	v_add_co_u32 v61, vcc_lo, s4, v69
	s_delay_alu instid0(VALU_DEP_4) | instskip(SKIP_3) | instid1(VALU_DEP_4)
	v_add_nc_u32_e32 v97, s1, v95
	v_ashrrev_i32_e32 v67, 31, v66
	v_add_co_ci_u32_e32 v62, vcc_lo, s5, v70, vcc_lo
	v_lshlrev_b64 v[118:119], 2, v[64:65]
	v_add_nc_u32_e32 v99, s1, v97
	v_add_co_u32 v63, vcc_lo, s4, v86
	v_ashrrev_i32_e32 v69, 31, v68
	v_add_co_ci_u32_e32 v64, vcc_lo, s5, v87, vcc_lo
	s_delay_alu instid0(VALU_DEP_4) | instskip(SKIP_3) | instid1(VALU_DEP_4)
	v_add_nc_u32_e32 v101, s1, v99
	v_lshlrev_b64 v[86:87], 2, v[66:67]
	v_ashrrev_i32_e32 v72, 31, v71
	v_add_co_u32 v65, vcc_lo, s4, v118
	v_add_nc_u32_e32 v103, s1, v101
	v_lshlrev_b64 v[69:70], 2, v[68:69]
	v_ashrrev_i32_e32 v74, 31, v73
	v_add_co_ci_u32_e32 v66, vcc_lo, s5, v119, vcc_lo
	s_delay_alu instid0(VALU_DEP_4) | instskip(SKIP_3) | instid1(VALU_DEP_4)
	v_add_nc_u32_e32 v105, s1, v103
	v_add_co_u32 v67, vcc_lo, s4, v86
	v_lshlrev_b64 v[71:72], 2, v[71:72]
	v_add_co_ci_u32_e32 v68, vcc_lo, s5, v87, vcc_lo
	v_add_nc_u32_e32 v107, s1, v105
	v_add_co_u32 v69, vcc_lo, s4, v69
	v_lshlrev_b64 v[73:74], 2, v[73:74]
	v_ashrrev_i32_e32 v76, 31, v75
	s_delay_alu instid0(VALU_DEP_4) | instskip(SKIP_2) | instid1(VALU_DEP_3)
	v_add_nc_u32_e32 v109, s1, v107
	v_add_co_ci_u32_e32 v70, vcc_lo, s5, v70, vcc_lo
	v_add_co_u32 v71, vcc_lo, s4, v71
	v_add_nc_u32_e32 v111, s1, v109
	v_ashrrev_i32_e32 v78, 31, v77
	v_add_co_ci_u32_e32 v72, vcc_lo, s5, v72, vcc_lo
	v_lshlrev_b64 v[86:87], 2, v[75:76]
	s_delay_alu instid0(VALU_DEP_4) | instskip(SKIP_2) | instid1(VALU_DEP_3)
	v_add_nc_u32_e32 v113, s1, v111
	v_add_co_u32 v75, vcc_lo, s4, v73
	v_add_co_ci_u32_e32 v76, vcc_lo, s5, v74, vcc_lo
	v_add_nc_u32_e32 v115, s1, v113
	v_lshlrev_b64 v[73:74], 2, v[77:78]
	v_ashrrev_i32_e32 v80, 31, v79
	v_add_co_u32 v77, vcc_lo, s4, v86
	s_delay_alu instid0(VALU_DEP_4) | instskip(SKIP_1) | instid1(VALU_DEP_4)
	v_add_nc_u32_e32 v117, s1, v115
	v_add_co_ci_u32_e32 v78, vcc_lo, s5, v87, vcc_lo
	v_lshlrev_b64 v[86:87], 2, v[79:80]
	v_ashrrev_i32_e32 v82, 31, v81
	s_delay_alu instid0(VALU_DEP_4) | instskip(SKIP_2) | instid1(VALU_DEP_3)
	v_add_nc_u32_e32 v120, s1, v117
	v_add_co_u32 v79, vcc_lo, s4, v73
	v_add_co_ci_u32_e32 v80, vcc_lo, s5, v74, vcc_lo
	v_add_nc_u32_e32 v122, s1, v120
	v_ashrrev_i32_e32 v84, 31, v83
	v_lshlrev_b64 v[131:132], 2, v[81:82]
	v_add_co_u32 v81, vcc_lo, s4, v86
	s_delay_alu instid0(VALU_DEP_4) | instskip(SKIP_3) | instid1(VALU_DEP_4)
	v_add_nc_u32_e32 v124, s1, v122
	v_ashrrev_i32_e32 v86, 31, v85
	v_add_co_ci_u32_e32 v82, vcc_lo, s5, v87, vcc_lo
	v_lshlrev_b64 v[87:88], 2, v[83:84]
	v_add_nc_u32_e32 v126, s1, v124
	v_ashrrev_i32_e32 v90, 31, v89
	v_ashrrev_i32_e32 v92, 31, v91
	v_ashrrev_i32_e32 v94, 31, v93
	v_ashrrev_i32_e32 v96, 31, v95
	v_add_nc_u32_e32 v128, s1, v126
	v_lshlrev_b64 v[89:90], 2, v[89:90]
	v_lshlrev_b64 v[91:92], 2, v[91:92]
	;; [unrolled: 1-line block ×3, first 2 shown]
	v_ashrrev_i32_e32 v98, 31, v97
	v_add_nc_u32_e32 v130, s1, v128
	v_lshlrev_b64 v[95:96], 2, v[95:96]
	v_ashrrev_i32_e32 v100, 31, v99
	v_ashrrev_i32_e32 v102, 31, v101
	v_lshlrev_b64 v[97:98], 2, v[97:98]
	v_add_nc_u32_e32 v187, s1, v130
	v_ashrrev_i32_e32 v104, 31, v103
	v_lshlrev_b64 v[99:100], 2, v[99:100]
	v_lshlrev_b64 v[101:102], 2, v[101:102]
	v_ashrrev_i32_e32 v106, 31, v105
	v_add_nc_u32_e32 v118, s1, v187
	v_lshlrev_b64 v[103:104], 2, v[103:104]
	v_ashrrev_i32_e32 v108, 31, v107
	v_ashrrev_i32_e32 v110, 31, v109
	v_lshlrev_b64 v[105:106], 2, v[105:106]
	v_ashrrev_i32_e32 v119, 31, v118
	v_ashrrev_i32_e32 v112, 31, v111
	v_lshlrev_b64 v[107:108], 2, v[107:108]
	v_lshlrev_b64 v[109:110], 2, v[109:110]
	v_ashrrev_i32_e32 v114, 31, v113
	v_lshlrev_b64 v[73:74], 2, v[118:119]
	v_lshlrev_b64 v[118:119], 2, v[85:86]
	;; [unrolled: 1-line block ×3, first 2 shown]
	v_ashrrev_i32_e32 v116, 31, v115
	v_lshlrev_b64 v[113:114], 2, v[113:114]
	v_ashrrev_i32_e32 v121, 31, v120
	v_add_co_u32 v73, vcc_lo, s4, v73
	v_add_co_ci_u32_e32 v74, vcc_lo, s5, v74, vcc_lo
	v_add_co_u32 v83, vcc_lo, s4, v131
	v_add_co_ci_u32_e32 v84, vcc_lo, s5, v132, vcc_lo
	;; [unrolled: 2-line block ×14, first 2 shown]
	v_add_co_u32 v109, vcc_lo, s4, v109
	v_ashrrev_i32_e32 v118, 31, v117
	v_add_co_ci_u32_e32 v110, vcc_lo, s5, v110, vcc_lo
	v_add_co_u32 v111, vcc_lo, s4, v111
	v_lshlrev_b64 v[115:116], 2, v[115:116]
	v_add_co_ci_u32_e32 v112, vcc_lo, s5, v112, vcc_lo
	v_add_co_u32 v113, vcc_lo, s4, v113
	v_lshlrev_b64 v[117:118], 2, v[117:118]
	v_ashrrev_i32_e32 v123, 31, v122
	v_add_co_ci_u32_e32 v114, vcc_lo, s5, v114, vcc_lo
	v_add_co_u32 v115, vcc_lo, s4, v115
	v_lshlrev_b64 v[119:120], 2, v[120:121]
	v_ashrrev_i32_e32 v125, 31, v124
	;; [unrolled: 4-line block ×6, first 2 shown]
	v_add_co_ci_u32_e32 v124, vcc_lo, s5, v124, vcc_lo
	v_add_co_u32 v125, vcc_lo, s4, v125
	v_lshlrev_b64 v[129:130], 2, v[130:131]
	v_add_co_ci_u32_e32 v126, vcc_lo, s5, v126, vcc_lo
	v_add_co_u32 v127, vcc_lo, s4, v127
	v_lshlrev_b64 v[131:132], 2, v[187:188]
	v_add_co_ci_u32_e32 v128, vcc_lo, s5, v128, vcc_lo
	v_add_co_u32 v129, vcc_lo, s4, v129
	v_add_co_ci_u32_e32 v130, vcc_lo, s5, v130, vcc_lo
	s_delay_alu instid0(VALU_DEP_4)
	v_add_co_u32 v131, vcc_lo, s4, v131
	s_clause 0x1f
	global_load_b32 v1, v133, s[4:5]
	global_load_b32 v2, v[7:8], off
	global_load_b32 v3, v[9:10], off
	global_load_b32 v4, v[11:12], off
	global_load_b32 v134, v[13:14], off
	global_load_b32 v135, v[15:16], off
	global_load_b32 v136, v[17:18], off
	global_load_b32 v137, v[19:20], off
	global_load_b32 v138, v[21:22], off
	global_load_b32 v139, v[23:24], off
	global_load_b32 v140, v[25:26], off
	global_load_b32 v141, v[27:28], off
	global_load_b32 v142, v[29:30], off
	global_load_b32 v143, v[31:32], off
	global_load_b32 v144, v[33:34], off
	global_load_b32 v145, v[35:36], off
	global_load_b32 v146, v[37:38], off
	global_load_b32 v147, v[39:40], off
	global_load_b32 v148, v[41:42], off
	global_load_b32 v149, v[43:44], off
	global_load_b32 v150, v[45:46], off
	global_load_b32 v151, v[47:48], off
	global_load_b32 v152, v[49:50], off
	global_load_b32 v153, v[51:52], off
	global_load_b32 v154, v[53:54], off
	global_load_b32 v155, v[55:56], off
	global_load_b32 v156, v[57:58], off
	global_load_b32 v157, v[59:60], off
	global_load_b32 v158, v[61:62], off
	global_load_b32 v159, v[63:64], off
	global_load_b32 v160, v[65:66], off
	global_load_b32 v161, v[67:68], off
	s_clause 0x18
	global_load_b32 v162, v[69:70], off
	global_load_b32 v163, v[71:72], off
	global_load_b32 v164, v[75:76], off
	global_load_b32 v165, v[77:78], off
	global_load_b32 v166, v[79:80], off
	global_load_b32 v167, v[81:82], off
	global_load_b32 v168, v[83:84], off
	global_load_b32 v169, v[85:86], off
	global_load_b32 v170, v[87:88], off
	global_load_b32 v171, v[89:90], off
	global_load_b32 v172, v[91:92], off
	global_load_b32 v173, v[93:94], off
	global_load_b32 v174, v[95:96], off
	global_load_b32 v175, v[97:98], off
	global_load_b32 v176, v[99:100], off
	global_load_b32 v177, v[101:102], off
	global_load_b32 v178, v[103:104], off
	global_load_b32 v179, v[105:106], off
	global_load_b32 v180, v[107:108], off
	global_load_b32 v181, v[109:110], off
	global_load_b32 v182, v[111:112], off
	global_load_b32 v183, v[113:114], off
	global_load_b32 v184, v[115:116], off
	global_load_b32 v185, v[117:118], off
	global_load_b32 v186, v[119:120], off
	v_add_co_ci_u32_e32 v132, vcc_lo, s5, v132, vcc_lo
	s_clause 0x6
	global_load_b32 v187, v[121:122], off
	global_load_b32 v188, v[123:124], off
	global_load_b32 v189, v[125:126], off
	global_load_b32 v190, v[127:128], off
	global_load_b32 v191, v[129:130], off
	global_load_b32 v193, v[73:74], off
	global_load_b32 v192, v[131:132], off
	s_bitcmp0_b32 s13, 0
	s_mov_b32 s1, -1
	s_waitcnt vmcnt(60)
	scratch_store_b128 off, v[1:4], off
	s_waitcnt vmcnt(56)
	scratch_store_b128 off, v[134:137], off offset:16
	s_waitcnt vmcnt(52)
	scratch_store_b128 off, v[138:141], off offset:32
	;; [unrolled: 2-line block ×15, first 2 shown]
	s_cbranch_scc1 .LBB127_262
; %bb.4:
	v_cmp_eq_u32_e64 s0, 0, v0
	s_delay_alu instid0(VALU_DEP_1)
	s_and_saveexec_b32 s1, s0
	s_cbranch_execz .LBB127_6
; %bb.5:
	v_mov_b32_e32 v1, 0
	ds_store_b32 v1, v1 offset:512
.LBB127_6:
	s_or_b32 exec_lo, exec_lo, s1
	s_waitcnt lgkmcnt(0)
	s_waitcnt_vscnt null, 0x0
	s_barrier
	buffer_gl0_inv
	scratch_load_b32 v1, v133, off
	s_mov_b32 s4, exec_lo
	s_waitcnt vmcnt(0)
	v_cmpx_eq_f32_e32 0, v1
	s_cbranch_execz .LBB127_10
; %bb.7:
	v_mov_b32_e32 v1, 0
	s_mov_b32 s5, 0
	ds_load_b32 v2, v1 offset:512
	s_waitcnt lgkmcnt(0)
	v_readfirstlane_b32 s1, v2
	v_add_nc_u32_e32 v2, 1, v0
	s_delay_alu instid0(VALU_DEP_2) | instskip(NEXT) | instid1(VALU_DEP_1)
	s_cmp_eq_u32 s1, 0
	v_cmp_gt_i32_e32 vcc_lo, s1, v2
	s_cselect_b32 s10, -1, 0
	s_delay_alu instid0(SALU_CYCLE_1) | instskip(NEXT) | instid1(SALU_CYCLE_1)
	s_or_b32 s10, s10, vcc_lo
	s_and_b32 exec_lo, exec_lo, s10
	s_cbranch_execz .LBB127_10
; %bb.8:
	v_mov_b32_e32 v3, s1
.LBB127_9:                              ; =>This Inner Loop Header: Depth=1
	ds_cmpstore_rtn_b32 v3, v1, v2, v3 offset:512
	s_waitcnt lgkmcnt(0)
	v_cmp_ne_u32_e32 vcc_lo, 0, v3
	v_cmp_le_i32_e64 s1, v3, v2
	s_delay_alu instid0(VALU_DEP_1) | instskip(NEXT) | instid1(SALU_CYCLE_1)
	s_and_b32 s1, vcc_lo, s1
	s_and_b32 s1, exec_lo, s1
	s_delay_alu instid0(SALU_CYCLE_1) | instskip(NEXT) | instid1(SALU_CYCLE_1)
	s_or_b32 s5, s1, s5
	s_and_not1_b32 exec_lo, exec_lo, s5
	s_cbranch_execnz .LBB127_9
.LBB127_10:
	s_or_b32 exec_lo, exec_lo, s4
	v_mov_b32_e32 v1, 0
	s_barrier
	buffer_gl0_inv
	ds_load_b32 v2, v1 offset:512
	s_and_saveexec_b32 s1, s0
	s_cbranch_execz .LBB127_12
; %bb.11:
	s_lshl_b64 s[4:5], s[8:9], 2
	s_delay_alu instid0(SALU_CYCLE_1)
	s_add_u32 s4, s6, s4
	s_addc_u32 s5, s7, s5
	s_waitcnt lgkmcnt(0)
	global_store_b32 v1, v2, s[4:5]
.LBB127_12:
	s_or_b32 exec_lo, exec_lo, s1
	s_waitcnt lgkmcnt(0)
	v_cmp_ne_u32_e32 vcc_lo, 0, v2
	s_mov_b32 s1, 0
	s_cbranch_vccnz .LBB127_262
; %bb.13:
	v_add_nc_u32_e32 v1, 0, v133
	scratch_load_b32 v2, v1, off
	s_waitcnt vmcnt(0)
	v_div_scale_f32 v3, null, v2, v2, 1.0
	v_div_scale_f32 v135, vcc_lo, 1.0, v2, 1.0
	s_delay_alu instid0(VALU_DEP_2) | instskip(SKIP_2) | instid1(VALU_DEP_1)
	v_rcp_f32_e32 v4, v3
	s_waitcnt_depctr 0xfff
	v_fma_f32 v134, -v3, v4, 1.0
	v_fmac_f32_e32 v4, v134, v4
	s_delay_alu instid0(VALU_DEP_1) | instskip(NEXT) | instid1(VALU_DEP_1)
	v_mul_f32_e32 v134, v135, v4
	v_fma_f32 v136, -v3, v134, v135
	s_delay_alu instid0(VALU_DEP_1) | instskip(NEXT) | instid1(VALU_DEP_1)
	v_fmac_f32_e32 v134, v136, v4
	v_fma_f32 v3, -v3, v134, v135
	s_delay_alu instid0(VALU_DEP_1) | instskip(NEXT) | instid1(VALU_DEP_1)
	v_div_fmas_f32 v3, v3, v4, v134
	v_div_fixup_f32 v2, v3, v2, 1.0
	scratch_store_b32 v1, v2, off
	scratch_load_b32 v3, off, off offset:4
	v_xor_b32_e32 v4, 0x80000000, v2
	v_or_b32_e32 v2, 0x100, v133
	s_waitcnt vmcnt(0)
	ds_store_2addr_stride64_b32 v133, v4, v3 offset1:1
	s_waitcnt lgkmcnt(0)
	s_waitcnt_vscnt null, 0x0
	s_barrier
	buffer_gl0_inv
	s_and_saveexec_b32 s1, s0
	s_cbranch_execz .LBB127_15
; %bb.14:
	scratch_load_b32 v3, v1, off
	ds_load_b32 v4, v2
	v_mov_b32_e32 v134, 0
	ds_load_b32 v134, v134 offset:4
	s_waitcnt vmcnt(0) lgkmcnt(1)
	v_fma_f32 v3, v3, v4, 0
	s_waitcnt lgkmcnt(0)
	s_delay_alu instid0(VALU_DEP_1)
	v_mul_f32_e32 v3, v3, v134
	scratch_store_b32 off, v3, off offset:4
.LBB127_15:
	s_or_b32 exec_lo, exec_lo, s1
	s_waitcnt_vscnt null, 0x0
	s_barrier
	buffer_gl0_inv
	scratch_load_b32 v3, off, off offset:8
	s_mov_b32 s1, exec_lo
	s_waitcnt vmcnt(0)
	ds_store_b32 v2, v3
	s_waitcnt lgkmcnt(0)
	s_barrier
	buffer_gl0_inv
	v_cmpx_gt_u32_e32 2, v0
	s_cbranch_execz .LBB127_17
; %bb.16:
	scratch_load_b32 v134, v1, off
	scratch_load_b32 v135, off, off offset:4
	ds_load_b32 v136, v2
	v_mov_b32_e32 v3, 0
	ds_load_2addr_b32 v[3:4], v3 offset0:2 offset1:65
	s_waitcnt vmcnt(1) lgkmcnt(1)
	v_fma_f32 v134, v134, v136, 0
	s_waitcnt vmcnt(0) lgkmcnt(0)
	s_delay_alu instid0(VALU_DEP_1) | instskip(NEXT) | instid1(VALU_DEP_1)
	v_fma_f32 v4, v135, v4, v134
	v_cndmask_b32_e64 v4, v134, v4, s0
	s_delay_alu instid0(VALU_DEP_1)
	v_mul_f32_e32 v3, v4, v3
	scratch_store_b32 off, v3, off offset:8
.LBB127_17:
	s_or_b32 exec_lo, exec_lo, s1
	s_waitcnt_vscnt null, 0x0
	s_barrier
	buffer_gl0_inv
	scratch_load_b32 v4, off, off offset:12
	v_add_nc_u32_e32 v3, -1, v0
	s_mov_b32 s0, exec_lo
	s_waitcnt vmcnt(0)
	ds_store_b32 v2, v4
	s_waitcnt lgkmcnt(0)
	s_barrier
	buffer_gl0_inv
	v_cmpx_gt_u32_e32 3, v0
	s_cbranch_execz .LBB127_21
; %bb.18:
	v_add_nc_u32_e32 v134, -1, v0
	v_or_b32_e32 v135, 0x100, v133
	v_add_nc_u32_e32 v136, 0, v133
	v_mov_b32_e32 v4, 0
	s_mov_b32 s1, 0
.LBB127_19:                             ; =>This Inner Loop Header: Depth=1
	scratch_load_b32 v137, v136, off
	ds_load_b32 v138, v135
	v_add_nc_u32_e32 v134, 1, v134
	v_add_nc_u32_e32 v135, 4, v135
	v_add_nc_u32_e32 v136, 4, v136
	s_delay_alu instid0(VALU_DEP_3)
	v_cmp_lt_u32_e32 vcc_lo, 1, v134
	s_or_b32 s1, vcc_lo, s1
	s_waitcnt vmcnt(0) lgkmcnt(0)
	v_fmac_f32_e32 v4, v137, v138
	s_and_not1_b32 exec_lo, exec_lo, s1
	s_cbranch_execnz .LBB127_19
; %bb.20:
	s_or_b32 exec_lo, exec_lo, s1
	v_mov_b32_e32 v134, 0
	ds_load_b32 v134, v134 offset:12
	s_waitcnt lgkmcnt(0)
	v_mul_f32_e32 v4, v4, v134
	scratch_store_b32 off, v4, off offset:12
.LBB127_21:
	s_or_b32 exec_lo, exec_lo, s0
	s_waitcnt_vscnt null, 0x0
	s_barrier
	buffer_gl0_inv
	scratch_load_b32 v4, off, off offset:16
	s_mov_b32 s0, exec_lo
	s_waitcnt vmcnt(0)
	ds_store_b32 v2, v4
	s_waitcnt lgkmcnt(0)
	s_barrier
	buffer_gl0_inv
	v_cmpx_gt_u32_e32 4, v0
	s_cbranch_execz .LBB127_25
; %bb.22:
	v_add_nc_u32_e32 v134, -1, v0
	v_or_b32_e32 v135, 0x100, v133
	v_add_nc_u32_e32 v136, 0, v133
	v_mov_b32_e32 v4, 0
	s_mov_b32 s1, 0
.LBB127_23:                             ; =>This Inner Loop Header: Depth=1
	scratch_load_b32 v137, v136, off
	ds_load_b32 v138, v135
	v_add_nc_u32_e32 v134, 1, v134
	v_add_nc_u32_e32 v135, 4, v135
	v_add_nc_u32_e32 v136, 4, v136
	s_delay_alu instid0(VALU_DEP_3)
	v_cmp_lt_u32_e32 vcc_lo, 2, v134
	s_or_b32 s1, vcc_lo, s1
	s_waitcnt vmcnt(0) lgkmcnt(0)
	v_fmac_f32_e32 v4, v137, v138
	s_and_not1_b32 exec_lo, exec_lo, s1
	s_cbranch_execnz .LBB127_23
; %bb.24:
	s_or_b32 exec_lo, exec_lo, s1
	v_mov_b32_e32 v134, 0
	ds_load_b32 v134, v134 offset:16
	s_waitcnt lgkmcnt(0)
	v_mul_f32_e32 v4, v4, v134
	scratch_store_b32 off, v4, off offset:16
.LBB127_25:
	s_or_b32 exec_lo, exec_lo, s0
	s_waitcnt_vscnt null, 0x0
	s_barrier
	buffer_gl0_inv
	scratch_load_b32 v4, off, off offset:20
	;; [unrolled: 40-line block ×21, first 2 shown]
	s_mov_b32 s0, exec_lo
	s_waitcnt vmcnt(0)
	ds_store_b32 v2, v4
	s_waitcnt lgkmcnt(0)
	s_barrier
	buffer_gl0_inv
	v_cmpx_gt_u32_e32 24, v0
	s_cbranch_execz .LBB127_105
; %bb.102:
	v_add_nc_u32_e32 v134, -1, v0
	v_or_b32_e32 v135, 0x100, v133
	v_add_nc_u32_e32 v136, 0, v133
	v_mov_b32_e32 v4, 0
	s_mov_b32 s1, 0
.LBB127_103:                            ; =>This Inner Loop Header: Depth=1
	scratch_load_b32 v137, v136, off
	ds_load_b32 v138, v135
	v_add_nc_u32_e32 v134, 1, v134
	v_add_nc_u32_e32 v135, 4, v135
	v_add_nc_u32_e32 v136, 4, v136
	s_delay_alu instid0(VALU_DEP_3)
	v_cmp_lt_u32_e32 vcc_lo, 22, v134
	s_or_b32 s1, vcc_lo, s1
	s_waitcnt vmcnt(0) lgkmcnt(0)
	v_fmac_f32_e32 v4, v137, v138
	s_and_not1_b32 exec_lo, exec_lo, s1
	s_cbranch_execnz .LBB127_103
; %bb.104:
	s_or_b32 exec_lo, exec_lo, s1
	v_mov_b32_e32 v134, 0
	ds_load_b32 v134, v134 offset:96
	s_waitcnt lgkmcnt(0)
	v_mul_f32_e32 v4, v4, v134
	scratch_store_b32 off, v4, off offset:96
.LBB127_105:
	s_or_b32 exec_lo, exec_lo, s0
	s_waitcnt_vscnt null, 0x0
	s_barrier
	buffer_gl0_inv
	scratch_load_b32 v4, off, off offset:100
	s_mov_b32 s0, exec_lo
	s_waitcnt vmcnt(0)
	ds_store_b32 v2, v4
	s_waitcnt lgkmcnt(0)
	s_barrier
	buffer_gl0_inv
	v_cmpx_gt_u32_e32 25, v0
	s_cbranch_execz .LBB127_109
; %bb.106:
	v_add_nc_u32_e32 v134, -1, v0
	v_or_b32_e32 v135, 0x100, v133
	v_add_nc_u32_e32 v136, 0, v133
	v_mov_b32_e32 v4, 0
	s_mov_b32 s1, 0
.LBB127_107:                            ; =>This Inner Loop Header: Depth=1
	scratch_load_b32 v137, v136, off
	ds_load_b32 v138, v135
	v_add_nc_u32_e32 v134, 1, v134
	v_add_nc_u32_e32 v135, 4, v135
	v_add_nc_u32_e32 v136, 4, v136
	s_delay_alu instid0(VALU_DEP_3)
	v_cmp_lt_u32_e32 vcc_lo, 23, v134
	s_or_b32 s1, vcc_lo, s1
	s_waitcnt vmcnt(0) lgkmcnt(0)
	v_fmac_f32_e32 v4, v137, v138
	s_and_not1_b32 exec_lo, exec_lo, s1
	s_cbranch_execnz .LBB127_107
; %bb.108:
	s_or_b32 exec_lo, exec_lo, s1
	v_mov_b32_e32 v134, 0
	ds_load_b32 v134, v134 offset:100
	s_waitcnt lgkmcnt(0)
	v_mul_f32_e32 v4, v4, v134
	scratch_store_b32 off, v4, off offset:100
.LBB127_109:
	s_or_b32 exec_lo, exec_lo, s0
	s_waitcnt_vscnt null, 0x0
	s_barrier
	buffer_gl0_inv
	scratch_load_b32 v4, off, off offset:104
	;; [unrolled: 40-line block ×38, first 2 shown]
	s_mov_b32 s0, exec_lo
	s_waitcnt vmcnt(0)
	ds_store_b32 v2, v4
	s_waitcnt lgkmcnt(0)
	s_barrier
	buffer_gl0_inv
	v_cmpx_gt_u32_e32 62, v0
	s_cbranch_execz .LBB127_257
; %bb.254:
	v_add_nc_u32_e32 v134, -1, v0
	v_or_b32_e32 v135, 0x100, v133
	v_dual_mov_b32 v4, 0 :: v_dual_add_nc_u32 v133, 0, v133
	s_mov_b32 s1, 0
.LBB127_255:                            ; =>This Inner Loop Header: Depth=1
	scratch_load_b32 v136, v133, off
	ds_load_b32 v137, v135
	v_add_nc_u32_e32 v134, 1, v134
	v_add_nc_u32_e32 v135, 4, v135
	v_add_nc_u32_e32 v133, 4, v133
	s_delay_alu instid0(VALU_DEP_3)
	v_cmp_lt_u32_e32 vcc_lo, 60, v134
	s_or_b32 s1, vcc_lo, s1
	s_waitcnt vmcnt(0) lgkmcnt(0)
	v_fmac_f32_e32 v4, v136, v137
	s_and_not1_b32 exec_lo, exec_lo, s1
	s_cbranch_execnz .LBB127_255
; %bb.256:
	s_or_b32 exec_lo, exec_lo, s1
	v_mov_b32_e32 v133, 0
	ds_load_b32 v133, v133 offset:248
	s_waitcnt lgkmcnt(0)
	v_mul_f32_e32 v4, v4, v133
	scratch_store_b32 off, v4, off offset:248
.LBB127_257:
	s_or_b32 exec_lo, exec_lo, s0
	s_waitcnt_vscnt null, 0x0
	s_barrier
	buffer_gl0_inv
	scratch_load_b32 v4, off, off offset:252
	s_mov_b32 s0, exec_lo
	s_waitcnt vmcnt(0)
	ds_store_b32 v2, v4
	s_waitcnt lgkmcnt(0)
	s_barrier
	buffer_gl0_inv
	v_cmpx_ne_u32_e32 63, v0
	s_cbranch_execz .LBB127_261
; %bb.258:
	v_mov_b32_e32 v4, 0
	s_mov_b32 s1, 0
.LBB127_259:                            ; =>This Inner Loop Header: Depth=1
	scratch_load_b32 v133, v1, off
	ds_load_b32 v134, v2
	v_add_nc_u32_e32 v3, 1, v3
	v_add_nc_u32_e32 v2, 4, v2
	s_waitcnt vmcnt(0) lgkmcnt(0)
	v_dual_fmac_f32 v4, v133, v134 :: v_dual_add_nc_u32 v1, 4, v1
	s_delay_alu instid0(VALU_DEP_3) | instskip(SKIP_1) | instid1(SALU_CYCLE_1)
	v_cmp_lt_u32_e32 vcc_lo, 61, v3
	s_or_b32 s1, vcc_lo, s1
	s_and_not1_b32 exec_lo, exec_lo, s1
	s_cbranch_execnz .LBB127_259
; %bb.260:
	s_or_b32 exec_lo, exec_lo, s1
	v_mov_b32_e32 v1, 0
	ds_load_b32 v1, v1 offset:252
	s_waitcnt lgkmcnt(0)
	v_mul_f32_e32 v1, v4, v1
	scratch_store_b32 off, v1, off offset:252
.LBB127_261:
	s_or_b32 exec_lo, exec_lo, s0
	s_mov_b32 s1, -1
	s_waitcnt_vscnt null, 0x0
	s_barrier
	buffer_gl0_inv
.LBB127_262:
	s_and_b32 vcc_lo, exec_lo, s1
	s_cbranch_vccz .LBB127_264
; %bb.263:
	s_lshl_b64 s[0:1], s[8:9], 2
	v_mov_b32_e32 v1, 0
	s_add_u32 s0, s6, s0
	s_addc_u32 s1, s7, s1
	global_load_b32 v1, v1, s[0:1]
	s_waitcnt vmcnt(0)
	v_cmp_ne_u32_e32 vcc_lo, 0, v1
	s_cbranch_vccz .LBB127_265
.LBB127_264:
	s_endpgm
.LBB127_265:
	v_lshl_or_b32 v1, v0, 2, 0x100
	s_mov_b32 s0, exec_lo
	v_cmpx_eq_u32_e32 63, v0
	s_cbranch_execz .LBB127_267
; %bb.266:
	scratch_load_b32 v2, off, off offset:248
	v_mov_b32_e32 v3, 0
	scratch_store_b32 off, v3, off offset:248
	s_waitcnt vmcnt(0)
	ds_store_b32 v1, v2
.LBB127_267:
	s_or_b32 exec_lo, exec_lo, s0
	s_waitcnt lgkmcnt(0)
	s_waitcnt_vscnt null, 0x0
	s_barrier
	buffer_gl0_inv
	scratch_load_b64 v[3:4], off, off offset:248
	v_mov_b32_e32 v2, 0
	s_mov_b32 s0, exec_lo
	ds_load_b32 v133, v2 offset:508
	s_waitcnt vmcnt(0) lgkmcnt(0)
	v_fma_f32 v4, v4, v133, 0
	s_delay_alu instid0(VALU_DEP_1)
	v_sub_f32_e32 v3, v3, v4
	scratch_store_b32 off, v3, off offset:248
	v_cmpx_lt_u32_e32 61, v0
	s_cbranch_execz .LBB127_269
; %bb.268:
	scratch_load_b32 v3, off, off offset:244
	scratch_store_b32 off, v2, off offset:244
	s_waitcnt vmcnt(0)
	ds_store_b32 v1, v3
.LBB127_269:
	s_or_b32 exec_lo, exec_lo, s0
	s_waitcnt lgkmcnt(0)
	s_waitcnt_vscnt null, 0x0
	s_barrier
	buffer_gl0_inv
	scratch_load_b96 v[133:135], off, off offset:244
	ds_load_b64 v[2:3], v2 offset:504
	s_mov_b32 s0, exec_lo
	s_waitcnt vmcnt(0) lgkmcnt(0)
	v_fma_f32 v2, v134, v2, 0
	s_delay_alu instid0(VALU_DEP_1) | instskip(NEXT) | instid1(VALU_DEP_1)
	v_fmac_f32_e32 v2, v135, v3
	v_sub_f32_e32 v2, v133, v2
	scratch_store_b32 off, v2, off offset:244
	v_cmpx_lt_u32_e32 60, v0
	s_cbranch_execz .LBB127_271
; %bb.270:
	scratch_load_b32 v2, off, off offset:240
	v_mov_b32_e32 v3, 0
	scratch_store_b32 off, v3, off offset:240
	s_waitcnt vmcnt(0)
	ds_store_b32 v1, v2
.LBB127_271:
	s_or_b32 exec_lo, exec_lo, s0
	s_waitcnt lgkmcnt(0)
	s_waitcnt_vscnt null, 0x0
	s_barrier
	buffer_gl0_inv
	scratch_load_b128 v[133:136], off, off offset:240
	v_mov_b32_e32 v2, 0
	ds_load_2addr_b32 v[3:4], v2 offset0:125 offset1:126
	ds_load_b32 v137, v2 offset:508
	s_mov_b32 s0, exec_lo
	s_waitcnt vmcnt(0) lgkmcnt(1)
	v_fma_f32 v3, v134, v3, 0
	s_delay_alu instid0(VALU_DEP_1) | instskip(SKIP_1) | instid1(VALU_DEP_1)
	v_fmac_f32_e32 v3, v135, v4
	s_waitcnt lgkmcnt(0)
	v_fmac_f32_e32 v3, v136, v137
	s_delay_alu instid0(VALU_DEP_1)
	v_sub_f32_e32 v3, v133, v3
	scratch_store_b32 off, v3, off offset:240
	v_cmpx_lt_u32_e32 59, v0
	s_cbranch_execz .LBB127_273
; %bb.272:
	scratch_load_b32 v3, off, off offset:236
	scratch_store_b32 off, v2, off offset:236
	s_waitcnt vmcnt(0)
	ds_store_b32 v1, v3
.LBB127_273:
	s_or_b32 exec_lo, exec_lo, s0
	s_waitcnt lgkmcnt(0)
	s_waitcnt_vscnt null, 0x0
	s_barrier
	buffer_gl0_inv
	s_clause 0x1
	scratch_load_b128 v[133:136], off, off offset:236
	scratch_load_b32 v3, off, off offset:252
	ds_load_b128 v[137:140], v2 offset:496
	s_mov_b32 s0, exec_lo
	s_waitcnt vmcnt(1) lgkmcnt(0)
	v_fma_f32 v2, v134, v137, 0
	s_delay_alu instid0(VALU_DEP_1) | instskip(NEXT) | instid1(VALU_DEP_1)
	v_fmac_f32_e32 v2, v135, v138
	v_fmac_f32_e32 v2, v136, v139
	s_waitcnt vmcnt(0)
	s_delay_alu instid0(VALU_DEP_1) | instskip(NEXT) | instid1(VALU_DEP_1)
	v_fmac_f32_e32 v2, v3, v140
	v_sub_f32_e32 v2, v133, v2
	scratch_store_b32 off, v2, off offset:236
	v_cmpx_lt_u32_e32 58, v0
	s_cbranch_execz .LBB127_275
; %bb.274:
	scratch_load_b32 v2, off, off offset:232
	v_mov_b32_e32 v3, 0
	scratch_store_b32 off, v3, off offset:232
	s_waitcnt vmcnt(0)
	ds_store_b32 v1, v2
.LBB127_275:
	s_or_b32 exec_lo, exec_lo, s0
	s_waitcnt lgkmcnt(0)
	s_waitcnt_vscnt null, 0x0
	s_barrier
	buffer_gl0_inv
	s_clause 0x1
	scratch_load_b128 v[133:136], off, off offset:232
	scratch_load_b64 v[3:4], off, off offset:248
	v_mov_b32_e32 v2, 0
	ds_load_2addr_b32 v[137:138], v2 offset0:123 offset1:124
	ds_load_2addr_b32 v[139:140], v2 offset0:125 offset1:126
	ds_load_b32 v141, v2 offset:508
	s_mov_b32 s0, exec_lo
	s_waitcnt vmcnt(1) lgkmcnt(2)
	v_fma_f32 v134, v134, v137, 0
	s_delay_alu instid0(VALU_DEP_1) | instskip(SKIP_1) | instid1(VALU_DEP_1)
	v_fmac_f32_e32 v134, v135, v138
	s_waitcnt lgkmcnt(1)
	v_fmac_f32_e32 v134, v136, v139
	s_waitcnt vmcnt(0)
	s_delay_alu instid0(VALU_DEP_1) | instskip(SKIP_1) | instid1(VALU_DEP_1)
	v_fmac_f32_e32 v134, v3, v140
	s_waitcnt lgkmcnt(0)
	v_fmac_f32_e32 v134, v4, v141
	s_delay_alu instid0(VALU_DEP_1)
	v_sub_f32_e32 v3, v133, v134
	scratch_store_b32 off, v3, off offset:232
	v_cmpx_lt_u32_e32 57, v0
	s_cbranch_execz .LBB127_277
; %bb.276:
	scratch_load_b32 v3, off, off offset:228
	scratch_store_b32 off, v2, off offset:228
	s_waitcnt vmcnt(0)
	ds_store_b32 v1, v3
.LBB127_277:
	s_or_b32 exec_lo, exec_lo, s0
	s_waitcnt lgkmcnt(0)
	s_waitcnt_vscnt null, 0x0
	s_barrier
	buffer_gl0_inv
	s_clause 0x1
	scratch_load_b128 v[133:136], off, off offset:228
	scratch_load_b96 v[141:143], off, off offset:244
	ds_load_2addr_b64 v[137:140], v2 offset0:61 offset1:62
	ds_load_b64 v[2:3], v2 offset:504
	s_mov_b32 s0, exec_lo
	s_waitcnt vmcnt(1) lgkmcnt(1)
	v_fma_f32 v4, v134, v137, 0
	s_delay_alu instid0(VALU_DEP_1) | instskip(NEXT) | instid1(VALU_DEP_1)
	v_fmac_f32_e32 v4, v135, v138
	v_fmac_f32_e32 v4, v136, v139
	s_waitcnt vmcnt(0)
	s_delay_alu instid0(VALU_DEP_1) | instskip(SKIP_1) | instid1(VALU_DEP_1)
	v_fmac_f32_e32 v4, v141, v140
	s_waitcnt lgkmcnt(0)
	v_fmac_f32_e32 v4, v142, v2
	s_delay_alu instid0(VALU_DEP_1) | instskip(NEXT) | instid1(VALU_DEP_1)
	v_fmac_f32_e32 v4, v143, v3
	v_sub_f32_e32 v2, v133, v4
	scratch_store_b32 off, v2, off offset:228
	v_cmpx_lt_u32_e32 56, v0
	s_cbranch_execz .LBB127_279
; %bb.278:
	scratch_load_b32 v2, off, off offset:224
	v_mov_b32_e32 v3, 0
	scratch_store_b32 off, v3, off offset:224
	s_waitcnt vmcnt(0)
	ds_store_b32 v1, v2
.LBB127_279:
	s_or_b32 exec_lo, exec_lo, s0
	s_waitcnt lgkmcnt(0)
	s_waitcnt_vscnt null, 0x0
	s_barrier
	buffer_gl0_inv
	s_clause 0x1
	scratch_load_b128 v[133:136], off, off offset:224
	scratch_load_b128 v[137:140], off, off offset:240
	v_mov_b32_e32 v2, 0
	ds_load_2addr_b32 v[3:4], v2 offset0:121 offset1:122
	ds_load_2addr_b32 v[141:142], v2 offset0:123 offset1:124
	;; [unrolled: 1-line block ×3, first 2 shown]
	ds_load_b32 v145, v2 offset:508
	s_mov_b32 s0, exec_lo
	s_waitcnt vmcnt(1) lgkmcnt(3)
	v_fma_f32 v3, v134, v3, 0
	s_delay_alu instid0(VALU_DEP_1) | instskip(SKIP_1) | instid1(VALU_DEP_1)
	v_fmac_f32_e32 v3, v135, v4
	s_waitcnt lgkmcnt(2)
	v_fmac_f32_e32 v3, v136, v141
	s_waitcnt vmcnt(0)
	s_delay_alu instid0(VALU_DEP_1) | instskip(SKIP_1) | instid1(VALU_DEP_1)
	v_fmac_f32_e32 v3, v137, v142
	s_waitcnt lgkmcnt(1)
	v_fmac_f32_e32 v3, v138, v143
	s_delay_alu instid0(VALU_DEP_1) | instskip(SKIP_1) | instid1(VALU_DEP_1)
	v_fmac_f32_e32 v3, v139, v144
	s_waitcnt lgkmcnt(0)
	v_fmac_f32_e32 v3, v140, v145
	s_delay_alu instid0(VALU_DEP_1)
	v_sub_f32_e32 v3, v133, v3
	scratch_store_b32 off, v3, off offset:224
	v_cmpx_lt_u32_e32 55, v0
	s_cbranch_execz .LBB127_281
; %bb.280:
	scratch_load_b32 v3, off, off offset:220
	scratch_store_b32 off, v2, off offset:220
	s_waitcnt vmcnt(0)
	ds_store_b32 v1, v3
.LBB127_281:
	s_or_b32 exec_lo, exec_lo, s0
	s_waitcnt lgkmcnt(0)
	s_waitcnt_vscnt null, 0x0
	s_barrier
	buffer_gl0_inv
	s_clause 0x2
	scratch_load_b128 v[133:136], off, off offset:220
	scratch_load_b128 v[137:140], off, off offset:236
	scratch_load_b32 v3, off, off offset:252
	ds_load_b128 v[141:144], v2 offset:480
	ds_load_b128 v[145:148], v2 offset:496
	s_mov_b32 s0, exec_lo
	s_waitcnt vmcnt(2) lgkmcnt(1)
	v_fma_f32 v2, v134, v141, 0
	s_delay_alu instid0(VALU_DEP_1) | instskip(NEXT) | instid1(VALU_DEP_1)
	v_fmac_f32_e32 v2, v135, v142
	v_fmac_f32_e32 v2, v136, v143
	s_waitcnt vmcnt(1)
	s_delay_alu instid0(VALU_DEP_1) | instskip(SKIP_1) | instid1(VALU_DEP_1)
	v_fmac_f32_e32 v2, v137, v144
	s_waitcnt lgkmcnt(0)
	v_fmac_f32_e32 v2, v138, v145
	s_delay_alu instid0(VALU_DEP_1) | instskip(NEXT) | instid1(VALU_DEP_1)
	v_fmac_f32_e32 v2, v139, v146
	v_fmac_f32_e32 v2, v140, v147
	s_waitcnt vmcnt(0)
	s_delay_alu instid0(VALU_DEP_1) | instskip(NEXT) | instid1(VALU_DEP_1)
	v_fmac_f32_e32 v2, v3, v148
	v_sub_f32_e32 v2, v133, v2
	scratch_store_b32 off, v2, off offset:220
	v_cmpx_lt_u32_e32 54, v0
	s_cbranch_execz .LBB127_283
; %bb.282:
	scratch_load_b32 v2, off, off offset:216
	v_mov_b32_e32 v3, 0
	scratch_store_b32 off, v3, off offset:216
	s_waitcnt vmcnt(0)
	ds_store_b32 v1, v2
.LBB127_283:
	s_or_b32 exec_lo, exec_lo, s0
	s_waitcnt lgkmcnt(0)
	s_waitcnt_vscnt null, 0x0
	s_barrier
	buffer_gl0_inv
	s_clause 0x2
	scratch_load_b128 v[133:136], off, off offset:216
	scratch_load_b128 v[137:140], off, off offset:232
	scratch_load_b64 v[3:4], off, off offset:248
	v_mov_b32_e32 v2, 0
	ds_load_2addr_b32 v[141:142], v2 offset0:119 offset1:120
	ds_load_2addr_b32 v[143:144], v2 offset0:121 offset1:122
	;; [unrolled: 1-line block ×4, first 2 shown]
	s_mov_b32 s0, exec_lo
	s_waitcnt vmcnt(2) lgkmcnt(3)
	v_fma_f32 v134, v134, v141, 0
	s_delay_alu instid0(VALU_DEP_1) | instskip(SKIP_4) | instid1(VALU_DEP_1)
	v_fmac_f32_e32 v134, v135, v142
	ds_load_b32 v135, v2 offset:508
	s_waitcnt lgkmcnt(3)
	v_fmac_f32_e32 v134, v136, v143
	s_waitcnt vmcnt(1)
	v_fmac_f32_e32 v134, v137, v144
	s_waitcnt lgkmcnt(2)
	s_delay_alu instid0(VALU_DEP_1) | instskip(NEXT) | instid1(VALU_DEP_1)
	v_fmac_f32_e32 v134, v138, v145
	v_fmac_f32_e32 v134, v139, v146
	s_waitcnt lgkmcnt(1)
	s_delay_alu instid0(VALU_DEP_1) | instskip(SKIP_1) | instid1(VALU_DEP_1)
	v_fmac_f32_e32 v134, v140, v147
	s_waitcnt vmcnt(0)
	v_fmac_f32_e32 v134, v3, v148
	s_waitcnt lgkmcnt(0)
	s_delay_alu instid0(VALU_DEP_1) | instskip(NEXT) | instid1(VALU_DEP_1)
	v_fmac_f32_e32 v134, v4, v135
	v_sub_f32_e32 v3, v133, v134
	scratch_store_b32 off, v3, off offset:216
	v_cmpx_lt_u32_e32 53, v0
	s_cbranch_execz .LBB127_285
; %bb.284:
	scratch_load_b32 v3, off, off offset:212
	scratch_store_b32 off, v2, off offset:212
	s_waitcnt vmcnt(0)
	ds_store_b32 v1, v3
.LBB127_285:
	s_or_b32 exec_lo, exec_lo, s0
	s_waitcnt lgkmcnt(0)
	s_waitcnt_vscnt null, 0x0
	s_barrier
	buffer_gl0_inv
	s_clause 0x2
	scratch_load_b128 v[133:136], off, off offset:212
	scratch_load_b128 v[137:140], off, off offset:228
	scratch_load_b96 v[149:151], off, off offset:244
	ds_load_2addr_b64 v[141:144], v2 offset0:59 offset1:60
	ds_load_2addr_b64 v[145:148], v2 offset0:61 offset1:62
	ds_load_b64 v[2:3], v2 offset:504
	s_mov_b32 s0, exec_lo
	s_waitcnt vmcnt(2) lgkmcnt(2)
	v_fma_f32 v4, v134, v141, 0
	s_delay_alu instid0(VALU_DEP_1) | instskip(NEXT) | instid1(VALU_DEP_1)
	v_fmac_f32_e32 v4, v135, v142
	v_fmac_f32_e32 v4, v136, v143
	s_waitcnt vmcnt(1)
	s_delay_alu instid0(VALU_DEP_1) | instskip(SKIP_1) | instid1(VALU_DEP_1)
	v_fmac_f32_e32 v4, v137, v144
	s_waitcnt lgkmcnt(1)
	v_fmac_f32_e32 v4, v138, v145
	s_delay_alu instid0(VALU_DEP_1) | instskip(NEXT) | instid1(VALU_DEP_1)
	v_fmac_f32_e32 v4, v139, v146
	v_fmac_f32_e32 v4, v140, v147
	s_waitcnt vmcnt(0)
	s_delay_alu instid0(VALU_DEP_1) | instskip(SKIP_1) | instid1(VALU_DEP_1)
	v_fmac_f32_e32 v4, v149, v148
	s_waitcnt lgkmcnt(0)
	v_fmac_f32_e32 v4, v150, v2
	s_delay_alu instid0(VALU_DEP_1) | instskip(NEXT) | instid1(VALU_DEP_1)
	v_fmac_f32_e32 v4, v151, v3
	v_sub_f32_e32 v2, v133, v4
	scratch_store_b32 off, v2, off offset:212
	v_cmpx_lt_u32_e32 52, v0
	s_cbranch_execz .LBB127_287
; %bb.286:
	scratch_load_b32 v2, off, off offset:208
	v_mov_b32_e32 v3, 0
	scratch_store_b32 off, v3, off offset:208
	s_waitcnt vmcnt(0)
	ds_store_b32 v1, v2
.LBB127_287:
	s_or_b32 exec_lo, exec_lo, s0
	s_waitcnt lgkmcnt(0)
	s_waitcnt_vscnt null, 0x0
	s_barrier
	buffer_gl0_inv
	s_clause 0x2
	scratch_load_b128 v[133:136], off, off offset:208
	scratch_load_b128 v[137:140], off, off offset:224
	;; [unrolled: 1-line block ×3, first 2 shown]
	v_mov_b32_e32 v2, 0
	ds_load_2addr_b32 v[3:4], v2 offset0:117 offset1:118
	ds_load_2addr_b32 v[145:146], v2 offset0:119 offset1:120
	;; [unrolled: 1-line block ×4, first 2 shown]
	s_mov_b32 s0, exec_lo
	s_waitcnt vmcnt(2) lgkmcnt(3)
	v_fma_f32 v134, v134, v3, 0
	s_delay_alu instid0(VALU_DEP_1)
	v_fmac_f32_e32 v134, v135, v4
	ds_load_2addr_b32 v[3:4], v2 offset0:125 offset1:126
	ds_load_b32 v135, v2 offset:508
	s_waitcnt lgkmcnt(4)
	v_fmac_f32_e32 v134, v136, v145
	s_waitcnt vmcnt(1)
	s_delay_alu instid0(VALU_DEP_1) | instskip(SKIP_1) | instid1(VALU_DEP_1)
	v_fmac_f32_e32 v134, v137, v146
	s_waitcnt lgkmcnt(3)
	v_fmac_f32_e32 v134, v138, v147
	s_delay_alu instid0(VALU_DEP_1) | instskip(SKIP_1) | instid1(VALU_DEP_1)
	v_fmac_f32_e32 v134, v139, v148
	s_waitcnt lgkmcnt(2)
	v_fmac_f32_e32 v134, v140, v149
	s_waitcnt vmcnt(0)
	s_delay_alu instid0(VALU_DEP_1) | instskip(SKIP_1) | instid1(VALU_DEP_1)
	v_fmac_f32_e32 v134, v141, v150
	s_waitcnt lgkmcnt(1)
	v_fmac_f32_e32 v134, v142, v3
	s_delay_alu instid0(VALU_DEP_1) | instskip(SKIP_1) | instid1(VALU_DEP_1)
	v_fmac_f32_e32 v134, v143, v4
	s_waitcnt lgkmcnt(0)
	v_fmac_f32_e32 v134, v144, v135
	s_delay_alu instid0(VALU_DEP_1)
	v_sub_f32_e32 v3, v133, v134
	scratch_store_b32 off, v3, off offset:208
	v_cmpx_lt_u32_e32 51, v0
	s_cbranch_execz .LBB127_289
; %bb.288:
	scratch_load_b32 v3, off, off offset:204
	scratch_store_b32 off, v2, off offset:204
	s_waitcnt vmcnt(0)
	ds_store_b32 v1, v3
.LBB127_289:
	s_or_b32 exec_lo, exec_lo, s0
	s_waitcnt lgkmcnt(0)
	s_waitcnt_vscnt null, 0x0
	s_barrier
	buffer_gl0_inv
	s_clause 0x3
	scratch_load_b128 v[133:136], off, off offset:204
	scratch_load_b128 v[137:140], off, off offset:220
	;; [unrolled: 1-line block ×3, first 2 shown]
	scratch_load_b32 v3, off, off offset:252
	ds_load_b128 v[145:148], v2 offset:464
	ds_load_b128 v[149:152], v2 offset:480
	s_mov_b32 s0, exec_lo
	s_waitcnt vmcnt(3) lgkmcnt(1)
	v_fma_f32 v4, v134, v145, 0
	s_delay_alu instid0(VALU_DEP_1) | instskip(NEXT) | instid1(VALU_DEP_1)
	v_fmac_f32_e32 v4, v135, v146
	v_fmac_f32_e32 v4, v136, v147
	s_waitcnt vmcnt(2)
	s_delay_alu instid0(VALU_DEP_1) | instskip(SKIP_3) | instid1(VALU_DEP_1)
	v_fmac_f32_e32 v4, v137, v148
	ds_load_b128 v[134:137], v2 offset:496
	s_waitcnt lgkmcnt(1)
	v_fmac_f32_e32 v4, v138, v149
	v_fmac_f32_e32 v4, v139, v150
	s_delay_alu instid0(VALU_DEP_1) | instskip(SKIP_1) | instid1(VALU_DEP_1)
	v_fmac_f32_e32 v4, v140, v151
	s_waitcnt vmcnt(1)
	v_fmac_f32_e32 v4, v141, v152
	s_waitcnt lgkmcnt(0)
	s_delay_alu instid0(VALU_DEP_1) | instskip(NEXT) | instid1(VALU_DEP_1)
	v_fmac_f32_e32 v4, v142, v134
	v_fmac_f32_e32 v4, v143, v135
	s_delay_alu instid0(VALU_DEP_1) | instskip(SKIP_1) | instid1(VALU_DEP_1)
	v_fmac_f32_e32 v4, v144, v136
	s_waitcnt vmcnt(0)
	v_fmac_f32_e32 v4, v3, v137
	s_delay_alu instid0(VALU_DEP_1)
	v_sub_f32_e32 v2, v133, v4
	scratch_store_b32 off, v2, off offset:204
	v_cmpx_lt_u32_e32 50, v0
	s_cbranch_execz .LBB127_291
; %bb.290:
	scratch_load_b32 v2, off, off offset:200
	v_mov_b32_e32 v3, 0
	scratch_store_b32 off, v3, off offset:200
	s_waitcnt vmcnt(0)
	ds_store_b32 v1, v2
.LBB127_291:
	s_or_b32 exec_lo, exec_lo, s0
	s_waitcnt lgkmcnt(0)
	s_waitcnt_vscnt null, 0x0
	s_barrier
	buffer_gl0_inv
	s_clause 0x3
	scratch_load_b128 v[133:136], off, off offset:200
	scratch_load_b128 v[137:140], off, off offset:216
	scratch_load_b128 v[141:144], off, off offset:232
	scratch_load_b64 v[3:4], off, off offset:248
	v_mov_b32_e32 v2, 0
	ds_load_2addr_b32 v[145:146], v2 offset0:115 offset1:116
	ds_load_2addr_b32 v[147:148], v2 offset0:117 offset1:118
	;; [unrolled: 1-line block ×4, first 2 shown]
	s_mov_b32 s0, exec_lo
	s_waitcnt vmcnt(3) lgkmcnt(3)
	v_fma_f32 v145, v134, v145, 0
	s_delay_alu instid0(VALU_DEP_1) | instskip(SKIP_4) | instid1(VALU_DEP_1)
	v_fmac_f32_e32 v145, v135, v146
	ds_load_2addr_b32 v[134:135], v2 offset0:123 offset1:124
	s_waitcnt lgkmcnt(3)
	v_fmac_f32_e32 v145, v136, v147
	s_waitcnt vmcnt(2)
	v_fmac_f32_e32 v145, v137, v148
	ds_load_2addr_b32 v[136:137], v2 offset0:125 offset1:126
	s_waitcnt lgkmcnt(3)
	v_fmac_f32_e32 v145, v138, v149
	ds_load_b32 v138, v2 offset:508
	v_fmac_f32_e32 v145, v139, v150
	s_waitcnt lgkmcnt(3)
	s_delay_alu instid0(VALU_DEP_1) | instskip(SKIP_1) | instid1(VALU_DEP_1)
	v_fmac_f32_e32 v145, v140, v151
	s_waitcnt vmcnt(1)
	v_fmac_f32_e32 v145, v141, v152
	s_waitcnt lgkmcnt(2)
	s_delay_alu instid0(VALU_DEP_1) | instskip(NEXT) | instid1(VALU_DEP_1)
	v_fmac_f32_e32 v145, v142, v134
	v_fmac_f32_e32 v145, v143, v135
	s_waitcnt lgkmcnt(1)
	s_delay_alu instid0(VALU_DEP_1) | instskip(SKIP_1) | instid1(VALU_DEP_1)
	v_fmac_f32_e32 v145, v144, v136
	s_waitcnt vmcnt(0)
	v_fmac_f32_e32 v145, v3, v137
	s_waitcnt lgkmcnt(0)
	s_delay_alu instid0(VALU_DEP_1) | instskip(NEXT) | instid1(VALU_DEP_1)
	v_fmac_f32_e32 v145, v4, v138
	v_sub_f32_e32 v3, v133, v145
	scratch_store_b32 off, v3, off offset:200
	v_cmpx_lt_u32_e32 49, v0
	s_cbranch_execz .LBB127_293
; %bb.292:
	scratch_load_b32 v3, off, off offset:196
	scratch_store_b32 off, v2, off offset:196
	s_waitcnt vmcnt(0)
	ds_store_b32 v1, v3
.LBB127_293:
	s_or_b32 exec_lo, exec_lo, s0
	s_waitcnt lgkmcnt(0)
	s_waitcnt_vscnt null, 0x0
	s_barrier
	buffer_gl0_inv
	s_clause 0x3
	scratch_load_b128 v[133:136], off, off offset:196
	scratch_load_b128 v[137:140], off, off offset:212
	;; [unrolled: 1-line block ×3, first 2 shown]
	scratch_load_b96 v[153:155], off, off offset:244
	ds_load_2addr_b64 v[145:148], v2 offset0:57 offset1:58
	ds_load_2addr_b64 v[149:152], v2 offset0:59 offset1:60
	s_mov_b32 s0, exec_lo
	s_waitcnt vmcnt(3) lgkmcnt(1)
	v_fma_f32 v4, v134, v145, 0
	s_delay_alu instid0(VALU_DEP_1) | instskip(NEXT) | instid1(VALU_DEP_1)
	v_fmac_f32_e32 v4, v135, v146
	v_fmac_f32_e32 v4, v136, v147
	s_waitcnt vmcnt(2)
	s_delay_alu instid0(VALU_DEP_1) | instskip(SKIP_4) | instid1(VALU_DEP_1)
	v_fmac_f32_e32 v4, v137, v148
	ds_load_2addr_b64 v[134:137], v2 offset0:61 offset1:62
	ds_load_b64 v[2:3], v2 offset:504
	s_waitcnt lgkmcnt(2)
	v_fmac_f32_e32 v4, v138, v149
	v_fmac_f32_e32 v4, v139, v150
	s_delay_alu instid0(VALU_DEP_1) | instskip(SKIP_1) | instid1(VALU_DEP_1)
	v_fmac_f32_e32 v4, v140, v151
	s_waitcnt vmcnt(1)
	v_fmac_f32_e32 v4, v141, v152
	s_waitcnt lgkmcnt(1)
	s_delay_alu instid0(VALU_DEP_1) | instskip(NEXT) | instid1(VALU_DEP_1)
	v_fmac_f32_e32 v4, v142, v134
	v_fmac_f32_e32 v4, v143, v135
	s_delay_alu instid0(VALU_DEP_1) | instskip(SKIP_1) | instid1(VALU_DEP_1)
	v_fmac_f32_e32 v4, v144, v136
	s_waitcnt vmcnt(0)
	v_fmac_f32_e32 v4, v153, v137
	s_waitcnt lgkmcnt(0)
	s_delay_alu instid0(VALU_DEP_1) | instskip(NEXT) | instid1(VALU_DEP_1)
	v_fmac_f32_e32 v4, v154, v2
	v_fmac_f32_e32 v4, v155, v3
	s_delay_alu instid0(VALU_DEP_1)
	v_sub_f32_e32 v2, v133, v4
	scratch_store_b32 off, v2, off offset:196
	v_cmpx_lt_u32_e32 48, v0
	s_cbranch_execz .LBB127_295
; %bb.294:
	scratch_load_b32 v2, off, off offset:192
	v_mov_b32_e32 v3, 0
	scratch_store_b32 off, v3, off offset:192
	s_waitcnt vmcnt(0)
	ds_store_b32 v1, v2
.LBB127_295:
	s_or_b32 exec_lo, exec_lo, s0
	s_waitcnt lgkmcnt(0)
	s_waitcnt_vscnt null, 0x0
	s_barrier
	buffer_gl0_inv
	s_clause 0x3
	scratch_load_b128 v[133:136], off, off offset:192
	scratch_load_b128 v[137:140], off, off offset:208
	;; [unrolled: 1-line block ×4, first 2 shown]
	v_mov_b32_e32 v2, 0
	ds_load_2addr_b32 v[3:4], v2 offset0:113 offset1:114
	ds_load_2addr_b32 v[149:150], v2 offset0:115 offset1:116
	;; [unrolled: 1-line block ×4, first 2 shown]
	s_mov_b32 s0, exec_lo
	s_waitcnt vmcnt(3) lgkmcnt(3)
	v_fma_f32 v155, v134, v3, 0
	s_delay_alu instid0(VALU_DEP_1)
	v_fmac_f32_e32 v155, v135, v4
	ds_load_2addr_b32 v[3:4], v2 offset0:121 offset1:122
	ds_load_2addr_b32 v[134:135], v2 offset0:123 offset1:124
	s_waitcnt lgkmcnt(4)
	v_fmac_f32_e32 v155, v136, v149
	s_waitcnt vmcnt(2)
	s_delay_alu instid0(VALU_DEP_1) | instskip(SKIP_1) | instid1(VALU_DEP_1)
	v_fmac_f32_e32 v155, v137, v150
	s_waitcnt lgkmcnt(3)
	v_fmac_f32_e32 v155, v138, v151
	ds_load_2addr_b32 v[136:137], v2 offset0:125 offset1:126
	ds_load_b32 v138, v2 offset:508
	v_fmac_f32_e32 v155, v139, v152
	s_waitcnt lgkmcnt(4)
	s_delay_alu instid0(VALU_DEP_1) | instskip(SKIP_1) | instid1(VALU_DEP_1)
	v_fmac_f32_e32 v155, v140, v153
	s_waitcnt vmcnt(1)
	v_fmac_f32_e32 v155, v141, v154
	s_waitcnt lgkmcnt(3)
	s_delay_alu instid0(VALU_DEP_1) | instskip(NEXT) | instid1(VALU_DEP_1)
	v_fmac_f32_e32 v155, v142, v3
	v_fmac_f32_e32 v155, v143, v4
	s_waitcnt lgkmcnt(2)
	s_delay_alu instid0(VALU_DEP_1) | instskip(SKIP_1) | instid1(VALU_DEP_1)
	v_fmac_f32_e32 v155, v144, v134
	s_waitcnt vmcnt(0)
	v_fmac_f32_e32 v155, v145, v135
	s_waitcnt lgkmcnt(1)
	s_delay_alu instid0(VALU_DEP_1) | instskip(NEXT) | instid1(VALU_DEP_1)
	v_fmac_f32_e32 v155, v146, v136
	v_fmac_f32_e32 v155, v147, v137
	s_waitcnt lgkmcnt(0)
	s_delay_alu instid0(VALU_DEP_1) | instskip(NEXT) | instid1(VALU_DEP_1)
	v_fmac_f32_e32 v155, v148, v138
	v_sub_f32_e32 v3, v133, v155
	scratch_store_b32 off, v3, off offset:192
	v_cmpx_lt_u32_e32 47, v0
	s_cbranch_execz .LBB127_297
; %bb.296:
	scratch_load_b32 v3, off, off offset:188
	scratch_store_b32 off, v2, off offset:188
	s_waitcnt vmcnt(0)
	ds_store_b32 v1, v3
.LBB127_297:
	s_or_b32 exec_lo, exec_lo, s0
	s_waitcnt lgkmcnt(0)
	s_waitcnt_vscnt null, 0x0
	s_barrier
	buffer_gl0_inv
	s_clause 0x4
	scratch_load_b128 v[133:136], off, off offset:188
	scratch_load_b128 v[137:140], off, off offset:204
	;; [unrolled: 1-line block ×4, first 2 shown]
	scratch_load_b32 v3, off, off offset:252
	ds_load_b128 v[149:152], v2 offset:448
	ds_load_b128 v[153:156], v2 offset:464
	s_mov_b32 s0, exec_lo
	s_waitcnt vmcnt(4) lgkmcnt(1)
	v_fma_f32 v4, v134, v149, 0
	s_delay_alu instid0(VALU_DEP_1) | instskip(NEXT) | instid1(VALU_DEP_1)
	v_fmac_f32_e32 v4, v135, v150
	v_fmac_f32_e32 v4, v136, v151
	s_waitcnt vmcnt(3)
	s_delay_alu instid0(VALU_DEP_1) | instskip(SKIP_3) | instid1(VALU_DEP_1)
	v_fmac_f32_e32 v4, v137, v152
	ds_load_b128 v[134:137], v2 offset:480
	s_waitcnt lgkmcnt(1)
	v_fmac_f32_e32 v4, v138, v153
	v_fmac_f32_e32 v4, v139, v154
	s_delay_alu instid0(VALU_DEP_1) | instskip(SKIP_1) | instid1(VALU_DEP_1)
	v_fmac_f32_e32 v4, v140, v155
	s_waitcnt vmcnt(2)
	v_fmac_f32_e32 v4, v141, v156
	ds_load_b128 v[138:141], v2 offset:496
	s_waitcnt lgkmcnt(1)
	v_fmac_f32_e32 v4, v142, v134
	s_delay_alu instid0(VALU_DEP_1) | instskip(NEXT) | instid1(VALU_DEP_1)
	v_fmac_f32_e32 v4, v143, v135
	v_fmac_f32_e32 v4, v144, v136
	s_waitcnt vmcnt(1)
	s_delay_alu instid0(VALU_DEP_1) | instskip(SKIP_1) | instid1(VALU_DEP_1)
	v_fmac_f32_e32 v4, v145, v137
	s_waitcnt lgkmcnt(0)
	v_fmac_f32_e32 v4, v146, v138
	s_delay_alu instid0(VALU_DEP_1) | instskip(NEXT) | instid1(VALU_DEP_1)
	v_fmac_f32_e32 v4, v147, v139
	v_fmac_f32_e32 v4, v148, v140
	s_waitcnt vmcnt(0)
	s_delay_alu instid0(VALU_DEP_1) | instskip(NEXT) | instid1(VALU_DEP_1)
	v_fmac_f32_e32 v4, v3, v141
	v_sub_f32_e32 v2, v133, v4
	scratch_store_b32 off, v2, off offset:188
	v_cmpx_lt_u32_e32 46, v0
	s_cbranch_execz .LBB127_299
; %bb.298:
	scratch_load_b32 v2, off, off offset:184
	v_mov_b32_e32 v3, 0
	scratch_store_b32 off, v3, off offset:184
	s_waitcnt vmcnt(0)
	ds_store_b32 v1, v2
.LBB127_299:
	s_or_b32 exec_lo, exec_lo, s0
	s_waitcnt lgkmcnt(0)
	s_waitcnt_vscnt null, 0x0
	s_barrier
	buffer_gl0_inv
	s_clause 0x4
	scratch_load_b128 v[133:136], off, off offset:184
	scratch_load_b128 v[137:140], off, off offset:200
	scratch_load_b128 v[141:144], off, off offset:216
	scratch_load_b128 v[145:148], off, off offset:232
	scratch_load_b64 v[3:4], off, off offset:248
	v_mov_b32_e32 v2, 0
	ds_load_2addr_b32 v[149:150], v2 offset0:111 offset1:112
	ds_load_2addr_b32 v[151:152], v2 offset0:113 offset1:114
	;; [unrolled: 1-line block ×4, first 2 shown]
	s_mov_b32 s0, exec_lo
	s_waitcnt vmcnt(4) lgkmcnt(3)
	v_fma_f32 v149, v134, v149, 0
	s_delay_alu instid0(VALU_DEP_1) | instskip(SKIP_4) | instid1(VALU_DEP_1)
	v_fmac_f32_e32 v149, v135, v150
	ds_load_2addr_b32 v[134:135], v2 offset0:119 offset1:120
	s_waitcnt lgkmcnt(3)
	v_fmac_f32_e32 v149, v136, v151
	s_waitcnt vmcnt(3)
	v_fmac_f32_e32 v149, v137, v152
	ds_load_2addr_b32 v[136:137], v2 offset0:121 offset1:122
	s_waitcnt lgkmcnt(3)
	v_fmac_f32_e32 v149, v138, v153
	s_delay_alu instid0(VALU_DEP_1) | instskip(SKIP_1) | instid1(VALU_DEP_1)
	v_fmac_f32_e32 v149, v139, v154
	s_waitcnt lgkmcnt(2)
	v_fmac_f32_e32 v149, v140, v155
	s_waitcnt vmcnt(2)
	s_delay_alu instid0(VALU_DEP_1)
	v_fmac_f32_e32 v149, v141, v156
	ds_load_2addr_b32 v[138:139], v2 offset0:123 offset1:124
	ds_load_2addr_b32 v[140:141], v2 offset0:125 offset1:126
	s_waitcnt lgkmcnt(3)
	v_fmac_f32_e32 v149, v142, v134
	ds_load_b32 v134, v2 offset:508
	v_fmac_f32_e32 v149, v143, v135
	s_waitcnt lgkmcnt(3)
	s_delay_alu instid0(VALU_DEP_1) | instskip(SKIP_1) | instid1(VALU_DEP_1)
	v_fmac_f32_e32 v149, v144, v136
	s_waitcnt vmcnt(1)
	v_fmac_f32_e32 v149, v145, v137
	s_waitcnt lgkmcnt(2)
	s_delay_alu instid0(VALU_DEP_1) | instskip(NEXT) | instid1(VALU_DEP_1)
	v_fmac_f32_e32 v149, v146, v138
	v_fmac_f32_e32 v149, v147, v139
	s_waitcnt lgkmcnt(1)
	s_delay_alu instid0(VALU_DEP_1) | instskip(SKIP_1) | instid1(VALU_DEP_1)
	v_fmac_f32_e32 v149, v148, v140
	s_waitcnt vmcnt(0)
	v_fmac_f32_e32 v149, v3, v141
	s_waitcnt lgkmcnt(0)
	s_delay_alu instid0(VALU_DEP_1) | instskip(NEXT) | instid1(VALU_DEP_1)
	v_fmac_f32_e32 v149, v4, v134
	v_sub_f32_e32 v3, v133, v149
	scratch_store_b32 off, v3, off offset:184
	v_cmpx_lt_u32_e32 45, v0
	s_cbranch_execz .LBB127_301
; %bb.300:
	scratch_load_b32 v3, off, off offset:180
	scratch_store_b32 off, v2, off offset:180
	s_waitcnt vmcnt(0)
	ds_store_b32 v1, v3
.LBB127_301:
	s_or_b32 exec_lo, exec_lo, s0
	s_waitcnt lgkmcnt(0)
	s_waitcnt_vscnt null, 0x0
	s_barrier
	buffer_gl0_inv
	s_clause 0x4
	scratch_load_b128 v[133:136], off, off offset:180
	scratch_load_b128 v[137:140], off, off offset:196
	;; [unrolled: 1-line block ×4, first 2 shown]
	scratch_load_b96 v[157:159], off, off offset:244
	ds_load_2addr_b64 v[149:152], v2 offset0:55 offset1:56
	ds_load_2addr_b64 v[153:156], v2 offset0:57 offset1:58
	s_mov_b32 s0, exec_lo
	s_waitcnt vmcnt(4) lgkmcnt(1)
	v_fma_f32 v4, v134, v149, 0
	s_delay_alu instid0(VALU_DEP_1) | instskip(NEXT) | instid1(VALU_DEP_1)
	v_fmac_f32_e32 v4, v135, v150
	v_fmac_f32_e32 v4, v136, v151
	s_waitcnt vmcnt(3)
	s_delay_alu instid0(VALU_DEP_1) | instskip(SKIP_3) | instid1(VALU_DEP_1)
	v_fmac_f32_e32 v4, v137, v152
	ds_load_2addr_b64 v[134:137], v2 offset0:59 offset1:60
	s_waitcnt lgkmcnt(1)
	v_fmac_f32_e32 v4, v138, v153
	v_fmac_f32_e32 v4, v139, v154
	s_delay_alu instid0(VALU_DEP_1) | instskip(SKIP_1) | instid1(VALU_DEP_1)
	v_fmac_f32_e32 v4, v140, v155
	s_waitcnt vmcnt(2)
	v_fmac_f32_e32 v4, v141, v156
	ds_load_2addr_b64 v[138:141], v2 offset0:61 offset1:62
	ds_load_b64 v[2:3], v2 offset:504
	s_waitcnt lgkmcnt(2)
	v_fmac_f32_e32 v4, v142, v134
	s_delay_alu instid0(VALU_DEP_1) | instskip(NEXT) | instid1(VALU_DEP_1)
	v_fmac_f32_e32 v4, v143, v135
	v_fmac_f32_e32 v4, v144, v136
	s_waitcnt vmcnt(1)
	s_delay_alu instid0(VALU_DEP_1) | instskip(SKIP_1) | instid1(VALU_DEP_1)
	v_fmac_f32_e32 v4, v145, v137
	s_waitcnt lgkmcnt(1)
	v_fmac_f32_e32 v4, v146, v138
	s_delay_alu instid0(VALU_DEP_1) | instskip(NEXT) | instid1(VALU_DEP_1)
	v_fmac_f32_e32 v4, v147, v139
	v_fmac_f32_e32 v4, v148, v140
	s_waitcnt vmcnt(0)
	s_delay_alu instid0(VALU_DEP_1) | instskip(SKIP_1) | instid1(VALU_DEP_1)
	v_fmac_f32_e32 v4, v157, v141
	s_waitcnt lgkmcnt(0)
	v_fmac_f32_e32 v4, v158, v2
	s_delay_alu instid0(VALU_DEP_1) | instskip(NEXT) | instid1(VALU_DEP_1)
	v_fmac_f32_e32 v4, v159, v3
	v_sub_f32_e32 v2, v133, v4
	scratch_store_b32 off, v2, off offset:180
	v_cmpx_lt_u32_e32 44, v0
	s_cbranch_execz .LBB127_303
; %bb.302:
	scratch_load_b32 v2, off, off offset:176
	v_mov_b32_e32 v3, 0
	scratch_store_b32 off, v3, off offset:176
	s_waitcnt vmcnt(0)
	ds_store_b32 v1, v2
.LBB127_303:
	s_or_b32 exec_lo, exec_lo, s0
	s_waitcnt lgkmcnt(0)
	s_waitcnt_vscnt null, 0x0
	s_barrier
	buffer_gl0_inv
	s_clause 0x4
	scratch_load_b128 v[133:136], off, off offset:176
	scratch_load_b128 v[137:140], off, off offset:192
	;; [unrolled: 1-line block ×5, first 2 shown]
	v_mov_b32_e32 v2, 0
	ds_load_2addr_b32 v[3:4], v2 offset0:109 offset1:110
	ds_load_2addr_b32 v[153:154], v2 offset0:111 offset1:112
	;; [unrolled: 1-line block ×4, first 2 shown]
	s_mov_b32 s0, exec_lo
	s_waitcnt vmcnt(4) lgkmcnt(3)
	v_fma_f32 v159, v134, v3, 0
	s_delay_alu instid0(VALU_DEP_1)
	v_fmac_f32_e32 v159, v135, v4
	ds_load_2addr_b32 v[3:4], v2 offset0:117 offset1:118
	ds_load_2addr_b32 v[134:135], v2 offset0:119 offset1:120
	s_waitcnt lgkmcnt(4)
	v_fmac_f32_e32 v159, v136, v153
	s_waitcnt vmcnt(3)
	s_delay_alu instid0(VALU_DEP_1) | instskip(SKIP_1) | instid1(VALU_DEP_1)
	v_fmac_f32_e32 v159, v137, v154
	s_waitcnt lgkmcnt(3)
	v_fmac_f32_e32 v159, v138, v155
	s_delay_alu instid0(VALU_DEP_1)
	v_fmac_f32_e32 v159, v139, v156
	ds_load_2addr_b32 v[136:137], v2 offset0:121 offset1:122
	ds_load_2addr_b32 v[138:139], v2 offset0:123 offset1:124
	s_waitcnt lgkmcnt(4)
	v_fmac_f32_e32 v159, v140, v157
	s_waitcnt vmcnt(2)
	s_delay_alu instid0(VALU_DEP_1) | instskip(SKIP_1) | instid1(VALU_DEP_1)
	v_fmac_f32_e32 v159, v141, v158
	s_waitcnt lgkmcnt(3)
	v_fmac_f32_e32 v159, v142, v3
	s_delay_alu instid0(VALU_DEP_1)
	v_fmac_f32_e32 v159, v143, v4
	ds_load_2addr_b32 v[3:4], v2 offset0:125 offset1:126
	s_waitcnt lgkmcnt(3)
	v_fmac_f32_e32 v159, v144, v134
	ds_load_b32 v134, v2 offset:508
	s_waitcnt vmcnt(1)
	v_fmac_f32_e32 v159, v145, v135
	s_waitcnt lgkmcnt(3)
	s_delay_alu instid0(VALU_DEP_1) | instskip(NEXT) | instid1(VALU_DEP_1)
	v_fmac_f32_e32 v159, v146, v136
	v_fmac_f32_e32 v159, v147, v137
	s_waitcnt lgkmcnt(2)
	s_delay_alu instid0(VALU_DEP_1) | instskip(SKIP_1) | instid1(VALU_DEP_1)
	v_fmac_f32_e32 v159, v148, v138
	s_waitcnt vmcnt(0)
	v_fmac_f32_e32 v159, v149, v139
	s_waitcnt lgkmcnt(1)
	s_delay_alu instid0(VALU_DEP_1) | instskip(NEXT) | instid1(VALU_DEP_1)
	v_fmac_f32_e32 v159, v150, v3
	v_fmac_f32_e32 v159, v151, v4
	s_waitcnt lgkmcnt(0)
	s_delay_alu instid0(VALU_DEP_1) | instskip(NEXT) | instid1(VALU_DEP_1)
	v_fmac_f32_e32 v159, v152, v134
	v_sub_f32_e32 v3, v133, v159
	scratch_store_b32 off, v3, off offset:176
	v_cmpx_lt_u32_e32 43, v0
	s_cbranch_execz .LBB127_305
; %bb.304:
	scratch_load_b32 v3, off, off offset:172
	scratch_store_b32 off, v2, off offset:172
	s_waitcnt vmcnt(0)
	ds_store_b32 v1, v3
.LBB127_305:
	s_or_b32 exec_lo, exec_lo, s0
	s_waitcnt lgkmcnt(0)
	s_waitcnt_vscnt null, 0x0
	s_barrier
	buffer_gl0_inv
	s_clause 0x5
	scratch_load_b128 v[133:136], off, off offset:172
	scratch_load_b128 v[137:140], off, off offset:188
	;; [unrolled: 1-line block ×5, first 2 shown]
	scratch_load_b32 v3, off, off offset:252
	ds_load_b128 v[153:156], v2 offset:432
	ds_load_b128 v[157:160], v2 offset:448
	s_mov_b32 s0, exec_lo
	s_waitcnt vmcnt(5) lgkmcnt(1)
	v_fma_f32 v4, v134, v153, 0
	s_delay_alu instid0(VALU_DEP_1) | instskip(NEXT) | instid1(VALU_DEP_1)
	v_fmac_f32_e32 v4, v135, v154
	v_fmac_f32_e32 v4, v136, v155
	s_waitcnt vmcnt(4)
	s_delay_alu instid0(VALU_DEP_1) | instskip(SKIP_3) | instid1(VALU_DEP_1)
	v_fmac_f32_e32 v4, v137, v156
	ds_load_b128 v[134:137], v2 offset:464
	s_waitcnt lgkmcnt(1)
	v_fmac_f32_e32 v4, v138, v157
	v_fmac_f32_e32 v4, v139, v158
	s_delay_alu instid0(VALU_DEP_1) | instskip(SKIP_1) | instid1(VALU_DEP_1)
	v_fmac_f32_e32 v4, v140, v159
	s_waitcnt vmcnt(3)
	v_fmac_f32_e32 v4, v141, v160
	ds_load_b128 v[138:141], v2 offset:480
	s_waitcnt lgkmcnt(1)
	v_fmac_f32_e32 v4, v142, v134
	s_delay_alu instid0(VALU_DEP_1) | instskip(NEXT) | instid1(VALU_DEP_1)
	v_fmac_f32_e32 v4, v143, v135
	v_fmac_f32_e32 v4, v144, v136
	s_waitcnt vmcnt(2)
	s_delay_alu instid0(VALU_DEP_1) | instskip(SKIP_3) | instid1(VALU_DEP_1)
	v_fmac_f32_e32 v4, v145, v137
	ds_load_b128 v[134:137], v2 offset:496
	s_waitcnt lgkmcnt(1)
	v_fmac_f32_e32 v4, v146, v138
	v_fmac_f32_e32 v4, v147, v139
	s_delay_alu instid0(VALU_DEP_1) | instskip(SKIP_1) | instid1(VALU_DEP_1)
	v_fmac_f32_e32 v4, v148, v140
	s_waitcnt vmcnt(1)
	v_fmac_f32_e32 v4, v149, v141
	s_waitcnt lgkmcnt(0)
	s_delay_alu instid0(VALU_DEP_1) | instskip(NEXT) | instid1(VALU_DEP_1)
	v_fmac_f32_e32 v4, v150, v134
	v_fmac_f32_e32 v4, v151, v135
	s_delay_alu instid0(VALU_DEP_1) | instskip(SKIP_1) | instid1(VALU_DEP_1)
	v_fmac_f32_e32 v4, v152, v136
	s_waitcnt vmcnt(0)
	v_fmac_f32_e32 v4, v3, v137
	s_delay_alu instid0(VALU_DEP_1)
	v_sub_f32_e32 v2, v133, v4
	scratch_store_b32 off, v2, off offset:172
	v_cmpx_lt_u32_e32 42, v0
	s_cbranch_execz .LBB127_307
; %bb.306:
	scratch_load_b32 v2, off, off offset:168
	v_mov_b32_e32 v3, 0
	scratch_store_b32 off, v3, off offset:168
	s_waitcnt vmcnt(0)
	ds_store_b32 v1, v2
.LBB127_307:
	s_or_b32 exec_lo, exec_lo, s0
	s_waitcnt lgkmcnt(0)
	s_waitcnt_vscnt null, 0x0
	s_barrier
	buffer_gl0_inv
	s_clause 0x5
	scratch_load_b128 v[133:136], off, off offset:168
	scratch_load_b128 v[137:140], off, off offset:184
	;; [unrolled: 1-line block ×5, first 2 shown]
	scratch_load_b64 v[3:4], off, off offset:248
	v_mov_b32_e32 v2, 0
	ds_load_2addr_b32 v[153:154], v2 offset0:107 offset1:108
	ds_load_2addr_b32 v[155:156], v2 offset0:109 offset1:110
	;; [unrolled: 1-line block ×4, first 2 shown]
	s_mov_b32 s0, exec_lo
	s_waitcnt vmcnt(5) lgkmcnt(3)
	v_fma_f32 v153, v134, v153, 0
	s_delay_alu instid0(VALU_DEP_1) | instskip(SKIP_4) | instid1(VALU_DEP_1)
	v_fmac_f32_e32 v153, v135, v154
	ds_load_2addr_b32 v[134:135], v2 offset0:115 offset1:116
	s_waitcnt lgkmcnt(3)
	v_fmac_f32_e32 v153, v136, v155
	s_waitcnt vmcnt(4)
	v_fmac_f32_e32 v153, v137, v156
	ds_load_2addr_b32 v[136:137], v2 offset0:117 offset1:118
	s_waitcnt lgkmcnt(3)
	v_fmac_f32_e32 v153, v138, v157
	s_delay_alu instid0(VALU_DEP_1) | instskip(SKIP_1) | instid1(VALU_DEP_1)
	v_fmac_f32_e32 v153, v139, v158
	s_waitcnt lgkmcnt(2)
	v_fmac_f32_e32 v153, v140, v159
	s_waitcnt vmcnt(3)
	s_delay_alu instid0(VALU_DEP_1) | instskip(SKIP_4) | instid1(VALU_DEP_1)
	v_fmac_f32_e32 v153, v141, v160
	ds_load_2addr_b32 v[138:139], v2 offset0:119 offset1:120
	ds_load_2addr_b32 v[140:141], v2 offset0:121 offset1:122
	s_waitcnt lgkmcnt(3)
	v_fmac_f32_e32 v153, v142, v134
	v_fmac_f32_e32 v153, v143, v135
	ds_load_2addr_b32 v[134:135], v2 offset0:123 offset1:124
	s_waitcnt lgkmcnt(3)
	v_fmac_f32_e32 v153, v144, v136
	s_waitcnt vmcnt(2)
	s_delay_alu instid0(VALU_DEP_1)
	v_fmac_f32_e32 v153, v145, v137
	ds_load_2addr_b32 v[136:137], v2 offset0:125 offset1:126
	s_waitcnt lgkmcnt(3)
	v_fmac_f32_e32 v153, v146, v138
	ds_load_b32 v138, v2 offset:508
	v_fmac_f32_e32 v153, v147, v139
	s_waitcnt lgkmcnt(3)
	s_delay_alu instid0(VALU_DEP_1) | instskip(SKIP_1) | instid1(VALU_DEP_1)
	v_fmac_f32_e32 v153, v148, v140
	s_waitcnt vmcnt(1)
	v_fmac_f32_e32 v153, v149, v141
	s_waitcnt lgkmcnt(2)
	s_delay_alu instid0(VALU_DEP_1) | instskip(NEXT) | instid1(VALU_DEP_1)
	v_fmac_f32_e32 v153, v150, v134
	v_fmac_f32_e32 v153, v151, v135
	s_waitcnt lgkmcnt(1)
	s_delay_alu instid0(VALU_DEP_1) | instskip(SKIP_1) | instid1(VALU_DEP_1)
	v_fmac_f32_e32 v153, v152, v136
	s_waitcnt vmcnt(0)
	v_fmac_f32_e32 v153, v3, v137
	s_waitcnt lgkmcnt(0)
	s_delay_alu instid0(VALU_DEP_1) | instskip(NEXT) | instid1(VALU_DEP_1)
	v_fmac_f32_e32 v153, v4, v138
	v_sub_f32_e32 v3, v133, v153
	scratch_store_b32 off, v3, off offset:168
	v_cmpx_lt_u32_e32 41, v0
	s_cbranch_execz .LBB127_309
; %bb.308:
	scratch_load_b32 v3, off, off offset:164
	scratch_store_b32 off, v2, off offset:164
	s_waitcnt vmcnt(0)
	ds_store_b32 v1, v3
.LBB127_309:
	s_or_b32 exec_lo, exec_lo, s0
	s_waitcnt lgkmcnt(0)
	s_waitcnt_vscnt null, 0x0
	s_barrier
	buffer_gl0_inv
	s_clause 0x5
	scratch_load_b128 v[133:136], off, off offset:164
	scratch_load_b128 v[137:140], off, off offset:180
	;; [unrolled: 1-line block ×5, first 2 shown]
	scratch_load_b96 v[161:163], off, off offset:244
	ds_load_2addr_b64 v[153:156], v2 offset0:53 offset1:54
	ds_load_2addr_b64 v[157:160], v2 offset0:55 offset1:56
	s_mov_b32 s0, exec_lo
	s_waitcnt vmcnt(5) lgkmcnt(1)
	v_fma_f32 v4, v134, v153, 0
	s_delay_alu instid0(VALU_DEP_1) | instskip(NEXT) | instid1(VALU_DEP_1)
	v_fmac_f32_e32 v4, v135, v154
	v_fmac_f32_e32 v4, v136, v155
	s_waitcnt vmcnt(4)
	s_delay_alu instid0(VALU_DEP_1) | instskip(SKIP_3) | instid1(VALU_DEP_1)
	v_fmac_f32_e32 v4, v137, v156
	ds_load_2addr_b64 v[134:137], v2 offset0:57 offset1:58
	s_waitcnt lgkmcnt(1)
	v_fmac_f32_e32 v4, v138, v157
	v_fmac_f32_e32 v4, v139, v158
	s_delay_alu instid0(VALU_DEP_1) | instskip(SKIP_1) | instid1(VALU_DEP_1)
	v_fmac_f32_e32 v4, v140, v159
	s_waitcnt vmcnt(3)
	v_fmac_f32_e32 v4, v141, v160
	ds_load_2addr_b64 v[138:141], v2 offset0:59 offset1:60
	s_waitcnt lgkmcnt(1)
	v_fmac_f32_e32 v4, v142, v134
	s_delay_alu instid0(VALU_DEP_1) | instskip(NEXT) | instid1(VALU_DEP_1)
	v_fmac_f32_e32 v4, v143, v135
	v_fmac_f32_e32 v4, v144, v136
	s_waitcnt vmcnt(2)
	s_delay_alu instid0(VALU_DEP_1) | instskip(SKIP_4) | instid1(VALU_DEP_1)
	v_fmac_f32_e32 v4, v145, v137
	ds_load_2addr_b64 v[134:137], v2 offset0:61 offset1:62
	ds_load_b64 v[2:3], v2 offset:504
	s_waitcnt lgkmcnt(2)
	v_fmac_f32_e32 v4, v146, v138
	v_fmac_f32_e32 v4, v147, v139
	s_delay_alu instid0(VALU_DEP_1) | instskip(SKIP_1) | instid1(VALU_DEP_1)
	v_fmac_f32_e32 v4, v148, v140
	s_waitcnt vmcnt(1)
	v_fmac_f32_e32 v4, v149, v141
	s_waitcnt lgkmcnt(1)
	s_delay_alu instid0(VALU_DEP_1) | instskip(NEXT) | instid1(VALU_DEP_1)
	v_fmac_f32_e32 v4, v150, v134
	v_fmac_f32_e32 v4, v151, v135
	s_delay_alu instid0(VALU_DEP_1) | instskip(SKIP_1) | instid1(VALU_DEP_1)
	v_fmac_f32_e32 v4, v152, v136
	s_waitcnt vmcnt(0)
	v_fmac_f32_e32 v4, v161, v137
	s_waitcnt lgkmcnt(0)
	s_delay_alu instid0(VALU_DEP_1) | instskip(NEXT) | instid1(VALU_DEP_1)
	v_fmac_f32_e32 v4, v162, v2
	v_fmac_f32_e32 v4, v163, v3
	s_delay_alu instid0(VALU_DEP_1)
	v_sub_f32_e32 v2, v133, v4
	scratch_store_b32 off, v2, off offset:164
	v_cmpx_lt_u32_e32 40, v0
	s_cbranch_execz .LBB127_311
; %bb.310:
	scratch_load_b32 v2, off, off offset:160
	v_mov_b32_e32 v3, 0
	scratch_store_b32 off, v3, off offset:160
	s_waitcnt vmcnt(0)
	ds_store_b32 v1, v2
.LBB127_311:
	s_or_b32 exec_lo, exec_lo, s0
	s_waitcnt lgkmcnt(0)
	s_waitcnt_vscnt null, 0x0
	s_barrier
	buffer_gl0_inv
	s_clause 0x5
	scratch_load_b128 v[133:136], off, off offset:160
	scratch_load_b128 v[137:140], off, off offset:176
	;; [unrolled: 1-line block ×6, first 2 shown]
	v_mov_b32_e32 v2, 0
	ds_load_2addr_b32 v[3:4], v2 offset0:105 offset1:106
	ds_load_2addr_b32 v[157:158], v2 offset0:107 offset1:108
	;; [unrolled: 1-line block ×4, first 2 shown]
	s_mov_b32 s0, exec_lo
	s_waitcnt vmcnt(5) lgkmcnt(3)
	v_fma_f32 v163, v134, v3, 0
	s_delay_alu instid0(VALU_DEP_1)
	v_fmac_f32_e32 v163, v135, v4
	ds_load_2addr_b32 v[3:4], v2 offset0:113 offset1:114
	ds_load_2addr_b32 v[134:135], v2 offset0:115 offset1:116
	s_waitcnt lgkmcnt(4)
	v_fmac_f32_e32 v163, v136, v157
	s_waitcnt vmcnt(4)
	s_delay_alu instid0(VALU_DEP_1) | instskip(SKIP_1) | instid1(VALU_DEP_1)
	v_fmac_f32_e32 v163, v137, v158
	s_waitcnt lgkmcnt(3)
	v_fmac_f32_e32 v163, v138, v159
	s_delay_alu instid0(VALU_DEP_1)
	v_fmac_f32_e32 v163, v139, v160
	ds_load_2addr_b32 v[136:137], v2 offset0:117 offset1:118
	ds_load_2addr_b32 v[138:139], v2 offset0:119 offset1:120
	s_waitcnt lgkmcnt(4)
	v_fmac_f32_e32 v163, v140, v161
	s_waitcnt vmcnt(3)
	s_delay_alu instid0(VALU_DEP_1) | instskip(SKIP_1) | instid1(VALU_DEP_1)
	v_fmac_f32_e32 v163, v141, v162
	s_waitcnt lgkmcnt(3)
	v_fmac_f32_e32 v163, v142, v3
	s_delay_alu instid0(VALU_DEP_1) | instskip(SKIP_4) | instid1(VALU_DEP_1)
	v_fmac_f32_e32 v163, v143, v4
	ds_load_2addr_b32 v[3:4], v2 offset0:121 offset1:122
	s_waitcnt lgkmcnt(3)
	v_fmac_f32_e32 v163, v144, v134
	s_waitcnt vmcnt(2)
	v_fmac_f32_e32 v163, v145, v135
	ds_load_2addr_b32 v[134:135], v2 offset0:123 offset1:124
	s_waitcnt lgkmcnt(3)
	v_fmac_f32_e32 v163, v146, v136
	s_delay_alu instid0(VALU_DEP_1) | instskip(SKIP_1) | instid1(VALU_DEP_1)
	v_fmac_f32_e32 v163, v147, v137
	s_waitcnt lgkmcnt(2)
	v_fmac_f32_e32 v163, v148, v138
	ds_load_2addr_b32 v[136:137], v2 offset0:125 offset1:126
	ds_load_b32 v138, v2 offset:508
	s_waitcnt vmcnt(1)
	v_fmac_f32_e32 v163, v149, v139
	s_waitcnt lgkmcnt(3)
	s_delay_alu instid0(VALU_DEP_1) | instskip(NEXT) | instid1(VALU_DEP_1)
	v_fmac_f32_e32 v163, v150, v3
	v_fmac_f32_e32 v163, v151, v4
	s_waitcnt lgkmcnt(2)
	s_delay_alu instid0(VALU_DEP_1) | instskip(SKIP_1) | instid1(VALU_DEP_1)
	v_fmac_f32_e32 v163, v152, v134
	s_waitcnt vmcnt(0)
	v_fmac_f32_e32 v163, v153, v135
	s_waitcnt lgkmcnt(1)
	s_delay_alu instid0(VALU_DEP_1) | instskip(NEXT) | instid1(VALU_DEP_1)
	v_fmac_f32_e32 v163, v154, v136
	v_fmac_f32_e32 v163, v155, v137
	s_waitcnt lgkmcnt(0)
	s_delay_alu instid0(VALU_DEP_1) | instskip(NEXT) | instid1(VALU_DEP_1)
	v_fmac_f32_e32 v163, v156, v138
	v_sub_f32_e32 v3, v133, v163
	scratch_store_b32 off, v3, off offset:160
	v_cmpx_lt_u32_e32 39, v0
	s_cbranch_execz .LBB127_313
; %bb.312:
	scratch_load_b32 v3, off, off offset:156
	scratch_store_b32 off, v2, off offset:156
	s_waitcnt vmcnt(0)
	ds_store_b32 v1, v3
.LBB127_313:
	s_or_b32 exec_lo, exec_lo, s0
	s_waitcnt lgkmcnt(0)
	s_waitcnt_vscnt null, 0x0
	s_barrier
	buffer_gl0_inv
	s_clause 0x6
	scratch_load_b128 v[133:136], off, off offset:156
	scratch_load_b128 v[137:140], off, off offset:172
	;; [unrolled: 1-line block ×6, first 2 shown]
	scratch_load_b32 v3, off, off offset:252
	ds_load_b128 v[157:160], v2 offset:416
	ds_load_b128 v[161:164], v2 offset:432
	s_mov_b32 s0, exec_lo
	s_waitcnt vmcnt(6) lgkmcnt(1)
	v_fma_f32 v4, v134, v157, 0
	s_delay_alu instid0(VALU_DEP_1) | instskip(NEXT) | instid1(VALU_DEP_1)
	v_fmac_f32_e32 v4, v135, v158
	v_fmac_f32_e32 v4, v136, v159
	s_waitcnt vmcnt(5)
	s_delay_alu instid0(VALU_DEP_1) | instskip(SKIP_3) | instid1(VALU_DEP_1)
	v_fmac_f32_e32 v4, v137, v160
	ds_load_b128 v[134:137], v2 offset:448
	s_waitcnt lgkmcnt(1)
	v_fmac_f32_e32 v4, v138, v161
	v_fmac_f32_e32 v4, v139, v162
	s_delay_alu instid0(VALU_DEP_1) | instskip(SKIP_1) | instid1(VALU_DEP_1)
	v_fmac_f32_e32 v4, v140, v163
	s_waitcnt vmcnt(4)
	v_fmac_f32_e32 v4, v141, v164
	ds_load_b128 v[138:141], v2 offset:464
	s_waitcnt lgkmcnt(1)
	v_fmac_f32_e32 v4, v142, v134
	s_delay_alu instid0(VALU_DEP_1) | instskip(NEXT) | instid1(VALU_DEP_1)
	v_fmac_f32_e32 v4, v143, v135
	v_fmac_f32_e32 v4, v144, v136
	s_waitcnt vmcnt(3)
	s_delay_alu instid0(VALU_DEP_1) | instskip(SKIP_3) | instid1(VALU_DEP_1)
	v_fmac_f32_e32 v4, v145, v137
	ds_load_b128 v[134:137], v2 offset:480
	s_waitcnt lgkmcnt(1)
	v_fmac_f32_e32 v4, v146, v138
	v_fmac_f32_e32 v4, v147, v139
	s_delay_alu instid0(VALU_DEP_1) | instskip(SKIP_1) | instid1(VALU_DEP_1)
	v_fmac_f32_e32 v4, v148, v140
	s_waitcnt vmcnt(2)
	v_fmac_f32_e32 v4, v149, v141
	ds_load_b128 v[138:141], v2 offset:496
	s_waitcnt lgkmcnt(1)
	v_fmac_f32_e32 v4, v150, v134
	s_delay_alu instid0(VALU_DEP_1) | instskip(NEXT) | instid1(VALU_DEP_1)
	v_fmac_f32_e32 v4, v151, v135
	v_fmac_f32_e32 v4, v152, v136
	s_waitcnt vmcnt(1)
	s_delay_alu instid0(VALU_DEP_1) | instskip(SKIP_1) | instid1(VALU_DEP_1)
	v_fmac_f32_e32 v4, v153, v137
	s_waitcnt lgkmcnt(0)
	v_fmac_f32_e32 v4, v154, v138
	s_delay_alu instid0(VALU_DEP_1) | instskip(NEXT) | instid1(VALU_DEP_1)
	v_fmac_f32_e32 v4, v155, v139
	v_fmac_f32_e32 v4, v156, v140
	s_waitcnt vmcnt(0)
	s_delay_alu instid0(VALU_DEP_1) | instskip(NEXT) | instid1(VALU_DEP_1)
	v_fmac_f32_e32 v4, v3, v141
	v_sub_f32_e32 v2, v133, v4
	scratch_store_b32 off, v2, off offset:156
	v_cmpx_lt_u32_e32 38, v0
	s_cbranch_execz .LBB127_315
; %bb.314:
	scratch_load_b32 v2, off, off offset:152
	v_mov_b32_e32 v3, 0
	scratch_store_b32 off, v3, off offset:152
	s_waitcnt vmcnt(0)
	ds_store_b32 v1, v2
.LBB127_315:
	s_or_b32 exec_lo, exec_lo, s0
	s_waitcnt lgkmcnt(0)
	s_waitcnt_vscnt null, 0x0
	s_barrier
	buffer_gl0_inv
	s_clause 0x6
	scratch_load_b128 v[133:136], off, off offset:152
	scratch_load_b128 v[137:140], off, off offset:168
	scratch_load_b128 v[141:144], off, off offset:184
	scratch_load_b128 v[145:148], off, off offset:200
	scratch_load_b128 v[149:152], off, off offset:216
	scratch_load_b128 v[153:156], off, off offset:232
	scratch_load_b64 v[3:4], off, off offset:248
	v_mov_b32_e32 v2, 0
	ds_load_2addr_b32 v[157:158], v2 offset0:103 offset1:104
	ds_load_2addr_b32 v[159:160], v2 offset0:105 offset1:106
	;; [unrolled: 1-line block ×4, first 2 shown]
	s_mov_b32 s0, exec_lo
	s_waitcnt vmcnt(6) lgkmcnt(3)
	v_fma_f32 v157, v134, v157, 0
	s_delay_alu instid0(VALU_DEP_1) | instskip(SKIP_4) | instid1(VALU_DEP_1)
	v_fmac_f32_e32 v157, v135, v158
	ds_load_2addr_b32 v[134:135], v2 offset0:111 offset1:112
	s_waitcnt lgkmcnt(3)
	v_fmac_f32_e32 v157, v136, v159
	s_waitcnt vmcnt(5)
	v_fmac_f32_e32 v157, v137, v160
	ds_load_2addr_b32 v[136:137], v2 offset0:113 offset1:114
	s_waitcnt lgkmcnt(3)
	v_fmac_f32_e32 v157, v138, v161
	s_delay_alu instid0(VALU_DEP_1) | instskip(SKIP_1) | instid1(VALU_DEP_1)
	v_fmac_f32_e32 v157, v139, v162
	s_waitcnt lgkmcnt(2)
	v_fmac_f32_e32 v157, v140, v163
	s_waitcnt vmcnt(4)
	s_delay_alu instid0(VALU_DEP_1) | instskip(SKIP_4) | instid1(VALU_DEP_1)
	v_fmac_f32_e32 v157, v141, v164
	ds_load_2addr_b32 v[138:139], v2 offset0:115 offset1:116
	ds_load_2addr_b32 v[140:141], v2 offset0:117 offset1:118
	s_waitcnt lgkmcnt(3)
	v_fmac_f32_e32 v157, v142, v134
	v_fmac_f32_e32 v157, v143, v135
	ds_load_2addr_b32 v[134:135], v2 offset0:119 offset1:120
	s_waitcnt lgkmcnt(3)
	v_fmac_f32_e32 v157, v144, v136
	s_waitcnt vmcnt(3)
	s_delay_alu instid0(VALU_DEP_1) | instskip(SKIP_3) | instid1(VALU_DEP_1)
	v_fmac_f32_e32 v157, v145, v137
	ds_load_2addr_b32 v[136:137], v2 offset0:121 offset1:122
	s_waitcnt lgkmcnt(3)
	v_fmac_f32_e32 v157, v146, v138
	v_fmac_f32_e32 v157, v147, v139
	s_waitcnt lgkmcnt(2)
	s_delay_alu instid0(VALU_DEP_1) | instskip(SKIP_1) | instid1(VALU_DEP_1)
	v_fmac_f32_e32 v157, v148, v140
	s_waitcnt vmcnt(2)
	v_fmac_f32_e32 v157, v149, v141
	ds_load_2addr_b32 v[138:139], v2 offset0:123 offset1:124
	ds_load_2addr_b32 v[140:141], v2 offset0:125 offset1:126
	s_waitcnt lgkmcnt(3)
	v_fmac_f32_e32 v157, v150, v134
	ds_load_b32 v134, v2 offset:508
	v_fmac_f32_e32 v157, v151, v135
	s_waitcnt lgkmcnt(3)
	s_delay_alu instid0(VALU_DEP_1) | instskip(SKIP_1) | instid1(VALU_DEP_1)
	v_fmac_f32_e32 v157, v152, v136
	s_waitcnt vmcnt(1)
	v_fmac_f32_e32 v157, v153, v137
	s_waitcnt lgkmcnt(2)
	s_delay_alu instid0(VALU_DEP_1) | instskip(NEXT) | instid1(VALU_DEP_1)
	v_fmac_f32_e32 v157, v154, v138
	v_fmac_f32_e32 v157, v155, v139
	s_waitcnt lgkmcnt(1)
	s_delay_alu instid0(VALU_DEP_1) | instskip(SKIP_1) | instid1(VALU_DEP_1)
	v_fmac_f32_e32 v157, v156, v140
	s_waitcnt vmcnt(0)
	v_fmac_f32_e32 v157, v3, v141
	s_waitcnt lgkmcnt(0)
	s_delay_alu instid0(VALU_DEP_1) | instskip(NEXT) | instid1(VALU_DEP_1)
	v_fmac_f32_e32 v157, v4, v134
	v_sub_f32_e32 v3, v133, v157
	scratch_store_b32 off, v3, off offset:152
	v_cmpx_lt_u32_e32 37, v0
	s_cbranch_execz .LBB127_317
; %bb.316:
	scratch_load_b32 v3, off, off offset:148
	scratch_store_b32 off, v2, off offset:148
	s_waitcnt vmcnt(0)
	ds_store_b32 v1, v3
.LBB127_317:
	s_or_b32 exec_lo, exec_lo, s0
	s_waitcnt lgkmcnt(0)
	s_waitcnt_vscnt null, 0x0
	s_barrier
	buffer_gl0_inv
	s_clause 0x6
	scratch_load_b128 v[133:136], off, off offset:148
	scratch_load_b128 v[137:140], off, off offset:164
	;; [unrolled: 1-line block ×6, first 2 shown]
	scratch_load_b96 v[165:167], off, off offset:244
	ds_load_2addr_b64 v[157:160], v2 offset0:51 offset1:52
	ds_load_2addr_b64 v[161:164], v2 offset0:53 offset1:54
	s_mov_b32 s0, exec_lo
	s_waitcnt vmcnt(6) lgkmcnt(1)
	v_fma_f32 v4, v134, v157, 0
	s_delay_alu instid0(VALU_DEP_1) | instskip(NEXT) | instid1(VALU_DEP_1)
	v_fmac_f32_e32 v4, v135, v158
	v_fmac_f32_e32 v4, v136, v159
	s_waitcnt vmcnt(5)
	s_delay_alu instid0(VALU_DEP_1) | instskip(SKIP_3) | instid1(VALU_DEP_1)
	v_fmac_f32_e32 v4, v137, v160
	ds_load_2addr_b64 v[134:137], v2 offset0:55 offset1:56
	s_waitcnt lgkmcnt(1)
	v_fmac_f32_e32 v4, v138, v161
	v_fmac_f32_e32 v4, v139, v162
	s_delay_alu instid0(VALU_DEP_1) | instskip(SKIP_1) | instid1(VALU_DEP_1)
	v_fmac_f32_e32 v4, v140, v163
	s_waitcnt vmcnt(4)
	v_fmac_f32_e32 v4, v141, v164
	ds_load_2addr_b64 v[138:141], v2 offset0:57 offset1:58
	s_waitcnt lgkmcnt(1)
	v_fmac_f32_e32 v4, v142, v134
	s_delay_alu instid0(VALU_DEP_1) | instskip(NEXT) | instid1(VALU_DEP_1)
	v_fmac_f32_e32 v4, v143, v135
	v_fmac_f32_e32 v4, v144, v136
	s_waitcnt vmcnt(3)
	s_delay_alu instid0(VALU_DEP_1) | instskip(SKIP_3) | instid1(VALU_DEP_1)
	v_fmac_f32_e32 v4, v145, v137
	ds_load_2addr_b64 v[134:137], v2 offset0:59 offset1:60
	s_waitcnt lgkmcnt(1)
	v_fmac_f32_e32 v4, v146, v138
	v_fmac_f32_e32 v4, v147, v139
	s_delay_alu instid0(VALU_DEP_1) | instskip(SKIP_1) | instid1(VALU_DEP_1)
	v_fmac_f32_e32 v4, v148, v140
	s_waitcnt vmcnt(2)
	v_fmac_f32_e32 v4, v149, v141
	ds_load_2addr_b64 v[138:141], v2 offset0:61 offset1:62
	ds_load_b64 v[2:3], v2 offset:504
	s_waitcnt lgkmcnt(2)
	v_fmac_f32_e32 v4, v150, v134
	s_delay_alu instid0(VALU_DEP_1) | instskip(NEXT) | instid1(VALU_DEP_1)
	v_fmac_f32_e32 v4, v151, v135
	v_fmac_f32_e32 v4, v152, v136
	s_waitcnt vmcnt(1)
	s_delay_alu instid0(VALU_DEP_1) | instskip(SKIP_1) | instid1(VALU_DEP_1)
	v_fmac_f32_e32 v4, v153, v137
	s_waitcnt lgkmcnt(1)
	v_fmac_f32_e32 v4, v154, v138
	s_delay_alu instid0(VALU_DEP_1) | instskip(NEXT) | instid1(VALU_DEP_1)
	v_fmac_f32_e32 v4, v155, v139
	v_fmac_f32_e32 v4, v156, v140
	s_waitcnt vmcnt(0)
	s_delay_alu instid0(VALU_DEP_1) | instskip(SKIP_1) | instid1(VALU_DEP_1)
	v_fmac_f32_e32 v4, v165, v141
	s_waitcnt lgkmcnt(0)
	v_fmac_f32_e32 v4, v166, v2
	s_delay_alu instid0(VALU_DEP_1) | instskip(NEXT) | instid1(VALU_DEP_1)
	v_fmac_f32_e32 v4, v167, v3
	v_sub_f32_e32 v2, v133, v4
	scratch_store_b32 off, v2, off offset:148
	v_cmpx_lt_u32_e32 36, v0
	s_cbranch_execz .LBB127_319
; %bb.318:
	scratch_load_b32 v2, off, off offset:144
	v_mov_b32_e32 v3, 0
	scratch_store_b32 off, v3, off offset:144
	s_waitcnt vmcnt(0)
	ds_store_b32 v1, v2
.LBB127_319:
	s_or_b32 exec_lo, exec_lo, s0
	s_waitcnt lgkmcnt(0)
	s_waitcnt_vscnt null, 0x0
	s_barrier
	buffer_gl0_inv
	s_clause 0x6
	scratch_load_b128 v[133:136], off, off offset:144
	scratch_load_b128 v[137:140], off, off offset:160
	;; [unrolled: 1-line block ×7, first 2 shown]
	v_mov_b32_e32 v2, 0
	ds_load_2addr_b32 v[3:4], v2 offset0:101 offset1:102
	ds_load_2addr_b32 v[161:162], v2 offset0:103 offset1:104
	;; [unrolled: 1-line block ×4, first 2 shown]
	s_mov_b32 s0, exec_lo
	s_waitcnt vmcnt(6) lgkmcnt(3)
	v_fma_f32 v167, v134, v3, 0
	s_delay_alu instid0(VALU_DEP_1)
	v_fmac_f32_e32 v167, v135, v4
	ds_load_2addr_b32 v[3:4], v2 offset0:109 offset1:110
	ds_load_2addr_b32 v[134:135], v2 offset0:111 offset1:112
	s_waitcnt lgkmcnt(4)
	v_fmac_f32_e32 v167, v136, v161
	s_waitcnt vmcnt(5)
	s_delay_alu instid0(VALU_DEP_1) | instskip(SKIP_1) | instid1(VALU_DEP_1)
	v_fmac_f32_e32 v167, v137, v162
	s_waitcnt lgkmcnt(3)
	v_fmac_f32_e32 v167, v138, v163
	s_delay_alu instid0(VALU_DEP_1)
	v_fmac_f32_e32 v167, v139, v164
	ds_load_2addr_b32 v[136:137], v2 offset0:113 offset1:114
	ds_load_2addr_b32 v[138:139], v2 offset0:115 offset1:116
	s_waitcnt lgkmcnt(4)
	v_fmac_f32_e32 v167, v140, v165
	s_waitcnt vmcnt(4)
	s_delay_alu instid0(VALU_DEP_1) | instskip(SKIP_1) | instid1(VALU_DEP_1)
	v_fmac_f32_e32 v167, v141, v166
	s_waitcnt lgkmcnt(3)
	v_fmac_f32_e32 v167, v142, v3
	s_delay_alu instid0(VALU_DEP_1) | instskip(SKIP_4) | instid1(VALU_DEP_1)
	v_fmac_f32_e32 v167, v143, v4
	ds_load_2addr_b32 v[3:4], v2 offset0:117 offset1:118
	s_waitcnt lgkmcnt(3)
	v_fmac_f32_e32 v167, v144, v134
	s_waitcnt vmcnt(3)
	v_fmac_f32_e32 v167, v145, v135
	ds_load_2addr_b32 v[134:135], v2 offset0:119 offset1:120
	s_waitcnt lgkmcnt(3)
	v_fmac_f32_e32 v167, v146, v136
	s_delay_alu instid0(VALU_DEP_1) | instskip(SKIP_1) | instid1(VALU_DEP_1)
	v_fmac_f32_e32 v167, v147, v137
	s_waitcnt lgkmcnt(2)
	v_fmac_f32_e32 v167, v148, v138
	s_waitcnt vmcnt(2)
	s_delay_alu instid0(VALU_DEP_1) | instskip(SKIP_4) | instid1(VALU_DEP_1)
	v_fmac_f32_e32 v167, v149, v139
	ds_load_2addr_b32 v[136:137], v2 offset0:121 offset1:122
	ds_load_2addr_b32 v[138:139], v2 offset0:123 offset1:124
	s_waitcnt lgkmcnt(3)
	v_fmac_f32_e32 v167, v150, v3
	v_fmac_f32_e32 v167, v151, v4
	ds_load_2addr_b32 v[3:4], v2 offset0:125 offset1:126
	s_waitcnt lgkmcnt(3)
	v_fmac_f32_e32 v167, v152, v134
	ds_load_b32 v134, v2 offset:508
	s_waitcnt vmcnt(1)
	v_fmac_f32_e32 v167, v153, v135
	s_waitcnt lgkmcnt(3)
	s_delay_alu instid0(VALU_DEP_1) | instskip(NEXT) | instid1(VALU_DEP_1)
	v_fmac_f32_e32 v167, v154, v136
	v_fmac_f32_e32 v167, v155, v137
	s_waitcnt lgkmcnt(2)
	s_delay_alu instid0(VALU_DEP_1) | instskip(SKIP_1) | instid1(VALU_DEP_1)
	v_fmac_f32_e32 v167, v156, v138
	s_waitcnt vmcnt(0)
	v_fmac_f32_e32 v167, v157, v139
	s_waitcnt lgkmcnt(1)
	s_delay_alu instid0(VALU_DEP_1) | instskip(NEXT) | instid1(VALU_DEP_1)
	v_fmac_f32_e32 v167, v158, v3
	v_fmac_f32_e32 v167, v159, v4
	s_waitcnt lgkmcnt(0)
	s_delay_alu instid0(VALU_DEP_1) | instskip(NEXT) | instid1(VALU_DEP_1)
	v_fmac_f32_e32 v167, v160, v134
	v_sub_f32_e32 v3, v133, v167
	scratch_store_b32 off, v3, off offset:144
	v_cmpx_lt_u32_e32 35, v0
	s_cbranch_execz .LBB127_321
; %bb.320:
	scratch_load_b32 v3, off, off offset:140
	scratch_store_b32 off, v2, off offset:140
	s_waitcnt vmcnt(0)
	ds_store_b32 v1, v3
.LBB127_321:
	s_or_b32 exec_lo, exec_lo, s0
	s_waitcnt lgkmcnt(0)
	s_waitcnt_vscnt null, 0x0
	s_barrier
	buffer_gl0_inv
	s_clause 0x7
	scratch_load_b128 v[133:136], off, off offset:140
	scratch_load_b128 v[137:140], off, off offset:156
	;; [unrolled: 1-line block ×7, first 2 shown]
	scratch_load_b32 v3, off, off offset:252
	ds_load_b128 v[161:164], v2 offset:400
	ds_load_b128 v[165:168], v2 offset:416
	s_mov_b32 s0, exec_lo
	s_waitcnt vmcnt(7) lgkmcnt(1)
	v_fma_f32 v4, v134, v161, 0
	s_delay_alu instid0(VALU_DEP_1) | instskip(NEXT) | instid1(VALU_DEP_1)
	v_fmac_f32_e32 v4, v135, v162
	v_fmac_f32_e32 v4, v136, v163
	s_waitcnt vmcnt(6)
	s_delay_alu instid0(VALU_DEP_1) | instskip(SKIP_3) | instid1(VALU_DEP_1)
	v_fmac_f32_e32 v4, v137, v164
	ds_load_b128 v[134:137], v2 offset:432
	s_waitcnt lgkmcnt(1)
	v_fmac_f32_e32 v4, v138, v165
	v_fmac_f32_e32 v4, v139, v166
	s_delay_alu instid0(VALU_DEP_1) | instskip(SKIP_1) | instid1(VALU_DEP_1)
	v_fmac_f32_e32 v4, v140, v167
	s_waitcnt vmcnt(5)
	v_fmac_f32_e32 v4, v141, v168
	ds_load_b128 v[138:141], v2 offset:448
	s_waitcnt lgkmcnt(1)
	v_fmac_f32_e32 v4, v142, v134
	s_delay_alu instid0(VALU_DEP_1) | instskip(NEXT) | instid1(VALU_DEP_1)
	v_fmac_f32_e32 v4, v143, v135
	v_fmac_f32_e32 v4, v144, v136
	s_waitcnt vmcnt(4)
	s_delay_alu instid0(VALU_DEP_1) | instskip(SKIP_3) | instid1(VALU_DEP_1)
	v_fmac_f32_e32 v4, v145, v137
	ds_load_b128 v[134:137], v2 offset:464
	s_waitcnt lgkmcnt(1)
	v_fmac_f32_e32 v4, v146, v138
	v_fmac_f32_e32 v4, v147, v139
	s_delay_alu instid0(VALU_DEP_1) | instskip(SKIP_1) | instid1(VALU_DEP_1)
	v_fmac_f32_e32 v4, v148, v140
	s_waitcnt vmcnt(3)
	v_fmac_f32_e32 v4, v149, v141
	ds_load_b128 v[138:141], v2 offset:480
	s_waitcnt lgkmcnt(1)
	v_fmac_f32_e32 v4, v150, v134
	s_delay_alu instid0(VALU_DEP_1) | instskip(NEXT) | instid1(VALU_DEP_1)
	v_fmac_f32_e32 v4, v151, v135
	v_fmac_f32_e32 v4, v152, v136
	s_waitcnt vmcnt(2)
	s_delay_alu instid0(VALU_DEP_1) | instskip(SKIP_3) | instid1(VALU_DEP_1)
	v_fmac_f32_e32 v4, v153, v137
	ds_load_b128 v[134:137], v2 offset:496
	s_waitcnt lgkmcnt(1)
	v_fmac_f32_e32 v4, v154, v138
	v_fmac_f32_e32 v4, v155, v139
	s_delay_alu instid0(VALU_DEP_1) | instskip(SKIP_1) | instid1(VALU_DEP_1)
	v_fmac_f32_e32 v4, v156, v140
	s_waitcnt vmcnt(1)
	v_fmac_f32_e32 v4, v157, v141
	s_waitcnt lgkmcnt(0)
	s_delay_alu instid0(VALU_DEP_1) | instskip(NEXT) | instid1(VALU_DEP_1)
	v_fmac_f32_e32 v4, v158, v134
	v_fmac_f32_e32 v4, v159, v135
	s_delay_alu instid0(VALU_DEP_1) | instskip(SKIP_1) | instid1(VALU_DEP_1)
	v_fmac_f32_e32 v4, v160, v136
	s_waitcnt vmcnt(0)
	v_fmac_f32_e32 v4, v3, v137
	s_delay_alu instid0(VALU_DEP_1)
	v_sub_f32_e32 v2, v133, v4
	scratch_store_b32 off, v2, off offset:140
	v_cmpx_lt_u32_e32 34, v0
	s_cbranch_execz .LBB127_323
; %bb.322:
	scratch_load_b32 v2, off, off offset:136
	v_mov_b32_e32 v3, 0
	scratch_store_b32 off, v3, off offset:136
	s_waitcnt vmcnt(0)
	ds_store_b32 v1, v2
.LBB127_323:
	s_or_b32 exec_lo, exec_lo, s0
	s_waitcnt lgkmcnt(0)
	s_waitcnt_vscnt null, 0x0
	s_barrier
	buffer_gl0_inv
	s_clause 0x7
	scratch_load_b128 v[133:136], off, off offset:136
	scratch_load_b128 v[137:140], off, off offset:152
	;; [unrolled: 1-line block ×7, first 2 shown]
	scratch_load_b64 v[3:4], off, off offset:248
	v_mov_b32_e32 v2, 0
	ds_load_2addr_b32 v[161:162], v2 offset0:99 offset1:100
	ds_load_2addr_b32 v[163:164], v2 offset0:101 offset1:102
	;; [unrolled: 1-line block ×4, first 2 shown]
	s_mov_b32 s0, exec_lo
	s_waitcnt vmcnt(7) lgkmcnt(3)
	v_fma_f32 v161, v134, v161, 0
	s_delay_alu instid0(VALU_DEP_1) | instskip(SKIP_4) | instid1(VALU_DEP_1)
	v_fmac_f32_e32 v161, v135, v162
	ds_load_2addr_b32 v[134:135], v2 offset0:107 offset1:108
	s_waitcnt lgkmcnt(3)
	v_fmac_f32_e32 v161, v136, v163
	s_waitcnt vmcnt(6)
	v_fmac_f32_e32 v161, v137, v164
	ds_load_2addr_b32 v[136:137], v2 offset0:109 offset1:110
	s_waitcnt lgkmcnt(3)
	v_fmac_f32_e32 v161, v138, v165
	s_delay_alu instid0(VALU_DEP_1) | instskip(SKIP_1) | instid1(VALU_DEP_1)
	v_fmac_f32_e32 v161, v139, v166
	s_waitcnt lgkmcnt(2)
	v_fmac_f32_e32 v161, v140, v167
	s_waitcnt vmcnt(5)
	s_delay_alu instid0(VALU_DEP_1) | instskip(SKIP_4) | instid1(VALU_DEP_1)
	v_fmac_f32_e32 v161, v141, v168
	ds_load_2addr_b32 v[138:139], v2 offset0:111 offset1:112
	ds_load_2addr_b32 v[140:141], v2 offset0:113 offset1:114
	s_waitcnt lgkmcnt(3)
	v_fmac_f32_e32 v161, v142, v134
	v_fmac_f32_e32 v161, v143, v135
	ds_load_2addr_b32 v[134:135], v2 offset0:115 offset1:116
	s_waitcnt lgkmcnt(3)
	v_fmac_f32_e32 v161, v144, v136
	s_waitcnt vmcnt(4)
	s_delay_alu instid0(VALU_DEP_1) | instskip(SKIP_3) | instid1(VALU_DEP_1)
	v_fmac_f32_e32 v161, v145, v137
	ds_load_2addr_b32 v[136:137], v2 offset0:117 offset1:118
	s_waitcnt lgkmcnt(3)
	v_fmac_f32_e32 v161, v146, v138
	v_fmac_f32_e32 v161, v147, v139
	s_waitcnt lgkmcnt(2)
	s_delay_alu instid0(VALU_DEP_1) | instskip(SKIP_1) | instid1(VALU_DEP_1)
	v_fmac_f32_e32 v161, v148, v140
	s_waitcnt vmcnt(3)
	v_fmac_f32_e32 v161, v149, v141
	ds_load_2addr_b32 v[138:139], v2 offset0:119 offset1:120
	ds_load_2addr_b32 v[140:141], v2 offset0:121 offset1:122
	s_waitcnt lgkmcnt(3)
	v_fmac_f32_e32 v161, v150, v134
	s_delay_alu instid0(VALU_DEP_1) | instskip(SKIP_4) | instid1(VALU_DEP_1)
	v_fmac_f32_e32 v161, v151, v135
	ds_load_2addr_b32 v[134:135], v2 offset0:123 offset1:124
	s_waitcnt lgkmcnt(3)
	v_fmac_f32_e32 v161, v152, v136
	s_waitcnt vmcnt(2)
	v_fmac_f32_e32 v161, v153, v137
	ds_load_2addr_b32 v[136:137], v2 offset0:125 offset1:126
	s_waitcnt lgkmcnt(3)
	v_fmac_f32_e32 v161, v154, v138
	ds_load_b32 v138, v2 offset:508
	v_fmac_f32_e32 v161, v155, v139
	s_waitcnt lgkmcnt(3)
	s_delay_alu instid0(VALU_DEP_1) | instskip(SKIP_1) | instid1(VALU_DEP_1)
	v_fmac_f32_e32 v161, v156, v140
	s_waitcnt vmcnt(1)
	v_fmac_f32_e32 v161, v157, v141
	s_waitcnt lgkmcnt(2)
	s_delay_alu instid0(VALU_DEP_1) | instskip(NEXT) | instid1(VALU_DEP_1)
	v_fmac_f32_e32 v161, v158, v134
	v_fmac_f32_e32 v161, v159, v135
	s_waitcnt lgkmcnt(1)
	s_delay_alu instid0(VALU_DEP_1) | instskip(SKIP_1) | instid1(VALU_DEP_1)
	v_fmac_f32_e32 v161, v160, v136
	s_waitcnt vmcnt(0)
	v_fmac_f32_e32 v161, v3, v137
	s_waitcnt lgkmcnt(0)
	s_delay_alu instid0(VALU_DEP_1) | instskip(NEXT) | instid1(VALU_DEP_1)
	v_fmac_f32_e32 v161, v4, v138
	v_sub_f32_e32 v3, v133, v161
	scratch_store_b32 off, v3, off offset:136
	v_cmpx_lt_u32_e32 33, v0
	s_cbranch_execz .LBB127_325
; %bb.324:
	scratch_load_b32 v3, off, off offset:132
	scratch_store_b32 off, v2, off offset:132
	s_waitcnt vmcnt(0)
	ds_store_b32 v1, v3
.LBB127_325:
	s_or_b32 exec_lo, exec_lo, s0
	s_waitcnt lgkmcnt(0)
	s_waitcnt_vscnt null, 0x0
	s_barrier
	buffer_gl0_inv
	s_clause 0x7
	scratch_load_b128 v[133:136], off, off offset:132
	scratch_load_b128 v[137:140], off, off offset:148
	;; [unrolled: 1-line block ×7, first 2 shown]
	scratch_load_b96 v[169:171], off, off offset:244
	ds_load_2addr_b64 v[161:164], v2 offset0:49 offset1:50
	ds_load_2addr_b64 v[165:168], v2 offset0:51 offset1:52
	s_mov_b32 s0, exec_lo
	s_waitcnt vmcnt(7) lgkmcnt(1)
	v_fma_f32 v4, v134, v161, 0
	s_delay_alu instid0(VALU_DEP_1) | instskip(NEXT) | instid1(VALU_DEP_1)
	v_fmac_f32_e32 v4, v135, v162
	v_fmac_f32_e32 v4, v136, v163
	s_waitcnt vmcnt(6)
	s_delay_alu instid0(VALU_DEP_1) | instskip(SKIP_3) | instid1(VALU_DEP_1)
	v_fmac_f32_e32 v4, v137, v164
	ds_load_2addr_b64 v[134:137], v2 offset0:53 offset1:54
	s_waitcnt lgkmcnt(1)
	v_fmac_f32_e32 v4, v138, v165
	v_fmac_f32_e32 v4, v139, v166
	s_delay_alu instid0(VALU_DEP_1) | instskip(SKIP_1) | instid1(VALU_DEP_1)
	v_fmac_f32_e32 v4, v140, v167
	s_waitcnt vmcnt(5)
	v_fmac_f32_e32 v4, v141, v168
	ds_load_2addr_b64 v[138:141], v2 offset0:55 offset1:56
	s_waitcnt lgkmcnt(1)
	v_fmac_f32_e32 v4, v142, v134
	s_delay_alu instid0(VALU_DEP_1) | instskip(NEXT) | instid1(VALU_DEP_1)
	v_fmac_f32_e32 v4, v143, v135
	v_fmac_f32_e32 v4, v144, v136
	s_waitcnt vmcnt(4)
	s_delay_alu instid0(VALU_DEP_1) | instskip(SKIP_3) | instid1(VALU_DEP_1)
	v_fmac_f32_e32 v4, v145, v137
	ds_load_2addr_b64 v[134:137], v2 offset0:57 offset1:58
	s_waitcnt lgkmcnt(1)
	v_fmac_f32_e32 v4, v146, v138
	v_fmac_f32_e32 v4, v147, v139
	s_delay_alu instid0(VALU_DEP_1) | instskip(SKIP_1) | instid1(VALU_DEP_1)
	v_fmac_f32_e32 v4, v148, v140
	s_waitcnt vmcnt(3)
	v_fmac_f32_e32 v4, v149, v141
	ds_load_2addr_b64 v[138:141], v2 offset0:59 offset1:60
	s_waitcnt lgkmcnt(1)
	v_fmac_f32_e32 v4, v150, v134
	s_delay_alu instid0(VALU_DEP_1) | instskip(NEXT) | instid1(VALU_DEP_1)
	v_fmac_f32_e32 v4, v151, v135
	v_fmac_f32_e32 v4, v152, v136
	s_waitcnt vmcnt(2)
	s_delay_alu instid0(VALU_DEP_1) | instskip(SKIP_4) | instid1(VALU_DEP_1)
	v_fmac_f32_e32 v4, v153, v137
	ds_load_2addr_b64 v[134:137], v2 offset0:61 offset1:62
	ds_load_b64 v[2:3], v2 offset:504
	s_waitcnt lgkmcnt(2)
	v_fmac_f32_e32 v4, v154, v138
	v_fmac_f32_e32 v4, v155, v139
	s_delay_alu instid0(VALU_DEP_1) | instskip(SKIP_1) | instid1(VALU_DEP_1)
	v_fmac_f32_e32 v4, v156, v140
	s_waitcnt vmcnt(1)
	v_fmac_f32_e32 v4, v157, v141
	s_waitcnt lgkmcnt(1)
	s_delay_alu instid0(VALU_DEP_1) | instskip(NEXT) | instid1(VALU_DEP_1)
	v_fmac_f32_e32 v4, v158, v134
	v_fmac_f32_e32 v4, v159, v135
	s_delay_alu instid0(VALU_DEP_1) | instskip(SKIP_1) | instid1(VALU_DEP_1)
	v_fmac_f32_e32 v4, v160, v136
	s_waitcnt vmcnt(0)
	v_fmac_f32_e32 v4, v169, v137
	s_waitcnt lgkmcnt(0)
	s_delay_alu instid0(VALU_DEP_1) | instskip(NEXT) | instid1(VALU_DEP_1)
	v_fmac_f32_e32 v4, v170, v2
	v_fmac_f32_e32 v4, v171, v3
	s_delay_alu instid0(VALU_DEP_1)
	v_sub_f32_e32 v2, v133, v4
	scratch_store_b32 off, v2, off offset:132
	v_cmpx_lt_u32_e32 32, v0
	s_cbranch_execz .LBB127_327
; %bb.326:
	scratch_load_b32 v2, off, off offset:128
	v_mov_b32_e32 v3, 0
	scratch_store_b32 off, v3, off offset:128
	s_waitcnt vmcnt(0)
	ds_store_b32 v1, v2
.LBB127_327:
	s_or_b32 exec_lo, exec_lo, s0
	s_waitcnt lgkmcnt(0)
	s_waitcnt_vscnt null, 0x0
	s_barrier
	buffer_gl0_inv
	s_clause 0x7
	scratch_load_b128 v[133:136], off, off offset:128
	scratch_load_b128 v[137:140], off, off offset:144
	;; [unrolled: 1-line block ×8, first 2 shown]
	v_mov_b32_e32 v2, 0
	ds_load_2addr_b32 v[3:4], v2 offset0:97 offset1:98
	ds_load_2addr_b32 v[165:166], v2 offset0:99 offset1:100
	;; [unrolled: 1-line block ×4, first 2 shown]
	s_mov_b32 s0, exec_lo
	s_waitcnt vmcnt(7) lgkmcnt(3)
	v_fma_f32 v171, v134, v3, 0
	s_delay_alu instid0(VALU_DEP_1)
	v_fmac_f32_e32 v171, v135, v4
	ds_load_2addr_b32 v[3:4], v2 offset0:105 offset1:106
	ds_load_2addr_b32 v[134:135], v2 offset0:107 offset1:108
	s_waitcnt lgkmcnt(4)
	v_fmac_f32_e32 v171, v136, v165
	s_waitcnt vmcnt(6)
	s_delay_alu instid0(VALU_DEP_1) | instskip(SKIP_1) | instid1(VALU_DEP_1)
	v_fmac_f32_e32 v171, v137, v166
	s_waitcnt lgkmcnt(3)
	v_fmac_f32_e32 v171, v138, v167
	s_delay_alu instid0(VALU_DEP_1)
	v_fmac_f32_e32 v171, v139, v168
	ds_load_2addr_b32 v[136:137], v2 offset0:109 offset1:110
	ds_load_2addr_b32 v[138:139], v2 offset0:111 offset1:112
	s_waitcnt lgkmcnt(4)
	v_fmac_f32_e32 v171, v140, v169
	s_waitcnt vmcnt(5)
	s_delay_alu instid0(VALU_DEP_1) | instskip(SKIP_1) | instid1(VALU_DEP_1)
	v_fmac_f32_e32 v171, v141, v170
	s_waitcnt lgkmcnt(3)
	v_fmac_f32_e32 v171, v142, v3
	s_delay_alu instid0(VALU_DEP_1) | instskip(SKIP_4) | instid1(VALU_DEP_1)
	v_fmac_f32_e32 v171, v143, v4
	ds_load_2addr_b32 v[3:4], v2 offset0:113 offset1:114
	s_waitcnt lgkmcnt(3)
	v_fmac_f32_e32 v171, v144, v134
	s_waitcnt vmcnt(4)
	v_fmac_f32_e32 v171, v145, v135
	ds_load_2addr_b32 v[134:135], v2 offset0:115 offset1:116
	s_waitcnt lgkmcnt(3)
	v_fmac_f32_e32 v171, v146, v136
	s_delay_alu instid0(VALU_DEP_1) | instskip(SKIP_1) | instid1(VALU_DEP_1)
	v_fmac_f32_e32 v171, v147, v137
	s_waitcnt lgkmcnt(2)
	v_fmac_f32_e32 v171, v148, v138
	s_waitcnt vmcnt(3)
	s_delay_alu instid0(VALU_DEP_1) | instskip(SKIP_4) | instid1(VALU_DEP_1)
	v_fmac_f32_e32 v171, v149, v139
	ds_load_2addr_b32 v[136:137], v2 offset0:117 offset1:118
	ds_load_2addr_b32 v[138:139], v2 offset0:119 offset1:120
	s_waitcnt lgkmcnt(3)
	v_fmac_f32_e32 v171, v150, v3
	v_fmac_f32_e32 v171, v151, v4
	ds_load_2addr_b32 v[3:4], v2 offset0:121 offset1:122
	s_waitcnt lgkmcnt(3)
	v_fmac_f32_e32 v171, v152, v134
	s_waitcnt vmcnt(2)
	s_delay_alu instid0(VALU_DEP_1) | instskip(SKIP_3) | instid1(VALU_DEP_1)
	v_fmac_f32_e32 v171, v153, v135
	ds_load_2addr_b32 v[134:135], v2 offset0:123 offset1:124
	s_waitcnt lgkmcnt(3)
	v_fmac_f32_e32 v171, v154, v136
	v_fmac_f32_e32 v171, v155, v137
	s_waitcnt lgkmcnt(2)
	s_delay_alu instid0(VALU_DEP_1)
	v_fmac_f32_e32 v171, v156, v138
	ds_load_2addr_b32 v[136:137], v2 offset0:125 offset1:126
	ds_load_b32 v138, v2 offset:508
	s_waitcnt vmcnt(1)
	v_fmac_f32_e32 v171, v157, v139
	s_waitcnt lgkmcnt(3)
	s_delay_alu instid0(VALU_DEP_1) | instskip(NEXT) | instid1(VALU_DEP_1)
	v_fmac_f32_e32 v171, v158, v3
	v_fmac_f32_e32 v171, v159, v4
	s_waitcnt lgkmcnt(2)
	s_delay_alu instid0(VALU_DEP_1) | instskip(SKIP_1) | instid1(VALU_DEP_1)
	v_fmac_f32_e32 v171, v160, v134
	s_waitcnt vmcnt(0)
	v_fmac_f32_e32 v171, v161, v135
	s_waitcnt lgkmcnt(1)
	s_delay_alu instid0(VALU_DEP_1) | instskip(NEXT) | instid1(VALU_DEP_1)
	v_fmac_f32_e32 v171, v162, v136
	v_fmac_f32_e32 v171, v163, v137
	s_waitcnt lgkmcnt(0)
	s_delay_alu instid0(VALU_DEP_1) | instskip(NEXT) | instid1(VALU_DEP_1)
	v_fmac_f32_e32 v171, v164, v138
	v_sub_f32_e32 v3, v133, v171
	scratch_store_b32 off, v3, off offset:128
	v_cmpx_lt_u32_e32 31, v0
	s_cbranch_execz .LBB127_329
; %bb.328:
	scratch_load_b32 v3, off, off offset:124
	scratch_store_b32 off, v2, off offset:124
	s_waitcnt vmcnt(0)
	ds_store_b32 v1, v3
.LBB127_329:
	s_or_b32 exec_lo, exec_lo, s0
	s_waitcnt lgkmcnt(0)
	s_waitcnt_vscnt null, 0x0
	s_barrier
	buffer_gl0_inv
	s_clause 0x8
	scratch_load_b128 v[133:136], off, off offset:124
	scratch_load_b128 v[137:140], off, off offset:140
	;; [unrolled: 1-line block ×8, first 2 shown]
	scratch_load_b32 v3, off, off offset:252
	ds_load_b128 v[165:168], v2 offset:384
	ds_load_b128 v[169:172], v2 offset:400
	s_mov_b32 s0, exec_lo
	s_waitcnt vmcnt(8) lgkmcnt(1)
	v_fma_f32 v4, v134, v165, 0
	s_delay_alu instid0(VALU_DEP_1) | instskip(NEXT) | instid1(VALU_DEP_1)
	v_fmac_f32_e32 v4, v135, v166
	v_fmac_f32_e32 v4, v136, v167
	s_waitcnt vmcnt(7)
	s_delay_alu instid0(VALU_DEP_1) | instskip(SKIP_3) | instid1(VALU_DEP_1)
	v_fmac_f32_e32 v4, v137, v168
	ds_load_b128 v[134:137], v2 offset:416
	s_waitcnt lgkmcnt(1)
	v_fmac_f32_e32 v4, v138, v169
	v_fmac_f32_e32 v4, v139, v170
	s_delay_alu instid0(VALU_DEP_1) | instskip(SKIP_1) | instid1(VALU_DEP_1)
	v_fmac_f32_e32 v4, v140, v171
	s_waitcnt vmcnt(6)
	v_fmac_f32_e32 v4, v141, v172
	ds_load_b128 v[138:141], v2 offset:432
	s_waitcnt lgkmcnt(1)
	v_fmac_f32_e32 v4, v142, v134
	s_delay_alu instid0(VALU_DEP_1) | instskip(NEXT) | instid1(VALU_DEP_1)
	v_fmac_f32_e32 v4, v143, v135
	v_fmac_f32_e32 v4, v144, v136
	s_waitcnt vmcnt(5)
	s_delay_alu instid0(VALU_DEP_1) | instskip(SKIP_3) | instid1(VALU_DEP_1)
	v_fmac_f32_e32 v4, v145, v137
	ds_load_b128 v[134:137], v2 offset:448
	s_waitcnt lgkmcnt(1)
	v_fmac_f32_e32 v4, v146, v138
	v_fmac_f32_e32 v4, v147, v139
	s_delay_alu instid0(VALU_DEP_1) | instskip(SKIP_1) | instid1(VALU_DEP_1)
	v_fmac_f32_e32 v4, v148, v140
	s_waitcnt vmcnt(4)
	v_fmac_f32_e32 v4, v149, v141
	ds_load_b128 v[138:141], v2 offset:464
	s_waitcnt lgkmcnt(1)
	v_fmac_f32_e32 v4, v150, v134
	;; [unrolled: 17-line block ×3, first 2 shown]
	s_delay_alu instid0(VALU_DEP_1) | instskip(NEXT) | instid1(VALU_DEP_1)
	v_fmac_f32_e32 v4, v159, v135
	v_fmac_f32_e32 v4, v160, v136
	s_waitcnt vmcnt(1)
	s_delay_alu instid0(VALU_DEP_1) | instskip(SKIP_1) | instid1(VALU_DEP_1)
	v_fmac_f32_e32 v4, v161, v137
	s_waitcnt lgkmcnt(0)
	v_fmac_f32_e32 v4, v162, v138
	s_delay_alu instid0(VALU_DEP_1) | instskip(NEXT) | instid1(VALU_DEP_1)
	v_fmac_f32_e32 v4, v163, v139
	v_fmac_f32_e32 v4, v164, v140
	s_waitcnt vmcnt(0)
	s_delay_alu instid0(VALU_DEP_1) | instskip(NEXT) | instid1(VALU_DEP_1)
	v_fmac_f32_e32 v4, v3, v141
	v_sub_f32_e32 v2, v133, v4
	scratch_store_b32 off, v2, off offset:124
	v_cmpx_lt_u32_e32 30, v0
	s_cbranch_execz .LBB127_331
; %bb.330:
	scratch_load_b32 v2, off, off offset:120
	v_mov_b32_e32 v3, 0
	scratch_store_b32 off, v3, off offset:120
	s_waitcnt vmcnt(0)
	ds_store_b32 v1, v2
.LBB127_331:
	s_or_b32 exec_lo, exec_lo, s0
	s_waitcnt lgkmcnt(0)
	s_waitcnt_vscnt null, 0x0
	s_barrier
	buffer_gl0_inv
	s_clause 0x8
	scratch_load_b128 v[133:136], off, off offset:120
	scratch_load_b128 v[137:140], off, off offset:136
	;; [unrolled: 1-line block ×8, first 2 shown]
	scratch_load_b64 v[3:4], off, off offset:248
	v_mov_b32_e32 v2, 0
	ds_load_2addr_b32 v[165:166], v2 offset0:95 offset1:96
	ds_load_2addr_b32 v[167:168], v2 offset0:97 offset1:98
	;; [unrolled: 1-line block ×4, first 2 shown]
	s_mov_b32 s0, exec_lo
	s_waitcnt vmcnt(8) lgkmcnt(3)
	v_fma_f32 v165, v134, v165, 0
	s_delay_alu instid0(VALU_DEP_1) | instskip(SKIP_4) | instid1(VALU_DEP_1)
	v_fmac_f32_e32 v165, v135, v166
	ds_load_2addr_b32 v[134:135], v2 offset0:103 offset1:104
	s_waitcnt lgkmcnt(3)
	v_fmac_f32_e32 v165, v136, v167
	s_waitcnt vmcnt(7)
	v_fmac_f32_e32 v165, v137, v168
	ds_load_2addr_b32 v[136:137], v2 offset0:105 offset1:106
	s_waitcnt lgkmcnt(3)
	v_fmac_f32_e32 v165, v138, v169
	s_delay_alu instid0(VALU_DEP_1) | instskip(SKIP_1) | instid1(VALU_DEP_1)
	v_fmac_f32_e32 v165, v139, v170
	s_waitcnt lgkmcnt(2)
	v_fmac_f32_e32 v165, v140, v171
	s_waitcnt vmcnt(6)
	s_delay_alu instid0(VALU_DEP_1) | instskip(SKIP_4) | instid1(VALU_DEP_1)
	v_fmac_f32_e32 v165, v141, v172
	ds_load_2addr_b32 v[138:139], v2 offset0:107 offset1:108
	ds_load_2addr_b32 v[140:141], v2 offset0:109 offset1:110
	s_waitcnt lgkmcnt(3)
	v_fmac_f32_e32 v165, v142, v134
	v_fmac_f32_e32 v165, v143, v135
	ds_load_2addr_b32 v[134:135], v2 offset0:111 offset1:112
	s_waitcnt lgkmcnt(3)
	v_fmac_f32_e32 v165, v144, v136
	s_waitcnt vmcnt(5)
	s_delay_alu instid0(VALU_DEP_1) | instskip(SKIP_3) | instid1(VALU_DEP_1)
	v_fmac_f32_e32 v165, v145, v137
	ds_load_2addr_b32 v[136:137], v2 offset0:113 offset1:114
	s_waitcnt lgkmcnt(3)
	v_fmac_f32_e32 v165, v146, v138
	v_fmac_f32_e32 v165, v147, v139
	s_waitcnt lgkmcnt(2)
	s_delay_alu instid0(VALU_DEP_1) | instskip(SKIP_1) | instid1(VALU_DEP_1)
	v_fmac_f32_e32 v165, v148, v140
	s_waitcnt vmcnt(4)
	v_fmac_f32_e32 v165, v149, v141
	ds_load_2addr_b32 v[138:139], v2 offset0:115 offset1:116
	ds_load_2addr_b32 v[140:141], v2 offset0:117 offset1:118
	s_waitcnt lgkmcnt(3)
	v_fmac_f32_e32 v165, v150, v134
	s_delay_alu instid0(VALU_DEP_1) | instskip(SKIP_4) | instid1(VALU_DEP_1)
	v_fmac_f32_e32 v165, v151, v135
	ds_load_2addr_b32 v[134:135], v2 offset0:119 offset1:120
	s_waitcnt lgkmcnt(3)
	v_fmac_f32_e32 v165, v152, v136
	s_waitcnt vmcnt(3)
	v_fmac_f32_e32 v165, v153, v137
	ds_load_2addr_b32 v[136:137], v2 offset0:121 offset1:122
	s_waitcnt lgkmcnt(3)
	v_fmac_f32_e32 v165, v154, v138
	s_delay_alu instid0(VALU_DEP_1) | instskip(SKIP_1) | instid1(VALU_DEP_1)
	v_fmac_f32_e32 v165, v155, v139
	s_waitcnt lgkmcnt(2)
	v_fmac_f32_e32 v165, v156, v140
	s_waitcnt vmcnt(2)
	s_delay_alu instid0(VALU_DEP_1)
	v_fmac_f32_e32 v165, v157, v141
	ds_load_2addr_b32 v[138:139], v2 offset0:123 offset1:124
	ds_load_2addr_b32 v[140:141], v2 offset0:125 offset1:126
	s_waitcnt lgkmcnt(3)
	v_fmac_f32_e32 v165, v158, v134
	ds_load_b32 v134, v2 offset:508
	v_fmac_f32_e32 v165, v159, v135
	s_waitcnt lgkmcnt(3)
	s_delay_alu instid0(VALU_DEP_1) | instskip(SKIP_1) | instid1(VALU_DEP_1)
	v_fmac_f32_e32 v165, v160, v136
	s_waitcnt vmcnt(1)
	v_fmac_f32_e32 v165, v161, v137
	s_waitcnt lgkmcnt(2)
	s_delay_alu instid0(VALU_DEP_1) | instskip(NEXT) | instid1(VALU_DEP_1)
	v_fmac_f32_e32 v165, v162, v138
	v_fmac_f32_e32 v165, v163, v139
	s_waitcnt lgkmcnt(1)
	s_delay_alu instid0(VALU_DEP_1) | instskip(SKIP_1) | instid1(VALU_DEP_1)
	v_fmac_f32_e32 v165, v164, v140
	s_waitcnt vmcnt(0)
	v_fmac_f32_e32 v165, v3, v141
	s_waitcnt lgkmcnt(0)
	s_delay_alu instid0(VALU_DEP_1) | instskip(NEXT) | instid1(VALU_DEP_1)
	v_fmac_f32_e32 v165, v4, v134
	v_sub_f32_e32 v3, v133, v165
	scratch_store_b32 off, v3, off offset:120
	v_cmpx_lt_u32_e32 29, v0
	s_cbranch_execz .LBB127_333
; %bb.332:
	scratch_load_b32 v3, off, off offset:116
	scratch_store_b32 off, v2, off offset:116
	s_waitcnt vmcnt(0)
	ds_store_b32 v1, v3
.LBB127_333:
	s_or_b32 exec_lo, exec_lo, s0
	s_waitcnt lgkmcnt(0)
	s_waitcnt_vscnt null, 0x0
	s_barrier
	buffer_gl0_inv
	s_clause 0x8
	scratch_load_b128 v[133:136], off, off offset:116
	scratch_load_b128 v[137:140], off, off offset:132
	;; [unrolled: 1-line block ×8, first 2 shown]
	scratch_load_b96 v[173:175], off, off offset:244
	ds_load_2addr_b64 v[165:168], v2 offset0:47 offset1:48
	ds_load_2addr_b64 v[169:172], v2 offset0:49 offset1:50
	s_mov_b32 s0, exec_lo
	s_waitcnt vmcnt(8) lgkmcnt(1)
	v_fma_f32 v4, v134, v165, 0
	s_delay_alu instid0(VALU_DEP_1) | instskip(NEXT) | instid1(VALU_DEP_1)
	v_fmac_f32_e32 v4, v135, v166
	v_fmac_f32_e32 v4, v136, v167
	s_waitcnt vmcnt(7)
	s_delay_alu instid0(VALU_DEP_1) | instskip(SKIP_3) | instid1(VALU_DEP_1)
	v_fmac_f32_e32 v4, v137, v168
	ds_load_2addr_b64 v[134:137], v2 offset0:51 offset1:52
	s_waitcnt lgkmcnt(1)
	v_fmac_f32_e32 v4, v138, v169
	v_fmac_f32_e32 v4, v139, v170
	s_delay_alu instid0(VALU_DEP_1) | instskip(SKIP_1) | instid1(VALU_DEP_1)
	v_fmac_f32_e32 v4, v140, v171
	s_waitcnt vmcnt(6)
	v_fmac_f32_e32 v4, v141, v172
	ds_load_2addr_b64 v[138:141], v2 offset0:53 offset1:54
	s_waitcnt lgkmcnt(1)
	v_fmac_f32_e32 v4, v142, v134
	s_delay_alu instid0(VALU_DEP_1) | instskip(NEXT) | instid1(VALU_DEP_1)
	v_fmac_f32_e32 v4, v143, v135
	v_fmac_f32_e32 v4, v144, v136
	s_waitcnt vmcnt(5)
	s_delay_alu instid0(VALU_DEP_1) | instskip(SKIP_3) | instid1(VALU_DEP_1)
	v_fmac_f32_e32 v4, v145, v137
	ds_load_2addr_b64 v[134:137], v2 offset0:55 offset1:56
	s_waitcnt lgkmcnt(1)
	v_fmac_f32_e32 v4, v146, v138
	v_fmac_f32_e32 v4, v147, v139
	s_delay_alu instid0(VALU_DEP_1) | instskip(SKIP_1) | instid1(VALU_DEP_1)
	v_fmac_f32_e32 v4, v148, v140
	s_waitcnt vmcnt(4)
	v_fmac_f32_e32 v4, v149, v141
	ds_load_2addr_b64 v[138:141], v2 offset0:57 offset1:58
	s_waitcnt lgkmcnt(1)
	v_fmac_f32_e32 v4, v150, v134
	s_delay_alu instid0(VALU_DEP_1) | instskip(NEXT) | instid1(VALU_DEP_1)
	v_fmac_f32_e32 v4, v151, v135
	v_fmac_f32_e32 v4, v152, v136
	s_waitcnt vmcnt(3)
	s_delay_alu instid0(VALU_DEP_1) | instskip(SKIP_3) | instid1(VALU_DEP_1)
	v_fmac_f32_e32 v4, v153, v137
	ds_load_2addr_b64 v[134:137], v2 offset0:59 offset1:60
	s_waitcnt lgkmcnt(1)
	v_fmac_f32_e32 v4, v154, v138
	v_fmac_f32_e32 v4, v155, v139
	s_delay_alu instid0(VALU_DEP_1) | instskip(SKIP_1) | instid1(VALU_DEP_1)
	v_fmac_f32_e32 v4, v156, v140
	s_waitcnt vmcnt(2)
	v_fmac_f32_e32 v4, v157, v141
	ds_load_2addr_b64 v[138:141], v2 offset0:61 offset1:62
	ds_load_b64 v[2:3], v2 offset:504
	s_waitcnt lgkmcnt(2)
	v_fmac_f32_e32 v4, v158, v134
	s_delay_alu instid0(VALU_DEP_1) | instskip(NEXT) | instid1(VALU_DEP_1)
	v_fmac_f32_e32 v4, v159, v135
	v_fmac_f32_e32 v4, v160, v136
	s_waitcnt vmcnt(1)
	s_delay_alu instid0(VALU_DEP_1) | instskip(SKIP_1) | instid1(VALU_DEP_1)
	v_fmac_f32_e32 v4, v161, v137
	s_waitcnt lgkmcnt(1)
	v_fmac_f32_e32 v4, v162, v138
	s_delay_alu instid0(VALU_DEP_1) | instskip(NEXT) | instid1(VALU_DEP_1)
	v_fmac_f32_e32 v4, v163, v139
	v_fmac_f32_e32 v4, v164, v140
	s_waitcnt vmcnt(0)
	s_delay_alu instid0(VALU_DEP_1) | instskip(SKIP_1) | instid1(VALU_DEP_1)
	v_fmac_f32_e32 v4, v173, v141
	s_waitcnt lgkmcnt(0)
	v_fmac_f32_e32 v4, v174, v2
	s_delay_alu instid0(VALU_DEP_1) | instskip(NEXT) | instid1(VALU_DEP_1)
	v_fmac_f32_e32 v4, v175, v3
	v_sub_f32_e32 v2, v133, v4
	scratch_store_b32 off, v2, off offset:116
	v_cmpx_lt_u32_e32 28, v0
	s_cbranch_execz .LBB127_335
; %bb.334:
	scratch_load_b32 v2, off, off offset:112
	v_mov_b32_e32 v3, 0
	scratch_store_b32 off, v3, off offset:112
	s_waitcnt vmcnt(0)
	ds_store_b32 v1, v2
.LBB127_335:
	s_or_b32 exec_lo, exec_lo, s0
	s_waitcnt lgkmcnt(0)
	s_waitcnt_vscnt null, 0x0
	s_barrier
	buffer_gl0_inv
	s_clause 0x8
	scratch_load_b128 v[133:136], off, off offset:112
	scratch_load_b128 v[137:140], off, off offset:128
	;; [unrolled: 1-line block ×9, first 2 shown]
	v_mov_b32_e32 v2, 0
	ds_load_2addr_b32 v[3:4], v2 offset0:93 offset1:94
	ds_load_2addr_b32 v[169:170], v2 offset0:95 offset1:96
	;; [unrolled: 1-line block ×4, first 2 shown]
	s_mov_b32 s0, exec_lo
	s_waitcnt vmcnt(8) lgkmcnt(3)
	v_fma_f32 v175, v134, v3, 0
	s_delay_alu instid0(VALU_DEP_1)
	v_fmac_f32_e32 v175, v135, v4
	ds_load_2addr_b32 v[3:4], v2 offset0:101 offset1:102
	ds_load_2addr_b32 v[134:135], v2 offset0:103 offset1:104
	s_waitcnt lgkmcnt(4)
	v_fmac_f32_e32 v175, v136, v169
	s_waitcnt vmcnt(7)
	s_delay_alu instid0(VALU_DEP_1) | instskip(SKIP_1) | instid1(VALU_DEP_1)
	v_fmac_f32_e32 v175, v137, v170
	s_waitcnt lgkmcnt(3)
	v_fmac_f32_e32 v175, v138, v171
	s_delay_alu instid0(VALU_DEP_1)
	v_fmac_f32_e32 v175, v139, v172
	ds_load_2addr_b32 v[136:137], v2 offset0:105 offset1:106
	ds_load_2addr_b32 v[138:139], v2 offset0:107 offset1:108
	s_waitcnt lgkmcnt(4)
	v_fmac_f32_e32 v175, v140, v173
	s_waitcnt vmcnt(6)
	s_delay_alu instid0(VALU_DEP_1) | instskip(SKIP_1) | instid1(VALU_DEP_1)
	v_fmac_f32_e32 v175, v141, v174
	s_waitcnt lgkmcnt(3)
	v_fmac_f32_e32 v175, v142, v3
	s_delay_alu instid0(VALU_DEP_1) | instskip(SKIP_4) | instid1(VALU_DEP_1)
	v_fmac_f32_e32 v175, v143, v4
	ds_load_2addr_b32 v[3:4], v2 offset0:109 offset1:110
	s_waitcnt lgkmcnt(3)
	v_fmac_f32_e32 v175, v144, v134
	s_waitcnt vmcnt(5)
	v_fmac_f32_e32 v175, v145, v135
	ds_load_2addr_b32 v[134:135], v2 offset0:111 offset1:112
	s_waitcnt lgkmcnt(3)
	v_fmac_f32_e32 v175, v146, v136
	s_delay_alu instid0(VALU_DEP_1) | instskip(SKIP_1) | instid1(VALU_DEP_1)
	v_fmac_f32_e32 v175, v147, v137
	s_waitcnt lgkmcnt(2)
	v_fmac_f32_e32 v175, v148, v138
	s_waitcnt vmcnt(4)
	s_delay_alu instid0(VALU_DEP_1) | instskip(SKIP_4) | instid1(VALU_DEP_1)
	v_fmac_f32_e32 v175, v149, v139
	ds_load_2addr_b32 v[136:137], v2 offset0:113 offset1:114
	ds_load_2addr_b32 v[138:139], v2 offset0:115 offset1:116
	s_waitcnt lgkmcnt(3)
	v_fmac_f32_e32 v175, v150, v3
	v_fmac_f32_e32 v175, v151, v4
	ds_load_2addr_b32 v[3:4], v2 offset0:117 offset1:118
	s_waitcnt lgkmcnt(3)
	v_fmac_f32_e32 v175, v152, v134
	s_waitcnt vmcnt(3)
	s_delay_alu instid0(VALU_DEP_1) | instskip(SKIP_3) | instid1(VALU_DEP_1)
	v_fmac_f32_e32 v175, v153, v135
	ds_load_2addr_b32 v[134:135], v2 offset0:119 offset1:120
	s_waitcnt lgkmcnt(3)
	v_fmac_f32_e32 v175, v154, v136
	v_fmac_f32_e32 v175, v155, v137
	s_waitcnt lgkmcnt(2)
	s_delay_alu instid0(VALU_DEP_1) | instskip(SKIP_1) | instid1(VALU_DEP_1)
	v_fmac_f32_e32 v175, v156, v138
	s_waitcnt vmcnt(2)
	v_fmac_f32_e32 v175, v157, v139
	ds_load_2addr_b32 v[136:137], v2 offset0:121 offset1:122
	ds_load_2addr_b32 v[138:139], v2 offset0:123 offset1:124
	s_waitcnt lgkmcnt(3)
	v_fmac_f32_e32 v175, v158, v3
	s_delay_alu instid0(VALU_DEP_1)
	v_fmac_f32_e32 v175, v159, v4
	ds_load_2addr_b32 v[3:4], v2 offset0:125 offset1:126
	s_waitcnt lgkmcnt(3)
	v_fmac_f32_e32 v175, v160, v134
	ds_load_b32 v134, v2 offset:508
	s_waitcnt vmcnt(1)
	v_fmac_f32_e32 v175, v161, v135
	s_waitcnt lgkmcnt(3)
	s_delay_alu instid0(VALU_DEP_1) | instskip(NEXT) | instid1(VALU_DEP_1)
	v_fmac_f32_e32 v175, v162, v136
	v_fmac_f32_e32 v175, v163, v137
	s_waitcnt lgkmcnt(2)
	s_delay_alu instid0(VALU_DEP_1) | instskip(SKIP_1) | instid1(VALU_DEP_1)
	v_fmac_f32_e32 v175, v164, v138
	s_waitcnt vmcnt(0)
	v_fmac_f32_e32 v175, v165, v139
	s_waitcnt lgkmcnt(1)
	s_delay_alu instid0(VALU_DEP_1) | instskip(NEXT) | instid1(VALU_DEP_1)
	v_fmac_f32_e32 v175, v166, v3
	v_fmac_f32_e32 v175, v167, v4
	s_waitcnt lgkmcnt(0)
	s_delay_alu instid0(VALU_DEP_1) | instskip(NEXT) | instid1(VALU_DEP_1)
	v_fmac_f32_e32 v175, v168, v134
	v_sub_f32_e32 v3, v133, v175
	scratch_store_b32 off, v3, off offset:112
	v_cmpx_lt_u32_e32 27, v0
	s_cbranch_execz .LBB127_337
; %bb.336:
	scratch_load_b32 v3, off, off offset:108
	scratch_store_b32 off, v2, off offset:108
	s_waitcnt vmcnt(0)
	ds_store_b32 v1, v3
.LBB127_337:
	s_or_b32 exec_lo, exec_lo, s0
	s_waitcnt lgkmcnt(0)
	s_waitcnt_vscnt null, 0x0
	s_barrier
	buffer_gl0_inv
	s_clause 0x9
	scratch_load_b128 v[133:136], off, off offset:108
	scratch_load_b128 v[137:140], off, off offset:124
	;; [unrolled: 1-line block ×9, first 2 shown]
	scratch_load_b32 v3, off, off offset:252
	ds_load_b128 v[169:172], v2 offset:368
	ds_load_b128 v[173:176], v2 offset:384
	s_mov_b32 s0, exec_lo
	s_waitcnt vmcnt(9) lgkmcnt(1)
	v_fma_f32 v4, v134, v169, 0
	s_delay_alu instid0(VALU_DEP_1) | instskip(NEXT) | instid1(VALU_DEP_1)
	v_fmac_f32_e32 v4, v135, v170
	v_fmac_f32_e32 v4, v136, v171
	s_waitcnt vmcnt(8)
	s_delay_alu instid0(VALU_DEP_1) | instskip(SKIP_3) | instid1(VALU_DEP_1)
	v_fmac_f32_e32 v4, v137, v172
	ds_load_b128 v[134:137], v2 offset:400
	s_waitcnt lgkmcnt(1)
	v_fmac_f32_e32 v4, v138, v173
	v_fmac_f32_e32 v4, v139, v174
	s_delay_alu instid0(VALU_DEP_1) | instskip(SKIP_1) | instid1(VALU_DEP_1)
	v_fmac_f32_e32 v4, v140, v175
	s_waitcnt vmcnt(7)
	v_fmac_f32_e32 v4, v141, v176
	ds_load_b128 v[138:141], v2 offset:416
	s_waitcnt lgkmcnt(1)
	v_fmac_f32_e32 v4, v142, v134
	s_delay_alu instid0(VALU_DEP_1) | instskip(NEXT) | instid1(VALU_DEP_1)
	v_fmac_f32_e32 v4, v143, v135
	v_fmac_f32_e32 v4, v144, v136
	s_waitcnt vmcnt(6)
	s_delay_alu instid0(VALU_DEP_1) | instskip(SKIP_3) | instid1(VALU_DEP_1)
	v_fmac_f32_e32 v4, v145, v137
	ds_load_b128 v[134:137], v2 offset:432
	s_waitcnt lgkmcnt(1)
	v_fmac_f32_e32 v4, v146, v138
	v_fmac_f32_e32 v4, v147, v139
	s_delay_alu instid0(VALU_DEP_1) | instskip(SKIP_1) | instid1(VALU_DEP_1)
	v_fmac_f32_e32 v4, v148, v140
	s_waitcnt vmcnt(5)
	v_fmac_f32_e32 v4, v149, v141
	ds_load_b128 v[138:141], v2 offset:448
	s_waitcnt lgkmcnt(1)
	v_fmac_f32_e32 v4, v150, v134
	;; [unrolled: 17-line block ×3, first 2 shown]
	s_delay_alu instid0(VALU_DEP_1) | instskip(NEXT) | instid1(VALU_DEP_1)
	v_fmac_f32_e32 v4, v159, v135
	v_fmac_f32_e32 v4, v160, v136
	s_waitcnt vmcnt(2)
	s_delay_alu instid0(VALU_DEP_1) | instskip(SKIP_3) | instid1(VALU_DEP_1)
	v_fmac_f32_e32 v4, v161, v137
	ds_load_b128 v[134:137], v2 offset:496
	s_waitcnt lgkmcnt(1)
	v_fmac_f32_e32 v4, v162, v138
	v_fmac_f32_e32 v4, v163, v139
	s_delay_alu instid0(VALU_DEP_1) | instskip(SKIP_1) | instid1(VALU_DEP_1)
	v_fmac_f32_e32 v4, v164, v140
	s_waitcnt vmcnt(1)
	v_fmac_f32_e32 v4, v165, v141
	s_waitcnt lgkmcnt(0)
	s_delay_alu instid0(VALU_DEP_1) | instskip(NEXT) | instid1(VALU_DEP_1)
	v_fmac_f32_e32 v4, v166, v134
	v_fmac_f32_e32 v4, v167, v135
	s_delay_alu instid0(VALU_DEP_1) | instskip(SKIP_1) | instid1(VALU_DEP_1)
	v_fmac_f32_e32 v4, v168, v136
	s_waitcnt vmcnt(0)
	v_fmac_f32_e32 v4, v3, v137
	s_delay_alu instid0(VALU_DEP_1)
	v_sub_f32_e32 v2, v133, v4
	scratch_store_b32 off, v2, off offset:108
	v_cmpx_lt_u32_e32 26, v0
	s_cbranch_execz .LBB127_339
; %bb.338:
	scratch_load_b32 v2, off, off offset:104
	v_mov_b32_e32 v3, 0
	scratch_store_b32 off, v3, off offset:104
	s_waitcnt vmcnt(0)
	ds_store_b32 v1, v2
.LBB127_339:
	s_or_b32 exec_lo, exec_lo, s0
	s_waitcnt lgkmcnt(0)
	s_waitcnt_vscnt null, 0x0
	s_barrier
	buffer_gl0_inv
	s_clause 0x9
	scratch_load_b128 v[133:136], off, off offset:104
	scratch_load_b128 v[137:140], off, off offset:120
	;; [unrolled: 1-line block ×9, first 2 shown]
	scratch_load_b64 v[3:4], off, off offset:248
	v_mov_b32_e32 v2, 0
	ds_load_2addr_b32 v[169:170], v2 offset0:91 offset1:92
	ds_load_2addr_b32 v[171:172], v2 offset0:93 offset1:94
	;; [unrolled: 1-line block ×4, first 2 shown]
	s_mov_b32 s0, exec_lo
	s_waitcnt vmcnt(9) lgkmcnt(3)
	v_fma_f32 v169, v134, v169, 0
	s_delay_alu instid0(VALU_DEP_1) | instskip(SKIP_4) | instid1(VALU_DEP_1)
	v_fmac_f32_e32 v169, v135, v170
	ds_load_2addr_b32 v[134:135], v2 offset0:99 offset1:100
	s_waitcnt lgkmcnt(3)
	v_fmac_f32_e32 v169, v136, v171
	s_waitcnt vmcnt(8)
	v_fmac_f32_e32 v169, v137, v172
	ds_load_2addr_b32 v[136:137], v2 offset0:101 offset1:102
	s_waitcnt lgkmcnt(3)
	v_fmac_f32_e32 v169, v138, v173
	s_delay_alu instid0(VALU_DEP_1) | instskip(SKIP_1) | instid1(VALU_DEP_1)
	v_fmac_f32_e32 v169, v139, v174
	s_waitcnt lgkmcnt(2)
	v_fmac_f32_e32 v169, v140, v175
	s_waitcnt vmcnt(7)
	s_delay_alu instid0(VALU_DEP_1) | instskip(SKIP_4) | instid1(VALU_DEP_1)
	v_fmac_f32_e32 v169, v141, v176
	ds_load_2addr_b32 v[138:139], v2 offset0:103 offset1:104
	ds_load_2addr_b32 v[140:141], v2 offset0:105 offset1:106
	s_waitcnt lgkmcnt(3)
	v_fmac_f32_e32 v169, v142, v134
	v_fmac_f32_e32 v169, v143, v135
	ds_load_2addr_b32 v[134:135], v2 offset0:107 offset1:108
	s_waitcnt lgkmcnt(3)
	v_fmac_f32_e32 v169, v144, v136
	s_waitcnt vmcnt(6)
	s_delay_alu instid0(VALU_DEP_1) | instskip(SKIP_3) | instid1(VALU_DEP_1)
	v_fmac_f32_e32 v169, v145, v137
	ds_load_2addr_b32 v[136:137], v2 offset0:109 offset1:110
	s_waitcnt lgkmcnt(3)
	v_fmac_f32_e32 v169, v146, v138
	v_fmac_f32_e32 v169, v147, v139
	s_waitcnt lgkmcnt(2)
	s_delay_alu instid0(VALU_DEP_1) | instskip(SKIP_1) | instid1(VALU_DEP_1)
	v_fmac_f32_e32 v169, v148, v140
	s_waitcnt vmcnt(5)
	v_fmac_f32_e32 v169, v149, v141
	ds_load_2addr_b32 v[138:139], v2 offset0:111 offset1:112
	ds_load_2addr_b32 v[140:141], v2 offset0:113 offset1:114
	s_waitcnt lgkmcnt(3)
	v_fmac_f32_e32 v169, v150, v134
	s_delay_alu instid0(VALU_DEP_1) | instskip(SKIP_4) | instid1(VALU_DEP_1)
	v_fmac_f32_e32 v169, v151, v135
	ds_load_2addr_b32 v[134:135], v2 offset0:115 offset1:116
	s_waitcnt lgkmcnt(3)
	v_fmac_f32_e32 v169, v152, v136
	s_waitcnt vmcnt(4)
	v_fmac_f32_e32 v169, v153, v137
	ds_load_2addr_b32 v[136:137], v2 offset0:117 offset1:118
	s_waitcnt lgkmcnt(3)
	v_fmac_f32_e32 v169, v154, v138
	s_delay_alu instid0(VALU_DEP_1) | instskip(SKIP_1) | instid1(VALU_DEP_1)
	v_fmac_f32_e32 v169, v155, v139
	s_waitcnt lgkmcnt(2)
	v_fmac_f32_e32 v169, v156, v140
	s_waitcnt vmcnt(3)
	s_delay_alu instid0(VALU_DEP_1) | instskip(SKIP_4) | instid1(VALU_DEP_1)
	v_fmac_f32_e32 v169, v157, v141
	ds_load_2addr_b32 v[138:139], v2 offset0:119 offset1:120
	ds_load_2addr_b32 v[140:141], v2 offset0:121 offset1:122
	s_waitcnt lgkmcnt(3)
	v_fmac_f32_e32 v169, v158, v134
	v_fmac_f32_e32 v169, v159, v135
	ds_load_2addr_b32 v[134:135], v2 offset0:123 offset1:124
	s_waitcnt lgkmcnt(3)
	v_fmac_f32_e32 v169, v160, v136
	s_waitcnt vmcnt(2)
	s_delay_alu instid0(VALU_DEP_1)
	v_fmac_f32_e32 v169, v161, v137
	ds_load_2addr_b32 v[136:137], v2 offset0:125 offset1:126
	s_waitcnt lgkmcnt(3)
	v_fmac_f32_e32 v169, v162, v138
	ds_load_b32 v138, v2 offset:508
	v_fmac_f32_e32 v169, v163, v139
	s_waitcnt lgkmcnt(3)
	s_delay_alu instid0(VALU_DEP_1) | instskip(SKIP_1) | instid1(VALU_DEP_1)
	v_fmac_f32_e32 v169, v164, v140
	s_waitcnt vmcnt(1)
	v_fmac_f32_e32 v169, v165, v141
	s_waitcnt lgkmcnt(2)
	s_delay_alu instid0(VALU_DEP_1) | instskip(NEXT) | instid1(VALU_DEP_1)
	v_fmac_f32_e32 v169, v166, v134
	v_fmac_f32_e32 v169, v167, v135
	s_waitcnt lgkmcnt(1)
	s_delay_alu instid0(VALU_DEP_1) | instskip(SKIP_1) | instid1(VALU_DEP_1)
	v_fmac_f32_e32 v169, v168, v136
	s_waitcnt vmcnt(0)
	v_fmac_f32_e32 v169, v3, v137
	s_waitcnt lgkmcnt(0)
	s_delay_alu instid0(VALU_DEP_1) | instskip(NEXT) | instid1(VALU_DEP_1)
	v_fmac_f32_e32 v169, v4, v138
	v_sub_f32_e32 v3, v133, v169
	scratch_store_b32 off, v3, off offset:104
	v_cmpx_lt_u32_e32 25, v0
	s_cbranch_execz .LBB127_341
; %bb.340:
	scratch_load_b32 v3, off, off offset:100
	scratch_store_b32 off, v2, off offset:100
	s_waitcnt vmcnt(0)
	ds_store_b32 v1, v3
.LBB127_341:
	s_or_b32 exec_lo, exec_lo, s0
	s_waitcnt lgkmcnt(0)
	s_waitcnt_vscnt null, 0x0
	s_barrier
	buffer_gl0_inv
	s_clause 0x9
	scratch_load_b128 v[133:136], off, off offset:100
	scratch_load_b128 v[137:140], off, off offset:116
	scratch_load_b128 v[141:144], off, off offset:132
	scratch_load_b128 v[145:148], off, off offset:148
	scratch_load_b128 v[149:152], off, off offset:164
	scratch_load_b128 v[153:156], off, off offset:180
	scratch_load_b128 v[157:160], off, off offset:196
	scratch_load_b128 v[161:164], off, off offset:212
	scratch_load_b128 v[165:168], off, off offset:228
	scratch_load_b96 v[177:179], off, off offset:244
	ds_load_2addr_b64 v[169:172], v2 offset0:45 offset1:46
	ds_load_2addr_b64 v[173:176], v2 offset0:47 offset1:48
	s_mov_b32 s0, exec_lo
	s_waitcnt vmcnt(9) lgkmcnt(1)
	v_fma_f32 v4, v134, v169, 0
	s_delay_alu instid0(VALU_DEP_1) | instskip(NEXT) | instid1(VALU_DEP_1)
	v_fmac_f32_e32 v4, v135, v170
	v_fmac_f32_e32 v4, v136, v171
	s_waitcnt vmcnt(8)
	s_delay_alu instid0(VALU_DEP_1) | instskip(SKIP_3) | instid1(VALU_DEP_1)
	v_fmac_f32_e32 v4, v137, v172
	ds_load_2addr_b64 v[134:137], v2 offset0:49 offset1:50
	s_waitcnt lgkmcnt(1)
	v_fmac_f32_e32 v4, v138, v173
	v_fmac_f32_e32 v4, v139, v174
	s_delay_alu instid0(VALU_DEP_1) | instskip(SKIP_1) | instid1(VALU_DEP_1)
	v_fmac_f32_e32 v4, v140, v175
	s_waitcnt vmcnt(7)
	v_fmac_f32_e32 v4, v141, v176
	ds_load_2addr_b64 v[138:141], v2 offset0:51 offset1:52
	s_waitcnt lgkmcnt(1)
	v_fmac_f32_e32 v4, v142, v134
	s_delay_alu instid0(VALU_DEP_1) | instskip(NEXT) | instid1(VALU_DEP_1)
	v_fmac_f32_e32 v4, v143, v135
	v_fmac_f32_e32 v4, v144, v136
	s_waitcnt vmcnt(6)
	s_delay_alu instid0(VALU_DEP_1) | instskip(SKIP_3) | instid1(VALU_DEP_1)
	v_fmac_f32_e32 v4, v145, v137
	ds_load_2addr_b64 v[134:137], v2 offset0:53 offset1:54
	s_waitcnt lgkmcnt(1)
	v_fmac_f32_e32 v4, v146, v138
	v_fmac_f32_e32 v4, v147, v139
	s_delay_alu instid0(VALU_DEP_1) | instskip(SKIP_1) | instid1(VALU_DEP_1)
	v_fmac_f32_e32 v4, v148, v140
	s_waitcnt vmcnt(5)
	v_fmac_f32_e32 v4, v149, v141
	ds_load_2addr_b64 v[138:141], v2 offset0:55 offset1:56
	s_waitcnt lgkmcnt(1)
	v_fmac_f32_e32 v4, v150, v134
	;; [unrolled: 17-line block ×3, first 2 shown]
	s_delay_alu instid0(VALU_DEP_1) | instskip(NEXT) | instid1(VALU_DEP_1)
	v_fmac_f32_e32 v4, v159, v135
	v_fmac_f32_e32 v4, v160, v136
	s_waitcnt vmcnt(2)
	s_delay_alu instid0(VALU_DEP_1) | instskip(SKIP_4) | instid1(VALU_DEP_1)
	v_fmac_f32_e32 v4, v161, v137
	ds_load_2addr_b64 v[134:137], v2 offset0:61 offset1:62
	ds_load_b64 v[2:3], v2 offset:504
	s_waitcnt lgkmcnt(2)
	v_fmac_f32_e32 v4, v162, v138
	v_fmac_f32_e32 v4, v163, v139
	s_delay_alu instid0(VALU_DEP_1) | instskip(SKIP_1) | instid1(VALU_DEP_1)
	v_fmac_f32_e32 v4, v164, v140
	s_waitcnt vmcnt(1)
	v_fmac_f32_e32 v4, v165, v141
	s_waitcnt lgkmcnt(1)
	s_delay_alu instid0(VALU_DEP_1) | instskip(NEXT) | instid1(VALU_DEP_1)
	v_fmac_f32_e32 v4, v166, v134
	v_fmac_f32_e32 v4, v167, v135
	s_delay_alu instid0(VALU_DEP_1) | instskip(SKIP_1) | instid1(VALU_DEP_1)
	v_fmac_f32_e32 v4, v168, v136
	s_waitcnt vmcnt(0)
	v_fmac_f32_e32 v4, v177, v137
	s_waitcnt lgkmcnt(0)
	s_delay_alu instid0(VALU_DEP_1) | instskip(NEXT) | instid1(VALU_DEP_1)
	v_fmac_f32_e32 v4, v178, v2
	v_fmac_f32_e32 v4, v179, v3
	s_delay_alu instid0(VALU_DEP_1)
	v_sub_f32_e32 v2, v133, v4
	scratch_store_b32 off, v2, off offset:100
	v_cmpx_lt_u32_e32 24, v0
	s_cbranch_execz .LBB127_343
; %bb.342:
	scratch_load_b32 v2, off, off offset:96
	v_mov_b32_e32 v3, 0
	scratch_store_b32 off, v3, off offset:96
	s_waitcnt vmcnt(0)
	ds_store_b32 v1, v2
.LBB127_343:
	s_or_b32 exec_lo, exec_lo, s0
	s_waitcnt lgkmcnt(0)
	s_waitcnt_vscnt null, 0x0
	s_barrier
	buffer_gl0_inv
	s_clause 0x9
	scratch_load_b128 v[133:136], off, off offset:96
	scratch_load_b128 v[137:140], off, off offset:112
	;; [unrolled: 1-line block ×10, first 2 shown]
	v_mov_b32_e32 v2, 0
	ds_load_2addr_b32 v[3:4], v2 offset0:89 offset1:90
	ds_load_2addr_b32 v[173:174], v2 offset0:91 offset1:92
	;; [unrolled: 1-line block ×4, first 2 shown]
	s_mov_b32 s0, exec_lo
	s_waitcnt vmcnt(9) lgkmcnt(3)
	v_fma_f32 v179, v134, v3, 0
	s_delay_alu instid0(VALU_DEP_1)
	v_fmac_f32_e32 v179, v135, v4
	ds_load_2addr_b32 v[3:4], v2 offset0:97 offset1:98
	ds_load_2addr_b32 v[134:135], v2 offset0:99 offset1:100
	s_waitcnt lgkmcnt(4)
	v_fmac_f32_e32 v179, v136, v173
	s_waitcnt vmcnt(8)
	s_delay_alu instid0(VALU_DEP_1) | instskip(SKIP_1) | instid1(VALU_DEP_1)
	v_fmac_f32_e32 v179, v137, v174
	s_waitcnt lgkmcnt(3)
	v_fmac_f32_e32 v179, v138, v175
	s_delay_alu instid0(VALU_DEP_1)
	v_fmac_f32_e32 v179, v139, v176
	ds_load_2addr_b32 v[136:137], v2 offset0:101 offset1:102
	ds_load_2addr_b32 v[138:139], v2 offset0:103 offset1:104
	s_waitcnt lgkmcnt(4)
	v_fmac_f32_e32 v179, v140, v177
	s_waitcnt vmcnt(7)
	s_delay_alu instid0(VALU_DEP_1) | instskip(SKIP_1) | instid1(VALU_DEP_1)
	v_fmac_f32_e32 v179, v141, v178
	s_waitcnt lgkmcnt(3)
	v_fmac_f32_e32 v179, v142, v3
	s_delay_alu instid0(VALU_DEP_1) | instskip(SKIP_4) | instid1(VALU_DEP_1)
	v_fmac_f32_e32 v179, v143, v4
	ds_load_2addr_b32 v[3:4], v2 offset0:105 offset1:106
	s_waitcnt lgkmcnt(3)
	v_fmac_f32_e32 v179, v144, v134
	s_waitcnt vmcnt(6)
	v_fmac_f32_e32 v179, v145, v135
	ds_load_2addr_b32 v[134:135], v2 offset0:107 offset1:108
	s_waitcnt lgkmcnt(3)
	v_fmac_f32_e32 v179, v146, v136
	s_delay_alu instid0(VALU_DEP_1) | instskip(SKIP_1) | instid1(VALU_DEP_1)
	v_fmac_f32_e32 v179, v147, v137
	s_waitcnt lgkmcnt(2)
	v_fmac_f32_e32 v179, v148, v138
	s_waitcnt vmcnt(5)
	s_delay_alu instid0(VALU_DEP_1) | instskip(SKIP_4) | instid1(VALU_DEP_1)
	v_fmac_f32_e32 v179, v149, v139
	ds_load_2addr_b32 v[136:137], v2 offset0:109 offset1:110
	ds_load_2addr_b32 v[138:139], v2 offset0:111 offset1:112
	s_waitcnt lgkmcnt(3)
	v_fmac_f32_e32 v179, v150, v3
	v_fmac_f32_e32 v179, v151, v4
	ds_load_2addr_b32 v[3:4], v2 offset0:113 offset1:114
	s_waitcnt lgkmcnt(3)
	v_fmac_f32_e32 v179, v152, v134
	s_waitcnt vmcnt(4)
	s_delay_alu instid0(VALU_DEP_1) | instskip(SKIP_3) | instid1(VALU_DEP_1)
	v_fmac_f32_e32 v179, v153, v135
	ds_load_2addr_b32 v[134:135], v2 offset0:115 offset1:116
	s_waitcnt lgkmcnt(3)
	v_fmac_f32_e32 v179, v154, v136
	v_fmac_f32_e32 v179, v155, v137
	s_waitcnt lgkmcnt(2)
	s_delay_alu instid0(VALU_DEP_1) | instskip(SKIP_1) | instid1(VALU_DEP_1)
	v_fmac_f32_e32 v179, v156, v138
	s_waitcnt vmcnt(3)
	v_fmac_f32_e32 v179, v157, v139
	ds_load_2addr_b32 v[136:137], v2 offset0:117 offset1:118
	ds_load_2addr_b32 v[138:139], v2 offset0:119 offset1:120
	s_waitcnt lgkmcnt(3)
	v_fmac_f32_e32 v179, v158, v3
	s_delay_alu instid0(VALU_DEP_1) | instskip(SKIP_4) | instid1(VALU_DEP_1)
	v_fmac_f32_e32 v179, v159, v4
	ds_load_2addr_b32 v[3:4], v2 offset0:121 offset1:122
	s_waitcnt lgkmcnt(3)
	v_fmac_f32_e32 v179, v160, v134
	s_waitcnt vmcnt(2)
	v_fmac_f32_e32 v179, v161, v135
	ds_load_2addr_b32 v[134:135], v2 offset0:123 offset1:124
	s_waitcnt lgkmcnt(3)
	v_fmac_f32_e32 v179, v162, v136
	s_delay_alu instid0(VALU_DEP_1) | instskip(SKIP_1) | instid1(VALU_DEP_1)
	v_fmac_f32_e32 v179, v163, v137
	s_waitcnt lgkmcnt(2)
	v_fmac_f32_e32 v179, v164, v138
	ds_load_2addr_b32 v[136:137], v2 offset0:125 offset1:126
	ds_load_b32 v138, v2 offset:508
	s_waitcnt vmcnt(1)
	v_fmac_f32_e32 v179, v165, v139
	s_waitcnt lgkmcnt(3)
	s_delay_alu instid0(VALU_DEP_1) | instskip(NEXT) | instid1(VALU_DEP_1)
	v_fmac_f32_e32 v179, v166, v3
	v_fmac_f32_e32 v179, v167, v4
	s_waitcnt lgkmcnt(2)
	s_delay_alu instid0(VALU_DEP_1) | instskip(SKIP_1) | instid1(VALU_DEP_1)
	v_fmac_f32_e32 v179, v168, v134
	s_waitcnt vmcnt(0)
	v_fmac_f32_e32 v179, v169, v135
	s_waitcnt lgkmcnt(1)
	s_delay_alu instid0(VALU_DEP_1) | instskip(NEXT) | instid1(VALU_DEP_1)
	v_fmac_f32_e32 v179, v170, v136
	v_fmac_f32_e32 v179, v171, v137
	s_waitcnt lgkmcnt(0)
	s_delay_alu instid0(VALU_DEP_1) | instskip(NEXT) | instid1(VALU_DEP_1)
	v_fmac_f32_e32 v179, v172, v138
	v_sub_f32_e32 v3, v133, v179
	scratch_store_b32 off, v3, off offset:96
	v_cmpx_lt_u32_e32 23, v0
	s_cbranch_execz .LBB127_345
; %bb.344:
	scratch_load_b32 v3, off, off offset:92
	scratch_store_b32 off, v2, off offset:92
	s_waitcnt vmcnt(0)
	ds_store_b32 v1, v3
.LBB127_345:
	s_or_b32 exec_lo, exec_lo, s0
	s_waitcnt lgkmcnt(0)
	s_waitcnt_vscnt null, 0x0
	s_barrier
	buffer_gl0_inv
	s_clause 0xa
	scratch_load_b128 v[133:136], off, off offset:92
	scratch_load_b128 v[137:140], off, off offset:108
	;; [unrolled: 1-line block ×10, first 2 shown]
	scratch_load_b32 v3, off, off offset:252
	ds_load_b128 v[173:176], v2 offset:352
	ds_load_b128 v[177:180], v2 offset:368
	s_mov_b32 s0, exec_lo
	s_waitcnt vmcnt(10) lgkmcnt(1)
	v_fma_f32 v4, v134, v173, 0
	s_delay_alu instid0(VALU_DEP_1) | instskip(NEXT) | instid1(VALU_DEP_1)
	v_fmac_f32_e32 v4, v135, v174
	v_fmac_f32_e32 v4, v136, v175
	s_waitcnt vmcnt(9)
	s_delay_alu instid0(VALU_DEP_1) | instskip(SKIP_3) | instid1(VALU_DEP_1)
	v_fmac_f32_e32 v4, v137, v176
	ds_load_b128 v[134:137], v2 offset:384
	s_waitcnt lgkmcnt(1)
	v_fmac_f32_e32 v4, v138, v177
	v_fmac_f32_e32 v4, v139, v178
	s_delay_alu instid0(VALU_DEP_1) | instskip(SKIP_1) | instid1(VALU_DEP_1)
	v_fmac_f32_e32 v4, v140, v179
	s_waitcnt vmcnt(8)
	v_fmac_f32_e32 v4, v141, v180
	ds_load_b128 v[138:141], v2 offset:400
	s_waitcnt lgkmcnt(1)
	v_fmac_f32_e32 v4, v142, v134
	s_delay_alu instid0(VALU_DEP_1) | instskip(NEXT) | instid1(VALU_DEP_1)
	v_fmac_f32_e32 v4, v143, v135
	v_fmac_f32_e32 v4, v144, v136
	s_waitcnt vmcnt(7)
	s_delay_alu instid0(VALU_DEP_1) | instskip(SKIP_3) | instid1(VALU_DEP_1)
	v_fmac_f32_e32 v4, v145, v137
	ds_load_b128 v[134:137], v2 offset:416
	s_waitcnt lgkmcnt(1)
	v_fmac_f32_e32 v4, v146, v138
	v_fmac_f32_e32 v4, v147, v139
	s_delay_alu instid0(VALU_DEP_1) | instskip(SKIP_1) | instid1(VALU_DEP_1)
	v_fmac_f32_e32 v4, v148, v140
	s_waitcnt vmcnt(6)
	v_fmac_f32_e32 v4, v149, v141
	ds_load_b128 v[138:141], v2 offset:432
	s_waitcnt lgkmcnt(1)
	v_fmac_f32_e32 v4, v150, v134
	s_delay_alu instid0(VALU_DEP_1) | instskip(NEXT) | instid1(VALU_DEP_1)
	v_fmac_f32_e32 v4, v151, v135
	v_fmac_f32_e32 v4, v152, v136
	s_waitcnt vmcnt(5)
	s_delay_alu instid0(VALU_DEP_1) | instskip(SKIP_3) | instid1(VALU_DEP_1)
	v_fmac_f32_e32 v4, v153, v137
	ds_load_b128 v[134:137], v2 offset:448
	s_waitcnt lgkmcnt(1)
	v_fmac_f32_e32 v4, v154, v138
	v_fmac_f32_e32 v4, v155, v139
	s_delay_alu instid0(VALU_DEP_1) | instskip(SKIP_1) | instid1(VALU_DEP_1)
	v_fmac_f32_e32 v4, v156, v140
	s_waitcnt vmcnt(4)
	v_fmac_f32_e32 v4, v157, v141
	ds_load_b128 v[138:141], v2 offset:464
	s_waitcnt lgkmcnt(1)
	v_fmac_f32_e32 v4, v158, v134
	s_delay_alu instid0(VALU_DEP_1) | instskip(NEXT) | instid1(VALU_DEP_1)
	v_fmac_f32_e32 v4, v159, v135
	v_fmac_f32_e32 v4, v160, v136
	s_waitcnt vmcnt(3)
	s_delay_alu instid0(VALU_DEP_1) | instskip(SKIP_3) | instid1(VALU_DEP_1)
	v_fmac_f32_e32 v4, v161, v137
	ds_load_b128 v[134:137], v2 offset:480
	s_waitcnt lgkmcnt(1)
	v_fmac_f32_e32 v4, v162, v138
	v_fmac_f32_e32 v4, v163, v139
	s_delay_alu instid0(VALU_DEP_1) | instskip(SKIP_1) | instid1(VALU_DEP_1)
	v_fmac_f32_e32 v4, v164, v140
	s_waitcnt vmcnt(2)
	v_fmac_f32_e32 v4, v165, v141
	ds_load_b128 v[138:141], v2 offset:496
	s_waitcnt lgkmcnt(1)
	v_fmac_f32_e32 v4, v166, v134
	s_delay_alu instid0(VALU_DEP_1) | instskip(NEXT) | instid1(VALU_DEP_1)
	v_fmac_f32_e32 v4, v167, v135
	v_fmac_f32_e32 v4, v168, v136
	s_waitcnt vmcnt(1)
	s_delay_alu instid0(VALU_DEP_1) | instskip(SKIP_1) | instid1(VALU_DEP_1)
	v_fmac_f32_e32 v4, v169, v137
	s_waitcnt lgkmcnt(0)
	v_fmac_f32_e32 v4, v170, v138
	s_delay_alu instid0(VALU_DEP_1) | instskip(NEXT) | instid1(VALU_DEP_1)
	v_fmac_f32_e32 v4, v171, v139
	v_fmac_f32_e32 v4, v172, v140
	s_waitcnt vmcnt(0)
	s_delay_alu instid0(VALU_DEP_1) | instskip(NEXT) | instid1(VALU_DEP_1)
	v_fmac_f32_e32 v4, v3, v141
	v_sub_f32_e32 v2, v133, v4
	scratch_store_b32 off, v2, off offset:92
	v_cmpx_lt_u32_e32 22, v0
	s_cbranch_execz .LBB127_347
; %bb.346:
	scratch_load_b32 v2, off, off offset:88
	v_mov_b32_e32 v3, 0
	scratch_store_b32 off, v3, off offset:88
	s_waitcnt vmcnt(0)
	ds_store_b32 v1, v2
.LBB127_347:
	s_or_b32 exec_lo, exec_lo, s0
	s_waitcnt lgkmcnt(0)
	s_waitcnt_vscnt null, 0x0
	s_barrier
	buffer_gl0_inv
	s_clause 0xa
	scratch_load_b128 v[133:136], off, off offset:88
	scratch_load_b128 v[137:140], off, off offset:104
	;; [unrolled: 1-line block ×10, first 2 shown]
	scratch_load_b64 v[3:4], off, off offset:248
	v_mov_b32_e32 v2, 0
	ds_load_2addr_b32 v[173:174], v2 offset0:87 offset1:88
	ds_load_2addr_b32 v[175:176], v2 offset0:89 offset1:90
	;; [unrolled: 1-line block ×4, first 2 shown]
	s_mov_b32 s0, exec_lo
	s_waitcnt vmcnt(10) lgkmcnt(3)
	v_fma_f32 v173, v134, v173, 0
	s_delay_alu instid0(VALU_DEP_1) | instskip(SKIP_4) | instid1(VALU_DEP_1)
	v_fmac_f32_e32 v173, v135, v174
	ds_load_2addr_b32 v[134:135], v2 offset0:95 offset1:96
	s_waitcnt lgkmcnt(3)
	v_fmac_f32_e32 v173, v136, v175
	s_waitcnt vmcnt(9)
	v_fmac_f32_e32 v173, v137, v176
	ds_load_2addr_b32 v[136:137], v2 offset0:97 offset1:98
	s_waitcnt lgkmcnt(3)
	v_fmac_f32_e32 v173, v138, v177
	s_delay_alu instid0(VALU_DEP_1) | instskip(SKIP_1) | instid1(VALU_DEP_1)
	v_fmac_f32_e32 v173, v139, v178
	s_waitcnt lgkmcnt(2)
	v_fmac_f32_e32 v173, v140, v179
	s_waitcnt vmcnt(8)
	s_delay_alu instid0(VALU_DEP_1) | instskip(SKIP_4) | instid1(VALU_DEP_1)
	v_fmac_f32_e32 v173, v141, v180
	ds_load_2addr_b32 v[138:139], v2 offset0:99 offset1:100
	ds_load_2addr_b32 v[140:141], v2 offset0:101 offset1:102
	s_waitcnt lgkmcnt(3)
	v_fmac_f32_e32 v173, v142, v134
	v_fmac_f32_e32 v173, v143, v135
	ds_load_2addr_b32 v[134:135], v2 offset0:103 offset1:104
	s_waitcnt lgkmcnt(3)
	v_fmac_f32_e32 v173, v144, v136
	s_waitcnt vmcnt(7)
	s_delay_alu instid0(VALU_DEP_1) | instskip(SKIP_3) | instid1(VALU_DEP_1)
	v_fmac_f32_e32 v173, v145, v137
	ds_load_2addr_b32 v[136:137], v2 offset0:105 offset1:106
	s_waitcnt lgkmcnt(3)
	v_fmac_f32_e32 v173, v146, v138
	v_fmac_f32_e32 v173, v147, v139
	s_waitcnt lgkmcnt(2)
	s_delay_alu instid0(VALU_DEP_1) | instskip(SKIP_1) | instid1(VALU_DEP_1)
	v_fmac_f32_e32 v173, v148, v140
	s_waitcnt vmcnt(6)
	v_fmac_f32_e32 v173, v149, v141
	ds_load_2addr_b32 v[138:139], v2 offset0:107 offset1:108
	ds_load_2addr_b32 v[140:141], v2 offset0:109 offset1:110
	s_waitcnt lgkmcnt(3)
	v_fmac_f32_e32 v173, v150, v134
	s_delay_alu instid0(VALU_DEP_1) | instskip(SKIP_4) | instid1(VALU_DEP_1)
	v_fmac_f32_e32 v173, v151, v135
	ds_load_2addr_b32 v[134:135], v2 offset0:111 offset1:112
	s_waitcnt lgkmcnt(3)
	v_fmac_f32_e32 v173, v152, v136
	s_waitcnt vmcnt(5)
	v_fmac_f32_e32 v173, v153, v137
	ds_load_2addr_b32 v[136:137], v2 offset0:113 offset1:114
	s_waitcnt lgkmcnt(3)
	v_fmac_f32_e32 v173, v154, v138
	s_delay_alu instid0(VALU_DEP_1) | instskip(SKIP_1) | instid1(VALU_DEP_1)
	v_fmac_f32_e32 v173, v155, v139
	s_waitcnt lgkmcnt(2)
	v_fmac_f32_e32 v173, v156, v140
	s_waitcnt vmcnt(4)
	s_delay_alu instid0(VALU_DEP_1) | instskip(SKIP_4) | instid1(VALU_DEP_1)
	v_fmac_f32_e32 v173, v157, v141
	ds_load_2addr_b32 v[138:139], v2 offset0:115 offset1:116
	ds_load_2addr_b32 v[140:141], v2 offset0:117 offset1:118
	s_waitcnt lgkmcnt(3)
	v_fmac_f32_e32 v173, v158, v134
	v_fmac_f32_e32 v173, v159, v135
	ds_load_2addr_b32 v[134:135], v2 offset0:119 offset1:120
	s_waitcnt lgkmcnt(3)
	v_fmac_f32_e32 v173, v160, v136
	s_waitcnt vmcnt(3)
	s_delay_alu instid0(VALU_DEP_1) | instskip(SKIP_3) | instid1(VALU_DEP_1)
	v_fmac_f32_e32 v173, v161, v137
	ds_load_2addr_b32 v[136:137], v2 offset0:121 offset1:122
	s_waitcnt lgkmcnt(3)
	v_fmac_f32_e32 v173, v162, v138
	v_fmac_f32_e32 v173, v163, v139
	s_waitcnt lgkmcnt(2)
	s_delay_alu instid0(VALU_DEP_1) | instskip(SKIP_1) | instid1(VALU_DEP_1)
	v_fmac_f32_e32 v173, v164, v140
	s_waitcnt vmcnt(2)
	v_fmac_f32_e32 v173, v165, v141
	ds_load_2addr_b32 v[138:139], v2 offset0:123 offset1:124
	ds_load_2addr_b32 v[140:141], v2 offset0:125 offset1:126
	s_waitcnt lgkmcnt(3)
	v_fmac_f32_e32 v173, v166, v134
	ds_load_b32 v134, v2 offset:508
	v_fmac_f32_e32 v173, v167, v135
	s_waitcnt lgkmcnt(3)
	s_delay_alu instid0(VALU_DEP_1) | instskip(SKIP_1) | instid1(VALU_DEP_1)
	v_fmac_f32_e32 v173, v168, v136
	s_waitcnt vmcnt(1)
	v_fmac_f32_e32 v173, v169, v137
	s_waitcnt lgkmcnt(2)
	s_delay_alu instid0(VALU_DEP_1) | instskip(NEXT) | instid1(VALU_DEP_1)
	v_fmac_f32_e32 v173, v170, v138
	v_fmac_f32_e32 v173, v171, v139
	s_waitcnt lgkmcnt(1)
	s_delay_alu instid0(VALU_DEP_1) | instskip(SKIP_1) | instid1(VALU_DEP_1)
	v_fmac_f32_e32 v173, v172, v140
	s_waitcnt vmcnt(0)
	v_fmac_f32_e32 v173, v3, v141
	s_waitcnt lgkmcnt(0)
	s_delay_alu instid0(VALU_DEP_1) | instskip(NEXT) | instid1(VALU_DEP_1)
	v_fmac_f32_e32 v173, v4, v134
	v_sub_f32_e32 v3, v133, v173
	scratch_store_b32 off, v3, off offset:88
	v_cmpx_lt_u32_e32 21, v0
	s_cbranch_execz .LBB127_349
; %bb.348:
	scratch_load_b32 v3, off, off offset:84
	scratch_store_b32 off, v2, off offset:84
	s_waitcnt vmcnt(0)
	ds_store_b32 v1, v3
.LBB127_349:
	s_or_b32 exec_lo, exec_lo, s0
	s_waitcnt lgkmcnt(0)
	s_waitcnt_vscnt null, 0x0
	s_barrier
	buffer_gl0_inv
	s_clause 0xa
	scratch_load_b128 v[133:136], off, off offset:84
	scratch_load_b128 v[137:140], off, off offset:100
	;; [unrolled: 1-line block ×10, first 2 shown]
	scratch_load_b96 v[181:183], off, off offset:244
	ds_load_2addr_b64 v[173:176], v2 offset0:43 offset1:44
	ds_load_2addr_b64 v[177:180], v2 offset0:45 offset1:46
	s_mov_b32 s0, exec_lo
	s_waitcnt vmcnt(10) lgkmcnt(1)
	v_fma_f32 v4, v134, v173, 0
	s_delay_alu instid0(VALU_DEP_1) | instskip(NEXT) | instid1(VALU_DEP_1)
	v_fmac_f32_e32 v4, v135, v174
	v_fmac_f32_e32 v4, v136, v175
	s_waitcnt vmcnt(9)
	s_delay_alu instid0(VALU_DEP_1) | instskip(SKIP_3) | instid1(VALU_DEP_1)
	v_fmac_f32_e32 v4, v137, v176
	ds_load_2addr_b64 v[134:137], v2 offset0:47 offset1:48
	s_waitcnt lgkmcnt(1)
	v_fmac_f32_e32 v4, v138, v177
	v_fmac_f32_e32 v4, v139, v178
	s_delay_alu instid0(VALU_DEP_1) | instskip(SKIP_1) | instid1(VALU_DEP_1)
	v_fmac_f32_e32 v4, v140, v179
	s_waitcnt vmcnt(8)
	v_fmac_f32_e32 v4, v141, v180
	ds_load_2addr_b64 v[138:141], v2 offset0:49 offset1:50
	s_waitcnt lgkmcnt(1)
	v_fmac_f32_e32 v4, v142, v134
	s_delay_alu instid0(VALU_DEP_1) | instskip(NEXT) | instid1(VALU_DEP_1)
	v_fmac_f32_e32 v4, v143, v135
	v_fmac_f32_e32 v4, v144, v136
	s_waitcnt vmcnt(7)
	s_delay_alu instid0(VALU_DEP_1) | instskip(SKIP_3) | instid1(VALU_DEP_1)
	v_fmac_f32_e32 v4, v145, v137
	ds_load_2addr_b64 v[134:137], v2 offset0:51 offset1:52
	s_waitcnt lgkmcnt(1)
	v_fmac_f32_e32 v4, v146, v138
	v_fmac_f32_e32 v4, v147, v139
	s_delay_alu instid0(VALU_DEP_1) | instskip(SKIP_1) | instid1(VALU_DEP_1)
	v_fmac_f32_e32 v4, v148, v140
	s_waitcnt vmcnt(6)
	v_fmac_f32_e32 v4, v149, v141
	ds_load_2addr_b64 v[138:141], v2 offset0:53 offset1:54
	s_waitcnt lgkmcnt(1)
	v_fmac_f32_e32 v4, v150, v134
	;; [unrolled: 17-line block ×3, first 2 shown]
	s_delay_alu instid0(VALU_DEP_1) | instskip(NEXT) | instid1(VALU_DEP_1)
	v_fmac_f32_e32 v4, v159, v135
	v_fmac_f32_e32 v4, v160, v136
	s_waitcnt vmcnt(3)
	s_delay_alu instid0(VALU_DEP_1) | instskip(SKIP_3) | instid1(VALU_DEP_1)
	v_fmac_f32_e32 v4, v161, v137
	ds_load_2addr_b64 v[134:137], v2 offset0:59 offset1:60
	s_waitcnt lgkmcnt(1)
	v_fmac_f32_e32 v4, v162, v138
	v_fmac_f32_e32 v4, v163, v139
	s_delay_alu instid0(VALU_DEP_1) | instskip(SKIP_1) | instid1(VALU_DEP_1)
	v_fmac_f32_e32 v4, v164, v140
	s_waitcnt vmcnt(2)
	v_fmac_f32_e32 v4, v165, v141
	ds_load_2addr_b64 v[138:141], v2 offset0:61 offset1:62
	ds_load_b64 v[2:3], v2 offset:504
	s_waitcnt lgkmcnt(2)
	v_fmac_f32_e32 v4, v166, v134
	s_delay_alu instid0(VALU_DEP_1) | instskip(NEXT) | instid1(VALU_DEP_1)
	v_fmac_f32_e32 v4, v167, v135
	v_fmac_f32_e32 v4, v168, v136
	s_waitcnt vmcnt(1)
	s_delay_alu instid0(VALU_DEP_1) | instskip(SKIP_1) | instid1(VALU_DEP_1)
	v_fmac_f32_e32 v4, v169, v137
	s_waitcnt lgkmcnt(1)
	v_fmac_f32_e32 v4, v170, v138
	s_delay_alu instid0(VALU_DEP_1) | instskip(NEXT) | instid1(VALU_DEP_1)
	v_fmac_f32_e32 v4, v171, v139
	v_fmac_f32_e32 v4, v172, v140
	s_waitcnt vmcnt(0)
	s_delay_alu instid0(VALU_DEP_1) | instskip(SKIP_1) | instid1(VALU_DEP_1)
	v_fmac_f32_e32 v4, v181, v141
	s_waitcnt lgkmcnt(0)
	v_fmac_f32_e32 v4, v182, v2
	s_delay_alu instid0(VALU_DEP_1) | instskip(NEXT) | instid1(VALU_DEP_1)
	v_fmac_f32_e32 v4, v183, v3
	v_sub_f32_e32 v2, v133, v4
	scratch_store_b32 off, v2, off offset:84
	v_cmpx_lt_u32_e32 20, v0
	s_cbranch_execz .LBB127_351
; %bb.350:
	scratch_load_b32 v2, off, off offset:80
	v_mov_b32_e32 v3, 0
	scratch_store_b32 off, v3, off offset:80
	s_waitcnt vmcnt(0)
	ds_store_b32 v1, v2
.LBB127_351:
	s_or_b32 exec_lo, exec_lo, s0
	s_waitcnt lgkmcnt(0)
	s_waitcnt_vscnt null, 0x0
	s_barrier
	buffer_gl0_inv
	s_clause 0xa
	scratch_load_b128 v[133:136], off, off offset:80
	scratch_load_b128 v[137:140], off, off offset:96
	;; [unrolled: 1-line block ×11, first 2 shown]
	v_mov_b32_e32 v2, 0
	ds_load_2addr_b32 v[3:4], v2 offset0:85 offset1:86
	ds_load_2addr_b32 v[177:178], v2 offset0:87 offset1:88
	;; [unrolled: 1-line block ×4, first 2 shown]
	s_mov_b32 s0, exec_lo
	s_waitcnt vmcnt(10) lgkmcnt(3)
	v_fma_f32 v183, v134, v3, 0
	s_delay_alu instid0(VALU_DEP_1)
	v_fmac_f32_e32 v183, v135, v4
	ds_load_2addr_b32 v[3:4], v2 offset0:93 offset1:94
	ds_load_2addr_b32 v[134:135], v2 offset0:95 offset1:96
	s_waitcnt lgkmcnt(4)
	v_fmac_f32_e32 v183, v136, v177
	s_waitcnt vmcnt(9)
	s_delay_alu instid0(VALU_DEP_1) | instskip(SKIP_1) | instid1(VALU_DEP_1)
	v_fmac_f32_e32 v183, v137, v178
	s_waitcnt lgkmcnt(3)
	v_fmac_f32_e32 v183, v138, v179
	s_delay_alu instid0(VALU_DEP_1)
	v_fmac_f32_e32 v183, v139, v180
	ds_load_2addr_b32 v[136:137], v2 offset0:97 offset1:98
	ds_load_2addr_b32 v[138:139], v2 offset0:99 offset1:100
	s_waitcnt lgkmcnt(4)
	v_fmac_f32_e32 v183, v140, v181
	s_waitcnt vmcnt(8)
	s_delay_alu instid0(VALU_DEP_1) | instskip(SKIP_1) | instid1(VALU_DEP_1)
	v_fmac_f32_e32 v183, v141, v182
	s_waitcnt lgkmcnt(3)
	v_fmac_f32_e32 v183, v142, v3
	s_delay_alu instid0(VALU_DEP_1) | instskip(SKIP_4) | instid1(VALU_DEP_1)
	v_fmac_f32_e32 v183, v143, v4
	ds_load_2addr_b32 v[3:4], v2 offset0:101 offset1:102
	s_waitcnt lgkmcnt(3)
	v_fmac_f32_e32 v183, v144, v134
	s_waitcnt vmcnt(7)
	v_fmac_f32_e32 v183, v145, v135
	ds_load_2addr_b32 v[134:135], v2 offset0:103 offset1:104
	s_waitcnt lgkmcnt(3)
	v_fmac_f32_e32 v183, v146, v136
	s_delay_alu instid0(VALU_DEP_1) | instskip(SKIP_1) | instid1(VALU_DEP_1)
	v_fmac_f32_e32 v183, v147, v137
	s_waitcnt lgkmcnt(2)
	v_fmac_f32_e32 v183, v148, v138
	s_waitcnt vmcnt(6)
	s_delay_alu instid0(VALU_DEP_1) | instskip(SKIP_4) | instid1(VALU_DEP_1)
	v_fmac_f32_e32 v183, v149, v139
	ds_load_2addr_b32 v[136:137], v2 offset0:105 offset1:106
	ds_load_2addr_b32 v[138:139], v2 offset0:107 offset1:108
	s_waitcnt lgkmcnt(3)
	v_fmac_f32_e32 v183, v150, v3
	v_fmac_f32_e32 v183, v151, v4
	ds_load_2addr_b32 v[3:4], v2 offset0:109 offset1:110
	s_waitcnt lgkmcnt(3)
	v_fmac_f32_e32 v183, v152, v134
	s_waitcnt vmcnt(5)
	s_delay_alu instid0(VALU_DEP_1) | instskip(SKIP_3) | instid1(VALU_DEP_1)
	v_fmac_f32_e32 v183, v153, v135
	ds_load_2addr_b32 v[134:135], v2 offset0:111 offset1:112
	s_waitcnt lgkmcnt(3)
	v_fmac_f32_e32 v183, v154, v136
	v_fmac_f32_e32 v183, v155, v137
	s_waitcnt lgkmcnt(2)
	s_delay_alu instid0(VALU_DEP_1) | instskip(SKIP_1) | instid1(VALU_DEP_1)
	v_fmac_f32_e32 v183, v156, v138
	s_waitcnt vmcnt(4)
	v_fmac_f32_e32 v183, v157, v139
	ds_load_2addr_b32 v[136:137], v2 offset0:113 offset1:114
	ds_load_2addr_b32 v[138:139], v2 offset0:115 offset1:116
	s_waitcnt lgkmcnt(3)
	v_fmac_f32_e32 v183, v158, v3
	s_delay_alu instid0(VALU_DEP_1) | instskip(SKIP_4) | instid1(VALU_DEP_1)
	v_fmac_f32_e32 v183, v159, v4
	ds_load_2addr_b32 v[3:4], v2 offset0:117 offset1:118
	s_waitcnt lgkmcnt(3)
	v_fmac_f32_e32 v183, v160, v134
	s_waitcnt vmcnt(3)
	v_fmac_f32_e32 v183, v161, v135
	ds_load_2addr_b32 v[134:135], v2 offset0:119 offset1:120
	s_waitcnt lgkmcnt(3)
	v_fmac_f32_e32 v183, v162, v136
	s_delay_alu instid0(VALU_DEP_1) | instskip(SKIP_1) | instid1(VALU_DEP_1)
	v_fmac_f32_e32 v183, v163, v137
	s_waitcnt lgkmcnt(2)
	v_fmac_f32_e32 v183, v164, v138
	s_waitcnt vmcnt(2)
	s_delay_alu instid0(VALU_DEP_1) | instskip(SKIP_4) | instid1(VALU_DEP_1)
	v_fmac_f32_e32 v183, v165, v139
	ds_load_2addr_b32 v[136:137], v2 offset0:121 offset1:122
	ds_load_2addr_b32 v[138:139], v2 offset0:123 offset1:124
	s_waitcnt lgkmcnt(3)
	v_fmac_f32_e32 v183, v166, v3
	v_fmac_f32_e32 v183, v167, v4
	ds_load_2addr_b32 v[3:4], v2 offset0:125 offset1:126
	s_waitcnt lgkmcnt(3)
	v_fmac_f32_e32 v183, v168, v134
	ds_load_b32 v134, v2 offset:508
	s_waitcnt vmcnt(1)
	v_fmac_f32_e32 v183, v169, v135
	s_waitcnt lgkmcnt(3)
	s_delay_alu instid0(VALU_DEP_1) | instskip(NEXT) | instid1(VALU_DEP_1)
	v_fmac_f32_e32 v183, v170, v136
	v_fmac_f32_e32 v183, v171, v137
	s_waitcnt lgkmcnt(2)
	s_delay_alu instid0(VALU_DEP_1) | instskip(SKIP_1) | instid1(VALU_DEP_1)
	v_fmac_f32_e32 v183, v172, v138
	s_waitcnt vmcnt(0)
	v_fmac_f32_e32 v183, v173, v139
	s_waitcnt lgkmcnt(1)
	s_delay_alu instid0(VALU_DEP_1) | instskip(NEXT) | instid1(VALU_DEP_1)
	v_fmac_f32_e32 v183, v174, v3
	v_fmac_f32_e32 v183, v175, v4
	s_waitcnt lgkmcnt(0)
	s_delay_alu instid0(VALU_DEP_1) | instskip(NEXT) | instid1(VALU_DEP_1)
	v_fmac_f32_e32 v183, v176, v134
	v_sub_f32_e32 v3, v133, v183
	scratch_store_b32 off, v3, off offset:80
	v_cmpx_lt_u32_e32 19, v0
	s_cbranch_execz .LBB127_353
; %bb.352:
	scratch_load_b32 v3, off, off offset:76
	scratch_store_b32 off, v2, off offset:76
	s_waitcnt vmcnt(0)
	ds_store_b32 v1, v3
.LBB127_353:
	s_or_b32 exec_lo, exec_lo, s0
	s_waitcnt lgkmcnt(0)
	s_waitcnt_vscnt null, 0x0
	s_barrier
	buffer_gl0_inv
	s_clause 0xb
	scratch_load_b128 v[133:136], off, off offset:76
	scratch_load_b128 v[137:140], off, off offset:92
	;; [unrolled: 1-line block ×11, first 2 shown]
	scratch_load_b32 v3, off, off offset:252
	ds_load_b128 v[177:180], v2 offset:336
	ds_load_b128 v[181:184], v2 offset:352
	s_mov_b32 s0, exec_lo
	s_waitcnt vmcnt(11) lgkmcnt(1)
	v_fma_f32 v4, v134, v177, 0
	s_delay_alu instid0(VALU_DEP_1) | instskip(NEXT) | instid1(VALU_DEP_1)
	v_fmac_f32_e32 v4, v135, v178
	v_fmac_f32_e32 v4, v136, v179
	s_waitcnt vmcnt(10)
	s_delay_alu instid0(VALU_DEP_1) | instskip(SKIP_3) | instid1(VALU_DEP_1)
	v_fmac_f32_e32 v4, v137, v180
	ds_load_b128 v[134:137], v2 offset:368
	s_waitcnt lgkmcnt(1)
	v_fmac_f32_e32 v4, v138, v181
	v_fmac_f32_e32 v4, v139, v182
	s_delay_alu instid0(VALU_DEP_1) | instskip(SKIP_1) | instid1(VALU_DEP_1)
	v_fmac_f32_e32 v4, v140, v183
	s_waitcnt vmcnt(9)
	v_fmac_f32_e32 v4, v141, v184
	ds_load_b128 v[138:141], v2 offset:384
	s_waitcnt lgkmcnt(1)
	v_fmac_f32_e32 v4, v142, v134
	s_delay_alu instid0(VALU_DEP_1) | instskip(NEXT) | instid1(VALU_DEP_1)
	v_fmac_f32_e32 v4, v143, v135
	v_fmac_f32_e32 v4, v144, v136
	s_waitcnt vmcnt(8)
	s_delay_alu instid0(VALU_DEP_1) | instskip(SKIP_3) | instid1(VALU_DEP_1)
	v_fmac_f32_e32 v4, v145, v137
	ds_load_b128 v[134:137], v2 offset:400
	s_waitcnt lgkmcnt(1)
	v_fmac_f32_e32 v4, v146, v138
	v_fmac_f32_e32 v4, v147, v139
	s_delay_alu instid0(VALU_DEP_1) | instskip(SKIP_1) | instid1(VALU_DEP_1)
	v_fmac_f32_e32 v4, v148, v140
	s_waitcnt vmcnt(7)
	v_fmac_f32_e32 v4, v149, v141
	ds_load_b128 v[138:141], v2 offset:416
	s_waitcnt lgkmcnt(1)
	v_fmac_f32_e32 v4, v150, v134
	s_delay_alu instid0(VALU_DEP_1) | instskip(NEXT) | instid1(VALU_DEP_1)
	v_fmac_f32_e32 v4, v151, v135
	v_fmac_f32_e32 v4, v152, v136
	s_waitcnt vmcnt(6)
	s_delay_alu instid0(VALU_DEP_1) | instskip(SKIP_3) | instid1(VALU_DEP_1)
	v_fmac_f32_e32 v4, v153, v137
	ds_load_b128 v[134:137], v2 offset:432
	s_waitcnt lgkmcnt(1)
	v_fmac_f32_e32 v4, v154, v138
	v_fmac_f32_e32 v4, v155, v139
	s_delay_alu instid0(VALU_DEP_1) | instskip(SKIP_1) | instid1(VALU_DEP_1)
	v_fmac_f32_e32 v4, v156, v140
	s_waitcnt vmcnt(5)
	v_fmac_f32_e32 v4, v157, v141
	ds_load_b128 v[138:141], v2 offset:448
	s_waitcnt lgkmcnt(1)
	v_fmac_f32_e32 v4, v158, v134
	s_delay_alu instid0(VALU_DEP_1) | instskip(NEXT) | instid1(VALU_DEP_1)
	v_fmac_f32_e32 v4, v159, v135
	v_fmac_f32_e32 v4, v160, v136
	s_waitcnt vmcnt(4)
	s_delay_alu instid0(VALU_DEP_1) | instskip(SKIP_3) | instid1(VALU_DEP_1)
	v_fmac_f32_e32 v4, v161, v137
	ds_load_b128 v[134:137], v2 offset:464
	s_waitcnt lgkmcnt(1)
	v_fmac_f32_e32 v4, v162, v138
	v_fmac_f32_e32 v4, v163, v139
	s_delay_alu instid0(VALU_DEP_1) | instskip(SKIP_1) | instid1(VALU_DEP_1)
	v_fmac_f32_e32 v4, v164, v140
	s_waitcnt vmcnt(3)
	v_fmac_f32_e32 v4, v165, v141
	ds_load_b128 v[138:141], v2 offset:480
	s_waitcnt lgkmcnt(1)
	v_fmac_f32_e32 v4, v166, v134
	s_delay_alu instid0(VALU_DEP_1) | instskip(NEXT) | instid1(VALU_DEP_1)
	v_fmac_f32_e32 v4, v167, v135
	v_fmac_f32_e32 v4, v168, v136
	s_waitcnt vmcnt(2)
	s_delay_alu instid0(VALU_DEP_1) | instskip(SKIP_3) | instid1(VALU_DEP_1)
	v_fmac_f32_e32 v4, v169, v137
	ds_load_b128 v[134:137], v2 offset:496
	s_waitcnt lgkmcnt(1)
	v_fmac_f32_e32 v4, v170, v138
	v_fmac_f32_e32 v4, v171, v139
	s_delay_alu instid0(VALU_DEP_1) | instskip(SKIP_1) | instid1(VALU_DEP_1)
	v_fmac_f32_e32 v4, v172, v140
	s_waitcnt vmcnt(1)
	v_fmac_f32_e32 v4, v173, v141
	s_waitcnt lgkmcnt(0)
	s_delay_alu instid0(VALU_DEP_1) | instskip(NEXT) | instid1(VALU_DEP_1)
	v_fmac_f32_e32 v4, v174, v134
	v_fmac_f32_e32 v4, v175, v135
	s_delay_alu instid0(VALU_DEP_1) | instskip(SKIP_1) | instid1(VALU_DEP_1)
	v_fmac_f32_e32 v4, v176, v136
	s_waitcnt vmcnt(0)
	v_fmac_f32_e32 v4, v3, v137
	s_delay_alu instid0(VALU_DEP_1)
	v_sub_f32_e32 v2, v133, v4
	scratch_store_b32 off, v2, off offset:76
	v_cmpx_lt_u32_e32 18, v0
	s_cbranch_execz .LBB127_355
; %bb.354:
	scratch_load_b32 v2, off, off offset:72
	v_mov_b32_e32 v3, 0
	scratch_store_b32 off, v3, off offset:72
	s_waitcnt vmcnt(0)
	ds_store_b32 v1, v2
.LBB127_355:
	s_or_b32 exec_lo, exec_lo, s0
	s_waitcnt lgkmcnt(0)
	s_waitcnt_vscnt null, 0x0
	s_barrier
	buffer_gl0_inv
	s_clause 0xb
	scratch_load_b128 v[133:136], off, off offset:72
	scratch_load_b128 v[137:140], off, off offset:88
	;; [unrolled: 1-line block ×11, first 2 shown]
	scratch_load_b64 v[3:4], off, off offset:248
	v_mov_b32_e32 v2, 0
	ds_load_2addr_b32 v[177:178], v2 offset0:83 offset1:84
	ds_load_2addr_b32 v[179:180], v2 offset0:85 offset1:86
	;; [unrolled: 1-line block ×4, first 2 shown]
	s_mov_b32 s0, exec_lo
	s_waitcnt vmcnt(11) lgkmcnt(3)
	v_fma_f32 v177, v134, v177, 0
	s_delay_alu instid0(VALU_DEP_1) | instskip(SKIP_4) | instid1(VALU_DEP_1)
	v_fmac_f32_e32 v177, v135, v178
	ds_load_2addr_b32 v[134:135], v2 offset0:91 offset1:92
	s_waitcnt lgkmcnt(3)
	v_fmac_f32_e32 v177, v136, v179
	s_waitcnt vmcnt(10)
	v_fmac_f32_e32 v177, v137, v180
	ds_load_2addr_b32 v[136:137], v2 offset0:93 offset1:94
	s_waitcnt lgkmcnt(3)
	v_fmac_f32_e32 v177, v138, v181
	s_delay_alu instid0(VALU_DEP_1) | instskip(SKIP_1) | instid1(VALU_DEP_1)
	v_fmac_f32_e32 v177, v139, v182
	s_waitcnt lgkmcnt(2)
	v_fmac_f32_e32 v177, v140, v183
	s_waitcnt vmcnt(9)
	s_delay_alu instid0(VALU_DEP_1) | instskip(SKIP_4) | instid1(VALU_DEP_1)
	v_fmac_f32_e32 v177, v141, v184
	ds_load_2addr_b32 v[138:139], v2 offset0:95 offset1:96
	ds_load_2addr_b32 v[140:141], v2 offset0:97 offset1:98
	s_waitcnt lgkmcnt(3)
	v_fmac_f32_e32 v177, v142, v134
	v_fmac_f32_e32 v177, v143, v135
	ds_load_2addr_b32 v[134:135], v2 offset0:99 offset1:100
	s_waitcnt lgkmcnt(3)
	v_fmac_f32_e32 v177, v144, v136
	s_waitcnt vmcnt(8)
	s_delay_alu instid0(VALU_DEP_1) | instskip(SKIP_3) | instid1(VALU_DEP_1)
	v_fmac_f32_e32 v177, v145, v137
	ds_load_2addr_b32 v[136:137], v2 offset0:101 offset1:102
	s_waitcnt lgkmcnt(3)
	v_fmac_f32_e32 v177, v146, v138
	v_fmac_f32_e32 v177, v147, v139
	s_waitcnt lgkmcnt(2)
	s_delay_alu instid0(VALU_DEP_1) | instskip(SKIP_1) | instid1(VALU_DEP_1)
	v_fmac_f32_e32 v177, v148, v140
	s_waitcnt vmcnt(7)
	v_fmac_f32_e32 v177, v149, v141
	ds_load_2addr_b32 v[138:139], v2 offset0:103 offset1:104
	ds_load_2addr_b32 v[140:141], v2 offset0:105 offset1:106
	s_waitcnt lgkmcnt(3)
	v_fmac_f32_e32 v177, v150, v134
	s_delay_alu instid0(VALU_DEP_1) | instskip(SKIP_4) | instid1(VALU_DEP_1)
	v_fmac_f32_e32 v177, v151, v135
	ds_load_2addr_b32 v[134:135], v2 offset0:107 offset1:108
	s_waitcnt lgkmcnt(3)
	v_fmac_f32_e32 v177, v152, v136
	s_waitcnt vmcnt(6)
	v_fmac_f32_e32 v177, v153, v137
	ds_load_2addr_b32 v[136:137], v2 offset0:109 offset1:110
	s_waitcnt lgkmcnt(3)
	v_fmac_f32_e32 v177, v154, v138
	s_delay_alu instid0(VALU_DEP_1) | instskip(SKIP_1) | instid1(VALU_DEP_1)
	v_fmac_f32_e32 v177, v155, v139
	s_waitcnt lgkmcnt(2)
	v_fmac_f32_e32 v177, v156, v140
	s_waitcnt vmcnt(5)
	s_delay_alu instid0(VALU_DEP_1) | instskip(SKIP_4) | instid1(VALU_DEP_1)
	v_fmac_f32_e32 v177, v157, v141
	ds_load_2addr_b32 v[138:139], v2 offset0:111 offset1:112
	ds_load_2addr_b32 v[140:141], v2 offset0:113 offset1:114
	s_waitcnt lgkmcnt(3)
	v_fmac_f32_e32 v177, v158, v134
	v_fmac_f32_e32 v177, v159, v135
	ds_load_2addr_b32 v[134:135], v2 offset0:115 offset1:116
	s_waitcnt lgkmcnt(3)
	v_fmac_f32_e32 v177, v160, v136
	s_waitcnt vmcnt(4)
	s_delay_alu instid0(VALU_DEP_1) | instskip(SKIP_3) | instid1(VALU_DEP_1)
	v_fmac_f32_e32 v177, v161, v137
	ds_load_2addr_b32 v[136:137], v2 offset0:117 offset1:118
	s_waitcnt lgkmcnt(3)
	v_fmac_f32_e32 v177, v162, v138
	v_fmac_f32_e32 v177, v163, v139
	s_waitcnt lgkmcnt(2)
	s_delay_alu instid0(VALU_DEP_1) | instskip(SKIP_1) | instid1(VALU_DEP_1)
	v_fmac_f32_e32 v177, v164, v140
	s_waitcnt vmcnt(3)
	v_fmac_f32_e32 v177, v165, v141
	ds_load_2addr_b32 v[138:139], v2 offset0:119 offset1:120
	ds_load_2addr_b32 v[140:141], v2 offset0:121 offset1:122
	s_waitcnt lgkmcnt(3)
	v_fmac_f32_e32 v177, v166, v134
	s_delay_alu instid0(VALU_DEP_1) | instskip(SKIP_4) | instid1(VALU_DEP_1)
	v_fmac_f32_e32 v177, v167, v135
	ds_load_2addr_b32 v[134:135], v2 offset0:123 offset1:124
	s_waitcnt lgkmcnt(3)
	v_fmac_f32_e32 v177, v168, v136
	s_waitcnt vmcnt(2)
	v_fmac_f32_e32 v177, v169, v137
	ds_load_2addr_b32 v[136:137], v2 offset0:125 offset1:126
	s_waitcnt lgkmcnt(3)
	v_fmac_f32_e32 v177, v170, v138
	ds_load_b32 v138, v2 offset:508
	v_fmac_f32_e32 v177, v171, v139
	s_waitcnt lgkmcnt(3)
	s_delay_alu instid0(VALU_DEP_1) | instskip(SKIP_1) | instid1(VALU_DEP_1)
	v_fmac_f32_e32 v177, v172, v140
	s_waitcnt vmcnt(1)
	v_fmac_f32_e32 v177, v173, v141
	s_waitcnt lgkmcnt(2)
	s_delay_alu instid0(VALU_DEP_1) | instskip(NEXT) | instid1(VALU_DEP_1)
	v_fmac_f32_e32 v177, v174, v134
	v_fmac_f32_e32 v177, v175, v135
	s_waitcnt lgkmcnt(1)
	s_delay_alu instid0(VALU_DEP_1) | instskip(SKIP_1) | instid1(VALU_DEP_1)
	v_fmac_f32_e32 v177, v176, v136
	s_waitcnt vmcnt(0)
	v_fmac_f32_e32 v177, v3, v137
	s_waitcnt lgkmcnt(0)
	s_delay_alu instid0(VALU_DEP_1) | instskip(NEXT) | instid1(VALU_DEP_1)
	v_fmac_f32_e32 v177, v4, v138
	v_sub_f32_e32 v3, v133, v177
	scratch_store_b32 off, v3, off offset:72
	v_cmpx_lt_u32_e32 17, v0
	s_cbranch_execz .LBB127_357
; %bb.356:
	scratch_load_b32 v3, off, off offset:68
	scratch_store_b32 off, v2, off offset:68
	s_waitcnt vmcnt(0)
	ds_store_b32 v1, v3
.LBB127_357:
	s_or_b32 exec_lo, exec_lo, s0
	s_waitcnt lgkmcnt(0)
	s_waitcnt_vscnt null, 0x0
	s_barrier
	buffer_gl0_inv
	s_clause 0xb
	scratch_load_b128 v[133:136], off, off offset:68
	scratch_load_b128 v[137:140], off, off offset:84
	;; [unrolled: 1-line block ×11, first 2 shown]
	scratch_load_b96 v[185:187], off, off offset:244
	ds_load_2addr_b64 v[177:180], v2 offset0:41 offset1:42
	ds_load_2addr_b64 v[181:184], v2 offset0:43 offset1:44
	s_mov_b32 s0, exec_lo
	s_waitcnt vmcnt(11) lgkmcnt(1)
	v_fma_f32 v4, v134, v177, 0
	s_delay_alu instid0(VALU_DEP_1) | instskip(NEXT) | instid1(VALU_DEP_1)
	v_fmac_f32_e32 v4, v135, v178
	v_fmac_f32_e32 v4, v136, v179
	s_waitcnt vmcnt(10)
	s_delay_alu instid0(VALU_DEP_1) | instskip(SKIP_3) | instid1(VALU_DEP_1)
	v_fmac_f32_e32 v4, v137, v180
	ds_load_2addr_b64 v[134:137], v2 offset0:45 offset1:46
	s_waitcnt lgkmcnt(1)
	v_fmac_f32_e32 v4, v138, v181
	v_fmac_f32_e32 v4, v139, v182
	s_delay_alu instid0(VALU_DEP_1) | instskip(SKIP_1) | instid1(VALU_DEP_1)
	v_fmac_f32_e32 v4, v140, v183
	s_waitcnt vmcnt(9)
	v_fmac_f32_e32 v4, v141, v184
	ds_load_2addr_b64 v[138:141], v2 offset0:47 offset1:48
	s_waitcnt lgkmcnt(1)
	v_fmac_f32_e32 v4, v142, v134
	s_delay_alu instid0(VALU_DEP_1) | instskip(NEXT) | instid1(VALU_DEP_1)
	v_fmac_f32_e32 v4, v143, v135
	v_fmac_f32_e32 v4, v144, v136
	s_waitcnt vmcnt(8)
	s_delay_alu instid0(VALU_DEP_1) | instskip(SKIP_3) | instid1(VALU_DEP_1)
	v_fmac_f32_e32 v4, v145, v137
	ds_load_2addr_b64 v[134:137], v2 offset0:49 offset1:50
	s_waitcnt lgkmcnt(1)
	v_fmac_f32_e32 v4, v146, v138
	v_fmac_f32_e32 v4, v147, v139
	s_delay_alu instid0(VALU_DEP_1) | instskip(SKIP_1) | instid1(VALU_DEP_1)
	v_fmac_f32_e32 v4, v148, v140
	s_waitcnt vmcnt(7)
	v_fmac_f32_e32 v4, v149, v141
	ds_load_2addr_b64 v[138:141], v2 offset0:51 offset1:52
	s_waitcnt lgkmcnt(1)
	v_fmac_f32_e32 v4, v150, v134
	;; [unrolled: 17-line block ×4, first 2 shown]
	s_delay_alu instid0(VALU_DEP_1) | instskip(NEXT) | instid1(VALU_DEP_1)
	v_fmac_f32_e32 v4, v167, v135
	v_fmac_f32_e32 v4, v168, v136
	s_waitcnt vmcnt(2)
	s_delay_alu instid0(VALU_DEP_1) | instskip(SKIP_4) | instid1(VALU_DEP_1)
	v_fmac_f32_e32 v4, v169, v137
	ds_load_2addr_b64 v[134:137], v2 offset0:61 offset1:62
	ds_load_b64 v[2:3], v2 offset:504
	s_waitcnt lgkmcnt(2)
	v_fmac_f32_e32 v4, v170, v138
	v_fmac_f32_e32 v4, v171, v139
	s_delay_alu instid0(VALU_DEP_1) | instskip(SKIP_1) | instid1(VALU_DEP_1)
	v_fmac_f32_e32 v4, v172, v140
	s_waitcnt vmcnt(1)
	v_fmac_f32_e32 v4, v173, v141
	s_waitcnt lgkmcnt(1)
	s_delay_alu instid0(VALU_DEP_1) | instskip(NEXT) | instid1(VALU_DEP_1)
	v_fmac_f32_e32 v4, v174, v134
	v_fmac_f32_e32 v4, v175, v135
	s_delay_alu instid0(VALU_DEP_1) | instskip(SKIP_1) | instid1(VALU_DEP_1)
	v_fmac_f32_e32 v4, v176, v136
	s_waitcnt vmcnt(0)
	v_fmac_f32_e32 v4, v185, v137
	s_waitcnt lgkmcnt(0)
	s_delay_alu instid0(VALU_DEP_1) | instskip(NEXT) | instid1(VALU_DEP_1)
	v_fmac_f32_e32 v4, v186, v2
	v_fmac_f32_e32 v4, v187, v3
	s_delay_alu instid0(VALU_DEP_1)
	v_sub_f32_e32 v2, v133, v4
	scratch_store_b32 off, v2, off offset:68
	v_cmpx_lt_u32_e32 16, v0
	s_cbranch_execz .LBB127_359
; %bb.358:
	scratch_load_b32 v2, off, off offset:64
	v_mov_b32_e32 v3, 0
	scratch_store_b32 off, v3, off offset:64
	s_waitcnt vmcnt(0)
	ds_store_b32 v1, v2
.LBB127_359:
	s_or_b32 exec_lo, exec_lo, s0
	s_waitcnt lgkmcnt(0)
	s_waitcnt_vscnt null, 0x0
	s_barrier
	buffer_gl0_inv
	s_clause 0xb
	scratch_load_b128 v[133:136], off, off offset:64
	scratch_load_b128 v[137:140], off, off offset:80
	;; [unrolled: 1-line block ×12, first 2 shown]
	v_mov_b32_e32 v2, 0
	ds_load_2addr_b32 v[3:4], v2 offset0:81 offset1:82
	ds_load_2addr_b32 v[181:182], v2 offset0:83 offset1:84
	;; [unrolled: 1-line block ×4, first 2 shown]
	s_mov_b32 s0, exec_lo
	s_waitcnt vmcnt(11) lgkmcnt(3)
	v_fma_f32 v187, v134, v3, 0
	s_delay_alu instid0(VALU_DEP_1)
	v_fmac_f32_e32 v187, v135, v4
	ds_load_2addr_b32 v[3:4], v2 offset0:89 offset1:90
	ds_load_2addr_b32 v[134:135], v2 offset0:91 offset1:92
	s_waitcnt lgkmcnt(4)
	v_fmac_f32_e32 v187, v136, v181
	s_waitcnt vmcnt(10)
	s_delay_alu instid0(VALU_DEP_1) | instskip(SKIP_1) | instid1(VALU_DEP_1)
	v_fmac_f32_e32 v187, v137, v182
	s_waitcnt lgkmcnt(3)
	v_fmac_f32_e32 v187, v138, v183
	s_delay_alu instid0(VALU_DEP_1)
	v_fmac_f32_e32 v187, v139, v184
	ds_load_2addr_b32 v[136:137], v2 offset0:93 offset1:94
	ds_load_2addr_b32 v[138:139], v2 offset0:95 offset1:96
	s_waitcnt lgkmcnt(4)
	v_fmac_f32_e32 v187, v140, v185
	s_waitcnt vmcnt(9)
	s_delay_alu instid0(VALU_DEP_1) | instskip(SKIP_1) | instid1(VALU_DEP_1)
	v_fmac_f32_e32 v187, v141, v186
	s_waitcnt lgkmcnt(3)
	v_fmac_f32_e32 v187, v142, v3
	s_delay_alu instid0(VALU_DEP_1) | instskip(SKIP_4) | instid1(VALU_DEP_1)
	v_fmac_f32_e32 v187, v143, v4
	ds_load_2addr_b32 v[3:4], v2 offset0:97 offset1:98
	s_waitcnt lgkmcnt(3)
	v_fmac_f32_e32 v187, v144, v134
	s_waitcnt vmcnt(8)
	v_fmac_f32_e32 v187, v145, v135
	ds_load_2addr_b32 v[134:135], v2 offset0:99 offset1:100
	s_waitcnt lgkmcnt(3)
	v_fmac_f32_e32 v187, v146, v136
	s_delay_alu instid0(VALU_DEP_1) | instskip(SKIP_1) | instid1(VALU_DEP_1)
	v_fmac_f32_e32 v187, v147, v137
	s_waitcnt lgkmcnt(2)
	v_fmac_f32_e32 v187, v148, v138
	s_waitcnt vmcnt(7)
	s_delay_alu instid0(VALU_DEP_1) | instskip(SKIP_4) | instid1(VALU_DEP_1)
	v_fmac_f32_e32 v187, v149, v139
	ds_load_2addr_b32 v[136:137], v2 offset0:101 offset1:102
	ds_load_2addr_b32 v[138:139], v2 offset0:103 offset1:104
	s_waitcnt lgkmcnt(3)
	v_fmac_f32_e32 v187, v150, v3
	v_fmac_f32_e32 v187, v151, v4
	ds_load_2addr_b32 v[3:4], v2 offset0:105 offset1:106
	s_waitcnt lgkmcnt(3)
	v_fmac_f32_e32 v187, v152, v134
	s_waitcnt vmcnt(6)
	s_delay_alu instid0(VALU_DEP_1) | instskip(SKIP_3) | instid1(VALU_DEP_1)
	v_fmac_f32_e32 v187, v153, v135
	ds_load_2addr_b32 v[134:135], v2 offset0:107 offset1:108
	s_waitcnt lgkmcnt(3)
	v_fmac_f32_e32 v187, v154, v136
	v_fmac_f32_e32 v187, v155, v137
	s_waitcnt lgkmcnt(2)
	s_delay_alu instid0(VALU_DEP_1) | instskip(SKIP_1) | instid1(VALU_DEP_1)
	v_fmac_f32_e32 v187, v156, v138
	s_waitcnt vmcnt(5)
	v_fmac_f32_e32 v187, v157, v139
	ds_load_2addr_b32 v[136:137], v2 offset0:109 offset1:110
	ds_load_2addr_b32 v[138:139], v2 offset0:111 offset1:112
	s_waitcnt lgkmcnt(3)
	v_fmac_f32_e32 v187, v158, v3
	s_delay_alu instid0(VALU_DEP_1) | instskip(SKIP_4) | instid1(VALU_DEP_1)
	v_fmac_f32_e32 v187, v159, v4
	ds_load_2addr_b32 v[3:4], v2 offset0:113 offset1:114
	s_waitcnt lgkmcnt(3)
	v_fmac_f32_e32 v187, v160, v134
	s_waitcnt vmcnt(4)
	v_fmac_f32_e32 v187, v161, v135
	ds_load_2addr_b32 v[134:135], v2 offset0:115 offset1:116
	s_waitcnt lgkmcnt(3)
	v_fmac_f32_e32 v187, v162, v136
	s_delay_alu instid0(VALU_DEP_1) | instskip(SKIP_1) | instid1(VALU_DEP_1)
	v_fmac_f32_e32 v187, v163, v137
	s_waitcnt lgkmcnt(2)
	v_fmac_f32_e32 v187, v164, v138
	s_waitcnt vmcnt(3)
	s_delay_alu instid0(VALU_DEP_1) | instskip(SKIP_4) | instid1(VALU_DEP_1)
	v_fmac_f32_e32 v187, v165, v139
	ds_load_2addr_b32 v[136:137], v2 offset0:117 offset1:118
	ds_load_2addr_b32 v[138:139], v2 offset0:119 offset1:120
	s_waitcnt lgkmcnt(3)
	v_fmac_f32_e32 v187, v166, v3
	v_fmac_f32_e32 v187, v167, v4
	ds_load_2addr_b32 v[3:4], v2 offset0:121 offset1:122
	s_waitcnt lgkmcnt(3)
	v_fmac_f32_e32 v187, v168, v134
	s_waitcnt vmcnt(2)
	s_delay_alu instid0(VALU_DEP_1) | instskip(SKIP_3) | instid1(VALU_DEP_1)
	v_fmac_f32_e32 v187, v169, v135
	ds_load_2addr_b32 v[134:135], v2 offset0:123 offset1:124
	s_waitcnt lgkmcnt(3)
	v_fmac_f32_e32 v187, v170, v136
	v_fmac_f32_e32 v187, v171, v137
	s_waitcnt lgkmcnt(2)
	s_delay_alu instid0(VALU_DEP_1)
	v_fmac_f32_e32 v187, v172, v138
	ds_load_2addr_b32 v[136:137], v2 offset0:125 offset1:126
	ds_load_b32 v138, v2 offset:508
	s_waitcnt vmcnt(1)
	v_fmac_f32_e32 v187, v173, v139
	s_waitcnt lgkmcnt(3)
	s_delay_alu instid0(VALU_DEP_1) | instskip(NEXT) | instid1(VALU_DEP_1)
	v_fmac_f32_e32 v187, v174, v3
	v_fmac_f32_e32 v187, v175, v4
	s_waitcnt lgkmcnt(2)
	s_delay_alu instid0(VALU_DEP_1) | instskip(SKIP_1) | instid1(VALU_DEP_1)
	v_fmac_f32_e32 v187, v176, v134
	s_waitcnt vmcnt(0)
	v_fmac_f32_e32 v187, v177, v135
	s_waitcnt lgkmcnt(1)
	s_delay_alu instid0(VALU_DEP_1) | instskip(NEXT) | instid1(VALU_DEP_1)
	v_fmac_f32_e32 v187, v178, v136
	v_fmac_f32_e32 v187, v179, v137
	s_waitcnt lgkmcnt(0)
	s_delay_alu instid0(VALU_DEP_1) | instskip(NEXT) | instid1(VALU_DEP_1)
	v_fmac_f32_e32 v187, v180, v138
	v_sub_f32_e32 v3, v133, v187
	scratch_store_b32 off, v3, off offset:64
	v_cmpx_lt_u32_e32 15, v0
	s_cbranch_execz .LBB127_361
; %bb.360:
	scratch_load_b32 v3, off, off offset:60
	scratch_store_b32 off, v2, off offset:60
	s_waitcnt vmcnt(0)
	ds_store_b32 v1, v3
.LBB127_361:
	s_or_b32 exec_lo, exec_lo, s0
	s_waitcnt lgkmcnt(0)
	s_waitcnt_vscnt null, 0x0
	s_barrier
	buffer_gl0_inv
	s_clause 0xc
	scratch_load_b128 v[133:136], off, off offset:60
	scratch_load_b128 v[137:140], off, off offset:76
	;; [unrolled: 1-line block ×12, first 2 shown]
	scratch_load_b32 v3, off, off offset:252
	ds_load_b128 v[181:184], v2 offset:320
	ds_load_b128 v[185:188], v2 offset:336
	s_mov_b32 s0, exec_lo
	s_waitcnt vmcnt(12) lgkmcnt(1)
	v_fma_f32 v4, v134, v181, 0
	s_delay_alu instid0(VALU_DEP_1) | instskip(NEXT) | instid1(VALU_DEP_1)
	v_fmac_f32_e32 v4, v135, v182
	v_fmac_f32_e32 v4, v136, v183
	s_waitcnt vmcnt(11)
	s_delay_alu instid0(VALU_DEP_1) | instskip(SKIP_3) | instid1(VALU_DEP_1)
	v_fmac_f32_e32 v4, v137, v184
	ds_load_b128 v[134:137], v2 offset:352
	s_waitcnt lgkmcnt(1)
	v_fmac_f32_e32 v4, v138, v185
	v_fmac_f32_e32 v4, v139, v186
	s_delay_alu instid0(VALU_DEP_1) | instskip(SKIP_1) | instid1(VALU_DEP_1)
	v_fmac_f32_e32 v4, v140, v187
	s_waitcnt vmcnt(10)
	v_fmac_f32_e32 v4, v141, v188
	ds_load_b128 v[138:141], v2 offset:368
	s_waitcnt lgkmcnt(1)
	v_fmac_f32_e32 v4, v142, v134
	s_delay_alu instid0(VALU_DEP_1) | instskip(NEXT) | instid1(VALU_DEP_1)
	v_fmac_f32_e32 v4, v143, v135
	v_fmac_f32_e32 v4, v144, v136
	s_waitcnt vmcnt(9)
	s_delay_alu instid0(VALU_DEP_1) | instskip(SKIP_3) | instid1(VALU_DEP_1)
	v_fmac_f32_e32 v4, v145, v137
	ds_load_b128 v[134:137], v2 offset:384
	s_waitcnt lgkmcnt(1)
	v_fmac_f32_e32 v4, v146, v138
	v_fmac_f32_e32 v4, v147, v139
	s_delay_alu instid0(VALU_DEP_1) | instskip(SKIP_1) | instid1(VALU_DEP_1)
	v_fmac_f32_e32 v4, v148, v140
	s_waitcnt vmcnt(8)
	v_fmac_f32_e32 v4, v149, v141
	ds_load_b128 v[138:141], v2 offset:400
	s_waitcnt lgkmcnt(1)
	v_fmac_f32_e32 v4, v150, v134
	;; [unrolled: 17-line block ×5, first 2 shown]
	s_delay_alu instid0(VALU_DEP_1) | instskip(NEXT) | instid1(VALU_DEP_1)
	v_fmac_f32_e32 v4, v175, v135
	v_fmac_f32_e32 v4, v176, v136
	s_waitcnt vmcnt(1)
	s_delay_alu instid0(VALU_DEP_1) | instskip(SKIP_1) | instid1(VALU_DEP_1)
	v_fmac_f32_e32 v4, v177, v137
	s_waitcnt lgkmcnt(0)
	v_fmac_f32_e32 v4, v178, v138
	s_delay_alu instid0(VALU_DEP_1) | instskip(NEXT) | instid1(VALU_DEP_1)
	v_fmac_f32_e32 v4, v179, v139
	v_fmac_f32_e32 v4, v180, v140
	s_waitcnt vmcnt(0)
	s_delay_alu instid0(VALU_DEP_1) | instskip(NEXT) | instid1(VALU_DEP_1)
	v_fmac_f32_e32 v4, v3, v141
	v_sub_f32_e32 v2, v133, v4
	scratch_store_b32 off, v2, off offset:60
	v_cmpx_lt_u32_e32 14, v0
	s_cbranch_execz .LBB127_363
; %bb.362:
	scratch_load_b32 v2, off, off offset:56
	v_mov_b32_e32 v3, 0
	scratch_store_b32 off, v3, off offset:56
	s_waitcnt vmcnt(0)
	ds_store_b32 v1, v2
.LBB127_363:
	s_or_b32 exec_lo, exec_lo, s0
	s_waitcnt lgkmcnt(0)
	s_waitcnt_vscnt null, 0x0
	s_barrier
	buffer_gl0_inv
	s_clause 0xc
	scratch_load_b128 v[133:136], off, off offset:56
	scratch_load_b128 v[137:140], off, off offset:72
	;; [unrolled: 1-line block ×12, first 2 shown]
	scratch_load_b64 v[3:4], off, off offset:248
	v_mov_b32_e32 v2, 0
	ds_load_2addr_b32 v[181:182], v2 offset0:79 offset1:80
	ds_load_2addr_b32 v[183:184], v2 offset0:81 offset1:82
	;; [unrolled: 1-line block ×4, first 2 shown]
	s_mov_b32 s0, exec_lo
	s_waitcnt vmcnt(12) lgkmcnt(3)
	v_fma_f32 v181, v134, v181, 0
	s_delay_alu instid0(VALU_DEP_1) | instskip(SKIP_4) | instid1(VALU_DEP_1)
	v_fmac_f32_e32 v181, v135, v182
	ds_load_2addr_b32 v[134:135], v2 offset0:87 offset1:88
	s_waitcnt lgkmcnt(3)
	v_fmac_f32_e32 v181, v136, v183
	s_waitcnt vmcnt(11)
	v_fmac_f32_e32 v181, v137, v184
	ds_load_2addr_b32 v[136:137], v2 offset0:89 offset1:90
	s_waitcnt lgkmcnt(3)
	v_fmac_f32_e32 v181, v138, v185
	s_delay_alu instid0(VALU_DEP_1) | instskip(SKIP_1) | instid1(VALU_DEP_1)
	v_fmac_f32_e32 v181, v139, v186
	s_waitcnt lgkmcnt(2)
	v_fmac_f32_e32 v181, v140, v187
	s_waitcnt vmcnt(10)
	s_delay_alu instid0(VALU_DEP_1) | instskip(SKIP_4) | instid1(VALU_DEP_1)
	v_fmac_f32_e32 v181, v141, v188
	ds_load_2addr_b32 v[138:139], v2 offset0:91 offset1:92
	ds_load_2addr_b32 v[140:141], v2 offset0:93 offset1:94
	s_waitcnt lgkmcnt(3)
	v_fmac_f32_e32 v181, v142, v134
	v_fmac_f32_e32 v181, v143, v135
	ds_load_2addr_b32 v[134:135], v2 offset0:95 offset1:96
	s_waitcnt lgkmcnt(3)
	v_fmac_f32_e32 v181, v144, v136
	s_waitcnt vmcnt(9)
	s_delay_alu instid0(VALU_DEP_1) | instskip(SKIP_3) | instid1(VALU_DEP_1)
	v_fmac_f32_e32 v181, v145, v137
	ds_load_2addr_b32 v[136:137], v2 offset0:97 offset1:98
	s_waitcnt lgkmcnt(3)
	v_fmac_f32_e32 v181, v146, v138
	v_fmac_f32_e32 v181, v147, v139
	s_waitcnt lgkmcnt(2)
	s_delay_alu instid0(VALU_DEP_1) | instskip(SKIP_1) | instid1(VALU_DEP_1)
	v_fmac_f32_e32 v181, v148, v140
	s_waitcnt vmcnt(8)
	v_fmac_f32_e32 v181, v149, v141
	ds_load_2addr_b32 v[138:139], v2 offset0:99 offset1:100
	ds_load_2addr_b32 v[140:141], v2 offset0:101 offset1:102
	s_waitcnt lgkmcnt(3)
	v_fmac_f32_e32 v181, v150, v134
	s_delay_alu instid0(VALU_DEP_1) | instskip(SKIP_4) | instid1(VALU_DEP_1)
	v_fmac_f32_e32 v181, v151, v135
	ds_load_2addr_b32 v[134:135], v2 offset0:103 offset1:104
	s_waitcnt lgkmcnt(3)
	v_fmac_f32_e32 v181, v152, v136
	s_waitcnt vmcnt(7)
	v_fmac_f32_e32 v181, v153, v137
	ds_load_2addr_b32 v[136:137], v2 offset0:105 offset1:106
	s_waitcnt lgkmcnt(3)
	v_fmac_f32_e32 v181, v154, v138
	s_delay_alu instid0(VALU_DEP_1) | instskip(SKIP_1) | instid1(VALU_DEP_1)
	v_fmac_f32_e32 v181, v155, v139
	s_waitcnt lgkmcnt(2)
	v_fmac_f32_e32 v181, v156, v140
	s_waitcnt vmcnt(6)
	s_delay_alu instid0(VALU_DEP_1) | instskip(SKIP_4) | instid1(VALU_DEP_1)
	v_fmac_f32_e32 v181, v157, v141
	ds_load_2addr_b32 v[138:139], v2 offset0:107 offset1:108
	ds_load_2addr_b32 v[140:141], v2 offset0:109 offset1:110
	s_waitcnt lgkmcnt(3)
	v_fmac_f32_e32 v181, v158, v134
	v_fmac_f32_e32 v181, v159, v135
	ds_load_2addr_b32 v[134:135], v2 offset0:111 offset1:112
	s_waitcnt lgkmcnt(3)
	v_fmac_f32_e32 v181, v160, v136
	s_waitcnt vmcnt(5)
	s_delay_alu instid0(VALU_DEP_1) | instskip(SKIP_3) | instid1(VALU_DEP_1)
	v_fmac_f32_e32 v181, v161, v137
	ds_load_2addr_b32 v[136:137], v2 offset0:113 offset1:114
	s_waitcnt lgkmcnt(3)
	v_fmac_f32_e32 v181, v162, v138
	v_fmac_f32_e32 v181, v163, v139
	s_waitcnt lgkmcnt(2)
	s_delay_alu instid0(VALU_DEP_1) | instskip(SKIP_1) | instid1(VALU_DEP_1)
	v_fmac_f32_e32 v181, v164, v140
	s_waitcnt vmcnt(4)
	v_fmac_f32_e32 v181, v165, v141
	ds_load_2addr_b32 v[138:139], v2 offset0:115 offset1:116
	ds_load_2addr_b32 v[140:141], v2 offset0:117 offset1:118
	s_waitcnt lgkmcnt(3)
	v_fmac_f32_e32 v181, v166, v134
	s_delay_alu instid0(VALU_DEP_1) | instskip(SKIP_4) | instid1(VALU_DEP_1)
	v_fmac_f32_e32 v181, v167, v135
	ds_load_2addr_b32 v[134:135], v2 offset0:119 offset1:120
	s_waitcnt lgkmcnt(3)
	v_fmac_f32_e32 v181, v168, v136
	s_waitcnt vmcnt(3)
	v_fmac_f32_e32 v181, v169, v137
	ds_load_2addr_b32 v[136:137], v2 offset0:121 offset1:122
	s_waitcnt lgkmcnt(3)
	v_fmac_f32_e32 v181, v170, v138
	s_delay_alu instid0(VALU_DEP_1) | instskip(SKIP_1) | instid1(VALU_DEP_1)
	v_fmac_f32_e32 v181, v171, v139
	s_waitcnt lgkmcnt(2)
	v_fmac_f32_e32 v181, v172, v140
	s_waitcnt vmcnt(2)
	s_delay_alu instid0(VALU_DEP_1)
	v_fmac_f32_e32 v181, v173, v141
	ds_load_2addr_b32 v[138:139], v2 offset0:123 offset1:124
	ds_load_2addr_b32 v[140:141], v2 offset0:125 offset1:126
	s_waitcnt lgkmcnt(3)
	v_fmac_f32_e32 v181, v174, v134
	ds_load_b32 v134, v2 offset:508
	v_fmac_f32_e32 v181, v175, v135
	s_waitcnt lgkmcnt(3)
	s_delay_alu instid0(VALU_DEP_1) | instskip(SKIP_1) | instid1(VALU_DEP_1)
	v_fmac_f32_e32 v181, v176, v136
	s_waitcnt vmcnt(1)
	v_fmac_f32_e32 v181, v177, v137
	s_waitcnt lgkmcnt(2)
	s_delay_alu instid0(VALU_DEP_1) | instskip(NEXT) | instid1(VALU_DEP_1)
	v_fmac_f32_e32 v181, v178, v138
	v_fmac_f32_e32 v181, v179, v139
	s_waitcnt lgkmcnt(1)
	s_delay_alu instid0(VALU_DEP_1) | instskip(SKIP_1) | instid1(VALU_DEP_1)
	v_fmac_f32_e32 v181, v180, v140
	s_waitcnt vmcnt(0)
	v_fmac_f32_e32 v181, v3, v141
	s_waitcnt lgkmcnt(0)
	s_delay_alu instid0(VALU_DEP_1) | instskip(NEXT) | instid1(VALU_DEP_1)
	v_fmac_f32_e32 v181, v4, v134
	v_sub_f32_e32 v3, v133, v181
	scratch_store_b32 off, v3, off offset:56
	v_cmpx_lt_u32_e32 13, v0
	s_cbranch_execz .LBB127_365
; %bb.364:
	scratch_load_b32 v3, off, off offset:52
	scratch_store_b32 off, v2, off offset:52
	s_waitcnt vmcnt(0)
	ds_store_b32 v1, v3
.LBB127_365:
	s_or_b32 exec_lo, exec_lo, s0
	s_waitcnt lgkmcnt(0)
	s_waitcnt_vscnt null, 0x0
	s_barrier
	buffer_gl0_inv
	s_clause 0xc
	scratch_load_b128 v[133:136], off, off offset:52
	scratch_load_b128 v[137:140], off, off offset:68
	;; [unrolled: 1-line block ×12, first 2 shown]
	scratch_load_b96 v[189:191], off, off offset:244
	ds_load_2addr_b64 v[181:184], v2 offset0:39 offset1:40
	ds_load_2addr_b64 v[185:188], v2 offset0:41 offset1:42
	s_mov_b32 s0, exec_lo
	s_waitcnt vmcnt(12) lgkmcnt(1)
	v_fma_f32 v4, v134, v181, 0
	s_delay_alu instid0(VALU_DEP_1) | instskip(NEXT) | instid1(VALU_DEP_1)
	v_fmac_f32_e32 v4, v135, v182
	v_fmac_f32_e32 v4, v136, v183
	s_waitcnt vmcnt(11)
	s_delay_alu instid0(VALU_DEP_1) | instskip(SKIP_3) | instid1(VALU_DEP_1)
	v_fmac_f32_e32 v4, v137, v184
	ds_load_2addr_b64 v[134:137], v2 offset0:43 offset1:44
	s_waitcnt lgkmcnt(1)
	v_fmac_f32_e32 v4, v138, v185
	v_fmac_f32_e32 v4, v139, v186
	s_delay_alu instid0(VALU_DEP_1) | instskip(SKIP_1) | instid1(VALU_DEP_1)
	v_fmac_f32_e32 v4, v140, v187
	s_waitcnt vmcnt(10)
	v_fmac_f32_e32 v4, v141, v188
	ds_load_2addr_b64 v[138:141], v2 offset0:45 offset1:46
	s_waitcnt lgkmcnt(1)
	v_fmac_f32_e32 v4, v142, v134
	s_delay_alu instid0(VALU_DEP_1) | instskip(NEXT) | instid1(VALU_DEP_1)
	v_fmac_f32_e32 v4, v143, v135
	v_fmac_f32_e32 v4, v144, v136
	s_waitcnt vmcnt(9)
	s_delay_alu instid0(VALU_DEP_1) | instskip(SKIP_3) | instid1(VALU_DEP_1)
	v_fmac_f32_e32 v4, v145, v137
	ds_load_2addr_b64 v[134:137], v2 offset0:47 offset1:48
	s_waitcnt lgkmcnt(1)
	v_fmac_f32_e32 v4, v146, v138
	v_fmac_f32_e32 v4, v147, v139
	s_delay_alu instid0(VALU_DEP_1) | instskip(SKIP_1) | instid1(VALU_DEP_1)
	v_fmac_f32_e32 v4, v148, v140
	s_waitcnt vmcnt(8)
	v_fmac_f32_e32 v4, v149, v141
	ds_load_2addr_b64 v[138:141], v2 offset0:49 offset1:50
	s_waitcnt lgkmcnt(1)
	v_fmac_f32_e32 v4, v150, v134
	;; [unrolled: 17-line block ×4, first 2 shown]
	s_delay_alu instid0(VALU_DEP_1) | instskip(NEXT) | instid1(VALU_DEP_1)
	v_fmac_f32_e32 v4, v167, v135
	v_fmac_f32_e32 v4, v168, v136
	s_waitcnt vmcnt(3)
	s_delay_alu instid0(VALU_DEP_1) | instskip(SKIP_3) | instid1(VALU_DEP_1)
	v_fmac_f32_e32 v4, v169, v137
	ds_load_2addr_b64 v[134:137], v2 offset0:59 offset1:60
	s_waitcnt lgkmcnt(1)
	v_fmac_f32_e32 v4, v170, v138
	v_fmac_f32_e32 v4, v171, v139
	s_delay_alu instid0(VALU_DEP_1) | instskip(SKIP_1) | instid1(VALU_DEP_1)
	v_fmac_f32_e32 v4, v172, v140
	s_waitcnt vmcnt(2)
	v_fmac_f32_e32 v4, v173, v141
	ds_load_2addr_b64 v[138:141], v2 offset0:61 offset1:62
	ds_load_b64 v[2:3], v2 offset:504
	s_waitcnt lgkmcnt(2)
	v_fmac_f32_e32 v4, v174, v134
	s_delay_alu instid0(VALU_DEP_1) | instskip(NEXT) | instid1(VALU_DEP_1)
	v_fmac_f32_e32 v4, v175, v135
	v_fmac_f32_e32 v4, v176, v136
	s_waitcnt vmcnt(1)
	s_delay_alu instid0(VALU_DEP_1) | instskip(SKIP_1) | instid1(VALU_DEP_1)
	v_fmac_f32_e32 v4, v177, v137
	s_waitcnt lgkmcnt(1)
	v_fmac_f32_e32 v4, v178, v138
	s_delay_alu instid0(VALU_DEP_1) | instskip(NEXT) | instid1(VALU_DEP_1)
	v_fmac_f32_e32 v4, v179, v139
	v_fmac_f32_e32 v4, v180, v140
	s_waitcnt vmcnt(0)
	s_delay_alu instid0(VALU_DEP_1) | instskip(SKIP_1) | instid1(VALU_DEP_1)
	v_fmac_f32_e32 v4, v189, v141
	s_waitcnt lgkmcnt(0)
	v_fmac_f32_e32 v4, v190, v2
	s_delay_alu instid0(VALU_DEP_1) | instskip(NEXT) | instid1(VALU_DEP_1)
	v_fmac_f32_e32 v4, v191, v3
	v_sub_f32_e32 v2, v133, v4
	scratch_store_b32 off, v2, off offset:52
	v_cmpx_lt_u32_e32 12, v0
	s_cbranch_execz .LBB127_367
; %bb.366:
	scratch_load_b32 v2, off, off offset:48
	v_mov_b32_e32 v3, 0
	scratch_store_b32 off, v3, off offset:48
	s_waitcnt vmcnt(0)
	ds_store_b32 v1, v2
.LBB127_367:
	s_or_b32 exec_lo, exec_lo, s0
	s_waitcnt lgkmcnt(0)
	s_waitcnt_vscnt null, 0x0
	s_barrier
	buffer_gl0_inv
	s_clause 0xc
	scratch_load_b128 v[133:136], off, off offset:48
	scratch_load_b128 v[137:140], off, off offset:64
	;; [unrolled: 1-line block ×13, first 2 shown]
	v_mov_b32_e32 v2, 0
	ds_load_2addr_b32 v[3:4], v2 offset0:77 offset1:78
	ds_load_2addr_b32 v[185:186], v2 offset0:79 offset1:80
	;; [unrolled: 1-line block ×4, first 2 shown]
	s_mov_b32 s0, exec_lo
	s_waitcnt vmcnt(12) lgkmcnt(3)
	v_fma_f32 v191, v134, v3, 0
	s_delay_alu instid0(VALU_DEP_1)
	v_fmac_f32_e32 v191, v135, v4
	ds_load_2addr_b32 v[3:4], v2 offset0:85 offset1:86
	ds_load_2addr_b32 v[134:135], v2 offset0:87 offset1:88
	s_waitcnt lgkmcnt(4)
	v_fmac_f32_e32 v191, v136, v185
	s_waitcnt vmcnt(11)
	s_delay_alu instid0(VALU_DEP_1) | instskip(SKIP_1) | instid1(VALU_DEP_1)
	v_fmac_f32_e32 v191, v137, v186
	s_waitcnt lgkmcnt(3)
	v_fmac_f32_e32 v191, v138, v187
	s_delay_alu instid0(VALU_DEP_1)
	v_fmac_f32_e32 v191, v139, v188
	ds_load_2addr_b32 v[136:137], v2 offset0:89 offset1:90
	ds_load_2addr_b32 v[138:139], v2 offset0:91 offset1:92
	s_waitcnt lgkmcnt(4)
	v_fmac_f32_e32 v191, v140, v189
	s_waitcnt vmcnt(10)
	s_delay_alu instid0(VALU_DEP_1) | instskip(SKIP_1) | instid1(VALU_DEP_1)
	v_fmac_f32_e32 v191, v141, v190
	s_waitcnt lgkmcnt(3)
	v_fmac_f32_e32 v191, v142, v3
	s_delay_alu instid0(VALU_DEP_1) | instskip(SKIP_4) | instid1(VALU_DEP_1)
	v_fmac_f32_e32 v191, v143, v4
	ds_load_2addr_b32 v[3:4], v2 offset0:93 offset1:94
	s_waitcnt lgkmcnt(3)
	v_fmac_f32_e32 v191, v144, v134
	s_waitcnt vmcnt(9)
	v_fmac_f32_e32 v191, v145, v135
	ds_load_2addr_b32 v[134:135], v2 offset0:95 offset1:96
	s_waitcnt lgkmcnt(3)
	v_fmac_f32_e32 v191, v146, v136
	s_delay_alu instid0(VALU_DEP_1) | instskip(SKIP_1) | instid1(VALU_DEP_1)
	v_fmac_f32_e32 v191, v147, v137
	s_waitcnt lgkmcnt(2)
	v_fmac_f32_e32 v191, v148, v138
	s_waitcnt vmcnt(8)
	s_delay_alu instid0(VALU_DEP_1) | instskip(SKIP_4) | instid1(VALU_DEP_1)
	v_fmac_f32_e32 v191, v149, v139
	ds_load_2addr_b32 v[136:137], v2 offset0:97 offset1:98
	ds_load_2addr_b32 v[138:139], v2 offset0:99 offset1:100
	s_waitcnt lgkmcnt(3)
	v_fmac_f32_e32 v191, v150, v3
	v_fmac_f32_e32 v191, v151, v4
	ds_load_2addr_b32 v[3:4], v2 offset0:101 offset1:102
	s_waitcnt lgkmcnt(3)
	v_fmac_f32_e32 v191, v152, v134
	s_waitcnt vmcnt(7)
	s_delay_alu instid0(VALU_DEP_1) | instskip(SKIP_3) | instid1(VALU_DEP_1)
	v_fmac_f32_e32 v191, v153, v135
	ds_load_2addr_b32 v[134:135], v2 offset0:103 offset1:104
	s_waitcnt lgkmcnt(3)
	v_fmac_f32_e32 v191, v154, v136
	v_fmac_f32_e32 v191, v155, v137
	s_waitcnt lgkmcnt(2)
	s_delay_alu instid0(VALU_DEP_1) | instskip(SKIP_1) | instid1(VALU_DEP_1)
	v_fmac_f32_e32 v191, v156, v138
	s_waitcnt vmcnt(6)
	v_fmac_f32_e32 v191, v157, v139
	ds_load_2addr_b32 v[136:137], v2 offset0:105 offset1:106
	ds_load_2addr_b32 v[138:139], v2 offset0:107 offset1:108
	s_waitcnt lgkmcnt(3)
	v_fmac_f32_e32 v191, v158, v3
	s_delay_alu instid0(VALU_DEP_1) | instskip(SKIP_4) | instid1(VALU_DEP_1)
	v_fmac_f32_e32 v191, v159, v4
	ds_load_2addr_b32 v[3:4], v2 offset0:109 offset1:110
	s_waitcnt lgkmcnt(3)
	v_fmac_f32_e32 v191, v160, v134
	s_waitcnt vmcnt(5)
	v_fmac_f32_e32 v191, v161, v135
	ds_load_2addr_b32 v[134:135], v2 offset0:111 offset1:112
	s_waitcnt lgkmcnt(3)
	v_fmac_f32_e32 v191, v162, v136
	s_delay_alu instid0(VALU_DEP_1) | instskip(SKIP_1) | instid1(VALU_DEP_1)
	v_fmac_f32_e32 v191, v163, v137
	s_waitcnt lgkmcnt(2)
	v_fmac_f32_e32 v191, v164, v138
	s_waitcnt vmcnt(4)
	s_delay_alu instid0(VALU_DEP_1) | instskip(SKIP_4) | instid1(VALU_DEP_1)
	v_fmac_f32_e32 v191, v165, v139
	ds_load_2addr_b32 v[136:137], v2 offset0:113 offset1:114
	ds_load_2addr_b32 v[138:139], v2 offset0:115 offset1:116
	s_waitcnt lgkmcnt(3)
	v_fmac_f32_e32 v191, v166, v3
	v_fmac_f32_e32 v191, v167, v4
	ds_load_2addr_b32 v[3:4], v2 offset0:117 offset1:118
	s_waitcnt lgkmcnt(3)
	v_fmac_f32_e32 v191, v168, v134
	s_waitcnt vmcnt(3)
	s_delay_alu instid0(VALU_DEP_1) | instskip(SKIP_3) | instid1(VALU_DEP_1)
	v_fmac_f32_e32 v191, v169, v135
	ds_load_2addr_b32 v[134:135], v2 offset0:119 offset1:120
	s_waitcnt lgkmcnt(3)
	v_fmac_f32_e32 v191, v170, v136
	v_fmac_f32_e32 v191, v171, v137
	s_waitcnt lgkmcnt(2)
	s_delay_alu instid0(VALU_DEP_1) | instskip(SKIP_1) | instid1(VALU_DEP_1)
	v_fmac_f32_e32 v191, v172, v138
	s_waitcnt vmcnt(2)
	v_fmac_f32_e32 v191, v173, v139
	ds_load_2addr_b32 v[136:137], v2 offset0:121 offset1:122
	ds_load_2addr_b32 v[138:139], v2 offset0:123 offset1:124
	s_waitcnt lgkmcnt(3)
	v_fmac_f32_e32 v191, v174, v3
	s_delay_alu instid0(VALU_DEP_1)
	v_fmac_f32_e32 v191, v175, v4
	ds_load_2addr_b32 v[3:4], v2 offset0:125 offset1:126
	s_waitcnt lgkmcnt(3)
	v_fmac_f32_e32 v191, v176, v134
	ds_load_b32 v134, v2 offset:508
	s_waitcnt vmcnt(1)
	v_fmac_f32_e32 v191, v177, v135
	s_waitcnt lgkmcnt(3)
	s_delay_alu instid0(VALU_DEP_1) | instskip(NEXT) | instid1(VALU_DEP_1)
	v_fmac_f32_e32 v191, v178, v136
	v_fmac_f32_e32 v191, v179, v137
	s_waitcnt lgkmcnt(2)
	s_delay_alu instid0(VALU_DEP_1) | instskip(SKIP_1) | instid1(VALU_DEP_1)
	v_fmac_f32_e32 v191, v180, v138
	s_waitcnt vmcnt(0)
	v_fmac_f32_e32 v191, v181, v139
	s_waitcnt lgkmcnt(1)
	s_delay_alu instid0(VALU_DEP_1) | instskip(NEXT) | instid1(VALU_DEP_1)
	v_fmac_f32_e32 v191, v182, v3
	v_fmac_f32_e32 v191, v183, v4
	s_waitcnt lgkmcnt(0)
	s_delay_alu instid0(VALU_DEP_1) | instskip(NEXT) | instid1(VALU_DEP_1)
	v_fmac_f32_e32 v191, v184, v134
	v_sub_f32_e32 v3, v133, v191
	scratch_store_b32 off, v3, off offset:48
	v_cmpx_lt_u32_e32 11, v0
	s_cbranch_execz .LBB127_369
; %bb.368:
	scratch_load_b32 v3, off, off offset:44
	scratch_store_b32 off, v2, off offset:44
	s_waitcnt vmcnt(0)
	ds_store_b32 v1, v3
.LBB127_369:
	s_or_b32 exec_lo, exec_lo, s0
	s_waitcnt lgkmcnt(0)
	s_waitcnt_vscnt null, 0x0
	s_barrier
	buffer_gl0_inv
	s_clause 0xd
	scratch_load_b128 v[133:136], off, off offset:44
	scratch_load_b128 v[137:140], off, off offset:60
	;; [unrolled: 1-line block ×13, first 2 shown]
	scratch_load_b32 v3, off, off offset:252
	ds_load_b128 v[185:188], v2 offset:304
	ds_load_b128 v[189:192], v2 offset:320
	s_mov_b32 s0, exec_lo
	s_waitcnt vmcnt(13) lgkmcnt(1)
	v_fma_f32 v4, v134, v185, 0
	s_delay_alu instid0(VALU_DEP_1) | instskip(NEXT) | instid1(VALU_DEP_1)
	v_fmac_f32_e32 v4, v135, v186
	v_fmac_f32_e32 v4, v136, v187
	s_waitcnt vmcnt(12)
	s_delay_alu instid0(VALU_DEP_1) | instskip(SKIP_3) | instid1(VALU_DEP_1)
	v_fmac_f32_e32 v4, v137, v188
	ds_load_b128 v[134:137], v2 offset:336
	s_waitcnt lgkmcnt(1)
	v_fmac_f32_e32 v4, v138, v189
	v_fmac_f32_e32 v4, v139, v190
	s_delay_alu instid0(VALU_DEP_1) | instskip(SKIP_1) | instid1(VALU_DEP_1)
	v_fmac_f32_e32 v4, v140, v191
	s_waitcnt vmcnt(11)
	v_fmac_f32_e32 v4, v141, v192
	ds_load_b128 v[138:141], v2 offset:352
	s_waitcnt lgkmcnt(1)
	v_fmac_f32_e32 v4, v142, v134
	s_delay_alu instid0(VALU_DEP_1) | instskip(NEXT) | instid1(VALU_DEP_1)
	v_fmac_f32_e32 v4, v143, v135
	v_fmac_f32_e32 v4, v144, v136
	s_waitcnt vmcnt(10)
	s_delay_alu instid0(VALU_DEP_1) | instskip(SKIP_3) | instid1(VALU_DEP_1)
	v_fmac_f32_e32 v4, v145, v137
	ds_load_b128 v[134:137], v2 offset:368
	s_waitcnt lgkmcnt(1)
	v_fmac_f32_e32 v4, v146, v138
	v_fmac_f32_e32 v4, v147, v139
	s_delay_alu instid0(VALU_DEP_1) | instskip(SKIP_1) | instid1(VALU_DEP_1)
	v_fmac_f32_e32 v4, v148, v140
	s_waitcnt vmcnt(9)
	v_fmac_f32_e32 v4, v149, v141
	ds_load_b128 v[138:141], v2 offset:384
	s_waitcnt lgkmcnt(1)
	v_fmac_f32_e32 v4, v150, v134
	;; [unrolled: 17-line block ×5, first 2 shown]
	s_delay_alu instid0(VALU_DEP_1) | instskip(NEXT) | instid1(VALU_DEP_1)
	v_fmac_f32_e32 v4, v175, v135
	v_fmac_f32_e32 v4, v176, v136
	s_waitcnt vmcnt(2)
	s_delay_alu instid0(VALU_DEP_1) | instskip(SKIP_3) | instid1(VALU_DEP_1)
	v_fmac_f32_e32 v4, v177, v137
	ds_load_b128 v[134:137], v2 offset:496
	s_waitcnt lgkmcnt(1)
	v_fmac_f32_e32 v4, v178, v138
	v_fmac_f32_e32 v4, v179, v139
	s_delay_alu instid0(VALU_DEP_1) | instskip(SKIP_1) | instid1(VALU_DEP_1)
	v_fmac_f32_e32 v4, v180, v140
	s_waitcnt vmcnt(1)
	v_fmac_f32_e32 v4, v181, v141
	s_waitcnt lgkmcnt(0)
	s_delay_alu instid0(VALU_DEP_1) | instskip(NEXT) | instid1(VALU_DEP_1)
	v_fmac_f32_e32 v4, v182, v134
	v_fmac_f32_e32 v4, v183, v135
	s_delay_alu instid0(VALU_DEP_1) | instskip(SKIP_1) | instid1(VALU_DEP_1)
	v_fmac_f32_e32 v4, v184, v136
	s_waitcnt vmcnt(0)
	v_fmac_f32_e32 v4, v3, v137
	s_delay_alu instid0(VALU_DEP_1)
	v_sub_f32_e32 v2, v133, v4
	scratch_store_b32 off, v2, off offset:44
	v_cmpx_lt_u32_e32 10, v0
	s_cbranch_execz .LBB127_371
; %bb.370:
	scratch_load_b32 v2, off, off offset:40
	v_mov_b32_e32 v3, 0
	scratch_store_b32 off, v3, off offset:40
	s_waitcnt vmcnt(0)
	ds_store_b32 v1, v2
.LBB127_371:
	s_or_b32 exec_lo, exec_lo, s0
	s_waitcnt lgkmcnt(0)
	s_waitcnt_vscnt null, 0x0
	s_barrier
	buffer_gl0_inv
	s_clause 0xd
	scratch_load_b128 v[133:136], off, off offset:40
	scratch_load_b128 v[137:140], off, off offset:56
	;; [unrolled: 1-line block ×13, first 2 shown]
	scratch_load_b64 v[3:4], off, off offset:248
	v_mov_b32_e32 v2, 0
	ds_load_2addr_b32 v[185:186], v2 offset0:75 offset1:76
	ds_load_2addr_b32 v[187:188], v2 offset0:77 offset1:78
	;; [unrolled: 1-line block ×4, first 2 shown]
	s_mov_b32 s0, exec_lo
	s_waitcnt vmcnt(13) lgkmcnt(3)
	v_fma_f32 v185, v134, v185, 0
	s_delay_alu instid0(VALU_DEP_1) | instskip(SKIP_4) | instid1(VALU_DEP_1)
	v_fmac_f32_e32 v185, v135, v186
	ds_load_2addr_b32 v[134:135], v2 offset0:83 offset1:84
	s_waitcnt lgkmcnt(3)
	v_fmac_f32_e32 v185, v136, v187
	s_waitcnt vmcnt(12)
	v_fmac_f32_e32 v185, v137, v188
	ds_load_2addr_b32 v[136:137], v2 offset0:85 offset1:86
	s_waitcnt lgkmcnt(3)
	v_fmac_f32_e32 v185, v138, v189
	s_delay_alu instid0(VALU_DEP_1) | instskip(SKIP_1) | instid1(VALU_DEP_1)
	v_fmac_f32_e32 v185, v139, v190
	s_waitcnt lgkmcnt(2)
	v_fmac_f32_e32 v185, v140, v191
	s_waitcnt vmcnt(11)
	s_delay_alu instid0(VALU_DEP_1) | instskip(SKIP_4) | instid1(VALU_DEP_1)
	v_fmac_f32_e32 v185, v141, v192
	ds_load_2addr_b32 v[138:139], v2 offset0:87 offset1:88
	ds_load_2addr_b32 v[140:141], v2 offset0:89 offset1:90
	s_waitcnt lgkmcnt(3)
	v_fmac_f32_e32 v185, v142, v134
	v_fmac_f32_e32 v185, v143, v135
	ds_load_2addr_b32 v[134:135], v2 offset0:91 offset1:92
	s_waitcnt lgkmcnt(3)
	v_fmac_f32_e32 v185, v144, v136
	s_waitcnt vmcnt(10)
	s_delay_alu instid0(VALU_DEP_1) | instskip(SKIP_3) | instid1(VALU_DEP_1)
	v_fmac_f32_e32 v185, v145, v137
	ds_load_2addr_b32 v[136:137], v2 offset0:93 offset1:94
	s_waitcnt lgkmcnt(3)
	v_fmac_f32_e32 v185, v146, v138
	v_fmac_f32_e32 v185, v147, v139
	s_waitcnt lgkmcnt(2)
	s_delay_alu instid0(VALU_DEP_1) | instskip(SKIP_1) | instid1(VALU_DEP_1)
	v_fmac_f32_e32 v185, v148, v140
	s_waitcnt vmcnt(9)
	v_fmac_f32_e32 v185, v149, v141
	ds_load_2addr_b32 v[138:139], v2 offset0:95 offset1:96
	ds_load_2addr_b32 v[140:141], v2 offset0:97 offset1:98
	s_waitcnt lgkmcnt(3)
	v_fmac_f32_e32 v185, v150, v134
	s_delay_alu instid0(VALU_DEP_1) | instskip(SKIP_4) | instid1(VALU_DEP_1)
	v_fmac_f32_e32 v185, v151, v135
	ds_load_2addr_b32 v[134:135], v2 offset0:99 offset1:100
	s_waitcnt lgkmcnt(3)
	v_fmac_f32_e32 v185, v152, v136
	s_waitcnt vmcnt(8)
	v_fmac_f32_e32 v185, v153, v137
	ds_load_2addr_b32 v[136:137], v2 offset0:101 offset1:102
	s_waitcnt lgkmcnt(3)
	v_fmac_f32_e32 v185, v154, v138
	s_delay_alu instid0(VALU_DEP_1) | instskip(SKIP_1) | instid1(VALU_DEP_1)
	v_fmac_f32_e32 v185, v155, v139
	s_waitcnt lgkmcnt(2)
	v_fmac_f32_e32 v185, v156, v140
	s_waitcnt vmcnt(7)
	s_delay_alu instid0(VALU_DEP_1) | instskip(SKIP_4) | instid1(VALU_DEP_1)
	v_fmac_f32_e32 v185, v157, v141
	ds_load_2addr_b32 v[138:139], v2 offset0:103 offset1:104
	ds_load_2addr_b32 v[140:141], v2 offset0:105 offset1:106
	s_waitcnt lgkmcnt(3)
	v_fmac_f32_e32 v185, v158, v134
	v_fmac_f32_e32 v185, v159, v135
	ds_load_2addr_b32 v[134:135], v2 offset0:107 offset1:108
	s_waitcnt lgkmcnt(3)
	v_fmac_f32_e32 v185, v160, v136
	s_waitcnt vmcnt(6)
	s_delay_alu instid0(VALU_DEP_1) | instskip(SKIP_3) | instid1(VALU_DEP_1)
	v_fmac_f32_e32 v185, v161, v137
	ds_load_2addr_b32 v[136:137], v2 offset0:109 offset1:110
	s_waitcnt lgkmcnt(3)
	v_fmac_f32_e32 v185, v162, v138
	v_fmac_f32_e32 v185, v163, v139
	s_waitcnt lgkmcnt(2)
	s_delay_alu instid0(VALU_DEP_1) | instskip(SKIP_1) | instid1(VALU_DEP_1)
	v_fmac_f32_e32 v185, v164, v140
	s_waitcnt vmcnt(5)
	v_fmac_f32_e32 v185, v165, v141
	ds_load_2addr_b32 v[138:139], v2 offset0:111 offset1:112
	ds_load_2addr_b32 v[140:141], v2 offset0:113 offset1:114
	s_waitcnt lgkmcnt(3)
	v_fmac_f32_e32 v185, v166, v134
	s_delay_alu instid0(VALU_DEP_1) | instskip(SKIP_4) | instid1(VALU_DEP_1)
	v_fmac_f32_e32 v185, v167, v135
	ds_load_2addr_b32 v[134:135], v2 offset0:115 offset1:116
	s_waitcnt lgkmcnt(3)
	v_fmac_f32_e32 v185, v168, v136
	s_waitcnt vmcnt(4)
	v_fmac_f32_e32 v185, v169, v137
	ds_load_2addr_b32 v[136:137], v2 offset0:117 offset1:118
	s_waitcnt lgkmcnt(3)
	v_fmac_f32_e32 v185, v170, v138
	s_delay_alu instid0(VALU_DEP_1) | instskip(SKIP_1) | instid1(VALU_DEP_1)
	v_fmac_f32_e32 v185, v171, v139
	s_waitcnt lgkmcnt(2)
	v_fmac_f32_e32 v185, v172, v140
	s_waitcnt vmcnt(3)
	s_delay_alu instid0(VALU_DEP_1) | instskip(SKIP_4) | instid1(VALU_DEP_1)
	v_fmac_f32_e32 v185, v173, v141
	ds_load_2addr_b32 v[138:139], v2 offset0:119 offset1:120
	ds_load_2addr_b32 v[140:141], v2 offset0:121 offset1:122
	s_waitcnt lgkmcnt(3)
	v_fmac_f32_e32 v185, v174, v134
	v_fmac_f32_e32 v185, v175, v135
	ds_load_2addr_b32 v[134:135], v2 offset0:123 offset1:124
	s_waitcnt lgkmcnt(3)
	v_fmac_f32_e32 v185, v176, v136
	s_waitcnt vmcnt(2)
	s_delay_alu instid0(VALU_DEP_1)
	v_fmac_f32_e32 v185, v177, v137
	ds_load_2addr_b32 v[136:137], v2 offset0:125 offset1:126
	s_waitcnt lgkmcnt(3)
	v_fmac_f32_e32 v185, v178, v138
	ds_load_b32 v138, v2 offset:508
	v_fmac_f32_e32 v185, v179, v139
	s_waitcnt lgkmcnt(3)
	s_delay_alu instid0(VALU_DEP_1) | instskip(SKIP_1) | instid1(VALU_DEP_1)
	v_fmac_f32_e32 v185, v180, v140
	s_waitcnt vmcnt(1)
	v_fmac_f32_e32 v185, v181, v141
	s_waitcnt lgkmcnt(2)
	s_delay_alu instid0(VALU_DEP_1) | instskip(NEXT) | instid1(VALU_DEP_1)
	v_fmac_f32_e32 v185, v182, v134
	v_fmac_f32_e32 v185, v183, v135
	s_waitcnt lgkmcnt(1)
	s_delay_alu instid0(VALU_DEP_1) | instskip(SKIP_1) | instid1(VALU_DEP_1)
	v_fmac_f32_e32 v185, v184, v136
	s_waitcnt vmcnt(0)
	v_fmac_f32_e32 v185, v3, v137
	s_waitcnt lgkmcnt(0)
	s_delay_alu instid0(VALU_DEP_1) | instskip(NEXT) | instid1(VALU_DEP_1)
	v_fmac_f32_e32 v185, v4, v138
	v_sub_f32_e32 v3, v133, v185
	scratch_store_b32 off, v3, off offset:40
	v_cmpx_lt_u32_e32 9, v0
	s_cbranch_execz .LBB127_373
; %bb.372:
	scratch_load_b32 v3, off, off offset:36
	scratch_store_b32 off, v2, off offset:36
	s_waitcnt vmcnt(0)
	ds_store_b32 v1, v3
.LBB127_373:
	s_or_b32 exec_lo, exec_lo, s0
	s_waitcnt lgkmcnt(0)
	s_waitcnt_vscnt null, 0x0
	s_barrier
	buffer_gl0_inv
	s_clause 0xd
	scratch_load_b128 v[133:136], off, off offset:36
	scratch_load_b128 v[137:140], off, off offset:52
	;; [unrolled: 1-line block ×13, first 2 shown]
	scratch_load_b96 v[193:195], off, off offset:244
	ds_load_2addr_b64 v[185:188], v2 offset0:37 offset1:38
	ds_load_2addr_b64 v[189:192], v2 offset0:39 offset1:40
	s_mov_b32 s0, exec_lo
	s_waitcnt vmcnt(13) lgkmcnt(1)
	v_fma_f32 v4, v134, v185, 0
	s_delay_alu instid0(VALU_DEP_1) | instskip(NEXT) | instid1(VALU_DEP_1)
	v_fmac_f32_e32 v4, v135, v186
	v_fmac_f32_e32 v4, v136, v187
	s_waitcnt vmcnt(12)
	s_delay_alu instid0(VALU_DEP_1) | instskip(SKIP_3) | instid1(VALU_DEP_1)
	v_fmac_f32_e32 v4, v137, v188
	ds_load_2addr_b64 v[134:137], v2 offset0:41 offset1:42
	s_waitcnt lgkmcnt(1)
	v_fmac_f32_e32 v4, v138, v189
	v_fmac_f32_e32 v4, v139, v190
	s_delay_alu instid0(VALU_DEP_1) | instskip(SKIP_1) | instid1(VALU_DEP_1)
	v_fmac_f32_e32 v4, v140, v191
	s_waitcnt vmcnt(11)
	v_fmac_f32_e32 v4, v141, v192
	ds_load_2addr_b64 v[138:141], v2 offset0:43 offset1:44
	s_waitcnt lgkmcnt(1)
	v_fmac_f32_e32 v4, v142, v134
	s_delay_alu instid0(VALU_DEP_1) | instskip(NEXT) | instid1(VALU_DEP_1)
	v_fmac_f32_e32 v4, v143, v135
	v_fmac_f32_e32 v4, v144, v136
	s_waitcnt vmcnt(10)
	s_delay_alu instid0(VALU_DEP_1) | instskip(SKIP_3) | instid1(VALU_DEP_1)
	v_fmac_f32_e32 v4, v145, v137
	ds_load_2addr_b64 v[134:137], v2 offset0:45 offset1:46
	s_waitcnt lgkmcnt(1)
	v_fmac_f32_e32 v4, v146, v138
	v_fmac_f32_e32 v4, v147, v139
	s_delay_alu instid0(VALU_DEP_1) | instskip(SKIP_1) | instid1(VALU_DEP_1)
	v_fmac_f32_e32 v4, v148, v140
	s_waitcnt vmcnt(9)
	v_fmac_f32_e32 v4, v149, v141
	ds_load_2addr_b64 v[138:141], v2 offset0:47 offset1:48
	s_waitcnt lgkmcnt(1)
	v_fmac_f32_e32 v4, v150, v134
	;; [unrolled: 17-line block ×5, first 2 shown]
	s_delay_alu instid0(VALU_DEP_1) | instskip(NEXT) | instid1(VALU_DEP_1)
	v_fmac_f32_e32 v4, v175, v135
	v_fmac_f32_e32 v4, v176, v136
	s_waitcnt vmcnt(2)
	s_delay_alu instid0(VALU_DEP_1) | instskip(SKIP_4) | instid1(VALU_DEP_1)
	v_fmac_f32_e32 v4, v177, v137
	ds_load_2addr_b64 v[134:137], v2 offset0:61 offset1:62
	ds_load_b64 v[2:3], v2 offset:504
	s_waitcnt lgkmcnt(2)
	v_fmac_f32_e32 v4, v178, v138
	v_fmac_f32_e32 v4, v179, v139
	s_delay_alu instid0(VALU_DEP_1) | instskip(SKIP_1) | instid1(VALU_DEP_1)
	v_fmac_f32_e32 v4, v180, v140
	s_waitcnt vmcnt(1)
	v_fmac_f32_e32 v4, v181, v141
	s_waitcnt lgkmcnt(1)
	s_delay_alu instid0(VALU_DEP_1) | instskip(NEXT) | instid1(VALU_DEP_1)
	v_fmac_f32_e32 v4, v182, v134
	v_fmac_f32_e32 v4, v183, v135
	s_delay_alu instid0(VALU_DEP_1) | instskip(SKIP_1) | instid1(VALU_DEP_1)
	v_fmac_f32_e32 v4, v184, v136
	s_waitcnt vmcnt(0)
	v_fmac_f32_e32 v4, v193, v137
	s_waitcnt lgkmcnt(0)
	s_delay_alu instid0(VALU_DEP_1) | instskip(NEXT) | instid1(VALU_DEP_1)
	v_fmac_f32_e32 v4, v194, v2
	v_fmac_f32_e32 v4, v195, v3
	s_delay_alu instid0(VALU_DEP_1)
	v_sub_f32_e32 v2, v133, v4
	scratch_store_b32 off, v2, off offset:36
	v_cmpx_lt_u32_e32 8, v0
	s_cbranch_execz .LBB127_375
; %bb.374:
	scratch_load_b32 v2, off, off offset:32
	v_mov_b32_e32 v3, 0
	scratch_store_b32 off, v3, off offset:32
	s_waitcnt vmcnt(0)
	ds_store_b32 v1, v2
.LBB127_375:
	s_or_b32 exec_lo, exec_lo, s0
	s_waitcnt lgkmcnt(0)
	s_waitcnt_vscnt null, 0x0
	s_barrier
	buffer_gl0_inv
	s_clause 0xd
	scratch_load_b128 v[133:136], off, off offset:32
	scratch_load_b128 v[137:140], off, off offset:48
	;; [unrolled: 1-line block ×14, first 2 shown]
	v_mov_b32_e32 v2, 0
	ds_load_2addr_b32 v[3:4], v2 offset0:73 offset1:74
	ds_load_2addr_b32 v[189:190], v2 offset0:75 offset1:76
	;; [unrolled: 1-line block ×4, first 2 shown]
	s_mov_b32 s0, exec_lo
	s_waitcnt vmcnt(13) lgkmcnt(3)
	v_fma_f32 v195, v134, v3, 0
	s_delay_alu instid0(VALU_DEP_1)
	v_fmac_f32_e32 v195, v135, v4
	ds_load_2addr_b32 v[3:4], v2 offset0:81 offset1:82
	ds_load_2addr_b32 v[134:135], v2 offset0:83 offset1:84
	s_waitcnt lgkmcnt(4)
	v_fmac_f32_e32 v195, v136, v189
	s_waitcnt vmcnt(12)
	s_delay_alu instid0(VALU_DEP_1) | instskip(SKIP_1) | instid1(VALU_DEP_1)
	v_fmac_f32_e32 v195, v137, v190
	s_waitcnt lgkmcnt(3)
	v_fmac_f32_e32 v195, v138, v191
	s_delay_alu instid0(VALU_DEP_1)
	v_fmac_f32_e32 v195, v139, v192
	ds_load_2addr_b32 v[136:137], v2 offset0:85 offset1:86
	ds_load_2addr_b32 v[138:139], v2 offset0:87 offset1:88
	s_waitcnt lgkmcnt(4)
	v_fmac_f32_e32 v195, v140, v193
	s_waitcnt vmcnt(11)
	s_delay_alu instid0(VALU_DEP_1) | instskip(SKIP_1) | instid1(VALU_DEP_1)
	v_fmac_f32_e32 v195, v141, v194
	s_waitcnt lgkmcnt(3)
	v_fmac_f32_e32 v195, v142, v3
	s_delay_alu instid0(VALU_DEP_1) | instskip(SKIP_4) | instid1(VALU_DEP_1)
	v_fmac_f32_e32 v195, v143, v4
	ds_load_2addr_b32 v[3:4], v2 offset0:89 offset1:90
	s_waitcnt lgkmcnt(3)
	v_fmac_f32_e32 v195, v144, v134
	s_waitcnt vmcnt(10)
	v_fmac_f32_e32 v195, v145, v135
	ds_load_2addr_b32 v[134:135], v2 offset0:91 offset1:92
	s_waitcnt lgkmcnt(3)
	v_fmac_f32_e32 v195, v146, v136
	s_delay_alu instid0(VALU_DEP_1) | instskip(SKIP_1) | instid1(VALU_DEP_1)
	v_fmac_f32_e32 v195, v147, v137
	s_waitcnt lgkmcnt(2)
	v_fmac_f32_e32 v195, v148, v138
	s_waitcnt vmcnt(9)
	s_delay_alu instid0(VALU_DEP_1) | instskip(SKIP_4) | instid1(VALU_DEP_1)
	v_fmac_f32_e32 v195, v149, v139
	ds_load_2addr_b32 v[136:137], v2 offset0:93 offset1:94
	ds_load_2addr_b32 v[138:139], v2 offset0:95 offset1:96
	s_waitcnt lgkmcnt(3)
	v_fmac_f32_e32 v195, v150, v3
	v_fmac_f32_e32 v195, v151, v4
	ds_load_2addr_b32 v[3:4], v2 offset0:97 offset1:98
	s_waitcnt lgkmcnt(3)
	v_fmac_f32_e32 v195, v152, v134
	s_waitcnt vmcnt(8)
	s_delay_alu instid0(VALU_DEP_1) | instskip(SKIP_3) | instid1(VALU_DEP_1)
	v_fmac_f32_e32 v195, v153, v135
	ds_load_2addr_b32 v[134:135], v2 offset0:99 offset1:100
	s_waitcnt lgkmcnt(3)
	v_fmac_f32_e32 v195, v154, v136
	v_fmac_f32_e32 v195, v155, v137
	s_waitcnt lgkmcnt(2)
	s_delay_alu instid0(VALU_DEP_1) | instskip(SKIP_1) | instid1(VALU_DEP_1)
	v_fmac_f32_e32 v195, v156, v138
	s_waitcnt vmcnt(7)
	v_fmac_f32_e32 v195, v157, v139
	ds_load_2addr_b32 v[136:137], v2 offset0:101 offset1:102
	ds_load_2addr_b32 v[138:139], v2 offset0:103 offset1:104
	s_waitcnt lgkmcnt(3)
	v_fmac_f32_e32 v195, v158, v3
	s_delay_alu instid0(VALU_DEP_1) | instskip(SKIP_4) | instid1(VALU_DEP_1)
	v_fmac_f32_e32 v195, v159, v4
	ds_load_2addr_b32 v[3:4], v2 offset0:105 offset1:106
	s_waitcnt lgkmcnt(3)
	v_fmac_f32_e32 v195, v160, v134
	s_waitcnt vmcnt(6)
	v_fmac_f32_e32 v195, v161, v135
	ds_load_2addr_b32 v[134:135], v2 offset0:107 offset1:108
	s_waitcnt lgkmcnt(3)
	v_fmac_f32_e32 v195, v162, v136
	s_delay_alu instid0(VALU_DEP_1) | instskip(SKIP_1) | instid1(VALU_DEP_1)
	v_fmac_f32_e32 v195, v163, v137
	s_waitcnt lgkmcnt(2)
	v_fmac_f32_e32 v195, v164, v138
	s_waitcnt vmcnt(5)
	s_delay_alu instid0(VALU_DEP_1) | instskip(SKIP_4) | instid1(VALU_DEP_1)
	v_fmac_f32_e32 v195, v165, v139
	ds_load_2addr_b32 v[136:137], v2 offset0:109 offset1:110
	ds_load_2addr_b32 v[138:139], v2 offset0:111 offset1:112
	s_waitcnt lgkmcnt(3)
	v_fmac_f32_e32 v195, v166, v3
	v_fmac_f32_e32 v195, v167, v4
	ds_load_2addr_b32 v[3:4], v2 offset0:113 offset1:114
	s_waitcnt lgkmcnt(3)
	v_fmac_f32_e32 v195, v168, v134
	s_waitcnt vmcnt(4)
	s_delay_alu instid0(VALU_DEP_1) | instskip(SKIP_3) | instid1(VALU_DEP_1)
	v_fmac_f32_e32 v195, v169, v135
	ds_load_2addr_b32 v[134:135], v2 offset0:115 offset1:116
	s_waitcnt lgkmcnt(3)
	v_fmac_f32_e32 v195, v170, v136
	v_fmac_f32_e32 v195, v171, v137
	s_waitcnt lgkmcnt(2)
	s_delay_alu instid0(VALU_DEP_1) | instskip(SKIP_1) | instid1(VALU_DEP_1)
	v_fmac_f32_e32 v195, v172, v138
	s_waitcnt vmcnt(3)
	v_fmac_f32_e32 v195, v173, v139
	ds_load_2addr_b32 v[136:137], v2 offset0:117 offset1:118
	ds_load_2addr_b32 v[138:139], v2 offset0:119 offset1:120
	s_waitcnt lgkmcnt(3)
	v_fmac_f32_e32 v195, v174, v3
	s_delay_alu instid0(VALU_DEP_1) | instskip(SKIP_4) | instid1(VALU_DEP_1)
	v_fmac_f32_e32 v195, v175, v4
	ds_load_2addr_b32 v[3:4], v2 offset0:121 offset1:122
	s_waitcnt lgkmcnt(3)
	v_fmac_f32_e32 v195, v176, v134
	s_waitcnt vmcnt(2)
	v_fmac_f32_e32 v195, v177, v135
	ds_load_2addr_b32 v[134:135], v2 offset0:123 offset1:124
	s_waitcnt lgkmcnt(3)
	v_fmac_f32_e32 v195, v178, v136
	s_delay_alu instid0(VALU_DEP_1) | instskip(SKIP_1) | instid1(VALU_DEP_1)
	v_fmac_f32_e32 v195, v179, v137
	s_waitcnt lgkmcnt(2)
	v_fmac_f32_e32 v195, v180, v138
	ds_load_2addr_b32 v[136:137], v2 offset0:125 offset1:126
	ds_load_b32 v138, v2 offset:508
	s_waitcnt vmcnt(1)
	v_fmac_f32_e32 v195, v181, v139
	s_waitcnt lgkmcnt(3)
	s_delay_alu instid0(VALU_DEP_1) | instskip(NEXT) | instid1(VALU_DEP_1)
	v_fmac_f32_e32 v195, v182, v3
	v_fmac_f32_e32 v195, v183, v4
	s_waitcnt lgkmcnt(2)
	s_delay_alu instid0(VALU_DEP_1) | instskip(SKIP_1) | instid1(VALU_DEP_1)
	v_fmac_f32_e32 v195, v184, v134
	s_waitcnt vmcnt(0)
	v_fmac_f32_e32 v195, v185, v135
	s_waitcnt lgkmcnt(1)
	s_delay_alu instid0(VALU_DEP_1) | instskip(NEXT) | instid1(VALU_DEP_1)
	v_fmac_f32_e32 v195, v186, v136
	v_fmac_f32_e32 v195, v187, v137
	s_waitcnt lgkmcnt(0)
	s_delay_alu instid0(VALU_DEP_1) | instskip(NEXT) | instid1(VALU_DEP_1)
	v_fmac_f32_e32 v195, v188, v138
	v_sub_f32_e32 v3, v133, v195
	scratch_store_b32 off, v3, off offset:32
	v_cmpx_lt_u32_e32 7, v0
	s_cbranch_execz .LBB127_377
; %bb.376:
	scratch_load_b32 v3, off, off offset:28
	scratch_store_b32 off, v2, off offset:28
	s_waitcnt vmcnt(0)
	ds_store_b32 v1, v3
.LBB127_377:
	s_or_b32 exec_lo, exec_lo, s0
	s_waitcnt lgkmcnt(0)
	s_waitcnt_vscnt null, 0x0
	s_barrier
	buffer_gl0_inv
	s_clause 0xe
	scratch_load_b128 v[133:136], off, off offset:28
	scratch_load_b128 v[137:140], off, off offset:44
	;; [unrolled: 1-line block ×14, first 2 shown]
	scratch_load_b32 v3, off, off offset:252
	ds_load_b128 v[189:192], v2 offset:288
	ds_load_b128 v[193:196], v2 offset:304
	s_mov_b32 s0, exec_lo
	s_waitcnt vmcnt(14) lgkmcnt(1)
	v_fma_f32 v4, v134, v189, 0
	s_delay_alu instid0(VALU_DEP_1) | instskip(NEXT) | instid1(VALU_DEP_1)
	v_fmac_f32_e32 v4, v135, v190
	v_fmac_f32_e32 v4, v136, v191
	s_waitcnt vmcnt(13)
	s_delay_alu instid0(VALU_DEP_1) | instskip(SKIP_3) | instid1(VALU_DEP_1)
	v_fmac_f32_e32 v4, v137, v192
	ds_load_b128 v[134:137], v2 offset:320
	s_waitcnt lgkmcnt(1)
	v_fmac_f32_e32 v4, v138, v193
	v_fmac_f32_e32 v4, v139, v194
	s_delay_alu instid0(VALU_DEP_1) | instskip(SKIP_1) | instid1(VALU_DEP_1)
	v_fmac_f32_e32 v4, v140, v195
	s_waitcnt vmcnt(12)
	v_fmac_f32_e32 v4, v141, v196
	ds_load_b128 v[138:141], v2 offset:336
	s_waitcnt lgkmcnt(1)
	v_fmac_f32_e32 v4, v142, v134
	s_delay_alu instid0(VALU_DEP_1) | instskip(NEXT) | instid1(VALU_DEP_1)
	v_fmac_f32_e32 v4, v143, v135
	v_fmac_f32_e32 v4, v144, v136
	s_waitcnt vmcnt(11)
	s_delay_alu instid0(VALU_DEP_1) | instskip(SKIP_3) | instid1(VALU_DEP_1)
	v_fmac_f32_e32 v4, v145, v137
	ds_load_b128 v[134:137], v2 offset:352
	s_waitcnt lgkmcnt(1)
	v_fmac_f32_e32 v4, v146, v138
	v_fmac_f32_e32 v4, v147, v139
	s_delay_alu instid0(VALU_DEP_1) | instskip(SKIP_1) | instid1(VALU_DEP_1)
	v_fmac_f32_e32 v4, v148, v140
	s_waitcnt vmcnt(10)
	v_fmac_f32_e32 v4, v149, v141
	ds_load_b128 v[138:141], v2 offset:368
	s_waitcnt lgkmcnt(1)
	v_fmac_f32_e32 v4, v150, v134
	;; [unrolled: 17-line block ×6, first 2 shown]
	s_delay_alu instid0(VALU_DEP_1) | instskip(NEXT) | instid1(VALU_DEP_1)
	v_fmac_f32_e32 v4, v183, v135
	v_fmac_f32_e32 v4, v184, v136
	s_waitcnt vmcnt(1)
	s_delay_alu instid0(VALU_DEP_1) | instskip(SKIP_1) | instid1(VALU_DEP_1)
	v_fmac_f32_e32 v4, v185, v137
	s_waitcnt lgkmcnt(0)
	v_fmac_f32_e32 v4, v186, v138
	s_delay_alu instid0(VALU_DEP_1) | instskip(NEXT) | instid1(VALU_DEP_1)
	v_fmac_f32_e32 v4, v187, v139
	v_fmac_f32_e32 v4, v188, v140
	s_waitcnt vmcnt(0)
	s_delay_alu instid0(VALU_DEP_1) | instskip(NEXT) | instid1(VALU_DEP_1)
	v_fmac_f32_e32 v4, v3, v141
	v_sub_f32_e32 v2, v133, v4
	scratch_store_b32 off, v2, off offset:28
	v_cmpx_lt_u32_e32 6, v0
	s_cbranch_execz .LBB127_379
; %bb.378:
	scratch_load_b32 v2, off, off offset:24
	v_mov_b32_e32 v3, 0
	scratch_store_b32 off, v3, off offset:24
	s_waitcnt vmcnt(0)
	ds_store_b32 v1, v2
.LBB127_379:
	s_or_b32 exec_lo, exec_lo, s0
	s_waitcnt lgkmcnt(0)
	s_waitcnt_vscnt null, 0x0
	s_barrier
	buffer_gl0_inv
	s_clause 0xe
	scratch_load_b128 v[133:136], off, off offset:24
	scratch_load_b128 v[137:140], off, off offset:40
	;; [unrolled: 1-line block ×14, first 2 shown]
	scratch_load_b64 v[3:4], off, off offset:248
	v_mov_b32_e32 v2, 0
	ds_load_2addr_b32 v[189:190], v2 offset0:71 offset1:72
	ds_load_2addr_b32 v[191:192], v2 offset0:73 offset1:74
	;; [unrolled: 1-line block ×4, first 2 shown]
	s_mov_b32 s0, exec_lo
	s_waitcnt vmcnt(14) lgkmcnt(3)
	v_fma_f32 v189, v134, v189, 0
	s_delay_alu instid0(VALU_DEP_1) | instskip(SKIP_4) | instid1(VALU_DEP_1)
	v_fmac_f32_e32 v189, v135, v190
	ds_load_2addr_b32 v[134:135], v2 offset0:79 offset1:80
	s_waitcnt lgkmcnt(3)
	v_fmac_f32_e32 v189, v136, v191
	s_waitcnt vmcnt(13)
	v_fmac_f32_e32 v189, v137, v192
	ds_load_2addr_b32 v[136:137], v2 offset0:81 offset1:82
	s_waitcnt lgkmcnt(3)
	v_fmac_f32_e32 v189, v138, v193
	s_delay_alu instid0(VALU_DEP_1) | instskip(SKIP_1) | instid1(VALU_DEP_1)
	v_fmac_f32_e32 v189, v139, v194
	s_waitcnt lgkmcnt(2)
	v_fmac_f32_e32 v189, v140, v195
	s_waitcnt vmcnt(12)
	s_delay_alu instid0(VALU_DEP_1) | instskip(SKIP_4) | instid1(VALU_DEP_1)
	v_fmac_f32_e32 v189, v141, v196
	ds_load_2addr_b32 v[138:139], v2 offset0:83 offset1:84
	ds_load_2addr_b32 v[140:141], v2 offset0:85 offset1:86
	s_waitcnt lgkmcnt(3)
	v_fmac_f32_e32 v189, v142, v134
	v_fmac_f32_e32 v189, v143, v135
	ds_load_2addr_b32 v[134:135], v2 offset0:87 offset1:88
	s_waitcnt lgkmcnt(3)
	v_fmac_f32_e32 v189, v144, v136
	s_waitcnt vmcnt(11)
	s_delay_alu instid0(VALU_DEP_1) | instskip(SKIP_3) | instid1(VALU_DEP_1)
	v_fmac_f32_e32 v189, v145, v137
	ds_load_2addr_b32 v[136:137], v2 offset0:89 offset1:90
	s_waitcnt lgkmcnt(3)
	v_fmac_f32_e32 v189, v146, v138
	v_fmac_f32_e32 v189, v147, v139
	s_waitcnt lgkmcnt(2)
	s_delay_alu instid0(VALU_DEP_1) | instskip(SKIP_1) | instid1(VALU_DEP_1)
	v_fmac_f32_e32 v189, v148, v140
	s_waitcnt vmcnt(10)
	v_fmac_f32_e32 v189, v149, v141
	ds_load_2addr_b32 v[138:139], v2 offset0:91 offset1:92
	ds_load_2addr_b32 v[140:141], v2 offset0:93 offset1:94
	s_waitcnt lgkmcnt(3)
	v_fmac_f32_e32 v189, v150, v134
	s_delay_alu instid0(VALU_DEP_1) | instskip(SKIP_4) | instid1(VALU_DEP_1)
	v_fmac_f32_e32 v189, v151, v135
	ds_load_2addr_b32 v[134:135], v2 offset0:95 offset1:96
	s_waitcnt lgkmcnt(3)
	v_fmac_f32_e32 v189, v152, v136
	s_waitcnt vmcnt(9)
	v_fmac_f32_e32 v189, v153, v137
	ds_load_2addr_b32 v[136:137], v2 offset0:97 offset1:98
	s_waitcnt lgkmcnt(3)
	v_fmac_f32_e32 v189, v154, v138
	s_delay_alu instid0(VALU_DEP_1) | instskip(SKIP_1) | instid1(VALU_DEP_1)
	v_fmac_f32_e32 v189, v155, v139
	s_waitcnt lgkmcnt(2)
	v_fmac_f32_e32 v189, v156, v140
	s_waitcnt vmcnt(8)
	s_delay_alu instid0(VALU_DEP_1) | instskip(SKIP_4) | instid1(VALU_DEP_1)
	v_fmac_f32_e32 v189, v157, v141
	ds_load_2addr_b32 v[138:139], v2 offset0:99 offset1:100
	ds_load_2addr_b32 v[140:141], v2 offset0:101 offset1:102
	s_waitcnt lgkmcnt(3)
	v_fmac_f32_e32 v189, v158, v134
	v_fmac_f32_e32 v189, v159, v135
	ds_load_2addr_b32 v[134:135], v2 offset0:103 offset1:104
	s_waitcnt lgkmcnt(3)
	v_fmac_f32_e32 v189, v160, v136
	s_waitcnt vmcnt(7)
	s_delay_alu instid0(VALU_DEP_1) | instskip(SKIP_3) | instid1(VALU_DEP_1)
	v_fmac_f32_e32 v189, v161, v137
	ds_load_2addr_b32 v[136:137], v2 offset0:105 offset1:106
	s_waitcnt lgkmcnt(3)
	v_fmac_f32_e32 v189, v162, v138
	v_fmac_f32_e32 v189, v163, v139
	s_waitcnt lgkmcnt(2)
	s_delay_alu instid0(VALU_DEP_1) | instskip(SKIP_1) | instid1(VALU_DEP_1)
	v_fmac_f32_e32 v189, v164, v140
	s_waitcnt vmcnt(6)
	v_fmac_f32_e32 v189, v165, v141
	ds_load_2addr_b32 v[138:139], v2 offset0:107 offset1:108
	ds_load_2addr_b32 v[140:141], v2 offset0:109 offset1:110
	s_waitcnt lgkmcnt(3)
	v_fmac_f32_e32 v189, v166, v134
	;; [unrolled: 41-line block ×3, first 2 shown]
	ds_load_b32 v134, v2 offset:508
	v_fmac_f32_e32 v189, v183, v135
	s_waitcnt lgkmcnt(3)
	s_delay_alu instid0(VALU_DEP_1) | instskip(SKIP_1) | instid1(VALU_DEP_1)
	v_fmac_f32_e32 v189, v184, v136
	s_waitcnt vmcnt(1)
	v_fmac_f32_e32 v189, v185, v137
	s_waitcnt lgkmcnt(2)
	s_delay_alu instid0(VALU_DEP_1) | instskip(NEXT) | instid1(VALU_DEP_1)
	v_fmac_f32_e32 v189, v186, v138
	v_fmac_f32_e32 v189, v187, v139
	s_waitcnt lgkmcnt(1)
	s_delay_alu instid0(VALU_DEP_1) | instskip(SKIP_1) | instid1(VALU_DEP_1)
	v_fmac_f32_e32 v189, v188, v140
	s_waitcnt vmcnt(0)
	v_fmac_f32_e32 v189, v3, v141
	s_waitcnt lgkmcnt(0)
	s_delay_alu instid0(VALU_DEP_1) | instskip(NEXT) | instid1(VALU_DEP_1)
	v_fmac_f32_e32 v189, v4, v134
	v_sub_f32_e32 v3, v133, v189
	scratch_store_b32 off, v3, off offset:24
	v_cmpx_lt_u32_e32 5, v0
	s_cbranch_execz .LBB127_381
; %bb.380:
	scratch_load_b32 v3, off, off offset:20
	scratch_store_b32 off, v2, off offset:20
	s_waitcnt vmcnt(0)
	ds_store_b32 v1, v3
.LBB127_381:
	s_or_b32 exec_lo, exec_lo, s0
	s_waitcnt lgkmcnt(0)
	s_waitcnt_vscnt null, 0x0
	s_barrier
	buffer_gl0_inv
	s_clause 0xe
	scratch_load_b128 v[133:136], off, off offset:20
	scratch_load_b128 v[137:140], off, off offset:36
	;; [unrolled: 1-line block ×14, first 2 shown]
	scratch_load_b96 v[197:199], off, off offset:244
	ds_load_2addr_b64 v[189:192], v2 offset0:35 offset1:36
	ds_load_2addr_b64 v[193:196], v2 offset0:37 offset1:38
	s_mov_b32 s0, exec_lo
	s_waitcnt vmcnt(14) lgkmcnt(1)
	v_fma_f32 v4, v134, v189, 0
	s_delay_alu instid0(VALU_DEP_1) | instskip(NEXT) | instid1(VALU_DEP_1)
	v_fmac_f32_e32 v4, v135, v190
	v_fmac_f32_e32 v4, v136, v191
	s_waitcnt vmcnt(13)
	s_delay_alu instid0(VALU_DEP_1) | instskip(SKIP_3) | instid1(VALU_DEP_1)
	v_fmac_f32_e32 v4, v137, v192
	ds_load_2addr_b64 v[134:137], v2 offset0:39 offset1:40
	s_waitcnt lgkmcnt(1)
	v_fmac_f32_e32 v4, v138, v193
	v_fmac_f32_e32 v4, v139, v194
	s_delay_alu instid0(VALU_DEP_1) | instskip(SKIP_1) | instid1(VALU_DEP_1)
	v_fmac_f32_e32 v4, v140, v195
	s_waitcnt vmcnt(12)
	v_fmac_f32_e32 v4, v141, v196
	ds_load_2addr_b64 v[138:141], v2 offset0:41 offset1:42
	s_waitcnt lgkmcnt(1)
	v_fmac_f32_e32 v4, v142, v134
	s_delay_alu instid0(VALU_DEP_1) | instskip(NEXT) | instid1(VALU_DEP_1)
	v_fmac_f32_e32 v4, v143, v135
	v_fmac_f32_e32 v4, v144, v136
	s_waitcnt vmcnt(11)
	s_delay_alu instid0(VALU_DEP_1) | instskip(SKIP_3) | instid1(VALU_DEP_1)
	v_fmac_f32_e32 v4, v145, v137
	ds_load_2addr_b64 v[134:137], v2 offset0:43 offset1:44
	s_waitcnt lgkmcnt(1)
	v_fmac_f32_e32 v4, v146, v138
	v_fmac_f32_e32 v4, v147, v139
	s_delay_alu instid0(VALU_DEP_1) | instskip(SKIP_1) | instid1(VALU_DEP_1)
	v_fmac_f32_e32 v4, v148, v140
	s_waitcnt vmcnt(10)
	v_fmac_f32_e32 v4, v149, v141
	ds_load_2addr_b64 v[138:141], v2 offset0:45 offset1:46
	s_waitcnt lgkmcnt(1)
	v_fmac_f32_e32 v4, v150, v134
	;; [unrolled: 17-line block ×5, first 2 shown]
	s_delay_alu instid0(VALU_DEP_1) | instskip(NEXT) | instid1(VALU_DEP_1)
	v_fmac_f32_e32 v4, v175, v135
	v_fmac_f32_e32 v4, v176, v136
	s_waitcnt vmcnt(3)
	s_delay_alu instid0(VALU_DEP_1) | instskip(SKIP_3) | instid1(VALU_DEP_1)
	v_fmac_f32_e32 v4, v177, v137
	ds_load_2addr_b64 v[134:137], v2 offset0:59 offset1:60
	s_waitcnt lgkmcnt(1)
	v_fmac_f32_e32 v4, v178, v138
	v_fmac_f32_e32 v4, v179, v139
	s_delay_alu instid0(VALU_DEP_1) | instskip(SKIP_1) | instid1(VALU_DEP_1)
	v_fmac_f32_e32 v4, v180, v140
	s_waitcnt vmcnt(2)
	v_fmac_f32_e32 v4, v181, v141
	ds_load_2addr_b64 v[138:141], v2 offset0:61 offset1:62
	ds_load_b64 v[2:3], v2 offset:504
	s_waitcnt lgkmcnt(2)
	v_fmac_f32_e32 v4, v182, v134
	s_delay_alu instid0(VALU_DEP_1) | instskip(NEXT) | instid1(VALU_DEP_1)
	v_fmac_f32_e32 v4, v183, v135
	v_fmac_f32_e32 v4, v184, v136
	s_waitcnt vmcnt(1)
	s_delay_alu instid0(VALU_DEP_1) | instskip(SKIP_1) | instid1(VALU_DEP_1)
	v_fmac_f32_e32 v4, v185, v137
	s_waitcnt lgkmcnt(1)
	v_fmac_f32_e32 v4, v186, v138
	s_delay_alu instid0(VALU_DEP_1) | instskip(NEXT) | instid1(VALU_DEP_1)
	v_fmac_f32_e32 v4, v187, v139
	v_fmac_f32_e32 v4, v188, v140
	s_waitcnt vmcnt(0)
	s_delay_alu instid0(VALU_DEP_1) | instskip(SKIP_1) | instid1(VALU_DEP_1)
	v_fmac_f32_e32 v4, v197, v141
	s_waitcnt lgkmcnt(0)
	v_fmac_f32_e32 v4, v198, v2
	s_delay_alu instid0(VALU_DEP_1) | instskip(NEXT) | instid1(VALU_DEP_1)
	v_fmac_f32_e32 v4, v199, v3
	v_sub_f32_e32 v2, v133, v4
	scratch_store_b32 off, v2, off offset:20
	v_cmpx_lt_u32_e32 4, v0
	s_cbranch_execz .LBB127_383
; %bb.382:
	scratch_load_b32 v2, off, off offset:16
	v_mov_b32_e32 v3, 0
	scratch_store_b32 off, v3, off offset:16
	s_waitcnt vmcnt(0)
	ds_store_b32 v1, v2
.LBB127_383:
	s_or_b32 exec_lo, exec_lo, s0
	s_waitcnt lgkmcnt(0)
	s_waitcnt_vscnt null, 0x0
	s_barrier
	buffer_gl0_inv
	s_clause 0xe
	scratch_load_b128 v[133:136], off, off offset:16
	scratch_load_b128 v[137:140], off, off offset:32
	;; [unrolled: 1-line block ×15, first 2 shown]
	v_mov_b32_e32 v2, 0
	ds_load_2addr_b32 v[3:4], v2 offset0:69 offset1:70
	ds_load_2addr_b32 v[193:194], v2 offset0:71 offset1:72
	;; [unrolled: 1-line block ×4, first 2 shown]
	s_mov_b32 s0, exec_lo
	s_waitcnt vmcnt(14) lgkmcnt(3)
	v_fma_f32 v199, v134, v3, 0
	s_delay_alu instid0(VALU_DEP_1)
	v_fmac_f32_e32 v199, v135, v4
	ds_load_2addr_b32 v[3:4], v2 offset0:77 offset1:78
	ds_load_2addr_b32 v[134:135], v2 offset0:79 offset1:80
	s_waitcnt lgkmcnt(4)
	v_fmac_f32_e32 v199, v136, v193
	s_waitcnt vmcnt(13)
	s_delay_alu instid0(VALU_DEP_1) | instskip(SKIP_1) | instid1(VALU_DEP_1)
	v_fmac_f32_e32 v199, v137, v194
	s_waitcnt lgkmcnt(3)
	v_fmac_f32_e32 v199, v138, v195
	s_delay_alu instid0(VALU_DEP_1)
	v_fmac_f32_e32 v199, v139, v196
	ds_load_2addr_b32 v[136:137], v2 offset0:81 offset1:82
	ds_load_2addr_b32 v[138:139], v2 offset0:83 offset1:84
	s_waitcnt lgkmcnt(4)
	v_fmac_f32_e32 v199, v140, v197
	s_waitcnt vmcnt(12)
	s_delay_alu instid0(VALU_DEP_1) | instskip(SKIP_1) | instid1(VALU_DEP_1)
	v_fmac_f32_e32 v199, v141, v198
	s_waitcnt lgkmcnt(3)
	v_fmac_f32_e32 v199, v142, v3
	s_delay_alu instid0(VALU_DEP_1) | instskip(SKIP_4) | instid1(VALU_DEP_1)
	v_fmac_f32_e32 v199, v143, v4
	ds_load_2addr_b32 v[3:4], v2 offset0:85 offset1:86
	s_waitcnt lgkmcnt(3)
	v_fmac_f32_e32 v199, v144, v134
	s_waitcnt vmcnt(11)
	v_fmac_f32_e32 v199, v145, v135
	ds_load_2addr_b32 v[134:135], v2 offset0:87 offset1:88
	s_waitcnt lgkmcnt(3)
	v_fmac_f32_e32 v199, v146, v136
	s_delay_alu instid0(VALU_DEP_1) | instskip(SKIP_1) | instid1(VALU_DEP_1)
	v_fmac_f32_e32 v199, v147, v137
	s_waitcnt lgkmcnt(2)
	v_fmac_f32_e32 v199, v148, v138
	s_waitcnt vmcnt(10)
	s_delay_alu instid0(VALU_DEP_1) | instskip(SKIP_4) | instid1(VALU_DEP_1)
	v_fmac_f32_e32 v199, v149, v139
	ds_load_2addr_b32 v[136:137], v2 offset0:89 offset1:90
	ds_load_2addr_b32 v[138:139], v2 offset0:91 offset1:92
	s_waitcnt lgkmcnt(3)
	v_fmac_f32_e32 v199, v150, v3
	v_fmac_f32_e32 v199, v151, v4
	ds_load_2addr_b32 v[3:4], v2 offset0:93 offset1:94
	s_waitcnt lgkmcnt(3)
	v_fmac_f32_e32 v199, v152, v134
	s_waitcnt vmcnt(9)
	s_delay_alu instid0(VALU_DEP_1) | instskip(SKIP_3) | instid1(VALU_DEP_1)
	v_fmac_f32_e32 v199, v153, v135
	ds_load_2addr_b32 v[134:135], v2 offset0:95 offset1:96
	s_waitcnt lgkmcnt(3)
	v_fmac_f32_e32 v199, v154, v136
	v_fmac_f32_e32 v199, v155, v137
	s_waitcnt lgkmcnt(2)
	s_delay_alu instid0(VALU_DEP_1) | instskip(SKIP_1) | instid1(VALU_DEP_1)
	v_fmac_f32_e32 v199, v156, v138
	s_waitcnt vmcnt(8)
	v_fmac_f32_e32 v199, v157, v139
	ds_load_2addr_b32 v[136:137], v2 offset0:97 offset1:98
	ds_load_2addr_b32 v[138:139], v2 offset0:99 offset1:100
	s_waitcnt lgkmcnt(3)
	v_fmac_f32_e32 v199, v158, v3
	s_delay_alu instid0(VALU_DEP_1) | instskip(SKIP_4) | instid1(VALU_DEP_1)
	v_fmac_f32_e32 v199, v159, v4
	ds_load_2addr_b32 v[3:4], v2 offset0:101 offset1:102
	s_waitcnt lgkmcnt(3)
	v_fmac_f32_e32 v199, v160, v134
	s_waitcnt vmcnt(7)
	v_fmac_f32_e32 v199, v161, v135
	ds_load_2addr_b32 v[134:135], v2 offset0:103 offset1:104
	s_waitcnt lgkmcnt(3)
	v_fmac_f32_e32 v199, v162, v136
	s_delay_alu instid0(VALU_DEP_1) | instskip(SKIP_1) | instid1(VALU_DEP_1)
	v_fmac_f32_e32 v199, v163, v137
	s_waitcnt lgkmcnt(2)
	v_fmac_f32_e32 v199, v164, v138
	s_waitcnt vmcnt(6)
	s_delay_alu instid0(VALU_DEP_1) | instskip(SKIP_4) | instid1(VALU_DEP_1)
	v_fmac_f32_e32 v199, v165, v139
	ds_load_2addr_b32 v[136:137], v2 offset0:105 offset1:106
	ds_load_2addr_b32 v[138:139], v2 offset0:107 offset1:108
	s_waitcnt lgkmcnt(3)
	v_fmac_f32_e32 v199, v166, v3
	v_fmac_f32_e32 v199, v167, v4
	ds_load_2addr_b32 v[3:4], v2 offset0:109 offset1:110
	s_waitcnt lgkmcnt(3)
	v_fmac_f32_e32 v199, v168, v134
	s_waitcnt vmcnt(5)
	s_delay_alu instid0(VALU_DEP_1) | instskip(SKIP_3) | instid1(VALU_DEP_1)
	v_fmac_f32_e32 v199, v169, v135
	ds_load_2addr_b32 v[134:135], v2 offset0:111 offset1:112
	s_waitcnt lgkmcnt(3)
	v_fmac_f32_e32 v199, v170, v136
	v_fmac_f32_e32 v199, v171, v137
	s_waitcnt lgkmcnt(2)
	s_delay_alu instid0(VALU_DEP_1) | instskip(SKIP_1) | instid1(VALU_DEP_1)
	v_fmac_f32_e32 v199, v172, v138
	s_waitcnt vmcnt(4)
	v_fmac_f32_e32 v199, v173, v139
	ds_load_2addr_b32 v[136:137], v2 offset0:113 offset1:114
	ds_load_2addr_b32 v[138:139], v2 offset0:115 offset1:116
	s_waitcnt lgkmcnt(3)
	v_fmac_f32_e32 v199, v174, v3
	s_delay_alu instid0(VALU_DEP_1) | instskip(SKIP_4) | instid1(VALU_DEP_1)
	v_fmac_f32_e32 v199, v175, v4
	ds_load_2addr_b32 v[3:4], v2 offset0:117 offset1:118
	s_waitcnt lgkmcnt(3)
	v_fmac_f32_e32 v199, v176, v134
	s_waitcnt vmcnt(3)
	v_fmac_f32_e32 v199, v177, v135
	ds_load_2addr_b32 v[134:135], v2 offset0:119 offset1:120
	s_waitcnt lgkmcnt(3)
	v_fmac_f32_e32 v199, v178, v136
	s_delay_alu instid0(VALU_DEP_1) | instskip(SKIP_1) | instid1(VALU_DEP_1)
	v_fmac_f32_e32 v199, v179, v137
	s_waitcnt lgkmcnt(2)
	v_fmac_f32_e32 v199, v180, v138
	s_waitcnt vmcnt(2)
	s_delay_alu instid0(VALU_DEP_1) | instskip(SKIP_4) | instid1(VALU_DEP_1)
	v_fmac_f32_e32 v199, v181, v139
	ds_load_2addr_b32 v[136:137], v2 offset0:121 offset1:122
	ds_load_2addr_b32 v[138:139], v2 offset0:123 offset1:124
	s_waitcnt lgkmcnt(3)
	v_fmac_f32_e32 v199, v182, v3
	v_fmac_f32_e32 v199, v183, v4
	ds_load_2addr_b32 v[3:4], v2 offset0:125 offset1:126
	s_waitcnt lgkmcnt(3)
	v_fmac_f32_e32 v199, v184, v134
	ds_load_b32 v134, v2 offset:508
	s_waitcnt vmcnt(1)
	v_fmac_f32_e32 v199, v185, v135
	s_waitcnt lgkmcnt(3)
	s_delay_alu instid0(VALU_DEP_1) | instskip(NEXT) | instid1(VALU_DEP_1)
	v_fmac_f32_e32 v199, v186, v136
	v_fmac_f32_e32 v199, v187, v137
	s_waitcnt lgkmcnt(2)
	s_delay_alu instid0(VALU_DEP_1) | instskip(SKIP_1) | instid1(VALU_DEP_1)
	v_fmac_f32_e32 v199, v188, v138
	s_waitcnt vmcnt(0)
	v_fmac_f32_e32 v199, v189, v139
	s_waitcnt lgkmcnt(1)
	s_delay_alu instid0(VALU_DEP_1) | instskip(NEXT) | instid1(VALU_DEP_1)
	v_fmac_f32_e32 v199, v190, v3
	v_fmac_f32_e32 v199, v191, v4
	s_waitcnt lgkmcnt(0)
	s_delay_alu instid0(VALU_DEP_1) | instskip(NEXT) | instid1(VALU_DEP_1)
	v_fmac_f32_e32 v199, v192, v134
	v_sub_f32_e32 v3, v133, v199
	scratch_store_b32 off, v3, off offset:16
	v_cmpx_lt_u32_e32 3, v0
	s_cbranch_execz .LBB127_385
; %bb.384:
	scratch_load_b32 v3, off, off offset:12
	scratch_store_b32 off, v2, off offset:12
	s_waitcnt vmcnt(0)
	ds_store_b32 v1, v3
.LBB127_385:
	s_or_b32 exec_lo, exec_lo, s0
	s_waitcnt lgkmcnt(0)
	s_waitcnt_vscnt null, 0x0
	s_barrier
	buffer_gl0_inv
	s_clause 0xf
	scratch_load_b128 v[133:136], off, off offset:12
	scratch_load_b128 v[137:140], off, off offset:28
	;; [unrolled: 1-line block ×15, first 2 shown]
	scratch_load_b32 v3, off, off offset:252
	ds_load_b128 v[193:196], v2 offset:272
	ds_load_b128 v[197:200], v2 offset:288
	s_mov_b32 s0, exec_lo
	s_waitcnt vmcnt(15) lgkmcnt(1)
	v_fma_f32 v4, v134, v193, 0
	s_delay_alu instid0(VALU_DEP_1) | instskip(NEXT) | instid1(VALU_DEP_1)
	v_fmac_f32_e32 v4, v135, v194
	v_fmac_f32_e32 v4, v136, v195
	s_waitcnt vmcnt(14)
	s_delay_alu instid0(VALU_DEP_1) | instskip(SKIP_3) | instid1(VALU_DEP_1)
	v_fmac_f32_e32 v4, v137, v196
	ds_load_b128 v[134:137], v2 offset:304
	s_waitcnt lgkmcnt(1)
	v_fmac_f32_e32 v4, v138, v197
	v_fmac_f32_e32 v4, v139, v198
	s_delay_alu instid0(VALU_DEP_1) | instskip(SKIP_1) | instid1(VALU_DEP_1)
	v_fmac_f32_e32 v4, v140, v199
	s_waitcnt vmcnt(13)
	v_fmac_f32_e32 v4, v141, v200
	ds_load_b128 v[138:141], v2 offset:320
	s_waitcnt lgkmcnt(1)
	v_fmac_f32_e32 v4, v142, v134
	s_delay_alu instid0(VALU_DEP_1) | instskip(NEXT) | instid1(VALU_DEP_1)
	v_fmac_f32_e32 v4, v143, v135
	v_fmac_f32_e32 v4, v144, v136
	s_waitcnt vmcnt(12)
	s_delay_alu instid0(VALU_DEP_1) | instskip(SKIP_3) | instid1(VALU_DEP_1)
	v_fmac_f32_e32 v4, v145, v137
	ds_load_b128 v[134:137], v2 offset:336
	s_waitcnt lgkmcnt(1)
	v_fmac_f32_e32 v4, v146, v138
	v_fmac_f32_e32 v4, v147, v139
	s_delay_alu instid0(VALU_DEP_1) | instskip(SKIP_1) | instid1(VALU_DEP_1)
	v_fmac_f32_e32 v4, v148, v140
	s_waitcnt vmcnt(11)
	v_fmac_f32_e32 v4, v149, v141
	ds_load_b128 v[138:141], v2 offset:352
	s_waitcnt lgkmcnt(1)
	v_fmac_f32_e32 v4, v150, v134
	;; [unrolled: 17-line block ×6, first 2 shown]
	s_delay_alu instid0(VALU_DEP_1) | instskip(NEXT) | instid1(VALU_DEP_1)
	v_fmac_f32_e32 v4, v183, v135
	v_fmac_f32_e32 v4, v184, v136
	s_waitcnt vmcnt(2)
	s_delay_alu instid0(VALU_DEP_1) | instskip(SKIP_3) | instid1(VALU_DEP_1)
	v_fmac_f32_e32 v4, v185, v137
	ds_load_b128 v[134:137], v2 offset:496
	s_waitcnt lgkmcnt(1)
	v_fmac_f32_e32 v4, v186, v138
	v_fmac_f32_e32 v4, v187, v139
	s_delay_alu instid0(VALU_DEP_1) | instskip(SKIP_1) | instid1(VALU_DEP_1)
	v_fmac_f32_e32 v4, v188, v140
	s_waitcnt vmcnt(1)
	v_fmac_f32_e32 v4, v189, v141
	s_waitcnt lgkmcnt(0)
	s_delay_alu instid0(VALU_DEP_1) | instskip(NEXT) | instid1(VALU_DEP_1)
	v_fmac_f32_e32 v4, v190, v134
	v_fmac_f32_e32 v4, v191, v135
	s_delay_alu instid0(VALU_DEP_1) | instskip(SKIP_1) | instid1(VALU_DEP_1)
	v_fmac_f32_e32 v4, v192, v136
	s_waitcnt vmcnt(0)
	v_fmac_f32_e32 v4, v3, v137
	s_delay_alu instid0(VALU_DEP_1)
	v_sub_f32_e32 v2, v133, v4
	scratch_store_b32 off, v2, off offset:12
	v_cmpx_lt_u32_e32 2, v0
	s_cbranch_execz .LBB127_387
; %bb.386:
	scratch_load_b32 v2, off, off offset:8
	v_mov_b32_e32 v3, 0
	scratch_store_b32 off, v3, off offset:8
	s_waitcnt vmcnt(0)
	ds_store_b32 v1, v2
.LBB127_387:
	s_or_b32 exec_lo, exec_lo, s0
	s_waitcnt lgkmcnt(0)
	s_waitcnt_vscnt null, 0x0
	s_barrier
	buffer_gl0_inv
	s_clause 0xe
	scratch_load_b128 v[133:136], off, off offset:8
	scratch_load_b128 v[137:140], off, off offset:24
	;; [unrolled: 1-line block ×15, first 2 shown]
	v_mov_b32_e32 v2, 0
	scratch_load_b64 v[193:194], off, off offset:248
	s_mov_b32 s0, exec_lo
	ds_load_2addr_b32 v[3:4], v2 offset0:67 offset1:68
	s_waitcnt vmcnt(15) lgkmcnt(0)
	v_fma_f32 v201, v134, v3, 0
	s_delay_alu instid0(VALU_DEP_1)
	v_fmac_f32_e32 v201, v135, v4
	ds_load_2addr_b32 v[195:196], v2 offset0:69 offset1:70
	ds_load_2addr_b32 v[197:198], v2 offset0:71 offset1:72
	ds_load_2addr_b32 v[199:200], v2 offset0:73 offset1:74
	ds_load_2addr_b32 v[3:4], v2 offset0:75 offset1:76
	ds_load_2addr_b32 v[134:135], v2 offset0:77 offset1:78
	s_waitcnt lgkmcnt(4)
	v_fmac_f32_e32 v201, v136, v195
	s_waitcnt vmcnt(14)
	s_delay_alu instid0(VALU_DEP_1) | instskip(SKIP_1) | instid1(VALU_DEP_1)
	v_fmac_f32_e32 v201, v137, v196
	s_waitcnt lgkmcnt(3)
	v_fmac_f32_e32 v201, v138, v197
	s_delay_alu instid0(VALU_DEP_1)
	v_fmac_f32_e32 v201, v139, v198
	ds_load_2addr_b32 v[136:137], v2 offset0:79 offset1:80
	ds_load_2addr_b32 v[138:139], v2 offset0:81 offset1:82
	s_waitcnt lgkmcnt(4)
	v_fmac_f32_e32 v201, v140, v199
	s_waitcnt vmcnt(13)
	s_delay_alu instid0(VALU_DEP_1) | instskip(SKIP_1) | instid1(VALU_DEP_1)
	v_fmac_f32_e32 v201, v141, v200
	s_waitcnt lgkmcnt(3)
	v_fmac_f32_e32 v201, v142, v3
	s_delay_alu instid0(VALU_DEP_1) | instskip(SKIP_4) | instid1(VALU_DEP_1)
	v_fmac_f32_e32 v201, v143, v4
	ds_load_2addr_b32 v[3:4], v2 offset0:83 offset1:84
	s_waitcnt lgkmcnt(3)
	v_fmac_f32_e32 v201, v144, v134
	s_waitcnt vmcnt(12)
	v_fmac_f32_e32 v201, v145, v135
	ds_load_2addr_b32 v[134:135], v2 offset0:85 offset1:86
	s_waitcnt lgkmcnt(3)
	v_fmac_f32_e32 v201, v146, v136
	s_delay_alu instid0(VALU_DEP_1) | instskip(SKIP_1) | instid1(VALU_DEP_1)
	v_fmac_f32_e32 v201, v147, v137
	s_waitcnt lgkmcnt(2)
	v_fmac_f32_e32 v201, v148, v138
	s_waitcnt vmcnt(11)
	s_delay_alu instid0(VALU_DEP_1) | instskip(SKIP_4) | instid1(VALU_DEP_1)
	v_fmac_f32_e32 v201, v149, v139
	ds_load_2addr_b32 v[136:137], v2 offset0:87 offset1:88
	ds_load_2addr_b32 v[138:139], v2 offset0:89 offset1:90
	s_waitcnt lgkmcnt(3)
	v_fmac_f32_e32 v201, v150, v3
	v_fmac_f32_e32 v201, v151, v4
	ds_load_2addr_b32 v[3:4], v2 offset0:91 offset1:92
	s_waitcnt lgkmcnt(3)
	v_fmac_f32_e32 v201, v152, v134
	s_waitcnt vmcnt(10)
	s_delay_alu instid0(VALU_DEP_1) | instskip(SKIP_3) | instid1(VALU_DEP_1)
	v_fmac_f32_e32 v201, v153, v135
	ds_load_2addr_b32 v[134:135], v2 offset0:93 offset1:94
	s_waitcnt lgkmcnt(3)
	v_fmac_f32_e32 v201, v154, v136
	v_fmac_f32_e32 v201, v155, v137
	s_waitcnt lgkmcnt(2)
	s_delay_alu instid0(VALU_DEP_1) | instskip(SKIP_1) | instid1(VALU_DEP_1)
	v_fmac_f32_e32 v201, v156, v138
	s_waitcnt vmcnt(9)
	v_fmac_f32_e32 v201, v157, v139
	ds_load_2addr_b32 v[136:137], v2 offset0:95 offset1:96
	ds_load_2addr_b32 v[138:139], v2 offset0:97 offset1:98
	s_waitcnt lgkmcnt(3)
	v_fmac_f32_e32 v201, v158, v3
	s_delay_alu instid0(VALU_DEP_1) | instskip(SKIP_4) | instid1(VALU_DEP_1)
	v_fmac_f32_e32 v201, v159, v4
	ds_load_2addr_b32 v[3:4], v2 offset0:99 offset1:100
	s_waitcnt lgkmcnt(3)
	v_fmac_f32_e32 v201, v160, v134
	s_waitcnt vmcnt(8)
	v_fmac_f32_e32 v201, v161, v135
	ds_load_2addr_b32 v[134:135], v2 offset0:101 offset1:102
	s_waitcnt lgkmcnt(3)
	v_fmac_f32_e32 v201, v162, v136
	s_delay_alu instid0(VALU_DEP_1) | instskip(SKIP_1) | instid1(VALU_DEP_1)
	v_fmac_f32_e32 v201, v163, v137
	s_waitcnt lgkmcnt(2)
	v_fmac_f32_e32 v201, v164, v138
	s_waitcnt vmcnt(7)
	s_delay_alu instid0(VALU_DEP_1) | instskip(SKIP_4) | instid1(VALU_DEP_1)
	v_fmac_f32_e32 v201, v165, v139
	ds_load_2addr_b32 v[136:137], v2 offset0:103 offset1:104
	ds_load_2addr_b32 v[138:139], v2 offset0:105 offset1:106
	s_waitcnt lgkmcnt(3)
	v_fmac_f32_e32 v201, v166, v3
	v_fmac_f32_e32 v201, v167, v4
	ds_load_2addr_b32 v[3:4], v2 offset0:107 offset1:108
	s_waitcnt lgkmcnt(3)
	v_fmac_f32_e32 v201, v168, v134
	s_waitcnt vmcnt(6)
	s_delay_alu instid0(VALU_DEP_1) | instskip(SKIP_3) | instid1(VALU_DEP_1)
	v_fmac_f32_e32 v201, v169, v135
	ds_load_2addr_b32 v[134:135], v2 offset0:109 offset1:110
	s_waitcnt lgkmcnt(3)
	v_fmac_f32_e32 v201, v170, v136
	v_fmac_f32_e32 v201, v171, v137
	s_waitcnt lgkmcnt(2)
	s_delay_alu instid0(VALU_DEP_1) | instskip(SKIP_1) | instid1(VALU_DEP_1)
	v_fmac_f32_e32 v201, v172, v138
	s_waitcnt vmcnt(5)
	v_fmac_f32_e32 v201, v173, v139
	ds_load_2addr_b32 v[136:137], v2 offset0:111 offset1:112
	ds_load_2addr_b32 v[138:139], v2 offset0:113 offset1:114
	s_waitcnt lgkmcnt(3)
	v_fmac_f32_e32 v201, v174, v3
	s_delay_alu instid0(VALU_DEP_1) | instskip(SKIP_4) | instid1(VALU_DEP_1)
	v_fmac_f32_e32 v201, v175, v4
	ds_load_2addr_b32 v[3:4], v2 offset0:115 offset1:116
	s_waitcnt lgkmcnt(3)
	v_fmac_f32_e32 v201, v176, v134
	s_waitcnt vmcnt(4)
	v_fmac_f32_e32 v201, v177, v135
	ds_load_2addr_b32 v[134:135], v2 offset0:117 offset1:118
	s_waitcnt lgkmcnt(3)
	v_fmac_f32_e32 v201, v178, v136
	s_delay_alu instid0(VALU_DEP_1) | instskip(SKIP_1) | instid1(VALU_DEP_1)
	v_fmac_f32_e32 v201, v179, v137
	s_waitcnt lgkmcnt(2)
	v_fmac_f32_e32 v201, v180, v138
	s_waitcnt vmcnt(3)
	s_delay_alu instid0(VALU_DEP_1) | instskip(SKIP_4) | instid1(VALU_DEP_1)
	v_fmac_f32_e32 v201, v181, v139
	ds_load_2addr_b32 v[136:137], v2 offset0:119 offset1:120
	ds_load_2addr_b32 v[138:139], v2 offset0:121 offset1:122
	s_waitcnt lgkmcnt(3)
	v_fmac_f32_e32 v201, v182, v3
	v_fmac_f32_e32 v201, v183, v4
	ds_load_2addr_b32 v[3:4], v2 offset0:123 offset1:124
	s_waitcnt lgkmcnt(3)
	v_fmac_f32_e32 v201, v184, v134
	s_waitcnt vmcnt(2)
	s_delay_alu instid0(VALU_DEP_1)
	v_fmac_f32_e32 v201, v185, v135
	ds_load_2addr_b32 v[134:135], v2 offset0:125 offset1:126
	s_waitcnt lgkmcnt(3)
	v_fmac_f32_e32 v201, v186, v136
	ds_load_b32 v136, v2 offset:508
	v_fmac_f32_e32 v201, v187, v137
	s_waitcnt lgkmcnt(3)
	s_delay_alu instid0(VALU_DEP_1) | instskip(SKIP_1) | instid1(VALU_DEP_1)
	v_fmac_f32_e32 v201, v188, v138
	s_waitcnt vmcnt(1)
	v_fmac_f32_e32 v201, v189, v139
	s_waitcnt lgkmcnt(2)
	s_delay_alu instid0(VALU_DEP_1) | instskip(NEXT) | instid1(VALU_DEP_1)
	v_fmac_f32_e32 v201, v190, v3
	v_fmac_f32_e32 v201, v191, v4
	s_waitcnt lgkmcnt(1)
	s_delay_alu instid0(VALU_DEP_1) | instskip(SKIP_1) | instid1(VALU_DEP_1)
	v_fmac_f32_e32 v201, v192, v134
	s_waitcnt vmcnt(0)
	v_fmac_f32_e32 v201, v193, v135
	s_waitcnt lgkmcnt(0)
	s_delay_alu instid0(VALU_DEP_1) | instskip(NEXT) | instid1(VALU_DEP_1)
	v_fmac_f32_e32 v201, v194, v136
	v_sub_f32_e32 v3, v133, v201
	scratch_store_b32 off, v3, off offset:8
	v_cmpx_lt_u32_e32 1, v0
	s_cbranch_execz .LBB127_389
; %bb.388:
	scratch_load_b32 v3, off, off offset:4
	scratch_store_b32 off, v2, off offset:4
	s_waitcnt vmcnt(0)
	ds_store_b32 v1, v3
.LBB127_389:
	s_or_b32 exec_lo, exec_lo, s0
	s_waitcnt lgkmcnt(0)
	s_waitcnt_vscnt null, 0x0
	s_barrier
	buffer_gl0_inv
	s_clause 0xf
	scratch_load_b128 v[133:136], off, off offset:4
	scratch_load_b128 v[137:140], off, off offset:20
	;; [unrolled: 1-line block ×15, first 2 shown]
	scratch_load_b96 v[201:203], off, off offset:244
	ds_load_2addr_b64 v[193:196], v2 offset0:33 offset1:34
	ds_load_2addr_b64 v[197:200], v2 offset0:35 offset1:36
	s_mov_b32 s0, exec_lo
	s_waitcnt vmcnt(15) lgkmcnt(1)
	v_fma_f32 v4, v134, v193, 0
	s_delay_alu instid0(VALU_DEP_1) | instskip(NEXT) | instid1(VALU_DEP_1)
	v_fmac_f32_e32 v4, v135, v194
	v_fmac_f32_e32 v4, v136, v195
	s_waitcnt vmcnt(14)
	s_delay_alu instid0(VALU_DEP_1) | instskip(SKIP_3) | instid1(VALU_DEP_1)
	v_fmac_f32_e32 v4, v137, v196
	ds_load_2addr_b64 v[134:137], v2 offset0:37 offset1:38
	s_waitcnt lgkmcnt(1)
	v_fmac_f32_e32 v4, v138, v197
	v_fmac_f32_e32 v4, v139, v198
	s_delay_alu instid0(VALU_DEP_1) | instskip(SKIP_1) | instid1(VALU_DEP_1)
	v_fmac_f32_e32 v4, v140, v199
	s_waitcnt vmcnt(13)
	v_fmac_f32_e32 v4, v141, v200
	ds_load_2addr_b64 v[138:141], v2 offset0:39 offset1:40
	s_waitcnt lgkmcnt(1)
	v_fmac_f32_e32 v4, v142, v134
	s_delay_alu instid0(VALU_DEP_1) | instskip(NEXT) | instid1(VALU_DEP_1)
	v_fmac_f32_e32 v4, v143, v135
	v_fmac_f32_e32 v4, v144, v136
	s_waitcnt vmcnt(12)
	s_delay_alu instid0(VALU_DEP_1) | instskip(SKIP_3) | instid1(VALU_DEP_1)
	v_fmac_f32_e32 v4, v145, v137
	ds_load_2addr_b64 v[134:137], v2 offset0:41 offset1:42
	s_waitcnt lgkmcnt(1)
	v_fmac_f32_e32 v4, v146, v138
	v_fmac_f32_e32 v4, v147, v139
	s_delay_alu instid0(VALU_DEP_1) | instskip(SKIP_1) | instid1(VALU_DEP_1)
	v_fmac_f32_e32 v4, v148, v140
	s_waitcnt vmcnt(11)
	v_fmac_f32_e32 v4, v149, v141
	ds_load_2addr_b64 v[138:141], v2 offset0:43 offset1:44
	s_waitcnt lgkmcnt(1)
	v_fmac_f32_e32 v4, v150, v134
	s_delay_alu instid0(VALU_DEP_1) | instskip(NEXT) | instid1(VALU_DEP_1)
	v_fmac_f32_e32 v4, v151, v135
	v_fmac_f32_e32 v4, v152, v136
	s_waitcnt vmcnt(10)
	s_delay_alu instid0(VALU_DEP_1) | instskip(SKIP_3) | instid1(VALU_DEP_1)
	v_fmac_f32_e32 v4, v153, v137
	ds_load_2addr_b64 v[134:137], v2 offset0:45 offset1:46
	s_waitcnt lgkmcnt(1)
	v_fmac_f32_e32 v4, v154, v138
	v_fmac_f32_e32 v4, v155, v139
	s_delay_alu instid0(VALU_DEP_1) | instskip(SKIP_1) | instid1(VALU_DEP_1)
	v_fmac_f32_e32 v4, v156, v140
	s_waitcnt vmcnt(9)
	v_fmac_f32_e32 v4, v157, v141
	ds_load_2addr_b64 v[138:141], v2 offset0:47 offset1:48
	s_waitcnt lgkmcnt(1)
	v_fmac_f32_e32 v4, v158, v134
	s_delay_alu instid0(VALU_DEP_1) | instskip(NEXT) | instid1(VALU_DEP_1)
	v_fmac_f32_e32 v4, v159, v135
	v_fmac_f32_e32 v4, v160, v136
	s_waitcnt vmcnt(8)
	s_delay_alu instid0(VALU_DEP_1) | instskip(SKIP_3) | instid1(VALU_DEP_1)
	v_fmac_f32_e32 v4, v161, v137
	ds_load_2addr_b64 v[134:137], v2 offset0:49 offset1:50
	s_waitcnt lgkmcnt(1)
	v_fmac_f32_e32 v4, v162, v138
	v_fmac_f32_e32 v4, v163, v139
	s_delay_alu instid0(VALU_DEP_1) | instskip(SKIP_1) | instid1(VALU_DEP_1)
	v_fmac_f32_e32 v4, v164, v140
	s_waitcnt vmcnt(7)
	v_fmac_f32_e32 v4, v165, v141
	ds_load_2addr_b64 v[138:141], v2 offset0:51 offset1:52
	s_waitcnt lgkmcnt(1)
	v_fmac_f32_e32 v4, v166, v134
	s_delay_alu instid0(VALU_DEP_1) | instskip(NEXT) | instid1(VALU_DEP_1)
	v_fmac_f32_e32 v4, v167, v135
	v_fmac_f32_e32 v4, v168, v136
	s_waitcnt vmcnt(6)
	s_delay_alu instid0(VALU_DEP_1) | instskip(SKIP_3) | instid1(VALU_DEP_1)
	v_fmac_f32_e32 v4, v169, v137
	ds_load_2addr_b64 v[134:137], v2 offset0:53 offset1:54
	s_waitcnt lgkmcnt(1)
	v_fmac_f32_e32 v4, v170, v138
	v_fmac_f32_e32 v4, v171, v139
	s_delay_alu instid0(VALU_DEP_1) | instskip(SKIP_1) | instid1(VALU_DEP_1)
	v_fmac_f32_e32 v4, v172, v140
	s_waitcnt vmcnt(5)
	v_fmac_f32_e32 v4, v173, v141
	ds_load_2addr_b64 v[138:141], v2 offset0:55 offset1:56
	s_waitcnt lgkmcnt(1)
	v_fmac_f32_e32 v4, v174, v134
	s_delay_alu instid0(VALU_DEP_1) | instskip(NEXT) | instid1(VALU_DEP_1)
	v_fmac_f32_e32 v4, v175, v135
	v_fmac_f32_e32 v4, v176, v136
	s_waitcnt vmcnt(4)
	s_delay_alu instid0(VALU_DEP_1) | instskip(SKIP_3) | instid1(VALU_DEP_1)
	v_fmac_f32_e32 v4, v177, v137
	ds_load_2addr_b64 v[134:137], v2 offset0:57 offset1:58
	s_waitcnt lgkmcnt(1)
	v_fmac_f32_e32 v4, v178, v138
	v_fmac_f32_e32 v4, v179, v139
	s_delay_alu instid0(VALU_DEP_1) | instskip(SKIP_1) | instid1(VALU_DEP_1)
	v_fmac_f32_e32 v4, v180, v140
	s_waitcnt vmcnt(3)
	v_fmac_f32_e32 v4, v181, v141
	ds_load_2addr_b64 v[138:141], v2 offset0:59 offset1:60
	s_waitcnt lgkmcnt(1)
	v_fmac_f32_e32 v4, v182, v134
	s_delay_alu instid0(VALU_DEP_1) | instskip(NEXT) | instid1(VALU_DEP_1)
	v_fmac_f32_e32 v4, v183, v135
	v_fmac_f32_e32 v4, v184, v136
	s_waitcnt vmcnt(2)
	s_delay_alu instid0(VALU_DEP_1) | instskip(SKIP_4) | instid1(VALU_DEP_1)
	v_fmac_f32_e32 v4, v185, v137
	ds_load_2addr_b64 v[134:137], v2 offset0:61 offset1:62
	ds_load_b64 v[2:3], v2 offset:504
	s_waitcnt lgkmcnt(2)
	v_fmac_f32_e32 v4, v186, v138
	v_fmac_f32_e32 v4, v187, v139
	s_delay_alu instid0(VALU_DEP_1) | instskip(SKIP_1) | instid1(VALU_DEP_1)
	v_fmac_f32_e32 v4, v188, v140
	s_waitcnt vmcnt(1)
	v_fmac_f32_e32 v4, v189, v141
	s_waitcnt lgkmcnt(1)
	s_delay_alu instid0(VALU_DEP_1) | instskip(NEXT) | instid1(VALU_DEP_1)
	v_fmac_f32_e32 v4, v190, v134
	v_fmac_f32_e32 v4, v191, v135
	s_delay_alu instid0(VALU_DEP_1) | instskip(SKIP_1) | instid1(VALU_DEP_1)
	v_fmac_f32_e32 v4, v192, v136
	s_waitcnt vmcnt(0)
	v_fmac_f32_e32 v4, v201, v137
	s_waitcnt lgkmcnt(0)
	s_delay_alu instid0(VALU_DEP_1) | instskip(NEXT) | instid1(VALU_DEP_1)
	v_fmac_f32_e32 v4, v202, v2
	v_fmac_f32_e32 v4, v203, v3
	s_delay_alu instid0(VALU_DEP_1)
	v_sub_f32_e32 v2, v133, v4
	scratch_store_b32 off, v2, off offset:4
	v_cmpx_ne_u32_e32 0, v0
	s_cbranch_execz .LBB127_391
; %bb.390:
	scratch_load_b32 v0, off, off
	v_mov_b32_e32 v2, 0
	scratch_store_b32 off, v2, off
	s_waitcnt vmcnt(0)
	ds_store_b32 v1, v0
.LBB127_391:
	s_or_b32 exec_lo, exec_lo, s0
	s_waitcnt lgkmcnt(0)
	s_waitcnt_vscnt null, 0x0
	s_barrier
	buffer_gl0_inv
	s_clause 0xe
	scratch_load_b128 v[133:136], off, off
	scratch_load_b128 v[137:140], off, off offset:16
	scratch_load_b128 v[141:144], off, off offset:32
	;; [unrolled: 1-line block ×14, first 2 shown]
	v_mov_b32_e32 v4, 0
	scratch_load_b128 v[0:3], off, off offset:240
	s_and_b32 vcc_lo, exec_lo, s12
	ds_load_2addr_b32 v[193:194], v4 offset0:65 offset1:66
	s_waitcnt vmcnt(15) lgkmcnt(0)
	v_fma_f32 v193, v134, v193, 0
	s_delay_alu instid0(VALU_DEP_1)
	v_fmac_f32_e32 v193, v135, v194
	ds_load_2addr_b32 v[195:196], v4 offset0:67 offset1:68
	ds_load_2addr_b32 v[197:198], v4 offset0:69 offset1:70
	;; [unrolled: 1-line block ×4, first 2 shown]
	s_waitcnt lgkmcnt(3)
	v_fmac_f32_e32 v193, v136, v195
	s_waitcnt vmcnt(14)
	s_delay_alu instid0(VALU_DEP_1) | instskip(SKIP_3) | instid1(VALU_DEP_1)
	v_fmac_f32_e32 v193, v137, v196
	ds_load_2addr_b32 v[136:137], v4 offset0:75 offset1:76
	s_waitcnt lgkmcnt(3)
	v_fmac_f32_e32 v193, v138, v197
	v_fmac_f32_e32 v193, v139, v198
	s_waitcnt lgkmcnt(2)
	s_delay_alu instid0(VALU_DEP_1) | instskip(SKIP_1) | instid1(VALU_DEP_1)
	v_fmac_f32_e32 v193, v140, v199
	s_waitcnt vmcnt(13)
	v_fmac_f32_e32 v193, v141, v200
	ds_load_2addr_b32 v[138:139], v4 offset0:77 offset1:78
	ds_load_2addr_b32 v[140:141], v4 offset0:79 offset1:80
	s_waitcnt lgkmcnt(3)
	v_fmac_f32_e32 v193, v142, v134
	s_delay_alu instid0(VALU_DEP_1) | instskip(SKIP_4) | instid1(VALU_DEP_1)
	v_fmac_f32_e32 v193, v143, v135
	ds_load_2addr_b32 v[134:135], v4 offset0:81 offset1:82
	s_waitcnt lgkmcnt(3)
	v_fmac_f32_e32 v193, v144, v136
	s_waitcnt vmcnt(12)
	v_fmac_f32_e32 v193, v145, v137
	ds_load_2addr_b32 v[136:137], v4 offset0:83 offset1:84
	s_waitcnt lgkmcnt(3)
	v_fmac_f32_e32 v193, v146, v138
	s_delay_alu instid0(VALU_DEP_1) | instskip(SKIP_1) | instid1(VALU_DEP_1)
	v_fmac_f32_e32 v193, v147, v139
	s_waitcnt lgkmcnt(2)
	v_fmac_f32_e32 v193, v148, v140
	s_waitcnt vmcnt(11)
	s_delay_alu instid0(VALU_DEP_1) | instskip(SKIP_4) | instid1(VALU_DEP_1)
	v_fmac_f32_e32 v193, v149, v141
	ds_load_2addr_b32 v[138:139], v4 offset0:85 offset1:86
	ds_load_2addr_b32 v[140:141], v4 offset0:87 offset1:88
	s_waitcnt lgkmcnt(3)
	v_fmac_f32_e32 v193, v150, v134
	v_fmac_f32_e32 v193, v151, v135
	ds_load_2addr_b32 v[134:135], v4 offset0:89 offset1:90
	s_waitcnt lgkmcnt(3)
	v_fmac_f32_e32 v193, v152, v136
	s_waitcnt vmcnt(10)
	s_delay_alu instid0(VALU_DEP_1) | instskip(SKIP_3) | instid1(VALU_DEP_1)
	v_fmac_f32_e32 v193, v153, v137
	ds_load_2addr_b32 v[136:137], v4 offset0:91 offset1:92
	s_waitcnt lgkmcnt(3)
	v_fmac_f32_e32 v193, v154, v138
	v_fmac_f32_e32 v193, v155, v139
	s_waitcnt lgkmcnt(2)
	s_delay_alu instid0(VALU_DEP_1) | instskip(SKIP_1) | instid1(VALU_DEP_1)
	v_fmac_f32_e32 v193, v156, v140
	s_waitcnt vmcnt(9)
	v_fmac_f32_e32 v193, v157, v141
	ds_load_2addr_b32 v[138:139], v4 offset0:93 offset1:94
	ds_load_2addr_b32 v[140:141], v4 offset0:95 offset1:96
	s_waitcnt lgkmcnt(3)
	v_fmac_f32_e32 v193, v158, v134
	s_delay_alu instid0(VALU_DEP_1) | instskip(SKIP_4) | instid1(VALU_DEP_1)
	v_fmac_f32_e32 v193, v159, v135
	ds_load_2addr_b32 v[134:135], v4 offset0:97 offset1:98
	s_waitcnt lgkmcnt(3)
	v_fmac_f32_e32 v193, v160, v136
	s_waitcnt vmcnt(8)
	v_fmac_f32_e32 v193, v161, v137
	ds_load_2addr_b32 v[136:137], v4 offset0:99 offset1:100
	s_waitcnt lgkmcnt(3)
	v_fmac_f32_e32 v193, v162, v138
	s_delay_alu instid0(VALU_DEP_1) | instskip(SKIP_1) | instid1(VALU_DEP_1)
	v_fmac_f32_e32 v193, v163, v139
	s_waitcnt lgkmcnt(2)
	v_fmac_f32_e32 v193, v164, v140
	s_waitcnt vmcnt(7)
	s_delay_alu instid0(VALU_DEP_1) | instskip(SKIP_4) | instid1(VALU_DEP_1)
	v_fmac_f32_e32 v193, v165, v141
	ds_load_2addr_b32 v[138:139], v4 offset0:101 offset1:102
	ds_load_2addr_b32 v[140:141], v4 offset0:103 offset1:104
	s_waitcnt lgkmcnt(3)
	v_fmac_f32_e32 v193, v166, v134
	v_fmac_f32_e32 v193, v167, v135
	ds_load_2addr_b32 v[134:135], v4 offset0:105 offset1:106
	;; [unrolled: 41-line block ×3, first 2 shown]
	s_waitcnt lgkmcnt(3)
	v_fmac_f32_e32 v193, v184, v136
	s_waitcnt vmcnt(2)
	s_delay_alu instid0(VALU_DEP_1) | instskip(SKIP_3) | instid1(VALU_DEP_1)
	v_fmac_f32_e32 v193, v185, v137
	ds_load_2addr_b32 v[136:137], v4 offset0:123 offset1:124
	s_waitcnt lgkmcnt(3)
	v_fmac_f32_e32 v193, v186, v138
	v_fmac_f32_e32 v193, v187, v139
	ds_load_2addr_b32 v[138:139], v4 offset0:125 offset1:126
	ds_load_b32 v4, v4 offset:508
	s_waitcnt lgkmcnt(4)
	v_fmac_f32_e32 v193, v188, v140
	s_waitcnt vmcnt(1)
	s_delay_alu instid0(VALU_DEP_1) | instskip(SKIP_1) | instid1(VALU_DEP_1)
	v_fmac_f32_e32 v193, v189, v141
	s_waitcnt lgkmcnt(3)
	v_fmac_f32_e32 v193, v190, v134
	s_delay_alu instid0(VALU_DEP_1) | instskip(SKIP_1) | instid1(VALU_DEP_1)
	v_fmac_f32_e32 v193, v191, v135
	s_waitcnt lgkmcnt(2)
	v_fmac_f32_e32 v193, v192, v136
	s_waitcnt vmcnt(0)
	s_delay_alu instid0(VALU_DEP_1) | instskip(SKIP_1) | instid1(VALU_DEP_1)
	v_fmac_f32_e32 v193, v0, v137
	s_waitcnt lgkmcnt(1)
	v_fmac_f32_e32 v193, v1, v138
	s_delay_alu instid0(VALU_DEP_1) | instskip(SKIP_1) | instid1(VALU_DEP_1)
	v_fmac_f32_e32 v193, v2, v139
	s_waitcnt lgkmcnt(0)
	v_fmac_f32_e32 v193, v3, v4
	s_delay_alu instid0(VALU_DEP_1)
	v_sub_f32_e32 v0, v133, v193
	scratch_store_b32 off, v0, off
	s_cbranch_vccz .LBB127_519
; %bb.392:
	v_dual_mov_b32 v0, s2 :: v_dual_mov_b32 v1, s3
	s_mov_b32 s0, exec_lo
	flat_load_b32 v0, v[0:1] offset:248
	s_waitcnt vmcnt(0) lgkmcnt(0)
	v_cmpx_ne_u32_e32 63, v0
	s_cbranch_execz .LBB127_394
; %bb.393:
	v_lshl_add_u32 v0, v0, 2, 0
	scratch_load_b32 v1, v0, off offset:-4
	s_waitcnt vmcnt(0)
	scratch_store_b32 off, v1, off offset:248
	scratch_store_b32 v0, v2, off offset:-4
.LBB127_394:
	s_or_b32 exec_lo, exec_lo, s0
	v_dual_mov_b32 v0, s2 :: v_dual_mov_b32 v1, s3
	s_mov_b32 s0, exec_lo
	flat_load_b32 v0, v[0:1] offset:244
	s_waitcnt vmcnt(0) lgkmcnt(0)
	v_cmpx_ne_u32_e32 62, v0
	s_cbranch_execz .LBB127_396
; %bb.395:
	v_lshl_add_u32 v0, v0, 2, 0
	scratch_load_b32 v1, v0, off offset:-4
	scratch_load_b32 v2, off, off offset:244
	s_waitcnt vmcnt(1)
	scratch_store_b32 off, v1, off offset:244
	s_waitcnt vmcnt(0)
	scratch_store_b32 v0, v2, off offset:-4
.LBB127_396:
	s_or_b32 exec_lo, exec_lo, s0
	v_dual_mov_b32 v0, s2 :: v_dual_mov_b32 v1, s3
	s_mov_b32 s0, exec_lo
	flat_load_b32 v0, v[0:1] offset:240
	s_waitcnt vmcnt(0) lgkmcnt(0)
	v_cmpx_ne_u32_e32 61, v0
	s_cbranch_execz .LBB127_398
; %bb.397:
	v_lshl_add_u32 v0, v0, 2, 0
	scratch_load_b32 v1, v0, off offset:-4
	scratch_load_b32 v2, off, off offset:240
	s_waitcnt vmcnt(1)
	scratch_store_b32 off, v1, off offset:240
	s_waitcnt vmcnt(0)
	scratch_store_b32 v0, v2, off offset:-4
.LBB127_398:
	s_or_b32 exec_lo, exec_lo, s0
	v_dual_mov_b32 v0, s2 :: v_dual_mov_b32 v1, s3
	s_mov_b32 s0, exec_lo
	flat_load_b32 v0, v[0:1] offset:236
	s_waitcnt vmcnt(0) lgkmcnt(0)
	v_cmpx_ne_u32_e32 60, v0
	s_cbranch_execz .LBB127_400
; %bb.399:
	v_lshl_add_u32 v0, v0, 2, 0
	scratch_load_b32 v1, v0, off offset:-4
	scratch_load_b32 v2, off, off offset:236
	s_waitcnt vmcnt(1)
	scratch_store_b32 off, v1, off offset:236
	s_waitcnt vmcnt(0)
	scratch_store_b32 v0, v2, off offset:-4
.LBB127_400:
	s_or_b32 exec_lo, exec_lo, s0
	v_dual_mov_b32 v0, s2 :: v_dual_mov_b32 v1, s3
	s_mov_b32 s0, exec_lo
	flat_load_b32 v0, v[0:1] offset:232
	s_waitcnt vmcnt(0) lgkmcnt(0)
	v_cmpx_ne_u32_e32 59, v0
	s_cbranch_execz .LBB127_402
; %bb.401:
	v_lshl_add_u32 v0, v0, 2, 0
	scratch_load_b32 v1, v0, off offset:-4
	scratch_load_b32 v2, off, off offset:232
	s_waitcnt vmcnt(1)
	scratch_store_b32 off, v1, off offset:232
	s_waitcnt vmcnt(0)
	scratch_store_b32 v0, v2, off offset:-4
.LBB127_402:
	s_or_b32 exec_lo, exec_lo, s0
	v_dual_mov_b32 v0, s2 :: v_dual_mov_b32 v1, s3
	s_mov_b32 s0, exec_lo
	flat_load_b32 v0, v[0:1] offset:228
	s_waitcnt vmcnt(0) lgkmcnt(0)
	v_cmpx_ne_u32_e32 58, v0
	s_cbranch_execz .LBB127_404
; %bb.403:
	v_lshl_add_u32 v0, v0, 2, 0
	scratch_load_b32 v1, v0, off offset:-4
	scratch_load_b32 v2, off, off offset:228
	s_waitcnt vmcnt(1)
	scratch_store_b32 off, v1, off offset:228
	s_waitcnt vmcnt(0)
	scratch_store_b32 v0, v2, off offset:-4
.LBB127_404:
	s_or_b32 exec_lo, exec_lo, s0
	v_dual_mov_b32 v0, s2 :: v_dual_mov_b32 v1, s3
	s_mov_b32 s0, exec_lo
	flat_load_b32 v0, v[0:1] offset:224
	s_waitcnt vmcnt(0) lgkmcnt(0)
	v_cmpx_ne_u32_e32 57, v0
	s_cbranch_execz .LBB127_406
; %bb.405:
	v_lshl_add_u32 v0, v0, 2, 0
	scratch_load_b32 v1, v0, off offset:-4
	scratch_load_b32 v2, off, off offset:224
	s_waitcnt vmcnt(1)
	scratch_store_b32 off, v1, off offset:224
	s_waitcnt vmcnt(0)
	scratch_store_b32 v0, v2, off offset:-4
.LBB127_406:
	s_or_b32 exec_lo, exec_lo, s0
	v_dual_mov_b32 v0, s2 :: v_dual_mov_b32 v1, s3
	s_mov_b32 s0, exec_lo
	flat_load_b32 v0, v[0:1] offset:220
	s_waitcnt vmcnt(0) lgkmcnt(0)
	v_cmpx_ne_u32_e32 56, v0
	s_cbranch_execz .LBB127_408
; %bb.407:
	v_lshl_add_u32 v0, v0, 2, 0
	scratch_load_b32 v1, v0, off offset:-4
	scratch_load_b32 v2, off, off offset:220
	s_waitcnt vmcnt(1)
	scratch_store_b32 off, v1, off offset:220
	s_waitcnt vmcnt(0)
	scratch_store_b32 v0, v2, off offset:-4
.LBB127_408:
	s_or_b32 exec_lo, exec_lo, s0
	v_dual_mov_b32 v0, s2 :: v_dual_mov_b32 v1, s3
	s_mov_b32 s0, exec_lo
	flat_load_b32 v0, v[0:1] offset:216
	s_waitcnt vmcnt(0) lgkmcnt(0)
	v_cmpx_ne_u32_e32 55, v0
	s_cbranch_execz .LBB127_410
; %bb.409:
	v_lshl_add_u32 v0, v0, 2, 0
	scratch_load_b32 v1, v0, off offset:-4
	scratch_load_b32 v2, off, off offset:216
	s_waitcnt vmcnt(1)
	scratch_store_b32 off, v1, off offset:216
	s_waitcnt vmcnt(0)
	scratch_store_b32 v0, v2, off offset:-4
.LBB127_410:
	s_or_b32 exec_lo, exec_lo, s0
	v_dual_mov_b32 v0, s2 :: v_dual_mov_b32 v1, s3
	s_mov_b32 s0, exec_lo
	flat_load_b32 v0, v[0:1] offset:212
	s_waitcnt vmcnt(0) lgkmcnt(0)
	v_cmpx_ne_u32_e32 54, v0
	s_cbranch_execz .LBB127_412
; %bb.411:
	v_lshl_add_u32 v0, v0, 2, 0
	scratch_load_b32 v1, v0, off offset:-4
	scratch_load_b32 v2, off, off offset:212
	s_waitcnt vmcnt(1)
	scratch_store_b32 off, v1, off offset:212
	s_waitcnt vmcnt(0)
	scratch_store_b32 v0, v2, off offset:-4
.LBB127_412:
	s_or_b32 exec_lo, exec_lo, s0
	v_dual_mov_b32 v0, s2 :: v_dual_mov_b32 v1, s3
	s_mov_b32 s0, exec_lo
	flat_load_b32 v0, v[0:1] offset:208
	s_waitcnt vmcnt(0) lgkmcnt(0)
	v_cmpx_ne_u32_e32 53, v0
	s_cbranch_execz .LBB127_414
; %bb.413:
	v_lshl_add_u32 v0, v0, 2, 0
	scratch_load_b32 v1, v0, off offset:-4
	scratch_load_b32 v2, off, off offset:208
	s_waitcnt vmcnt(1)
	scratch_store_b32 off, v1, off offset:208
	s_waitcnt vmcnt(0)
	scratch_store_b32 v0, v2, off offset:-4
.LBB127_414:
	s_or_b32 exec_lo, exec_lo, s0
	v_dual_mov_b32 v0, s2 :: v_dual_mov_b32 v1, s3
	s_mov_b32 s0, exec_lo
	flat_load_b32 v0, v[0:1] offset:204
	s_waitcnt vmcnt(0) lgkmcnt(0)
	v_cmpx_ne_u32_e32 52, v0
	s_cbranch_execz .LBB127_416
; %bb.415:
	v_lshl_add_u32 v0, v0, 2, 0
	scratch_load_b32 v1, v0, off offset:-4
	scratch_load_b32 v2, off, off offset:204
	s_waitcnt vmcnt(1)
	scratch_store_b32 off, v1, off offset:204
	s_waitcnt vmcnt(0)
	scratch_store_b32 v0, v2, off offset:-4
.LBB127_416:
	s_or_b32 exec_lo, exec_lo, s0
	v_dual_mov_b32 v0, s2 :: v_dual_mov_b32 v1, s3
	s_mov_b32 s0, exec_lo
	flat_load_b32 v0, v[0:1] offset:200
	s_waitcnt vmcnt(0) lgkmcnt(0)
	v_cmpx_ne_u32_e32 51, v0
	s_cbranch_execz .LBB127_418
; %bb.417:
	v_lshl_add_u32 v0, v0, 2, 0
	scratch_load_b32 v1, v0, off offset:-4
	scratch_load_b32 v2, off, off offset:200
	s_waitcnt vmcnt(1)
	scratch_store_b32 off, v1, off offset:200
	s_waitcnt vmcnt(0)
	scratch_store_b32 v0, v2, off offset:-4
.LBB127_418:
	s_or_b32 exec_lo, exec_lo, s0
	v_dual_mov_b32 v0, s2 :: v_dual_mov_b32 v1, s3
	s_mov_b32 s0, exec_lo
	flat_load_b32 v0, v[0:1] offset:196
	s_waitcnt vmcnt(0) lgkmcnt(0)
	v_cmpx_ne_u32_e32 50, v0
	s_cbranch_execz .LBB127_420
; %bb.419:
	v_lshl_add_u32 v0, v0, 2, 0
	scratch_load_b32 v1, v0, off offset:-4
	scratch_load_b32 v2, off, off offset:196
	s_waitcnt vmcnt(1)
	scratch_store_b32 off, v1, off offset:196
	s_waitcnt vmcnt(0)
	scratch_store_b32 v0, v2, off offset:-4
.LBB127_420:
	s_or_b32 exec_lo, exec_lo, s0
	v_dual_mov_b32 v0, s2 :: v_dual_mov_b32 v1, s3
	s_mov_b32 s0, exec_lo
	flat_load_b32 v0, v[0:1] offset:192
	s_waitcnt vmcnt(0) lgkmcnt(0)
	v_cmpx_ne_u32_e32 49, v0
	s_cbranch_execz .LBB127_422
; %bb.421:
	v_lshl_add_u32 v0, v0, 2, 0
	scratch_load_b32 v1, v0, off offset:-4
	scratch_load_b32 v2, off, off offset:192
	s_waitcnt vmcnt(1)
	scratch_store_b32 off, v1, off offset:192
	s_waitcnt vmcnt(0)
	scratch_store_b32 v0, v2, off offset:-4
.LBB127_422:
	s_or_b32 exec_lo, exec_lo, s0
	v_dual_mov_b32 v0, s2 :: v_dual_mov_b32 v1, s3
	s_mov_b32 s0, exec_lo
	flat_load_b32 v0, v[0:1] offset:188
	s_waitcnt vmcnt(0) lgkmcnt(0)
	v_cmpx_ne_u32_e32 48, v0
	s_cbranch_execz .LBB127_424
; %bb.423:
	v_lshl_add_u32 v0, v0, 2, 0
	scratch_load_b32 v1, v0, off offset:-4
	scratch_load_b32 v2, off, off offset:188
	s_waitcnt vmcnt(1)
	scratch_store_b32 off, v1, off offset:188
	s_waitcnt vmcnt(0)
	scratch_store_b32 v0, v2, off offset:-4
.LBB127_424:
	s_or_b32 exec_lo, exec_lo, s0
	v_dual_mov_b32 v0, s2 :: v_dual_mov_b32 v1, s3
	s_mov_b32 s0, exec_lo
	flat_load_b32 v0, v[0:1] offset:184
	s_waitcnt vmcnt(0) lgkmcnt(0)
	v_cmpx_ne_u32_e32 47, v0
	s_cbranch_execz .LBB127_426
; %bb.425:
	v_lshl_add_u32 v0, v0, 2, 0
	scratch_load_b32 v1, v0, off offset:-4
	scratch_load_b32 v2, off, off offset:184
	s_waitcnt vmcnt(1)
	scratch_store_b32 off, v1, off offset:184
	s_waitcnt vmcnt(0)
	scratch_store_b32 v0, v2, off offset:-4
.LBB127_426:
	s_or_b32 exec_lo, exec_lo, s0
	v_dual_mov_b32 v0, s2 :: v_dual_mov_b32 v1, s3
	s_mov_b32 s0, exec_lo
	flat_load_b32 v0, v[0:1] offset:180
	s_waitcnt vmcnt(0) lgkmcnt(0)
	v_cmpx_ne_u32_e32 46, v0
	s_cbranch_execz .LBB127_428
; %bb.427:
	v_lshl_add_u32 v0, v0, 2, 0
	scratch_load_b32 v1, v0, off offset:-4
	scratch_load_b32 v2, off, off offset:180
	s_waitcnt vmcnt(1)
	scratch_store_b32 off, v1, off offset:180
	s_waitcnt vmcnt(0)
	scratch_store_b32 v0, v2, off offset:-4
.LBB127_428:
	s_or_b32 exec_lo, exec_lo, s0
	v_dual_mov_b32 v0, s2 :: v_dual_mov_b32 v1, s3
	s_mov_b32 s0, exec_lo
	flat_load_b32 v0, v[0:1] offset:176
	s_waitcnt vmcnt(0) lgkmcnt(0)
	v_cmpx_ne_u32_e32 45, v0
	s_cbranch_execz .LBB127_430
; %bb.429:
	v_lshl_add_u32 v0, v0, 2, 0
	scratch_load_b32 v1, v0, off offset:-4
	scratch_load_b32 v2, off, off offset:176
	s_waitcnt vmcnt(1)
	scratch_store_b32 off, v1, off offset:176
	s_waitcnt vmcnt(0)
	scratch_store_b32 v0, v2, off offset:-4
.LBB127_430:
	s_or_b32 exec_lo, exec_lo, s0
	v_dual_mov_b32 v0, s2 :: v_dual_mov_b32 v1, s3
	s_mov_b32 s0, exec_lo
	flat_load_b32 v0, v[0:1] offset:172
	s_waitcnt vmcnt(0) lgkmcnt(0)
	v_cmpx_ne_u32_e32 44, v0
	s_cbranch_execz .LBB127_432
; %bb.431:
	v_lshl_add_u32 v0, v0, 2, 0
	scratch_load_b32 v1, v0, off offset:-4
	scratch_load_b32 v2, off, off offset:172
	s_waitcnt vmcnt(1)
	scratch_store_b32 off, v1, off offset:172
	s_waitcnt vmcnt(0)
	scratch_store_b32 v0, v2, off offset:-4
.LBB127_432:
	s_or_b32 exec_lo, exec_lo, s0
	v_dual_mov_b32 v0, s2 :: v_dual_mov_b32 v1, s3
	s_mov_b32 s0, exec_lo
	flat_load_b32 v0, v[0:1] offset:168
	s_waitcnt vmcnt(0) lgkmcnt(0)
	v_cmpx_ne_u32_e32 43, v0
	s_cbranch_execz .LBB127_434
; %bb.433:
	v_lshl_add_u32 v0, v0, 2, 0
	scratch_load_b32 v1, v0, off offset:-4
	scratch_load_b32 v2, off, off offset:168
	s_waitcnt vmcnt(1)
	scratch_store_b32 off, v1, off offset:168
	s_waitcnt vmcnt(0)
	scratch_store_b32 v0, v2, off offset:-4
.LBB127_434:
	s_or_b32 exec_lo, exec_lo, s0
	v_dual_mov_b32 v0, s2 :: v_dual_mov_b32 v1, s3
	s_mov_b32 s0, exec_lo
	flat_load_b32 v0, v[0:1] offset:164
	s_waitcnt vmcnt(0) lgkmcnt(0)
	v_cmpx_ne_u32_e32 42, v0
	s_cbranch_execz .LBB127_436
; %bb.435:
	v_lshl_add_u32 v0, v0, 2, 0
	scratch_load_b32 v1, v0, off offset:-4
	scratch_load_b32 v2, off, off offset:164
	s_waitcnt vmcnt(1)
	scratch_store_b32 off, v1, off offset:164
	s_waitcnt vmcnt(0)
	scratch_store_b32 v0, v2, off offset:-4
.LBB127_436:
	s_or_b32 exec_lo, exec_lo, s0
	v_dual_mov_b32 v0, s2 :: v_dual_mov_b32 v1, s3
	s_mov_b32 s0, exec_lo
	flat_load_b32 v0, v[0:1] offset:160
	s_waitcnt vmcnt(0) lgkmcnt(0)
	v_cmpx_ne_u32_e32 41, v0
	s_cbranch_execz .LBB127_438
; %bb.437:
	v_lshl_add_u32 v0, v0, 2, 0
	scratch_load_b32 v1, v0, off offset:-4
	scratch_load_b32 v2, off, off offset:160
	s_waitcnt vmcnt(1)
	scratch_store_b32 off, v1, off offset:160
	s_waitcnt vmcnt(0)
	scratch_store_b32 v0, v2, off offset:-4
.LBB127_438:
	s_or_b32 exec_lo, exec_lo, s0
	v_dual_mov_b32 v0, s2 :: v_dual_mov_b32 v1, s3
	s_mov_b32 s0, exec_lo
	flat_load_b32 v0, v[0:1] offset:156
	s_waitcnt vmcnt(0) lgkmcnt(0)
	v_cmpx_ne_u32_e32 40, v0
	s_cbranch_execz .LBB127_440
; %bb.439:
	v_lshl_add_u32 v0, v0, 2, 0
	scratch_load_b32 v1, v0, off offset:-4
	scratch_load_b32 v2, off, off offset:156
	s_waitcnt vmcnt(1)
	scratch_store_b32 off, v1, off offset:156
	s_waitcnt vmcnt(0)
	scratch_store_b32 v0, v2, off offset:-4
.LBB127_440:
	s_or_b32 exec_lo, exec_lo, s0
	v_dual_mov_b32 v0, s2 :: v_dual_mov_b32 v1, s3
	s_mov_b32 s0, exec_lo
	flat_load_b32 v0, v[0:1] offset:152
	s_waitcnt vmcnt(0) lgkmcnt(0)
	v_cmpx_ne_u32_e32 39, v0
	s_cbranch_execz .LBB127_442
; %bb.441:
	v_lshl_add_u32 v0, v0, 2, 0
	scratch_load_b32 v1, v0, off offset:-4
	scratch_load_b32 v2, off, off offset:152
	s_waitcnt vmcnt(1)
	scratch_store_b32 off, v1, off offset:152
	s_waitcnt vmcnt(0)
	scratch_store_b32 v0, v2, off offset:-4
.LBB127_442:
	s_or_b32 exec_lo, exec_lo, s0
	v_dual_mov_b32 v0, s2 :: v_dual_mov_b32 v1, s3
	s_mov_b32 s0, exec_lo
	flat_load_b32 v0, v[0:1] offset:148
	s_waitcnt vmcnt(0) lgkmcnt(0)
	v_cmpx_ne_u32_e32 38, v0
	s_cbranch_execz .LBB127_444
; %bb.443:
	v_lshl_add_u32 v0, v0, 2, 0
	scratch_load_b32 v1, v0, off offset:-4
	scratch_load_b32 v2, off, off offset:148
	s_waitcnt vmcnt(1)
	scratch_store_b32 off, v1, off offset:148
	s_waitcnt vmcnt(0)
	scratch_store_b32 v0, v2, off offset:-4
.LBB127_444:
	s_or_b32 exec_lo, exec_lo, s0
	v_dual_mov_b32 v0, s2 :: v_dual_mov_b32 v1, s3
	s_mov_b32 s0, exec_lo
	flat_load_b32 v0, v[0:1] offset:144
	s_waitcnt vmcnt(0) lgkmcnt(0)
	v_cmpx_ne_u32_e32 37, v0
	s_cbranch_execz .LBB127_446
; %bb.445:
	v_lshl_add_u32 v0, v0, 2, 0
	scratch_load_b32 v1, v0, off offset:-4
	scratch_load_b32 v2, off, off offset:144
	s_waitcnt vmcnt(1)
	scratch_store_b32 off, v1, off offset:144
	s_waitcnt vmcnt(0)
	scratch_store_b32 v0, v2, off offset:-4
.LBB127_446:
	s_or_b32 exec_lo, exec_lo, s0
	v_dual_mov_b32 v0, s2 :: v_dual_mov_b32 v1, s3
	s_mov_b32 s0, exec_lo
	flat_load_b32 v0, v[0:1] offset:140
	s_waitcnt vmcnt(0) lgkmcnt(0)
	v_cmpx_ne_u32_e32 36, v0
	s_cbranch_execz .LBB127_448
; %bb.447:
	v_lshl_add_u32 v0, v0, 2, 0
	scratch_load_b32 v1, v0, off offset:-4
	scratch_load_b32 v2, off, off offset:140
	s_waitcnt vmcnt(1)
	scratch_store_b32 off, v1, off offset:140
	s_waitcnt vmcnt(0)
	scratch_store_b32 v0, v2, off offset:-4
.LBB127_448:
	s_or_b32 exec_lo, exec_lo, s0
	v_dual_mov_b32 v0, s2 :: v_dual_mov_b32 v1, s3
	s_mov_b32 s0, exec_lo
	flat_load_b32 v0, v[0:1] offset:136
	s_waitcnt vmcnt(0) lgkmcnt(0)
	v_cmpx_ne_u32_e32 35, v0
	s_cbranch_execz .LBB127_450
; %bb.449:
	v_lshl_add_u32 v0, v0, 2, 0
	scratch_load_b32 v1, v0, off offset:-4
	scratch_load_b32 v2, off, off offset:136
	s_waitcnt vmcnt(1)
	scratch_store_b32 off, v1, off offset:136
	s_waitcnt vmcnt(0)
	scratch_store_b32 v0, v2, off offset:-4
.LBB127_450:
	s_or_b32 exec_lo, exec_lo, s0
	v_dual_mov_b32 v0, s2 :: v_dual_mov_b32 v1, s3
	s_mov_b32 s0, exec_lo
	flat_load_b32 v0, v[0:1] offset:132
	s_waitcnt vmcnt(0) lgkmcnt(0)
	v_cmpx_ne_u32_e32 34, v0
	s_cbranch_execz .LBB127_452
; %bb.451:
	v_lshl_add_u32 v0, v0, 2, 0
	scratch_load_b32 v1, v0, off offset:-4
	scratch_load_b32 v2, off, off offset:132
	s_waitcnt vmcnt(1)
	scratch_store_b32 off, v1, off offset:132
	s_waitcnt vmcnt(0)
	scratch_store_b32 v0, v2, off offset:-4
.LBB127_452:
	s_or_b32 exec_lo, exec_lo, s0
	v_dual_mov_b32 v0, s2 :: v_dual_mov_b32 v1, s3
	s_mov_b32 s0, exec_lo
	flat_load_b32 v0, v[0:1] offset:128
	s_waitcnt vmcnt(0) lgkmcnt(0)
	v_cmpx_ne_u32_e32 33, v0
	s_cbranch_execz .LBB127_454
; %bb.453:
	v_lshl_add_u32 v0, v0, 2, 0
	scratch_load_b32 v1, v0, off offset:-4
	scratch_load_b32 v2, off, off offset:128
	s_waitcnt vmcnt(1)
	scratch_store_b32 off, v1, off offset:128
	s_waitcnt vmcnt(0)
	scratch_store_b32 v0, v2, off offset:-4
.LBB127_454:
	s_or_b32 exec_lo, exec_lo, s0
	v_dual_mov_b32 v0, s2 :: v_dual_mov_b32 v1, s3
	s_mov_b32 s0, exec_lo
	flat_load_b32 v0, v[0:1] offset:124
	s_waitcnt vmcnt(0) lgkmcnt(0)
	v_cmpx_ne_u32_e32 32, v0
	s_cbranch_execz .LBB127_456
; %bb.455:
	v_lshl_add_u32 v0, v0, 2, 0
	scratch_load_b32 v1, v0, off offset:-4
	scratch_load_b32 v2, off, off offset:124
	s_waitcnt vmcnt(1)
	scratch_store_b32 off, v1, off offset:124
	s_waitcnt vmcnt(0)
	scratch_store_b32 v0, v2, off offset:-4
.LBB127_456:
	s_or_b32 exec_lo, exec_lo, s0
	v_dual_mov_b32 v0, s2 :: v_dual_mov_b32 v1, s3
	s_mov_b32 s0, exec_lo
	flat_load_b32 v0, v[0:1] offset:120
	s_waitcnt vmcnt(0) lgkmcnt(0)
	v_cmpx_ne_u32_e32 31, v0
	s_cbranch_execz .LBB127_458
; %bb.457:
	v_lshl_add_u32 v0, v0, 2, 0
	scratch_load_b32 v1, v0, off offset:-4
	scratch_load_b32 v2, off, off offset:120
	s_waitcnt vmcnt(1)
	scratch_store_b32 off, v1, off offset:120
	s_waitcnt vmcnt(0)
	scratch_store_b32 v0, v2, off offset:-4
.LBB127_458:
	s_or_b32 exec_lo, exec_lo, s0
	v_dual_mov_b32 v0, s2 :: v_dual_mov_b32 v1, s3
	s_mov_b32 s0, exec_lo
	flat_load_b32 v0, v[0:1] offset:116
	s_waitcnt vmcnt(0) lgkmcnt(0)
	v_cmpx_ne_u32_e32 30, v0
	s_cbranch_execz .LBB127_460
; %bb.459:
	v_lshl_add_u32 v0, v0, 2, 0
	scratch_load_b32 v1, v0, off offset:-4
	scratch_load_b32 v2, off, off offset:116
	s_waitcnt vmcnt(1)
	scratch_store_b32 off, v1, off offset:116
	s_waitcnt vmcnt(0)
	scratch_store_b32 v0, v2, off offset:-4
.LBB127_460:
	s_or_b32 exec_lo, exec_lo, s0
	v_dual_mov_b32 v0, s2 :: v_dual_mov_b32 v1, s3
	s_mov_b32 s0, exec_lo
	flat_load_b32 v0, v[0:1] offset:112
	s_waitcnt vmcnt(0) lgkmcnt(0)
	v_cmpx_ne_u32_e32 29, v0
	s_cbranch_execz .LBB127_462
; %bb.461:
	v_lshl_add_u32 v0, v0, 2, 0
	scratch_load_b32 v1, v0, off offset:-4
	scratch_load_b32 v2, off, off offset:112
	s_waitcnt vmcnt(1)
	scratch_store_b32 off, v1, off offset:112
	s_waitcnt vmcnt(0)
	scratch_store_b32 v0, v2, off offset:-4
.LBB127_462:
	s_or_b32 exec_lo, exec_lo, s0
	v_dual_mov_b32 v0, s2 :: v_dual_mov_b32 v1, s3
	s_mov_b32 s0, exec_lo
	flat_load_b32 v0, v[0:1] offset:108
	s_waitcnt vmcnt(0) lgkmcnt(0)
	v_cmpx_ne_u32_e32 28, v0
	s_cbranch_execz .LBB127_464
; %bb.463:
	v_lshl_add_u32 v0, v0, 2, 0
	scratch_load_b32 v1, v0, off offset:-4
	scratch_load_b32 v2, off, off offset:108
	s_waitcnt vmcnt(1)
	scratch_store_b32 off, v1, off offset:108
	s_waitcnt vmcnt(0)
	scratch_store_b32 v0, v2, off offset:-4
.LBB127_464:
	s_or_b32 exec_lo, exec_lo, s0
	v_dual_mov_b32 v0, s2 :: v_dual_mov_b32 v1, s3
	s_mov_b32 s0, exec_lo
	flat_load_b32 v0, v[0:1] offset:104
	s_waitcnt vmcnt(0) lgkmcnt(0)
	v_cmpx_ne_u32_e32 27, v0
	s_cbranch_execz .LBB127_466
; %bb.465:
	v_lshl_add_u32 v0, v0, 2, 0
	scratch_load_b32 v1, v0, off offset:-4
	scratch_load_b32 v2, off, off offset:104
	s_waitcnt vmcnt(1)
	scratch_store_b32 off, v1, off offset:104
	s_waitcnt vmcnt(0)
	scratch_store_b32 v0, v2, off offset:-4
.LBB127_466:
	s_or_b32 exec_lo, exec_lo, s0
	v_dual_mov_b32 v0, s2 :: v_dual_mov_b32 v1, s3
	s_mov_b32 s0, exec_lo
	flat_load_b32 v0, v[0:1] offset:100
	s_waitcnt vmcnt(0) lgkmcnt(0)
	v_cmpx_ne_u32_e32 26, v0
	s_cbranch_execz .LBB127_468
; %bb.467:
	v_lshl_add_u32 v0, v0, 2, 0
	scratch_load_b32 v1, v0, off offset:-4
	scratch_load_b32 v2, off, off offset:100
	s_waitcnt vmcnt(1)
	scratch_store_b32 off, v1, off offset:100
	s_waitcnt vmcnt(0)
	scratch_store_b32 v0, v2, off offset:-4
.LBB127_468:
	s_or_b32 exec_lo, exec_lo, s0
	v_dual_mov_b32 v0, s2 :: v_dual_mov_b32 v1, s3
	s_mov_b32 s0, exec_lo
	flat_load_b32 v0, v[0:1] offset:96
	s_waitcnt vmcnt(0) lgkmcnt(0)
	v_cmpx_ne_u32_e32 25, v0
	s_cbranch_execz .LBB127_470
; %bb.469:
	v_lshl_add_u32 v0, v0, 2, 0
	scratch_load_b32 v1, v0, off offset:-4
	scratch_load_b32 v2, off, off offset:96
	s_waitcnt vmcnt(1)
	scratch_store_b32 off, v1, off offset:96
	s_waitcnt vmcnt(0)
	scratch_store_b32 v0, v2, off offset:-4
.LBB127_470:
	s_or_b32 exec_lo, exec_lo, s0
	v_dual_mov_b32 v0, s2 :: v_dual_mov_b32 v1, s3
	s_mov_b32 s0, exec_lo
	flat_load_b32 v0, v[0:1] offset:92
	s_waitcnt vmcnt(0) lgkmcnt(0)
	v_cmpx_ne_u32_e32 24, v0
	s_cbranch_execz .LBB127_472
; %bb.471:
	v_lshl_add_u32 v0, v0, 2, 0
	scratch_load_b32 v1, v0, off offset:-4
	scratch_load_b32 v2, off, off offset:92
	s_waitcnt vmcnt(1)
	scratch_store_b32 off, v1, off offset:92
	s_waitcnt vmcnt(0)
	scratch_store_b32 v0, v2, off offset:-4
.LBB127_472:
	s_or_b32 exec_lo, exec_lo, s0
	v_dual_mov_b32 v0, s2 :: v_dual_mov_b32 v1, s3
	s_mov_b32 s0, exec_lo
	flat_load_b32 v0, v[0:1] offset:88
	s_waitcnt vmcnt(0) lgkmcnt(0)
	v_cmpx_ne_u32_e32 23, v0
	s_cbranch_execz .LBB127_474
; %bb.473:
	v_lshl_add_u32 v0, v0, 2, 0
	scratch_load_b32 v1, v0, off offset:-4
	scratch_load_b32 v2, off, off offset:88
	s_waitcnt vmcnt(1)
	scratch_store_b32 off, v1, off offset:88
	s_waitcnt vmcnt(0)
	scratch_store_b32 v0, v2, off offset:-4
.LBB127_474:
	s_or_b32 exec_lo, exec_lo, s0
	v_dual_mov_b32 v0, s2 :: v_dual_mov_b32 v1, s3
	s_mov_b32 s0, exec_lo
	flat_load_b32 v0, v[0:1] offset:84
	s_waitcnt vmcnt(0) lgkmcnt(0)
	v_cmpx_ne_u32_e32 22, v0
	s_cbranch_execz .LBB127_476
; %bb.475:
	v_lshl_add_u32 v0, v0, 2, 0
	scratch_load_b32 v1, v0, off offset:-4
	scratch_load_b32 v2, off, off offset:84
	s_waitcnt vmcnt(1)
	scratch_store_b32 off, v1, off offset:84
	s_waitcnt vmcnt(0)
	scratch_store_b32 v0, v2, off offset:-4
.LBB127_476:
	s_or_b32 exec_lo, exec_lo, s0
	v_dual_mov_b32 v0, s2 :: v_dual_mov_b32 v1, s3
	s_mov_b32 s0, exec_lo
	flat_load_b32 v0, v[0:1] offset:80
	s_waitcnt vmcnt(0) lgkmcnt(0)
	v_cmpx_ne_u32_e32 21, v0
	s_cbranch_execz .LBB127_478
; %bb.477:
	v_lshl_add_u32 v0, v0, 2, 0
	scratch_load_b32 v1, v0, off offset:-4
	scratch_load_b32 v2, off, off offset:80
	s_waitcnt vmcnt(1)
	scratch_store_b32 off, v1, off offset:80
	s_waitcnt vmcnt(0)
	scratch_store_b32 v0, v2, off offset:-4
.LBB127_478:
	s_or_b32 exec_lo, exec_lo, s0
	v_dual_mov_b32 v0, s2 :: v_dual_mov_b32 v1, s3
	s_mov_b32 s0, exec_lo
	flat_load_b32 v0, v[0:1] offset:76
	s_waitcnt vmcnt(0) lgkmcnt(0)
	v_cmpx_ne_u32_e32 20, v0
	s_cbranch_execz .LBB127_480
; %bb.479:
	v_lshl_add_u32 v0, v0, 2, 0
	scratch_load_b32 v1, v0, off offset:-4
	scratch_load_b32 v2, off, off offset:76
	s_waitcnt vmcnt(1)
	scratch_store_b32 off, v1, off offset:76
	s_waitcnt vmcnt(0)
	scratch_store_b32 v0, v2, off offset:-4
.LBB127_480:
	s_or_b32 exec_lo, exec_lo, s0
	v_dual_mov_b32 v0, s2 :: v_dual_mov_b32 v1, s3
	s_mov_b32 s0, exec_lo
	flat_load_b32 v0, v[0:1] offset:72
	s_waitcnt vmcnt(0) lgkmcnt(0)
	v_cmpx_ne_u32_e32 19, v0
	s_cbranch_execz .LBB127_482
; %bb.481:
	v_lshl_add_u32 v0, v0, 2, 0
	scratch_load_b32 v1, v0, off offset:-4
	scratch_load_b32 v2, off, off offset:72
	s_waitcnt vmcnt(1)
	scratch_store_b32 off, v1, off offset:72
	s_waitcnt vmcnt(0)
	scratch_store_b32 v0, v2, off offset:-4
.LBB127_482:
	s_or_b32 exec_lo, exec_lo, s0
	v_dual_mov_b32 v0, s2 :: v_dual_mov_b32 v1, s3
	s_mov_b32 s0, exec_lo
	flat_load_b32 v0, v[0:1] offset:68
	s_waitcnt vmcnt(0) lgkmcnt(0)
	v_cmpx_ne_u32_e32 18, v0
	s_cbranch_execz .LBB127_484
; %bb.483:
	v_lshl_add_u32 v0, v0, 2, 0
	scratch_load_b32 v1, v0, off offset:-4
	scratch_load_b32 v2, off, off offset:68
	s_waitcnt vmcnt(1)
	scratch_store_b32 off, v1, off offset:68
	s_waitcnt vmcnt(0)
	scratch_store_b32 v0, v2, off offset:-4
.LBB127_484:
	s_or_b32 exec_lo, exec_lo, s0
	v_dual_mov_b32 v0, s2 :: v_dual_mov_b32 v1, s3
	s_mov_b32 s0, exec_lo
	flat_load_b32 v0, v[0:1] offset:64
	s_waitcnt vmcnt(0) lgkmcnt(0)
	v_cmpx_ne_u32_e32 17, v0
	s_cbranch_execz .LBB127_486
; %bb.485:
	v_lshl_add_u32 v0, v0, 2, 0
	scratch_load_b32 v1, v0, off offset:-4
	scratch_load_b32 v2, off, off offset:64
	s_waitcnt vmcnt(1)
	scratch_store_b32 off, v1, off offset:64
	s_waitcnt vmcnt(0)
	scratch_store_b32 v0, v2, off offset:-4
.LBB127_486:
	s_or_b32 exec_lo, exec_lo, s0
	v_dual_mov_b32 v0, s2 :: v_dual_mov_b32 v1, s3
	s_mov_b32 s0, exec_lo
	flat_load_b32 v0, v[0:1] offset:60
	s_waitcnt vmcnt(0) lgkmcnt(0)
	v_cmpx_ne_u32_e32 16, v0
	s_cbranch_execz .LBB127_488
; %bb.487:
	v_lshl_add_u32 v0, v0, 2, 0
	scratch_load_b32 v1, v0, off offset:-4
	scratch_load_b32 v2, off, off offset:60
	s_waitcnt vmcnt(1)
	scratch_store_b32 off, v1, off offset:60
	s_waitcnt vmcnt(0)
	scratch_store_b32 v0, v2, off offset:-4
.LBB127_488:
	s_or_b32 exec_lo, exec_lo, s0
	v_dual_mov_b32 v0, s2 :: v_dual_mov_b32 v1, s3
	s_mov_b32 s0, exec_lo
	flat_load_b32 v0, v[0:1] offset:56
	s_waitcnt vmcnt(0) lgkmcnt(0)
	v_cmpx_ne_u32_e32 15, v0
	s_cbranch_execz .LBB127_490
; %bb.489:
	v_lshl_add_u32 v0, v0, 2, 0
	scratch_load_b32 v1, v0, off offset:-4
	scratch_load_b32 v2, off, off offset:56
	s_waitcnt vmcnt(1)
	scratch_store_b32 off, v1, off offset:56
	s_waitcnt vmcnt(0)
	scratch_store_b32 v0, v2, off offset:-4
.LBB127_490:
	s_or_b32 exec_lo, exec_lo, s0
	v_dual_mov_b32 v0, s2 :: v_dual_mov_b32 v1, s3
	s_mov_b32 s0, exec_lo
	flat_load_b32 v0, v[0:1] offset:52
	s_waitcnt vmcnt(0) lgkmcnt(0)
	v_cmpx_ne_u32_e32 14, v0
	s_cbranch_execz .LBB127_492
; %bb.491:
	v_lshl_add_u32 v0, v0, 2, 0
	scratch_load_b32 v1, v0, off offset:-4
	scratch_load_b32 v2, off, off offset:52
	s_waitcnt vmcnt(1)
	scratch_store_b32 off, v1, off offset:52
	s_waitcnt vmcnt(0)
	scratch_store_b32 v0, v2, off offset:-4
.LBB127_492:
	s_or_b32 exec_lo, exec_lo, s0
	v_dual_mov_b32 v0, s2 :: v_dual_mov_b32 v1, s3
	s_mov_b32 s0, exec_lo
	flat_load_b32 v0, v[0:1] offset:48
	s_waitcnt vmcnt(0) lgkmcnt(0)
	v_cmpx_ne_u32_e32 13, v0
	s_cbranch_execz .LBB127_494
; %bb.493:
	v_lshl_add_u32 v0, v0, 2, 0
	scratch_load_b32 v1, v0, off offset:-4
	scratch_load_b32 v2, off, off offset:48
	s_waitcnt vmcnt(1)
	scratch_store_b32 off, v1, off offset:48
	s_waitcnt vmcnt(0)
	scratch_store_b32 v0, v2, off offset:-4
.LBB127_494:
	s_or_b32 exec_lo, exec_lo, s0
	v_dual_mov_b32 v0, s2 :: v_dual_mov_b32 v1, s3
	s_mov_b32 s0, exec_lo
	flat_load_b32 v0, v[0:1] offset:44
	s_waitcnt vmcnt(0) lgkmcnt(0)
	v_cmpx_ne_u32_e32 12, v0
	s_cbranch_execz .LBB127_496
; %bb.495:
	v_lshl_add_u32 v0, v0, 2, 0
	scratch_load_b32 v1, v0, off offset:-4
	scratch_load_b32 v2, off, off offset:44
	s_waitcnt vmcnt(1)
	scratch_store_b32 off, v1, off offset:44
	s_waitcnt vmcnt(0)
	scratch_store_b32 v0, v2, off offset:-4
.LBB127_496:
	s_or_b32 exec_lo, exec_lo, s0
	v_dual_mov_b32 v0, s2 :: v_dual_mov_b32 v1, s3
	s_mov_b32 s0, exec_lo
	flat_load_b32 v0, v[0:1] offset:40
	s_waitcnt vmcnt(0) lgkmcnt(0)
	v_cmpx_ne_u32_e32 11, v0
	s_cbranch_execz .LBB127_498
; %bb.497:
	v_lshl_add_u32 v0, v0, 2, 0
	scratch_load_b32 v1, v0, off offset:-4
	scratch_load_b32 v2, off, off offset:40
	s_waitcnt vmcnt(1)
	scratch_store_b32 off, v1, off offset:40
	s_waitcnt vmcnt(0)
	scratch_store_b32 v0, v2, off offset:-4
.LBB127_498:
	s_or_b32 exec_lo, exec_lo, s0
	v_dual_mov_b32 v0, s2 :: v_dual_mov_b32 v1, s3
	s_mov_b32 s0, exec_lo
	flat_load_b32 v0, v[0:1] offset:36
	s_waitcnt vmcnt(0) lgkmcnt(0)
	v_cmpx_ne_u32_e32 10, v0
	s_cbranch_execz .LBB127_500
; %bb.499:
	v_lshl_add_u32 v0, v0, 2, 0
	scratch_load_b32 v1, v0, off offset:-4
	scratch_load_b32 v2, off, off offset:36
	s_waitcnt vmcnt(1)
	scratch_store_b32 off, v1, off offset:36
	s_waitcnt vmcnt(0)
	scratch_store_b32 v0, v2, off offset:-4
.LBB127_500:
	s_or_b32 exec_lo, exec_lo, s0
	v_dual_mov_b32 v0, s2 :: v_dual_mov_b32 v1, s3
	s_mov_b32 s0, exec_lo
	flat_load_b32 v0, v[0:1] offset:32
	s_waitcnt vmcnt(0) lgkmcnt(0)
	v_cmpx_ne_u32_e32 9, v0
	s_cbranch_execz .LBB127_502
; %bb.501:
	v_lshl_add_u32 v0, v0, 2, 0
	scratch_load_b32 v1, v0, off offset:-4
	scratch_load_b32 v2, off, off offset:32
	s_waitcnt vmcnt(1)
	scratch_store_b32 off, v1, off offset:32
	s_waitcnt vmcnt(0)
	scratch_store_b32 v0, v2, off offset:-4
.LBB127_502:
	s_or_b32 exec_lo, exec_lo, s0
	v_dual_mov_b32 v0, s2 :: v_dual_mov_b32 v1, s3
	s_mov_b32 s0, exec_lo
	flat_load_b32 v0, v[0:1] offset:28
	s_waitcnt vmcnt(0) lgkmcnt(0)
	v_cmpx_ne_u32_e32 8, v0
	s_cbranch_execz .LBB127_504
; %bb.503:
	v_lshl_add_u32 v0, v0, 2, 0
	scratch_load_b32 v1, v0, off offset:-4
	scratch_load_b32 v2, off, off offset:28
	s_waitcnt vmcnt(1)
	scratch_store_b32 off, v1, off offset:28
	s_waitcnt vmcnt(0)
	scratch_store_b32 v0, v2, off offset:-4
.LBB127_504:
	s_or_b32 exec_lo, exec_lo, s0
	v_dual_mov_b32 v0, s2 :: v_dual_mov_b32 v1, s3
	s_mov_b32 s0, exec_lo
	flat_load_b32 v0, v[0:1] offset:24
	s_waitcnt vmcnt(0) lgkmcnt(0)
	v_cmpx_ne_u32_e32 7, v0
	s_cbranch_execz .LBB127_506
; %bb.505:
	v_lshl_add_u32 v0, v0, 2, 0
	scratch_load_b32 v1, v0, off offset:-4
	scratch_load_b32 v2, off, off offset:24
	s_waitcnt vmcnt(1)
	scratch_store_b32 off, v1, off offset:24
	s_waitcnt vmcnt(0)
	scratch_store_b32 v0, v2, off offset:-4
.LBB127_506:
	s_or_b32 exec_lo, exec_lo, s0
	v_dual_mov_b32 v0, s2 :: v_dual_mov_b32 v1, s3
	s_mov_b32 s0, exec_lo
	flat_load_b32 v0, v[0:1] offset:20
	s_waitcnt vmcnt(0) lgkmcnt(0)
	v_cmpx_ne_u32_e32 6, v0
	s_cbranch_execz .LBB127_508
; %bb.507:
	v_lshl_add_u32 v0, v0, 2, 0
	scratch_load_b32 v1, v0, off offset:-4
	scratch_load_b32 v2, off, off offset:20
	s_waitcnt vmcnt(1)
	scratch_store_b32 off, v1, off offset:20
	s_waitcnt vmcnt(0)
	scratch_store_b32 v0, v2, off offset:-4
.LBB127_508:
	s_or_b32 exec_lo, exec_lo, s0
	v_dual_mov_b32 v0, s2 :: v_dual_mov_b32 v1, s3
	s_mov_b32 s0, exec_lo
	flat_load_b32 v0, v[0:1] offset:16
	s_waitcnt vmcnt(0) lgkmcnt(0)
	v_cmpx_ne_u32_e32 5, v0
	s_cbranch_execz .LBB127_510
; %bb.509:
	v_lshl_add_u32 v0, v0, 2, 0
	scratch_load_b32 v1, v0, off offset:-4
	scratch_load_b32 v2, off, off offset:16
	s_waitcnt vmcnt(1)
	scratch_store_b32 off, v1, off offset:16
	s_waitcnt vmcnt(0)
	scratch_store_b32 v0, v2, off offset:-4
.LBB127_510:
	s_or_b32 exec_lo, exec_lo, s0
	v_dual_mov_b32 v0, s2 :: v_dual_mov_b32 v1, s3
	s_mov_b32 s0, exec_lo
	flat_load_b32 v0, v[0:1] offset:12
	s_waitcnt vmcnt(0) lgkmcnt(0)
	v_cmpx_ne_u32_e32 4, v0
	s_cbranch_execz .LBB127_512
; %bb.511:
	v_lshl_add_u32 v0, v0, 2, 0
	scratch_load_b32 v1, v0, off offset:-4
	scratch_load_b32 v2, off, off offset:12
	s_waitcnt vmcnt(1)
	scratch_store_b32 off, v1, off offset:12
	s_waitcnt vmcnt(0)
	scratch_store_b32 v0, v2, off offset:-4
.LBB127_512:
	s_or_b32 exec_lo, exec_lo, s0
	v_dual_mov_b32 v0, s2 :: v_dual_mov_b32 v1, s3
	s_mov_b32 s0, exec_lo
	flat_load_b32 v0, v[0:1] offset:8
	s_waitcnt vmcnt(0) lgkmcnt(0)
	v_cmpx_ne_u32_e32 3, v0
	s_cbranch_execz .LBB127_514
; %bb.513:
	v_lshl_add_u32 v0, v0, 2, 0
	scratch_load_b32 v1, v0, off offset:-4
	scratch_load_b32 v2, off, off offset:8
	s_waitcnt vmcnt(1)
	scratch_store_b32 off, v1, off offset:8
	s_waitcnt vmcnt(0)
	scratch_store_b32 v0, v2, off offset:-4
.LBB127_514:
	s_or_b32 exec_lo, exec_lo, s0
	v_dual_mov_b32 v0, s2 :: v_dual_mov_b32 v1, s3
	s_mov_b32 s0, exec_lo
	flat_load_b32 v0, v[0:1] offset:4
	s_waitcnt vmcnt(0) lgkmcnt(0)
	v_cmpx_ne_u32_e32 2, v0
	s_cbranch_execz .LBB127_516
; %bb.515:
	v_lshl_add_u32 v0, v0, 2, 0
	scratch_load_b32 v1, v0, off offset:-4
	scratch_load_b32 v2, off, off offset:4
	s_waitcnt vmcnt(1)
	scratch_store_b32 off, v1, off offset:4
	s_waitcnt vmcnt(0)
	scratch_store_b32 v0, v2, off offset:-4
.LBB127_516:
	s_or_b32 exec_lo, exec_lo, s0
	v_dual_mov_b32 v0, s2 :: v_dual_mov_b32 v1, s3
	s_mov_b32 s0, exec_lo
	flat_load_b32 v1, v[0:1]
	scratch_load_b32 v0, off, off
	s_waitcnt vmcnt(1) lgkmcnt(0)
	v_cmpx_ne_u32_e32 1, v1
	s_cbranch_execz .LBB127_518
; %bb.517:
	v_lshl_add_u32 v1, v1, 2, 0
	scratch_load_b32 v2, v1, off offset:-4
	s_waitcnt vmcnt(0)
	scratch_store_b32 off, v2, off
	scratch_store_b32 v1, v0, off offset:-4
	scratch_load_b32 v0, off, off
.LBB127_518:
	s_or_b32 exec_lo, exec_lo, s0
.LBB127_519:
	s_clause 0xf
	scratch_load_b128 v[1:4], off, off offset:4
	scratch_load_b128 v[133:136], off, off offset:20
	;; [unrolled: 1-line block ×15, first 2 shown]
	scratch_load_b96 v[189:191], off, off offset:244
	s_waitcnt vmcnt(16)
	global_store_b32 v[5:6], v0, off
	s_waitcnt vmcnt(15)
	s_clause 0x3
	global_store_b32 v[7:8], v1, off
	global_store_b32 v[9:10], v2, off
	global_store_b32 v[11:12], v3, off
	global_store_b32 v[13:14], v4, off
	s_waitcnt vmcnt(14)
	s_clause 0x3
	global_store_b32 v[15:16], v133, off
	global_store_b32 v[17:18], v134, off
	global_store_b32 v[19:20], v135, off
	;; [unrolled: 6-line block ×16, first 2 shown]
	s_endpgm
	.section	.rodata,"a",@progbits
	.p2align	6, 0x0
	.amdhsa_kernel _ZN9rocsolver6v33100L18getri_kernel_smallILi64EfPKPfEEvT1_iilPiilS6_bb
		.amdhsa_group_segment_fixed_size 516
		.amdhsa_private_segment_fixed_size 272
		.amdhsa_kernarg_size 60
		.amdhsa_user_sgpr_count 15
		.amdhsa_user_sgpr_dispatch_ptr 0
		.amdhsa_user_sgpr_queue_ptr 0
		.amdhsa_user_sgpr_kernarg_segment_ptr 1
		.amdhsa_user_sgpr_dispatch_id 0
		.amdhsa_user_sgpr_private_segment_size 0
		.amdhsa_wavefront_size32 1
		.amdhsa_uses_dynamic_stack 0
		.amdhsa_enable_private_segment 1
		.amdhsa_system_sgpr_workgroup_id_x 1
		.amdhsa_system_sgpr_workgroup_id_y 0
		.amdhsa_system_sgpr_workgroup_id_z 0
		.amdhsa_system_sgpr_workgroup_info 0
		.amdhsa_system_vgpr_workitem_id 0
		.amdhsa_next_free_vgpr 204
		.amdhsa_next_free_sgpr 17
		.amdhsa_reserve_vcc 1
		.amdhsa_float_round_mode_32 0
		.amdhsa_float_round_mode_16_64 0
		.amdhsa_float_denorm_mode_32 3
		.amdhsa_float_denorm_mode_16_64 3
		.amdhsa_dx10_clamp 1
		.amdhsa_ieee_mode 1
		.amdhsa_fp16_overflow 0
		.amdhsa_workgroup_processor_mode 1
		.amdhsa_memory_ordered 1
		.amdhsa_forward_progress 0
		.amdhsa_shared_vgpr_count 0
		.amdhsa_exception_fp_ieee_invalid_op 0
		.amdhsa_exception_fp_denorm_src 0
		.amdhsa_exception_fp_ieee_div_zero 0
		.amdhsa_exception_fp_ieee_overflow 0
		.amdhsa_exception_fp_ieee_underflow 0
		.amdhsa_exception_fp_ieee_inexact 0
		.amdhsa_exception_int_div_zero 0
	.end_amdhsa_kernel
	.section	.text._ZN9rocsolver6v33100L18getri_kernel_smallILi64EfPKPfEEvT1_iilPiilS6_bb,"axG",@progbits,_ZN9rocsolver6v33100L18getri_kernel_smallILi64EfPKPfEEvT1_iilPiilS6_bb,comdat
.Lfunc_end127:
	.size	_ZN9rocsolver6v33100L18getri_kernel_smallILi64EfPKPfEEvT1_iilPiilS6_bb, .Lfunc_end127-_ZN9rocsolver6v33100L18getri_kernel_smallILi64EfPKPfEEvT1_iilPiilS6_bb
                                        ; -- End function
	.section	.AMDGPU.csdata,"",@progbits
; Kernel info:
; codeLenInByte = 53104
; NumSgprs: 19
; NumVgprs: 204
; ScratchSize: 272
; MemoryBound: 0
; FloatMode: 240
; IeeeMode: 1
; LDSByteSize: 516 bytes/workgroup (compile time only)
; SGPRBlocks: 2
; VGPRBlocks: 25
; NumSGPRsForWavesPerEU: 19
; NumVGPRsForWavesPerEU: 204
; Occupancy: 7
; WaveLimiterHint : 1
; COMPUTE_PGM_RSRC2:SCRATCH_EN: 1
; COMPUTE_PGM_RSRC2:USER_SGPR: 15
; COMPUTE_PGM_RSRC2:TRAP_HANDLER: 0
; COMPUTE_PGM_RSRC2:TGID_X_EN: 1
; COMPUTE_PGM_RSRC2:TGID_Y_EN: 0
; COMPUTE_PGM_RSRC2:TGID_Z_EN: 0
; COMPUTE_PGM_RSRC2:TIDIG_COMP_CNT: 0
	.text
	.p2alignl 7, 3214868480
	.fill 96, 4, 3214868480
	.type	__hip_cuid_7b73ff47520b394d,@object ; @__hip_cuid_7b73ff47520b394d
	.section	.bss,"aw",@nobits
	.globl	__hip_cuid_7b73ff47520b394d
__hip_cuid_7b73ff47520b394d:
	.byte	0                               ; 0x0
	.size	__hip_cuid_7b73ff47520b394d, 1

	.ident	"AMD clang version 19.0.0git (https://github.com/RadeonOpenCompute/llvm-project roc-6.4.0 25133 c7fe45cf4b819c5991fe208aaa96edf142730f1d)"
	.section	".note.GNU-stack","",@progbits
	.addrsig
	.addrsig_sym __hip_cuid_7b73ff47520b394d
	.amdgpu_metadata
---
amdhsa.kernels:
  - .args:
      - .address_space:  global
        .offset:         0
        .size:           8
        .value_kind:     global_buffer
      - .offset:         8
        .size:           4
        .value_kind:     by_value
      - .offset:         12
        .size:           4
        .value_kind:     by_value
      - .offset:         16
        .size:           8
        .value_kind:     by_value
      - .address_space:  global
        .offset:         24
        .size:           8
        .value_kind:     global_buffer
      - .offset:         32
        .size:           4
        .value_kind:     by_value
      - .offset:         40
        .size:           8
        .value_kind:     by_value
      - .address_space:  global
        .offset:         48
        .size:           8
        .value_kind:     global_buffer
      - .offset:         56
        .size:           1
        .value_kind:     by_value
      - .offset:         57
        .size:           1
        .value_kind:     by_value
    .group_segment_fixed_size: 4
    .kernarg_segment_align: 8
    .kernarg_segment_size: 60
    .language:       OpenCL C
    .language_version:
      - 2
      - 0
    .max_flat_workgroup_size: 64
    .name:           _ZN9rocsolver6v33100L18getri_kernel_smallILi1EfPfEEvT1_iilPiilS4_bb
    .private_segment_fixed_size: 0
    .sgpr_count:     18
    .sgpr_spill_count: 0
    .symbol:         _ZN9rocsolver6v33100L18getri_kernel_smallILi1EfPfEEvT1_iilPiilS4_bb.kd
    .uniform_work_group_size: 1
    .uses_dynamic_stack: false
    .vgpr_count:     5
    .vgpr_spill_count: 0
    .wavefront_size: 32
    .workgroup_processor_mode: 1
  - .args:
      - .address_space:  global
        .offset:         0
        .size:           8
        .value_kind:     global_buffer
      - .offset:         8
        .size:           4
        .value_kind:     by_value
      - .offset:         12
        .size:           4
        .value_kind:     by_value
      - .offset:         16
        .size:           8
        .value_kind:     by_value
      - .address_space:  global
        .offset:         24
        .size:           8
        .value_kind:     global_buffer
      - .offset:         32
        .size:           4
        .value_kind:     by_value
      - .offset:         40
        .size:           8
        .value_kind:     by_value
      - .address_space:  global
        .offset:         48
        .size:           8
        .value_kind:     global_buffer
      - .offset:         56
        .size:           1
        .value_kind:     by_value
      - .offset:         57
        .size:           1
        .value_kind:     by_value
    .group_segment_fixed_size: 20
    .kernarg_segment_align: 8
    .kernarg_segment_size: 60
    .language:       OpenCL C
    .language_version:
      - 2
      - 0
    .max_flat_workgroup_size: 64
    .name:           _ZN9rocsolver6v33100L18getri_kernel_smallILi2EfPfEEvT1_iilPiilS4_bb
    .private_segment_fixed_size: 0
    .sgpr_count:     22
    .sgpr_spill_count: 0
    .symbol:         _ZN9rocsolver6v33100L18getri_kernel_smallILi2EfPfEEvT1_iilPiilS4_bb.kd
    .uniform_work_group_size: 1
    .uses_dynamic_stack: false
    .vgpr_count:     14
    .vgpr_spill_count: 0
    .wavefront_size: 32
    .workgroup_processor_mode: 1
  - .args:
      - .address_space:  global
        .offset:         0
        .size:           8
        .value_kind:     global_buffer
      - .offset:         8
        .size:           4
        .value_kind:     by_value
      - .offset:         12
        .size:           4
        .value_kind:     by_value
      - .offset:         16
        .size:           8
        .value_kind:     by_value
      - .address_space:  global
        .offset:         24
        .size:           8
        .value_kind:     global_buffer
      - .offset:         32
        .size:           4
        .value_kind:     by_value
      - .offset:         40
        .size:           8
        .value_kind:     by_value
      - .address_space:  global
        .offset:         48
        .size:           8
        .value_kind:     global_buffer
      - .offset:         56
        .size:           1
        .value_kind:     by_value
      - .offset:         57
        .size:           1
        .value_kind:     by_value
    .group_segment_fixed_size: 28
    .kernarg_segment_align: 8
    .kernarg_segment_size: 60
    .language:       OpenCL C
    .language_version:
      - 2
      - 0
    .max_flat_workgroup_size: 64
    .name:           _ZN9rocsolver6v33100L18getri_kernel_smallILi3EfPfEEvT1_iilPiilS4_bb
    .private_segment_fixed_size: 0
    .sgpr_count:     22
    .sgpr_spill_count: 0
    .symbol:         _ZN9rocsolver6v33100L18getri_kernel_smallILi3EfPfEEvT1_iilPiilS4_bb.kd
    .uniform_work_group_size: 1
    .uses_dynamic_stack: false
    .vgpr_count:     17
    .vgpr_spill_count: 0
    .wavefront_size: 32
    .workgroup_processor_mode: 1
  - .args:
      - .address_space:  global
        .offset:         0
        .size:           8
        .value_kind:     global_buffer
      - .offset:         8
        .size:           4
        .value_kind:     by_value
      - .offset:         12
        .size:           4
        .value_kind:     by_value
      - .offset:         16
        .size:           8
        .value_kind:     by_value
      - .address_space:  global
        .offset:         24
        .size:           8
        .value_kind:     global_buffer
      - .offset:         32
        .size:           4
        .value_kind:     by_value
      - .offset:         40
        .size:           8
        .value_kind:     by_value
      - .address_space:  global
        .offset:         48
        .size:           8
        .value_kind:     global_buffer
      - .offset:         56
        .size:           1
        .value_kind:     by_value
      - .offset:         57
        .size:           1
        .value_kind:     by_value
    .group_segment_fixed_size: 36
    .kernarg_segment_align: 8
    .kernarg_segment_size: 60
    .language:       OpenCL C
    .language_version:
      - 2
      - 0
    .max_flat_workgroup_size: 64
    .name:           _ZN9rocsolver6v33100L18getri_kernel_smallILi4EfPfEEvT1_iilPiilS4_bb
    .private_segment_fixed_size: 0
    .sgpr_count:     20
    .sgpr_spill_count: 0
    .symbol:         _ZN9rocsolver6v33100L18getri_kernel_smallILi4EfPfEEvT1_iilPiilS4_bb.kd
    .uniform_work_group_size: 1
    .uses_dynamic_stack: false
    .vgpr_count:     21
    .vgpr_spill_count: 0
    .wavefront_size: 32
    .workgroup_processor_mode: 1
  - .args:
      - .address_space:  global
        .offset:         0
        .size:           8
        .value_kind:     global_buffer
      - .offset:         8
        .size:           4
        .value_kind:     by_value
      - .offset:         12
        .size:           4
        .value_kind:     by_value
      - .offset:         16
        .size:           8
        .value_kind:     by_value
      - .address_space:  global
        .offset:         24
        .size:           8
        .value_kind:     global_buffer
      - .offset:         32
        .size:           4
        .value_kind:     by_value
      - .offset:         40
        .size:           8
        .value_kind:     by_value
      - .address_space:  global
        .offset:         48
        .size:           8
        .value_kind:     global_buffer
      - .offset:         56
        .size:           1
        .value_kind:     by_value
      - .offset:         57
        .size:           1
        .value_kind:     by_value
    .group_segment_fixed_size: 52
    .kernarg_segment_align: 8
    .kernarg_segment_size: 60
    .language:       OpenCL C
    .language_version:
      - 2
      - 0
    .max_flat_workgroup_size: 64
    .name:           _ZN9rocsolver6v33100L18getri_kernel_smallILi5EfPfEEvT1_iilPiilS4_bb
    .private_segment_fixed_size: 0
    .sgpr_count:     20
    .sgpr_spill_count: 0
    .symbol:         _ZN9rocsolver6v33100L18getri_kernel_smallILi5EfPfEEvT1_iilPiilS4_bb.kd
    .uniform_work_group_size: 1
    .uses_dynamic_stack: false
    .vgpr_count:     25
    .vgpr_spill_count: 0
    .wavefront_size: 32
    .workgroup_processor_mode: 1
  - .args:
      - .address_space:  global
        .offset:         0
        .size:           8
        .value_kind:     global_buffer
      - .offset:         8
        .size:           4
        .value_kind:     by_value
      - .offset:         12
        .size:           4
        .value_kind:     by_value
      - .offset:         16
        .size:           8
        .value_kind:     by_value
      - .address_space:  global
        .offset:         24
        .size:           8
        .value_kind:     global_buffer
      - .offset:         32
        .size:           4
        .value_kind:     by_value
      - .offset:         40
        .size:           8
        .value_kind:     by_value
      - .address_space:  global
        .offset:         48
        .size:           8
        .value_kind:     global_buffer
      - .offset:         56
        .size:           1
        .value_kind:     by_value
      - .offset:         57
        .size:           1
        .value_kind:     by_value
    .group_segment_fixed_size: 56
    .kernarg_segment_align: 8
    .kernarg_segment_size: 60
    .language:       OpenCL C
    .language_version:
      - 2
      - 0
    .max_flat_workgroup_size: 64
    .name:           _ZN9rocsolver6v33100L18getri_kernel_smallILi6EfPfEEvT1_iilPiilS4_bb
    .private_segment_fixed_size: 0
    .sgpr_count:     20
    .sgpr_spill_count: 0
    .symbol:         _ZN9rocsolver6v33100L18getri_kernel_smallILi6EfPfEEvT1_iilPiilS4_bb.kd
    .uniform_work_group_size: 1
    .uses_dynamic_stack: false
    .vgpr_count:     28
    .vgpr_spill_count: 0
    .wavefront_size: 32
    .workgroup_processor_mode: 1
  - .args:
      - .address_space:  global
        .offset:         0
        .size:           8
        .value_kind:     global_buffer
      - .offset:         8
        .size:           4
        .value_kind:     by_value
      - .offset:         12
        .size:           4
        .value_kind:     by_value
      - .offset:         16
        .size:           8
        .value_kind:     by_value
      - .address_space:  global
        .offset:         24
        .size:           8
        .value_kind:     global_buffer
      - .offset:         32
        .size:           4
        .value_kind:     by_value
      - .offset:         40
        .size:           8
        .value_kind:     by_value
      - .address_space:  global
        .offset:         48
        .size:           8
        .value_kind:     global_buffer
      - .offset:         56
        .size:           1
        .value_kind:     by_value
      - .offset:         57
        .size:           1
        .value_kind:     by_value
    .group_segment_fixed_size: 60
    .kernarg_segment_align: 8
    .kernarg_segment_size: 60
    .language:       OpenCL C
    .language_version:
      - 2
      - 0
    .max_flat_workgroup_size: 64
    .name:           _ZN9rocsolver6v33100L18getri_kernel_smallILi7EfPfEEvT1_iilPiilS4_bb
    .private_segment_fixed_size: 0
    .sgpr_count:     20
    .sgpr_spill_count: 0
    .symbol:         _ZN9rocsolver6v33100L18getri_kernel_smallILi7EfPfEEvT1_iilPiilS4_bb.kd
    .uniform_work_group_size: 1
    .uses_dynamic_stack: false
    .vgpr_count:     31
    .vgpr_spill_count: 0
    .wavefront_size: 32
    .workgroup_processor_mode: 1
  - .args:
      - .address_space:  global
        .offset:         0
        .size:           8
        .value_kind:     global_buffer
      - .offset:         8
        .size:           4
        .value_kind:     by_value
      - .offset:         12
        .size:           4
        .value_kind:     by_value
      - .offset:         16
        .size:           8
        .value_kind:     by_value
      - .address_space:  global
        .offset:         24
        .size:           8
        .value_kind:     global_buffer
      - .offset:         32
        .size:           4
        .value_kind:     by_value
      - .offset:         40
        .size:           8
        .value_kind:     by_value
      - .address_space:  global
        .offset:         48
        .size:           8
        .value_kind:     global_buffer
      - .offset:         56
        .size:           1
        .value_kind:     by_value
      - .offset:         57
        .size:           1
        .value_kind:     by_value
    .group_segment_fixed_size: 68
    .kernarg_segment_align: 8
    .kernarg_segment_size: 60
    .language:       OpenCL C
    .language_version:
      - 2
      - 0
    .max_flat_workgroup_size: 64
    .name:           _ZN9rocsolver6v33100L18getri_kernel_smallILi8EfPfEEvT1_iilPiilS4_bb
    .private_segment_fixed_size: 0
    .sgpr_count:     20
    .sgpr_spill_count: 0
    .symbol:         _ZN9rocsolver6v33100L18getri_kernel_smallILi8EfPfEEvT1_iilPiilS4_bb.kd
    .uniform_work_group_size: 1
    .uses_dynamic_stack: false
    .vgpr_count:     35
    .vgpr_spill_count: 0
    .wavefront_size: 32
    .workgroup_processor_mode: 1
  - .args:
      - .address_space:  global
        .offset:         0
        .size:           8
        .value_kind:     global_buffer
      - .offset:         8
        .size:           4
        .value_kind:     by_value
      - .offset:         12
        .size:           4
        .value_kind:     by_value
      - .offset:         16
        .size:           8
        .value_kind:     by_value
      - .address_space:  global
        .offset:         24
        .size:           8
        .value_kind:     global_buffer
      - .offset:         32
        .size:           4
        .value_kind:     by_value
      - .offset:         40
        .size:           8
        .value_kind:     by_value
      - .address_space:  global
        .offset:         48
        .size:           8
        .value_kind:     global_buffer
      - .offset:         56
        .size:           1
        .value_kind:     by_value
      - .offset:         57
        .size:           1
        .value_kind:     by_value
    .group_segment_fixed_size: 84
    .kernarg_segment_align: 8
    .kernarg_segment_size: 60
    .language:       OpenCL C
    .language_version:
      - 2
      - 0
    .max_flat_workgroup_size: 64
    .name:           _ZN9rocsolver6v33100L18getri_kernel_smallILi9EfPfEEvT1_iilPiilS4_bb
    .private_segment_fixed_size: 0
    .sgpr_count:     20
    .sgpr_spill_count: 0
    .symbol:         _ZN9rocsolver6v33100L18getri_kernel_smallILi9EfPfEEvT1_iilPiilS4_bb.kd
    .uniform_work_group_size: 1
    .uses_dynamic_stack: false
    .vgpr_count:     39
    .vgpr_spill_count: 0
    .wavefront_size: 32
    .workgroup_processor_mode: 1
  - .args:
      - .address_space:  global
        .offset:         0
        .size:           8
        .value_kind:     global_buffer
      - .offset:         8
        .size:           4
        .value_kind:     by_value
      - .offset:         12
        .size:           4
        .value_kind:     by_value
      - .offset:         16
        .size:           8
        .value_kind:     by_value
      - .address_space:  global
        .offset:         24
        .size:           8
        .value_kind:     global_buffer
      - .offset:         32
        .size:           4
        .value_kind:     by_value
      - .offset:         40
        .size:           8
        .value_kind:     by_value
      - .address_space:  global
        .offset:         48
        .size:           8
        .value_kind:     global_buffer
      - .offset:         56
        .size:           1
        .value_kind:     by_value
      - .offset:         57
        .size:           1
        .value_kind:     by_value
    .group_segment_fixed_size: 88
    .kernarg_segment_align: 8
    .kernarg_segment_size: 60
    .language:       OpenCL C
    .language_version:
      - 2
      - 0
    .max_flat_workgroup_size: 64
    .name:           _ZN9rocsolver6v33100L18getri_kernel_smallILi10EfPfEEvT1_iilPiilS4_bb
    .private_segment_fixed_size: 0
    .sgpr_count:     20
    .sgpr_spill_count: 0
    .symbol:         _ZN9rocsolver6v33100L18getri_kernel_smallILi10EfPfEEvT1_iilPiilS4_bb.kd
    .uniform_work_group_size: 1
    .uses_dynamic_stack: false
    .vgpr_count:     43
    .vgpr_spill_count: 0
    .wavefront_size: 32
    .workgroup_processor_mode: 1
  - .args:
      - .address_space:  global
        .offset:         0
        .size:           8
        .value_kind:     global_buffer
      - .offset:         8
        .size:           4
        .value_kind:     by_value
      - .offset:         12
        .size:           4
        .value_kind:     by_value
      - .offset:         16
        .size:           8
        .value_kind:     by_value
      - .address_space:  global
        .offset:         24
        .size:           8
        .value_kind:     global_buffer
      - .offset:         32
        .size:           4
        .value_kind:     by_value
      - .offset:         40
        .size:           8
        .value_kind:     by_value
      - .address_space:  global
        .offset:         48
        .size:           8
        .value_kind:     global_buffer
      - .offset:         56
        .size:           1
        .value_kind:     by_value
      - .offset:         57
        .size:           1
        .value_kind:     by_value
    .group_segment_fixed_size: 92
    .kernarg_segment_align: 8
    .kernarg_segment_size: 60
    .language:       OpenCL C
    .language_version:
      - 2
      - 0
    .max_flat_workgroup_size: 64
    .name:           _ZN9rocsolver6v33100L18getri_kernel_smallILi11EfPfEEvT1_iilPiilS4_bb
    .private_segment_fixed_size: 0
    .sgpr_count:     20
    .sgpr_spill_count: 0
    .symbol:         _ZN9rocsolver6v33100L18getri_kernel_smallILi11EfPfEEvT1_iilPiilS4_bb.kd
    .uniform_work_group_size: 1
    .uses_dynamic_stack: false
    .vgpr_count:     47
    .vgpr_spill_count: 0
    .wavefront_size: 32
    .workgroup_processor_mode: 1
  - .args:
      - .address_space:  global
        .offset:         0
        .size:           8
        .value_kind:     global_buffer
      - .offset:         8
        .size:           4
        .value_kind:     by_value
      - .offset:         12
        .size:           4
        .value_kind:     by_value
      - .offset:         16
        .size:           8
        .value_kind:     by_value
      - .address_space:  global
        .offset:         24
        .size:           8
        .value_kind:     global_buffer
      - .offset:         32
        .size:           4
        .value_kind:     by_value
      - .offset:         40
        .size:           8
        .value_kind:     by_value
      - .address_space:  global
        .offset:         48
        .size:           8
        .value_kind:     global_buffer
      - .offset:         56
        .size:           1
        .value_kind:     by_value
      - .offset:         57
        .size:           1
        .value_kind:     by_value
    .group_segment_fixed_size: 100
    .kernarg_segment_align: 8
    .kernarg_segment_size: 60
    .language:       OpenCL C
    .language_version:
      - 2
      - 0
    .max_flat_workgroup_size: 64
    .name:           _ZN9rocsolver6v33100L18getri_kernel_smallILi12EfPfEEvT1_iilPiilS4_bb
    .private_segment_fixed_size: 0
    .sgpr_count:     20
    .sgpr_spill_count: 0
    .symbol:         _ZN9rocsolver6v33100L18getri_kernel_smallILi12EfPfEEvT1_iilPiilS4_bb.kd
    .uniform_work_group_size: 1
    .uses_dynamic_stack: false
    .vgpr_count:     51
    .vgpr_spill_count: 0
    .wavefront_size: 32
    .workgroup_processor_mode: 1
  - .args:
      - .address_space:  global
        .offset:         0
        .size:           8
        .value_kind:     global_buffer
      - .offset:         8
        .size:           4
        .value_kind:     by_value
      - .offset:         12
        .size:           4
        .value_kind:     by_value
      - .offset:         16
        .size:           8
        .value_kind:     by_value
      - .address_space:  global
        .offset:         24
        .size:           8
        .value_kind:     global_buffer
      - .offset:         32
        .size:           4
        .value_kind:     by_value
      - .offset:         40
        .size:           8
        .value_kind:     by_value
      - .address_space:  global
        .offset:         48
        .size:           8
        .value_kind:     global_buffer
      - .offset:         56
        .size:           1
        .value_kind:     by_value
      - .offset:         57
        .size:           1
        .value_kind:     by_value
    .group_segment_fixed_size: 116
    .kernarg_segment_align: 8
    .kernarg_segment_size: 60
    .language:       OpenCL C
    .language_version:
      - 2
      - 0
    .max_flat_workgroup_size: 64
    .name:           _ZN9rocsolver6v33100L18getri_kernel_smallILi13EfPfEEvT1_iilPiilS4_bb
    .private_segment_fixed_size: 0
    .sgpr_count:     20
    .sgpr_spill_count: 0
    .symbol:         _ZN9rocsolver6v33100L18getri_kernel_smallILi13EfPfEEvT1_iilPiilS4_bb.kd
    .uniform_work_group_size: 1
    .uses_dynamic_stack: false
    .vgpr_count:     57
    .vgpr_spill_count: 0
    .wavefront_size: 32
    .workgroup_processor_mode: 1
  - .args:
      - .address_space:  global
        .offset:         0
        .size:           8
        .value_kind:     global_buffer
      - .offset:         8
        .size:           4
        .value_kind:     by_value
      - .offset:         12
        .size:           4
        .value_kind:     by_value
      - .offset:         16
        .size:           8
        .value_kind:     by_value
      - .address_space:  global
        .offset:         24
        .size:           8
        .value_kind:     global_buffer
      - .offset:         32
        .size:           4
        .value_kind:     by_value
      - .offset:         40
        .size:           8
        .value_kind:     by_value
      - .address_space:  global
        .offset:         48
        .size:           8
        .value_kind:     global_buffer
      - .offset:         56
        .size:           1
        .value_kind:     by_value
      - .offset:         57
        .size:           1
        .value_kind:     by_value
    .group_segment_fixed_size: 120
    .kernarg_segment_align: 8
    .kernarg_segment_size: 60
    .language:       OpenCL C
    .language_version:
      - 2
      - 0
    .max_flat_workgroup_size: 64
    .name:           _ZN9rocsolver6v33100L18getri_kernel_smallILi14EfPfEEvT1_iilPiilS4_bb
    .private_segment_fixed_size: 0
    .sgpr_count:     20
    .sgpr_spill_count: 0
    .symbol:         _ZN9rocsolver6v33100L18getri_kernel_smallILi14EfPfEEvT1_iilPiilS4_bb.kd
    .uniform_work_group_size: 1
    .uses_dynamic_stack: false
    .vgpr_count:     59
    .vgpr_spill_count: 0
    .wavefront_size: 32
    .workgroup_processor_mode: 1
  - .args:
      - .address_space:  global
        .offset:         0
        .size:           8
        .value_kind:     global_buffer
      - .offset:         8
        .size:           4
        .value_kind:     by_value
      - .offset:         12
        .size:           4
        .value_kind:     by_value
      - .offset:         16
        .size:           8
        .value_kind:     by_value
      - .address_space:  global
        .offset:         24
        .size:           8
        .value_kind:     global_buffer
      - .offset:         32
        .size:           4
        .value_kind:     by_value
      - .offset:         40
        .size:           8
        .value_kind:     by_value
      - .address_space:  global
        .offset:         48
        .size:           8
        .value_kind:     global_buffer
      - .offset:         56
        .size:           1
        .value_kind:     by_value
      - .offset:         57
        .size:           1
        .value_kind:     by_value
    .group_segment_fixed_size: 124
    .kernarg_segment_align: 8
    .kernarg_segment_size: 60
    .language:       OpenCL C
    .language_version:
      - 2
      - 0
    .max_flat_workgroup_size: 64
    .name:           _ZN9rocsolver6v33100L18getri_kernel_smallILi15EfPfEEvT1_iilPiilS4_bb
    .private_segment_fixed_size: 0
    .sgpr_count:     20
    .sgpr_spill_count: 0
    .symbol:         _ZN9rocsolver6v33100L18getri_kernel_smallILi15EfPfEEvT1_iilPiilS4_bb.kd
    .uniform_work_group_size: 1
    .uses_dynamic_stack: false
    .vgpr_count:     63
    .vgpr_spill_count: 0
    .wavefront_size: 32
    .workgroup_processor_mode: 1
  - .args:
      - .address_space:  global
        .offset:         0
        .size:           8
        .value_kind:     global_buffer
      - .offset:         8
        .size:           4
        .value_kind:     by_value
      - .offset:         12
        .size:           4
        .value_kind:     by_value
      - .offset:         16
        .size:           8
        .value_kind:     by_value
      - .address_space:  global
        .offset:         24
        .size:           8
        .value_kind:     global_buffer
      - .offset:         32
        .size:           4
        .value_kind:     by_value
      - .offset:         40
        .size:           8
        .value_kind:     by_value
      - .address_space:  global
        .offset:         48
        .size:           8
        .value_kind:     global_buffer
      - .offset:         56
        .size:           1
        .value_kind:     by_value
      - .offset:         57
        .size:           1
        .value_kind:     by_value
    .group_segment_fixed_size: 132
    .kernarg_segment_align: 8
    .kernarg_segment_size: 60
    .language:       OpenCL C
    .language_version:
      - 2
      - 0
    .max_flat_workgroup_size: 64
    .name:           _ZN9rocsolver6v33100L18getri_kernel_smallILi16EfPfEEvT1_iilPiilS4_bb
    .private_segment_fixed_size: 0
    .sgpr_count:     20
    .sgpr_spill_count: 0
    .symbol:         _ZN9rocsolver6v33100L18getri_kernel_smallILi16EfPfEEvT1_iilPiilS4_bb.kd
    .uniform_work_group_size: 1
    .uses_dynamic_stack: false
    .vgpr_count:     65
    .vgpr_spill_count: 0
    .wavefront_size: 32
    .workgroup_processor_mode: 1
  - .args:
      - .address_space:  global
        .offset:         0
        .size:           8
        .value_kind:     global_buffer
      - .offset:         8
        .size:           4
        .value_kind:     by_value
      - .offset:         12
        .size:           4
        .value_kind:     by_value
      - .offset:         16
        .size:           8
        .value_kind:     by_value
      - .address_space:  global
        .offset:         24
        .size:           8
        .value_kind:     global_buffer
      - .offset:         32
        .size:           4
        .value_kind:     by_value
      - .offset:         40
        .size:           8
        .value_kind:     by_value
      - .address_space:  global
        .offset:         48
        .size:           8
        .value_kind:     global_buffer
      - .offset:         56
        .size:           1
        .value_kind:     by_value
      - .offset:         57
        .size:           1
        .value_kind:     by_value
    .group_segment_fixed_size: 148
    .kernarg_segment_align: 8
    .kernarg_segment_size: 60
    .language:       OpenCL C
    .language_version:
      - 2
      - 0
    .max_flat_workgroup_size: 64
    .name:           _ZN9rocsolver6v33100L18getri_kernel_smallILi17EfPfEEvT1_iilPiilS4_bb
    .private_segment_fixed_size: 80
    .sgpr_count:     20
    .sgpr_spill_count: 0
    .symbol:         _ZN9rocsolver6v33100L18getri_kernel_smallILi17EfPfEEvT1_iilPiilS4_bb.kd
    .uniform_work_group_size: 1
    .uses_dynamic_stack: false
    .vgpr_count:     63
    .vgpr_spill_count: 0
    .wavefront_size: 32
    .workgroup_processor_mode: 1
  - .args:
      - .address_space:  global
        .offset:         0
        .size:           8
        .value_kind:     global_buffer
      - .offset:         8
        .size:           4
        .value_kind:     by_value
      - .offset:         12
        .size:           4
        .value_kind:     by_value
      - .offset:         16
        .size:           8
        .value_kind:     by_value
      - .address_space:  global
        .offset:         24
        .size:           8
        .value_kind:     global_buffer
      - .offset:         32
        .size:           4
        .value_kind:     by_value
      - .offset:         40
        .size:           8
        .value_kind:     by_value
      - .address_space:  global
        .offset:         48
        .size:           8
        .value_kind:     global_buffer
      - .offset:         56
        .size:           1
        .value_kind:     by_value
      - .offset:         57
        .size:           1
        .value_kind:     by_value
    .group_segment_fixed_size: 152
    .kernarg_segment_align: 8
    .kernarg_segment_size: 60
    .language:       OpenCL C
    .language_version:
      - 2
      - 0
    .max_flat_workgroup_size: 64
    .name:           _ZN9rocsolver6v33100L18getri_kernel_smallILi18EfPfEEvT1_iilPiilS4_bb
    .private_segment_fixed_size: 80
    .sgpr_count:     20
    .sgpr_spill_count: 0
    .symbol:         _ZN9rocsolver6v33100L18getri_kernel_smallILi18EfPfEEvT1_iilPiilS4_bb.kd
    .uniform_work_group_size: 1
    .uses_dynamic_stack: false
    .vgpr_count:     64
    .vgpr_spill_count: 0
    .wavefront_size: 32
    .workgroup_processor_mode: 1
  - .args:
      - .address_space:  global
        .offset:         0
        .size:           8
        .value_kind:     global_buffer
      - .offset:         8
        .size:           4
        .value_kind:     by_value
      - .offset:         12
        .size:           4
        .value_kind:     by_value
      - .offset:         16
        .size:           8
        .value_kind:     by_value
      - .address_space:  global
        .offset:         24
        .size:           8
        .value_kind:     global_buffer
      - .offset:         32
        .size:           4
        .value_kind:     by_value
      - .offset:         40
        .size:           8
        .value_kind:     by_value
      - .address_space:  global
        .offset:         48
        .size:           8
        .value_kind:     global_buffer
      - .offset:         56
        .size:           1
        .value_kind:     by_value
      - .offset:         57
        .size:           1
        .value_kind:     by_value
    .group_segment_fixed_size: 156
    .kernarg_segment_align: 8
    .kernarg_segment_size: 60
    .language:       OpenCL C
    .language_version:
      - 2
      - 0
    .max_flat_workgroup_size: 64
    .name:           _ZN9rocsolver6v33100L18getri_kernel_smallILi19EfPfEEvT1_iilPiilS4_bb
    .private_segment_fixed_size: 80
    .sgpr_count:     20
    .sgpr_spill_count: 0
    .symbol:         _ZN9rocsolver6v33100L18getri_kernel_smallILi19EfPfEEvT1_iilPiilS4_bb.kd
    .uniform_work_group_size: 1
    .uses_dynamic_stack: false
    .vgpr_count:     68
    .vgpr_spill_count: 0
    .wavefront_size: 32
    .workgroup_processor_mode: 1
  - .args:
      - .address_space:  global
        .offset:         0
        .size:           8
        .value_kind:     global_buffer
      - .offset:         8
        .size:           4
        .value_kind:     by_value
      - .offset:         12
        .size:           4
        .value_kind:     by_value
      - .offset:         16
        .size:           8
        .value_kind:     by_value
      - .address_space:  global
        .offset:         24
        .size:           8
        .value_kind:     global_buffer
      - .offset:         32
        .size:           4
        .value_kind:     by_value
      - .offset:         40
        .size:           8
        .value_kind:     by_value
      - .address_space:  global
        .offset:         48
        .size:           8
        .value_kind:     global_buffer
      - .offset:         56
        .size:           1
        .value_kind:     by_value
      - .offset:         57
        .size:           1
        .value_kind:     by_value
    .group_segment_fixed_size: 164
    .kernarg_segment_align: 8
    .kernarg_segment_size: 60
    .language:       OpenCL C
    .language_version:
      - 2
      - 0
    .max_flat_workgroup_size: 64
    .name:           _ZN9rocsolver6v33100L18getri_kernel_smallILi20EfPfEEvT1_iilPiilS4_bb
    .private_segment_fixed_size: 96
    .sgpr_count:     20
    .sgpr_spill_count: 0
    .symbol:         _ZN9rocsolver6v33100L18getri_kernel_smallILi20EfPfEEvT1_iilPiilS4_bb.kd
    .uniform_work_group_size: 1
    .uses_dynamic_stack: false
    .vgpr_count:     71
    .vgpr_spill_count: 0
    .wavefront_size: 32
    .workgroup_processor_mode: 1
  - .args:
      - .address_space:  global
        .offset:         0
        .size:           8
        .value_kind:     global_buffer
      - .offset:         8
        .size:           4
        .value_kind:     by_value
      - .offset:         12
        .size:           4
        .value_kind:     by_value
      - .offset:         16
        .size:           8
        .value_kind:     by_value
      - .address_space:  global
        .offset:         24
        .size:           8
        .value_kind:     global_buffer
      - .offset:         32
        .size:           4
        .value_kind:     by_value
      - .offset:         40
        .size:           8
        .value_kind:     by_value
      - .address_space:  global
        .offset:         48
        .size:           8
        .value_kind:     global_buffer
      - .offset:         56
        .size:           1
        .value_kind:     by_value
      - .offset:         57
        .size:           1
        .value_kind:     by_value
    .group_segment_fixed_size: 180
    .kernarg_segment_align: 8
    .kernarg_segment_size: 60
    .language:       OpenCL C
    .language_version:
      - 2
      - 0
    .max_flat_workgroup_size: 64
    .name:           _ZN9rocsolver6v33100L18getri_kernel_smallILi21EfPfEEvT1_iilPiilS4_bb
    .private_segment_fixed_size: 96
    .sgpr_count:     20
    .sgpr_spill_count: 0
    .symbol:         _ZN9rocsolver6v33100L18getri_kernel_smallILi21EfPfEEvT1_iilPiilS4_bb.kd
    .uniform_work_group_size: 1
    .uses_dynamic_stack: false
    .vgpr_count:     75
    .vgpr_spill_count: 0
    .wavefront_size: 32
    .workgroup_processor_mode: 1
  - .args:
      - .address_space:  global
        .offset:         0
        .size:           8
        .value_kind:     global_buffer
      - .offset:         8
        .size:           4
        .value_kind:     by_value
      - .offset:         12
        .size:           4
        .value_kind:     by_value
      - .offset:         16
        .size:           8
        .value_kind:     by_value
      - .address_space:  global
        .offset:         24
        .size:           8
        .value_kind:     global_buffer
      - .offset:         32
        .size:           4
        .value_kind:     by_value
      - .offset:         40
        .size:           8
        .value_kind:     by_value
      - .address_space:  global
        .offset:         48
        .size:           8
        .value_kind:     global_buffer
      - .offset:         56
        .size:           1
        .value_kind:     by_value
      - .offset:         57
        .size:           1
        .value_kind:     by_value
    .group_segment_fixed_size: 184
    .kernarg_segment_align: 8
    .kernarg_segment_size: 60
    .language:       OpenCL C
    .language_version:
      - 2
      - 0
    .max_flat_workgroup_size: 64
    .name:           _ZN9rocsolver6v33100L18getri_kernel_smallILi22EfPfEEvT1_iilPiilS4_bb
    .private_segment_fixed_size: 96
    .sgpr_count:     20
    .sgpr_spill_count: 0
    .symbol:         _ZN9rocsolver6v33100L18getri_kernel_smallILi22EfPfEEvT1_iilPiilS4_bb.kd
    .uniform_work_group_size: 1
    .uses_dynamic_stack: false
    .vgpr_count:     76
    .vgpr_spill_count: 0
    .wavefront_size: 32
    .workgroup_processor_mode: 1
  - .args:
      - .address_space:  global
        .offset:         0
        .size:           8
        .value_kind:     global_buffer
      - .offset:         8
        .size:           4
        .value_kind:     by_value
      - .offset:         12
        .size:           4
        .value_kind:     by_value
      - .offset:         16
        .size:           8
        .value_kind:     by_value
      - .address_space:  global
        .offset:         24
        .size:           8
        .value_kind:     global_buffer
      - .offset:         32
        .size:           4
        .value_kind:     by_value
      - .offset:         40
        .size:           8
        .value_kind:     by_value
      - .address_space:  global
        .offset:         48
        .size:           8
        .value_kind:     global_buffer
      - .offset:         56
        .size:           1
        .value_kind:     by_value
      - .offset:         57
        .size:           1
        .value_kind:     by_value
    .group_segment_fixed_size: 188
    .kernarg_segment_align: 8
    .kernarg_segment_size: 60
    .language:       OpenCL C
    .language_version:
      - 2
      - 0
    .max_flat_workgroup_size: 64
    .name:           _ZN9rocsolver6v33100L18getri_kernel_smallILi23EfPfEEvT1_iilPiilS4_bb
    .private_segment_fixed_size: 96
    .sgpr_count:     20
    .sgpr_spill_count: 0
    .symbol:         _ZN9rocsolver6v33100L18getri_kernel_smallILi23EfPfEEvT1_iilPiilS4_bb.kd
    .uniform_work_group_size: 1
    .uses_dynamic_stack: false
    .vgpr_count:     80
    .vgpr_spill_count: 0
    .wavefront_size: 32
    .workgroup_processor_mode: 1
  - .args:
      - .address_space:  global
        .offset:         0
        .size:           8
        .value_kind:     global_buffer
      - .offset:         8
        .size:           4
        .value_kind:     by_value
      - .offset:         12
        .size:           4
        .value_kind:     by_value
      - .offset:         16
        .size:           8
        .value_kind:     by_value
      - .address_space:  global
        .offset:         24
        .size:           8
        .value_kind:     global_buffer
      - .offset:         32
        .size:           4
        .value_kind:     by_value
      - .offset:         40
        .size:           8
        .value_kind:     by_value
      - .address_space:  global
        .offset:         48
        .size:           8
        .value_kind:     global_buffer
      - .offset:         56
        .size:           1
        .value_kind:     by_value
      - .offset:         57
        .size:           1
        .value_kind:     by_value
    .group_segment_fixed_size: 196
    .kernarg_segment_align: 8
    .kernarg_segment_size: 60
    .language:       OpenCL C
    .language_version:
      - 2
      - 0
    .max_flat_workgroup_size: 64
    .name:           _ZN9rocsolver6v33100L18getri_kernel_smallILi24EfPfEEvT1_iilPiilS4_bb
    .private_segment_fixed_size: 112
    .sgpr_count:     20
    .sgpr_spill_count: 0
    .symbol:         _ZN9rocsolver6v33100L18getri_kernel_smallILi24EfPfEEvT1_iilPiilS4_bb.kd
    .uniform_work_group_size: 1
    .uses_dynamic_stack: false
    .vgpr_count:     83
    .vgpr_spill_count: 0
    .wavefront_size: 32
    .workgroup_processor_mode: 1
  - .args:
      - .address_space:  global
        .offset:         0
        .size:           8
        .value_kind:     global_buffer
      - .offset:         8
        .size:           4
        .value_kind:     by_value
      - .offset:         12
        .size:           4
        .value_kind:     by_value
      - .offset:         16
        .size:           8
        .value_kind:     by_value
      - .address_space:  global
        .offset:         24
        .size:           8
        .value_kind:     global_buffer
      - .offset:         32
        .size:           4
        .value_kind:     by_value
      - .offset:         40
        .size:           8
        .value_kind:     by_value
      - .address_space:  global
        .offset:         48
        .size:           8
        .value_kind:     global_buffer
      - .offset:         56
        .size:           1
        .value_kind:     by_value
      - .offset:         57
        .size:           1
        .value_kind:     by_value
    .group_segment_fixed_size: 212
    .kernarg_segment_align: 8
    .kernarg_segment_size: 60
    .language:       OpenCL C
    .language_version:
      - 2
      - 0
    .max_flat_workgroup_size: 64
    .name:           _ZN9rocsolver6v33100L18getri_kernel_smallILi25EfPfEEvT1_iilPiilS4_bb
    .private_segment_fixed_size: 112
    .sgpr_count:     20
    .sgpr_spill_count: 0
    .symbol:         _ZN9rocsolver6v33100L18getri_kernel_smallILi25EfPfEEvT1_iilPiilS4_bb.kd
    .uniform_work_group_size: 1
    .uses_dynamic_stack: false
    .vgpr_count:     87
    .vgpr_spill_count: 0
    .wavefront_size: 32
    .workgroup_processor_mode: 1
  - .args:
      - .address_space:  global
        .offset:         0
        .size:           8
        .value_kind:     global_buffer
      - .offset:         8
        .size:           4
        .value_kind:     by_value
      - .offset:         12
        .size:           4
        .value_kind:     by_value
      - .offset:         16
        .size:           8
        .value_kind:     by_value
      - .address_space:  global
        .offset:         24
        .size:           8
        .value_kind:     global_buffer
      - .offset:         32
        .size:           4
        .value_kind:     by_value
      - .offset:         40
        .size:           8
        .value_kind:     by_value
      - .address_space:  global
        .offset:         48
        .size:           8
        .value_kind:     global_buffer
      - .offset:         56
        .size:           1
        .value_kind:     by_value
      - .offset:         57
        .size:           1
        .value_kind:     by_value
    .group_segment_fixed_size: 216
    .kernarg_segment_align: 8
    .kernarg_segment_size: 60
    .language:       OpenCL C
    .language_version:
      - 2
      - 0
    .max_flat_workgroup_size: 64
    .name:           _ZN9rocsolver6v33100L18getri_kernel_smallILi26EfPfEEvT1_iilPiilS4_bb
    .private_segment_fixed_size: 112
    .sgpr_count:     20
    .sgpr_spill_count: 0
    .symbol:         _ZN9rocsolver6v33100L18getri_kernel_smallILi26EfPfEEvT1_iilPiilS4_bb.kd
    .uniform_work_group_size: 1
    .uses_dynamic_stack: false
    .vgpr_count:     88
    .vgpr_spill_count: 0
    .wavefront_size: 32
    .workgroup_processor_mode: 1
  - .args:
      - .address_space:  global
        .offset:         0
        .size:           8
        .value_kind:     global_buffer
      - .offset:         8
        .size:           4
        .value_kind:     by_value
      - .offset:         12
        .size:           4
        .value_kind:     by_value
      - .offset:         16
        .size:           8
        .value_kind:     by_value
      - .address_space:  global
        .offset:         24
        .size:           8
        .value_kind:     global_buffer
      - .offset:         32
        .size:           4
        .value_kind:     by_value
      - .offset:         40
        .size:           8
        .value_kind:     by_value
      - .address_space:  global
        .offset:         48
        .size:           8
        .value_kind:     global_buffer
      - .offset:         56
        .size:           1
        .value_kind:     by_value
      - .offset:         57
        .size:           1
        .value_kind:     by_value
    .group_segment_fixed_size: 220
    .kernarg_segment_align: 8
    .kernarg_segment_size: 60
    .language:       OpenCL C
    .language_version:
      - 2
      - 0
    .max_flat_workgroup_size: 64
    .name:           _ZN9rocsolver6v33100L18getri_kernel_smallILi27EfPfEEvT1_iilPiilS4_bb
    .private_segment_fixed_size: 112
    .sgpr_count:     20
    .sgpr_spill_count: 0
    .symbol:         _ZN9rocsolver6v33100L18getri_kernel_smallILi27EfPfEEvT1_iilPiilS4_bb.kd
    .uniform_work_group_size: 1
    .uses_dynamic_stack: false
    .vgpr_count:     92
    .vgpr_spill_count: 0
    .wavefront_size: 32
    .workgroup_processor_mode: 1
  - .args:
      - .address_space:  global
        .offset:         0
        .size:           8
        .value_kind:     global_buffer
      - .offset:         8
        .size:           4
        .value_kind:     by_value
      - .offset:         12
        .size:           4
        .value_kind:     by_value
      - .offset:         16
        .size:           8
        .value_kind:     by_value
      - .address_space:  global
        .offset:         24
        .size:           8
        .value_kind:     global_buffer
      - .offset:         32
        .size:           4
        .value_kind:     by_value
      - .offset:         40
        .size:           8
        .value_kind:     by_value
      - .address_space:  global
        .offset:         48
        .size:           8
        .value_kind:     global_buffer
      - .offset:         56
        .size:           1
        .value_kind:     by_value
      - .offset:         57
        .size:           1
        .value_kind:     by_value
    .group_segment_fixed_size: 228
    .kernarg_segment_align: 8
    .kernarg_segment_size: 60
    .language:       OpenCL C
    .language_version:
      - 2
      - 0
    .max_flat_workgroup_size: 64
    .name:           _ZN9rocsolver6v33100L18getri_kernel_smallILi28EfPfEEvT1_iilPiilS4_bb
    .private_segment_fixed_size: 128
    .sgpr_count:     20
    .sgpr_spill_count: 0
    .symbol:         _ZN9rocsolver6v33100L18getri_kernel_smallILi28EfPfEEvT1_iilPiilS4_bb.kd
    .uniform_work_group_size: 1
    .uses_dynamic_stack: false
    .vgpr_count:     95
    .vgpr_spill_count: 0
    .wavefront_size: 32
    .workgroup_processor_mode: 1
  - .args:
      - .address_space:  global
        .offset:         0
        .size:           8
        .value_kind:     global_buffer
      - .offset:         8
        .size:           4
        .value_kind:     by_value
      - .offset:         12
        .size:           4
        .value_kind:     by_value
      - .offset:         16
        .size:           8
        .value_kind:     by_value
      - .address_space:  global
        .offset:         24
        .size:           8
        .value_kind:     global_buffer
      - .offset:         32
        .size:           4
        .value_kind:     by_value
      - .offset:         40
        .size:           8
        .value_kind:     by_value
      - .address_space:  global
        .offset:         48
        .size:           8
        .value_kind:     global_buffer
      - .offset:         56
        .size:           1
        .value_kind:     by_value
      - .offset:         57
        .size:           1
        .value_kind:     by_value
    .group_segment_fixed_size: 244
    .kernarg_segment_align: 8
    .kernarg_segment_size: 60
    .language:       OpenCL C
    .language_version:
      - 2
      - 0
    .max_flat_workgroup_size: 64
    .name:           _ZN9rocsolver6v33100L18getri_kernel_smallILi29EfPfEEvT1_iilPiilS4_bb
    .private_segment_fixed_size: 128
    .sgpr_count:     20
    .sgpr_spill_count: 0
    .symbol:         _ZN9rocsolver6v33100L18getri_kernel_smallILi29EfPfEEvT1_iilPiilS4_bb.kd
    .uniform_work_group_size: 1
    .uses_dynamic_stack: false
    .vgpr_count:     99
    .vgpr_spill_count: 0
    .wavefront_size: 32
    .workgroup_processor_mode: 1
  - .args:
      - .address_space:  global
        .offset:         0
        .size:           8
        .value_kind:     global_buffer
      - .offset:         8
        .size:           4
        .value_kind:     by_value
      - .offset:         12
        .size:           4
        .value_kind:     by_value
      - .offset:         16
        .size:           8
        .value_kind:     by_value
      - .address_space:  global
        .offset:         24
        .size:           8
        .value_kind:     global_buffer
      - .offset:         32
        .size:           4
        .value_kind:     by_value
      - .offset:         40
        .size:           8
        .value_kind:     by_value
      - .address_space:  global
        .offset:         48
        .size:           8
        .value_kind:     global_buffer
      - .offset:         56
        .size:           1
        .value_kind:     by_value
      - .offset:         57
        .size:           1
        .value_kind:     by_value
    .group_segment_fixed_size: 248
    .kernarg_segment_align: 8
    .kernarg_segment_size: 60
    .language:       OpenCL C
    .language_version:
      - 2
      - 0
    .max_flat_workgroup_size: 64
    .name:           _ZN9rocsolver6v33100L18getri_kernel_smallILi30EfPfEEvT1_iilPiilS4_bb
    .private_segment_fixed_size: 128
    .sgpr_count:     20
    .sgpr_spill_count: 0
    .symbol:         _ZN9rocsolver6v33100L18getri_kernel_smallILi30EfPfEEvT1_iilPiilS4_bb.kd
    .uniform_work_group_size: 1
    .uses_dynamic_stack: false
    .vgpr_count:     100
    .vgpr_spill_count: 0
    .wavefront_size: 32
    .workgroup_processor_mode: 1
  - .args:
      - .address_space:  global
        .offset:         0
        .size:           8
        .value_kind:     global_buffer
      - .offset:         8
        .size:           4
        .value_kind:     by_value
      - .offset:         12
        .size:           4
        .value_kind:     by_value
      - .offset:         16
        .size:           8
        .value_kind:     by_value
      - .address_space:  global
        .offset:         24
        .size:           8
        .value_kind:     global_buffer
      - .offset:         32
        .size:           4
        .value_kind:     by_value
      - .offset:         40
        .size:           8
        .value_kind:     by_value
      - .address_space:  global
        .offset:         48
        .size:           8
        .value_kind:     global_buffer
      - .offset:         56
        .size:           1
        .value_kind:     by_value
      - .offset:         57
        .size:           1
        .value_kind:     by_value
    .group_segment_fixed_size: 252
    .kernarg_segment_align: 8
    .kernarg_segment_size: 60
    .language:       OpenCL C
    .language_version:
      - 2
      - 0
    .max_flat_workgroup_size: 64
    .name:           _ZN9rocsolver6v33100L18getri_kernel_smallILi31EfPfEEvT1_iilPiilS4_bb
    .private_segment_fixed_size: 128
    .sgpr_count:     20
    .sgpr_spill_count: 0
    .symbol:         _ZN9rocsolver6v33100L18getri_kernel_smallILi31EfPfEEvT1_iilPiilS4_bb.kd
    .uniform_work_group_size: 1
    .uses_dynamic_stack: false
    .vgpr_count:     104
    .vgpr_spill_count: 0
    .wavefront_size: 32
    .workgroup_processor_mode: 1
  - .args:
      - .address_space:  global
        .offset:         0
        .size:           8
        .value_kind:     global_buffer
      - .offset:         8
        .size:           4
        .value_kind:     by_value
      - .offset:         12
        .size:           4
        .value_kind:     by_value
      - .offset:         16
        .size:           8
        .value_kind:     by_value
      - .address_space:  global
        .offset:         24
        .size:           8
        .value_kind:     global_buffer
      - .offset:         32
        .size:           4
        .value_kind:     by_value
      - .offset:         40
        .size:           8
        .value_kind:     by_value
      - .address_space:  global
        .offset:         48
        .size:           8
        .value_kind:     global_buffer
      - .offset:         56
        .size:           1
        .value_kind:     by_value
      - .offset:         57
        .size:           1
        .value_kind:     by_value
    .group_segment_fixed_size: 260
    .kernarg_segment_align: 8
    .kernarg_segment_size: 60
    .language:       OpenCL C
    .language_version:
      - 2
      - 0
    .max_flat_workgroup_size: 64
    .name:           _ZN9rocsolver6v33100L18getri_kernel_smallILi32EfPfEEvT1_iilPiilS4_bb
    .private_segment_fixed_size: 144
    .sgpr_count:     20
    .sgpr_spill_count: 0
    .symbol:         _ZN9rocsolver6v33100L18getri_kernel_smallILi32EfPfEEvT1_iilPiilS4_bb.kd
    .uniform_work_group_size: 1
    .uses_dynamic_stack: false
    .vgpr_count:     107
    .vgpr_spill_count: 0
    .wavefront_size: 32
    .workgroup_processor_mode: 1
  - .args:
      - .address_space:  global
        .offset:         0
        .size:           8
        .value_kind:     global_buffer
      - .offset:         8
        .size:           4
        .value_kind:     by_value
      - .offset:         12
        .size:           4
        .value_kind:     by_value
      - .offset:         16
        .size:           8
        .value_kind:     by_value
      - .address_space:  global
        .offset:         24
        .size:           8
        .value_kind:     global_buffer
      - .offset:         32
        .size:           4
        .value_kind:     by_value
      - .offset:         40
        .size:           8
        .value_kind:     by_value
      - .address_space:  global
        .offset:         48
        .size:           8
        .value_kind:     global_buffer
      - .offset:         56
        .size:           1
        .value_kind:     by_value
      - .offset:         57
        .size:           1
        .value_kind:     by_value
    .group_segment_fixed_size: 276
    .kernarg_segment_align: 8
    .kernarg_segment_size: 60
    .language:       OpenCL C
    .language_version:
      - 2
      - 0
    .max_flat_workgroup_size: 64
    .name:           _ZN9rocsolver6v33100L18getri_kernel_smallILi33EfPfEEvT1_iilPiilS4_bb
    .private_segment_fixed_size: 144
    .sgpr_count:     20
    .sgpr_spill_count: 0
    .symbol:         _ZN9rocsolver6v33100L18getri_kernel_smallILi33EfPfEEvT1_iilPiilS4_bb.kd
    .uniform_work_group_size: 1
    .uses_dynamic_stack: false
    .vgpr_count:     111
    .vgpr_spill_count: 0
    .wavefront_size: 32
    .workgroup_processor_mode: 1
  - .args:
      - .address_space:  global
        .offset:         0
        .size:           8
        .value_kind:     global_buffer
      - .offset:         8
        .size:           4
        .value_kind:     by_value
      - .offset:         12
        .size:           4
        .value_kind:     by_value
      - .offset:         16
        .size:           8
        .value_kind:     by_value
      - .address_space:  global
        .offset:         24
        .size:           8
        .value_kind:     global_buffer
      - .offset:         32
        .size:           4
        .value_kind:     by_value
      - .offset:         40
        .size:           8
        .value_kind:     by_value
      - .address_space:  global
        .offset:         48
        .size:           8
        .value_kind:     global_buffer
      - .offset:         56
        .size:           1
        .value_kind:     by_value
      - .offset:         57
        .size:           1
        .value_kind:     by_value
    .group_segment_fixed_size: 280
    .kernarg_segment_align: 8
    .kernarg_segment_size: 60
    .language:       OpenCL C
    .language_version:
      - 2
      - 0
    .max_flat_workgroup_size: 64
    .name:           _ZN9rocsolver6v33100L18getri_kernel_smallILi34EfPfEEvT1_iilPiilS4_bb
    .private_segment_fixed_size: 144
    .sgpr_count:     20
    .sgpr_spill_count: 0
    .symbol:         _ZN9rocsolver6v33100L18getri_kernel_smallILi34EfPfEEvT1_iilPiilS4_bb.kd
    .uniform_work_group_size: 1
    .uses_dynamic_stack: false
    .vgpr_count:     113
    .vgpr_spill_count: 0
    .wavefront_size: 32
    .workgroup_processor_mode: 1
  - .args:
      - .address_space:  global
        .offset:         0
        .size:           8
        .value_kind:     global_buffer
      - .offset:         8
        .size:           4
        .value_kind:     by_value
      - .offset:         12
        .size:           4
        .value_kind:     by_value
      - .offset:         16
        .size:           8
        .value_kind:     by_value
      - .address_space:  global
        .offset:         24
        .size:           8
        .value_kind:     global_buffer
      - .offset:         32
        .size:           4
        .value_kind:     by_value
      - .offset:         40
        .size:           8
        .value_kind:     by_value
      - .address_space:  global
        .offset:         48
        .size:           8
        .value_kind:     global_buffer
      - .offset:         56
        .size:           1
        .value_kind:     by_value
      - .offset:         57
        .size:           1
        .value_kind:     by_value
    .group_segment_fixed_size: 284
    .kernarg_segment_align: 8
    .kernarg_segment_size: 60
    .language:       OpenCL C
    .language_version:
      - 2
      - 0
    .max_flat_workgroup_size: 64
    .name:           _ZN9rocsolver6v33100L18getri_kernel_smallILi35EfPfEEvT1_iilPiilS4_bb
    .private_segment_fixed_size: 144
    .sgpr_count:     20
    .sgpr_spill_count: 0
    .symbol:         _ZN9rocsolver6v33100L18getri_kernel_smallILi35EfPfEEvT1_iilPiilS4_bb.kd
    .uniform_work_group_size: 1
    .uses_dynamic_stack: false
    .vgpr_count:     117
    .vgpr_spill_count: 0
    .wavefront_size: 32
    .workgroup_processor_mode: 1
  - .args:
      - .address_space:  global
        .offset:         0
        .size:           8
        .value_kind:     global_buffer
      - .offset:         8
        .size:           4
        .value_kind:     by_value
      - .offset:         12
        .size:           4
        .value_kind:     by_value
      - .offset:         16
        .size:           8
        .value_kind:     by_value
      - .address_space:  global
        .offset:         24
        .size:           8
        .value_kind:     global_buffer
      - .offset:         32
        .size:           4
        .value_kind:     by_value
      - .offset:         40
        .size:           8
        .value_kind:     by_value
      - .address_space:  global
        .offset:         48
        .size:           8
        .value_kind:     global_buffer
      - .offset:         56
        .size:           1
        .value_kind:     by_value
      - .offset:         57
        .size:           1
        .value_kind:     by_value
    .group_segment_fixed_size: 292
    .kernarg_segment_align: 8
    .kernarg_segment_size: 60
    .language:       OpenCL C
    .language_version:
      - 2
      - 0
    .max_flat_workgroup_size: 64
    .name:           _ZN9rocsolver6v33100L18getri_kernel_smallILi36EfPfEEvT1_iilPiilS4_bb
    .private_segment_fixed_size: 160
    .sgpr_count:     20
    .sgpr_spill_count: 0
    .symbol:         _ZN9rocsolver6v33100L18getri_kernel_smallILi36EfPfEEvT1_iilPiilS4_bb.kd
    .uniform_work_group_size: 1
    .uses_dynamic_stack: false
    .vgpr_count:     119
    .vgpr_spill_count: 0
    .wavefront_size: 32
    .workgroup_processor_mode: 1
  - .args:
      - .address_space:  global
        .offset:         0
        .size:           8
        .value_kind:     global_buffer
      - .offset:         8
        .size:           4
        .value_kind:     by_value
      - .offset:         12
        .size:           4
        .value_kind:     by_value
      - .offset:         16
        .size:           8
        .value_kind:     by_value
      - .address_space:  global
        .offset:         24
        .size:           8
        .value_kind:     global_buffer
      - .offset:         32
        .size:           4
        .value_kind:     by_value
      - .offset:         40
        .size:           8
        .value_kind:     by_value
      - .address_space:  global
        .offset:         48
        .size:           8
        .value_kind:     global_buffer
      - .offset:         56
        .size:           1
        .value_kind:     by_value
      - .offset:         57
        .size:           1
        .value_kind:     by_value
    .group_segment_fixed_size: 308
    .kernarg_segment_align: 8
    .kernarg_segment_size: 60
    .language:       OpenCL C
    .language_version:
      - 2
      - 0
    .max_flat_workgroup_size: 64
    .name:           _ZN9rocsolver6v33100L18getri_kernel_smallILi37EfPfEEvT1_iilPiilS4_bb
    .private_segment_fixed_size: 160
    .sgpr_count:     20
    .sgpr_spill_count: 0
    .symbol:         _ZN9rocsolver6v33100L18getri_kernel_smallILi37EfPfEEvT1_iilPiilS4_bb.kd
    .uniform_work_group_size: 1
    .uses_dynamic_stack: false
    .vgpr_count:     123
    .vgpr_spill_count: 0
    .wavefront_size: 32
    .workgroup_processor_mode: 1
  - .args:
      - .address_space:  global
        .offset:         0
        .size:           8
        .value_kind:     global_buffer
      - .offset:         8
        .size:           4
        .value_kind:     by_value
      - .offset:         12
        .size:           4
        .value_kind:     by_value
      - .offset:         16
        .size:           8
        .value_kind:     by_value
      - .address_space:  global
        .offset:         24
        .size:           8
        .value_kind:     global_buffer
      - .offset:         32
        .size:           4
        .value_kind:     by_value
      - .offset:         40
        .size:           8
        .value_kind:     by_value
      - .address_space:  global
        .offset:         48
        .size:           8
        .value_kind:     global_buffer
      - .offset:         56
        .size:           1
        .value_kind:     by_value
      - .offset:         57
        .size:           1
        .value_kind:     by_value
    .group_segment_fixed_size: 312
    .kernarg_segment_align: 8
    .kernarg_segment_size: 60
    .language:       OpenCL C
    .language_version:
      - 2
      - 0
    .max_flat_workgroup_size: 64
    .name:           _ZN9rocsolver6v33100L18getri_kernel_smallILi38EfPfEEvT1_iilPiilS4_bb
    .private_segment_fixed_size: 160
    .sgpr_count:     20
    .sgpr_spill_count: 0
    .symbol:         _ZN9rocsolver6v33100L18getri_kernel_smallILi38EfPfEEvT1_iilPiilS4_bb.kd
    .uniform_work_group_size: 1
    .uses_dynamic_stack: false
    .vgpr_count:     125
    .vgpr_spill_count: 0
    .wavefront_size: 32
    .workgroup_processor_mode: 1
  - .args:
      - .address_space:  global
        .offset:         0
        .size:           8
        .value_kind:     global_buffer
      - .offset:         8
        .size:           4
        .value_kind:     by_value
      - .offset:         12
        .size:           4
        .value_kind:     by_value
      - .offset:         16
        .size:           8
        .value_kind:     by_value
      - .address_space:  global
        .offset:         24
        .size:           8
        .value_kind:     global_buffer
      - .offset:         32
        .size:           4
        .value_kind:     by_value
      - .offset:         40
        .size:           8
        .value_kind:     by_value
      - .address_space:  global
        .offset:         48
        .size:           8
        .value_kind:     global_buffer
      - .offset:         56
        .size:           1
        .value_kind:     by_value
      - .offset:         57
        .size:           1
        .value_kind:     by_value
    .group_segment_fixed_size: 316
    .kernarg_segment_align: 8
    .kernarg_segment_size: 60
    .language:       OpenCL C
    .language_version:
      - 2
      - 0
    .max_flat_workgroup_size: 64
    .name:           _ZN9rocsolver6v33100L18getri_kernel_smallILi39EfPfEEvT1_iilPiilS4_bb
    .private_segment_fixed_size: 160
    .sgpr_count:     20
    .sgpr_spill_count: 0
    .symbol:         _ZN9rocsolver6v33100L18getri_kernel_smallILi39EfPfEEvT1_iilPiilS4_bb.kd
    .uniform_work_group_size: 1
    .uses_dynamic_stack: false
    .vgpr_count:     129
    .vgpr_spill_count: 0
    .wavefront_size: 32
    .workgroup_processor_mode: 1
  - .args:
      - .address_space:  global
        .offset:         0
        .size:           8
        .value_kind:     global_buffer
      - .offset:         8
        .size:           4
        .value_kind:     by_value
      - .offset:         12
        .size:           4
        .value_kind:     by_value
      - .offset:         16
        .size:           8
        .value_kind:     by_value
      - .address_space:  global
        .offset:         24
        .size:           8
        .value_kind:     global_buffer
      - .offset:         32
        .size:           4
        .value_kind:     by_value
      - .offset:         40
        .size:           8
        .value_kind:     by_value
      - .address_space:  global
        .offset:         48
        .size:           8
        .value_kind:     global_buffer
      - .offset:         56
        .size:           1
        .value_kind:     by_value
      - .offset:         57
        .size:           1
        .value_kind:     by_value
    .group_segment_fixed_size: 324
    .kernarg_segment_align: 8
    .kernarg_segment_size: 60
    .language:       OpenCL C
    .language_version:
      - 2
      - 0
    .max_flat_workgroup_size: 64
    .name:           _ZN9rocsolver6v33100L18getri_kernel_smallILi40EfPfEEvT1_iilPiilS4_bb
    .private_segment_fixed_size: 176
    .sgpr_count:     20
    .sgpr_spill_count: 0
    .symbol:         _ZN9rocsolver6v33100L18getri_kernel_smallILi40EfPfEEvT1_iilPiilS4_bb.kd
    .uniform_work_group_size: 1
    .uses_dynamic_stack: false
    .vgpr_count:     132
    .vgpr_spill_count: 0
    .wavefront_size: 32
    .workgroup_processor_mode: 1
  - .args:
      - .address_space:  global
        .offset:         0
        .size:           8
        .value_kind:     global_buffer
      - .offset:         8
        .size:           4
        .value_kind:     by_value
      - .offset:         12
        .size:           4
        .value_kind:     by_value
      - .offset:         16
        .size:           8
        .value_kind:     by_value
      - .address_space:  global
        .offset:         24
        .size:           8
        .value_kind:     global_buffer
      - .offset:         32
        .size:           4
        .value_kind:     by_value
      - .offset:         40
        .size:           8
        .value_kind:     by_value
      - .address_space:  global
        .offset:         48
        .size:           8
        .value_kind:     global_buffer
      - .offset:         56
        .size:           1
        .value_kind:     by_value
      - .offset:         57
        .size:           1
        .value_kind:     by_value
    .group_segment_fixed_size: 340
    .kernarg_segment_align: 8
    .kernarg_segment_size: 60
    .language:       OpenCL C
    .language_version:
      - 2
      - 0
    .max_flat_workgroup_size: 64
    .name:           _ZN9rocsolver6v33100L18getri_kernel_smallILi41EfPfEEvT1_iilPiilS4_bb
    .private_segment_fixed_size: 176
    .sgpr_count:     20
    .sgpr_spill_count: 0
    .symbol:         _ZN9rocsolver6v33100L18getri_kernel_smallILi41EfPfEEvT1_iilPiilS4_bb.kd
    .uniform_work_group_size: 1
    .uses_dynamic_stack: false
    .vgpr_count:     135
    .vgpr_spill_count: 0
    .wavefront_size: 32
    .workgroup_processor_mode: 1
  - .args:
      - .address_space:  global
        .offset:         0
        .size:           8
        .value_kind:     global_buffer
      - .offset:         8
        .size:           4
        .value_kind:     by_value
      - .offset:         12
        .size:           4
        .value_kind:     by_value
      - .offset:         16
        .size:           8
        .value_kind:     by_value
      - .address_space:  global
        .offset:         24
        .size:           8
        .value_kind:     global_buffer
      - .offset:         32
        .size:           4
        .value_kind:     by_value
      - .offset:         40
        .size:           8
        .value_kind:     by_value
      - .address_space:  global
        .offset:         48
        .size:           8
        .value_kind:     global_buffer
      - .offset:         56
        .size:           1
        .value_kind:     by_value
      - .offset:         57
        .size:           1
        .value_kind:     by_value
    .group_segment_fixed_size: 344
    .kernarg_segment_align: 8
    .kernarg_segment_size: 60
    .language:       OpenCL C
    .language_version:
      - 2
      - 0
    .max_flat_workgroup_size: 64
    .name:           _ZN9rocsolver6v33100L18getri_kernel_smallILi42EfPfEEvT1_iilPiilS4_bb
    .private_segment_fixed_size: 176
    .sgpr_count:     20
    .sgpr_spill_count: 0
    .symbol:         _ZN9rocsolver6v33100L18getri_kernel_smallILi42EfPfEEvT1_iilPiilS4_bb.kd
    .uniform_work_group_size: 1
    .uses_dynamic_stack: false
    .vgpr_count:     136
    .vgpr_spill_count: 0
    .wavefront_size: 32
    .workgroup_processor_mode: 1
  - .args:
      - .address_space:  global
        .offset:         0
        .size:           8
        .value_kind:     global_buffer
      - .offset:         8
        .size:           4
        .value_kind:     by_value
      - .offset:         12
        .size:           4
        .value_kind:     by_value
      - .offset:         16
        .size:           8
        .value_kind:     by_value
      - .address_space:  global
        .offset:         24
        .size:           8
        .value_kind:     global_buffer
      - .offset:         32
        .size:           4
        .value_kind:     by_value
      - .offset:         40
        .size:           8
        .value_kind:     by_value
      - .address_space:  global
        .offset:         48
        .size:           8
        .value_kind:     global_buffer
      - .offset:         56
        .size:           1
        .value_kind:     by_value
      - .offset:         57
        .size:           1
        .value_kind:     by_value
    .group_segment_fixed_size: 348
    .kernarg_segment_align: 8
    .kernarg_segment_size: 60
    .language:       OpenCL C
    .language_version:
      - 2
      - 0
    .max_flat_workgroup_size: 64
    .name:           _ZN9rocsolver6v33100L18getri_kernel_smallILi43EfPfEEvT1_iilPiilS4_bb
    .private_segment_fixed_size: 176
    .sgpr_count:     20
    .sgpr_spill_count: 0
    .symbol:         _ZN9rocsolver6v33100L18getri_kernel_smallILi43EfPfEEvT1_iilPiilS4_bb.kd
    .uniform_work_group_size: 1
    .uses_dynamic_stack: false
    .vgpr_count:     140
    .vgpr_spill_count: 0
    .wavefront_size: 32
    .workgroup_processor_mode: 1
  - .args:
      - .address_space:  global
        .offset:         0
        .size:           8
        .value_kind:     global_buffer
      - .offset:         8
        .size:           4
        .value_kind:     by_value
      - .offset:         12
        .size:           4
        .value_kind:     by_value
      - .offset:         16
        .size:           8
        .value_kind:     by_value
      - .address_space:  global
        .offset:         24
        .size:           8
        .value_kind:     global_buffer
      - .offset:         32
        .size:           4
        .value_kind:     by_value
      - .offset:         40
        .size:           8
        .value_kind:     by_value
      - .address_space:  global
        .offset:         48
        .size:           8
        .value_kind:     global_buffer
      - .offset:         56
        .size:           1
        .value_kind:     by_value
      - .offset:         57
        .size:           1
        .value_kind:     by_value
    .group_segment_fixed_size: 356
    .kernarg_segment_align: 8
    .kernarg_segment_size: 60
    .language:       OpenCL C
    .language_version:
      - 2
      - 0
    .max_flat_workgroup_size: 64
    .name:           _ZN9rocsolver6v33100L18getri_kernel_smallILi44EfPfEEvT1_iilPiilS4_bb
    .private_segment_fixed_size: 192
    .sgpr_count:     20
    .sgpr_spill_count: 0
    .symbol:         _ZN9rocsolver6v33100L18getri_kernel_smallILi44EfPfEEvT1_iilPiilS4_bb.kd
    .uniform_work_group_size: 1
    .uses_dynamic_stack: false
    .vgpr_count:     143
    .vgpr_spill_count: 0
    .wavefront_size: 32
    .workgroup_processor_mode: 1
  - .args:
      - .address_space:  global
        .offset:         0
        .size:           8
        .value_kind:     global_buffer
      - .offset:         8
        .size:           4
        .value_kind:     by_value
      - .offset:         12
        .size:           4
        .value_kind:     by_value
      - .offset:         16
        .size:           8
        .value_kind:     by_value
      - .address_space:  global
        .offset:         24
        .size:           8
        .value_kind:     global_buffer
      - .offset:         32
        .size:           4
        .value_kind:     by_value
      - .offset:         40
        .size:           8
        .value_kind:     by_value
      - .address_space:  global
        .offset:         48
        .size:           8
        .value_kind:     global_buffer
      - .offset:         56
        .size:           1
        .value_kind:     by_value
      - .offset:         57
        .size:           1
        .value_kind:     by_value
    .group_segment_fixed_size: 372
    .kernarg_segment_align: 8
    .kernarg_segment_size: 60
    .language:       OpenCL C
    .language_version:
      - 2
      - 0
    .max_flat_workgroup_size: 64
    .name:           _ZN9rocsolver6v33100L18getri_kernel_smallILi45EfPfEEvT1_iilPiilS4_bb
    .private_segment_fixed_size: 192
    .sgpr_count:     20
    .sgpr_spill_count: 0
    .symbol:         _ZN9rocsolver6v33100L18getri_kernel_smallILi45EfPfEEvT1_iilPiilS4_bb.kd
    .uniform_work_group_size: 1
    .uses_dynamic_stack: false
    .vgpr_count:     147
    .vgpr_spill_count: 0
    .wavefront_size: 32
    .workgroup_processor_mode: 1
  - .args:
      - .address_space:  global
        .offset:         0
        .size:           8
        .value_kind:     global_buffer
      - .offset:         8
        .size:           4
        .value_kind:     by_value
      - .offset:         12
        .size:           4
        .value_kind:     by_value
      - .offset:         16
        .size:           8
        .value_kind:     by_value
      - .address_space:  global
        .offset:         24
        .size:           8
        .value_kind:     global_buffer
      - .offset:         32
        .size:           4
        .value_kind:     by_value
      - .offset:         40
        .size:           8
        .value_kind:     by_value
      - .address_space:  global
        .offset:         48
        .size:           8
        .value_kind:     global_buffer
      - .offset:         56
        .size:           1
        .value_kind:     by_value
      - .offset:         57
        .size:           1
        .value_kind:     by_value
    .group_segment_fixed_size: 376
    .kernarg_segment_align: 8
    .kernarg_segment_size: 60
    .language:       OpenCL C
    .language_version:
      - 2
      - 0
    .max_flat_workgroup_size: 64
    .name:           _ZN9rocsolver6v33100L18getri_kernel_smallILi46EfPfEEvT1_iilPiilS4_bb
    .private_segment_fixed_size: 192
    .sgpr_count:     20
    .sgpr_spill_count: 0
    .symbol:         _ZN9rocsolver6v33100L18getri_kernel_smallILi46EfPfEEvT1_iilPiilS4_bb.kd
    .uniform_work_group_size: 1
    .uses_dynamic_stack: false
    .vgpr_count:     148
    .vgpr_spill_count: 0
    .wavefront_size: 32
    .workgroup_processor_mode: 1
  - .args:
      - .address_space:  global
        .offset:         0
        .size:           8
        .value_kind:     global_buffer
      - .offset:         8
        .size:           4
        .value_kind:     by_value
      - .offset:         12
        .size:           4
        .value_kind:     by_value
      - .offset:         16
        .size:           8
        .value_kind:     by_value
      - .address_space:  global
        .offset:         24
        .size:           8
        .value_kind:     global_buffer
      - .offset:         32
        .size:           4
        .value_kind:     by_value
      - .offset:         40
        .size:           8
        .value_kind:     by_value
      - .address_space:  global
        .offset:         48
        .size:           8
        .value_kind:     global_buffer
      - .offset:         56
        .size:           1
        .value_kind:     by_value
      - .offset:         57
        .size:           1
        .value_kind:     by_value
    .group_segment_fixed_size: 380
    .kernarg_segment_align: 8
    .kernarg_segment_size: 60
    .language:       OpenCL C
    .language_version:
      - 2
      - 0
    .max_flat_workgroup_size: 64
    .name:           _ZN9rocsolver6v33100L18getri_kernel_smallILi47EfPfEEvT1_iilPiilS4_bb
    .private_segment_fixed_size: 192
    .sgpr_count:     20
    .sgpr_spill_count: 0
    .symbol:         _ZN9rocsolver6v33100L18getri_kernel_smallILi47EfPfEEvT1_iilPiilS4_bb.kd
    .uniform_work_group_size: 1
    .uses_dynamic_stack: false
    .vgpr_count:     152
    .vgpr_spill_count: 0
    .wavefront_size: 32
    .workgroup_processor_mode: 1
  - .args:
      - .address_space:  global
        .offset:         0
        .size:           8
        .value_kind:     global_buffer
      - .offset:         8
        .size:           4
        .value_kind:     by_value
      - .offset:         12
        .size:           4
        .value_kind:     by_value
      - .offset:         16
        .size:           8
        .value_kind:     by_value
      - .address_space:  global
        .offset:         24
        .size:           8
        .value_kind:     global_buffer
      - .offset:         32
        .size:           4
        .value_kind:     by_value
      - .offset:         40
        .size:           8
        .value_kind:     by_value
      - .address_space:  global
        .offset:         48
        .size:           8
        .value_kind:     global_buffer
      - .offset:         56
        .size:           1
        .value_kind:     by_value
      - .offset:         57
        .size:           1
        .value_kind:     by_value
    .group_segment_fixed_size: 388
    .kernarg_segment_align: 8
    .kernarg_segment_size: 60
    .language:       OpenCL C
    .language_version:
      - 2
      - 0
    .max_flat_workgroup_size: 64
    .name:           _ZN9rocsolver6v33100L18getri_kernel_smallILi48EfPfEEvT1_iilPiilS4_bb
    .private_segment_fixed_size: 208
    .sgpr_count:     20
    .sgpr_spill_count: 0
    .symbol:         _ZN9rocsolver6v33100L18getri_kernel_smallILi48EfPfEEvT1_iilPiilS4_bb.kd
    .uniform_work_group_size: 1
    .uses_dynamic_stack: false
    .vgpr_count:     155
    .vgpr_spill_count: 0
    .wavefront_size: 32
    .workgroup_processor_mode: 1
  - .args:
      - .address_space:  global
        .offset:         0
        .size:           8
        .value_kind:     global_buffer
      - .offset:         8
        .size:           4
        .value_kind:     by_value
      - .offset:         12
        .size:           4
        .value_kind:     by_value
      - .offset:         16
        .size:           8
        .value_kind:     by_value
      - .address_space:  global
        .offset:         24
        .size:           8
        .value_kind:     global_buffer
      - .offset:         32
        .size:           4
        .value_kind:     by_value
      - .offset:         40
        .size:           8
        .value_kind:     by_value
      - .address_space:  global
        .offset:         48
        .size:           8
        .value_kind:     global_buffer
      - .offset:         56
        .size:           1
        .value_kind:     by_value
      - .offset:         57
        .size:           1
        .value_kind:     by_value
    .group_segment_fixed_size: 404
    .kernarg_segment_align: 8
    .kernarg_segment_size: 60
    .language:       OpenCL C
    .language_version:
      - 2
      - 0
    .max_flat_workgroup_size: 64
    .name:           _ZN9rocsolver6v33100L18getri_kernel_smallILi49EfPfEEvT1_iilPiilS4_bb
    .private_segment_fixed_size: 208
    .sgpr_count:     20
    .sgpr_spill_count: 0
    .symbol:         _ZN9rocsolver6v33100L18getri_kernel_smallILi49EfPfEEvT1_iilPiilS4_bb.kd
    .uniform_work_group_size: 1
    .uses_dynamic_stack: false
    .vgpr_count:     160
    .vgpr_spill_count: 0
    .wavefront_size: 32
    .workgroup_processor_mode: 1
  - .args:
      - .address_space:  global
        .offset:         0
        .size:           8
        .value_kind:     global_buffer
      - .offset:         8
        .size:           4
        .value_kind:     by_value
      - .offset:         12
        .size:           4
        .value_kind:     by_value
      - .offset:         16
        .size:           8
        .value_kind:     by_value
      - .address_space:  global
        .offset:         24
        .size:           8
        .value_kind:     global_buffer
      - .offset:         32
        .size:           4
        .value_kind:     by_value
      - .offset:         40
        .size:           8
        .value_kind:     by_value
      - .address_space:  global
        .offset:         48
        .size:           8
        .value_kind:     global_buffer
      - .offset:         56
        .size:           1
        .value_kind:     by_value
      - .offset:         57
        .size:           1
        .value_kind:     by_value
    .group_segment_fixed_size: 408
    .kernarg_segment_align: 8
    .kernarg_segment_size: 60
    .language:       OpenCL C
    .language_version:
      - 2
      - 0
    .max_flat_workgroup_size: 64
    .name:           _ZN9rocsolver6v33100L18getri_kernel_smallILi50EfPfEEvT1_iilPiilS4_bb
    .private_segment_fixed_size: 208
    .sgpr_count:     20
    .sgpr_spill_count: 0
    .symbol:         _ZN9rocsolver6v33100L18getri_kernel_smallILi50EfPfEEvT1_iilPiilS4_bb.kd
    .uniform_work_group_size: 1
    .uses_dynamic_stack: false
    .vgpr_count:     160
    .vgpr_spill_count: 0
    .wavefront_size: 32
    .workgroup_processor_mode: 1
  - .args:
      - .address_space:  global
        .offset:         0
        .size:           8
        .value_kind:     global_buffer
      - .offset:         8
        .size:           4
        .value_kind:     by_value
      - .offset:         12
        .size:           4
        .value_kind:     by_value
      - .offset:         16
        .size:           8
        .value_kind:     by_value
      - .address_space:  global
        .offset:         24
        .size:           8
        .value_kind:     global_buffer
      - .offset:         32
        .size:           4
        .value_kind:     by_value
      - .offset:         40
        .size:           8
        .value_kind:     by_value
      - .address_space:  global
        .offset:         48
        .size:           8
        .value_kind:     global_buffer
      - .offset:         56
        .size:           1
        .value_kind:     by_value
      - .offset:         57
        .size:           1
        .value_kind:     by_value
    .group_segment_fixed_size: 412
    .kernarg_segment_align: 8
    .kernarg_segment_size: 60
    .language:       OpenCL C
    .language_version:
      - 2
      - 0
    .max_flat_workgroup_size: 64
    .name:           _ZN9rocsolver6v33100L18getri_kernel_smallILi51EfPfEEvT1_iilPiilS4_bb
    .private_segment_fixed_size: 208
    .sgpr_count:     20
    .sgpr_spill_count: 0
    .symbol:         _ZN9rocsolver6v33100L18getri_kernel_smallILi51EfPfEEvT1_iilPiilS4_bb.kd
    .uniform_work_group_size: 1
    .uses_dynamic_stack: false
    .vgpr_count:     164
    .vgpr_spill_count: 0
    .wavefront_size: 32
    .workgroup_processor_mode: 1
  - .args:
      - .address_space:  global
        .offset:         0
        .size:           8
        .value_kind:     global_buffer
      - .offset:         8
        .size:           4
        .value_kind:     by_value
      - .offset:         12
        .size:           4
        .value_kind:     by_value
      - .offset:         16
        .size:           8
        .value_kind:     by_value
      - .address_space:  global
        .offset:         24
        .size:           8
        .value_kind:     global_buffer
      - .offset:         32
        .size:           4
        .value_kind:     by_value
      - .offset:         40
        .size:           8
        .value_kind:     by_value
      - .address_space:  global
        .offset:         48
        .size:           8
        .value_kind:     global_buffer
      - .offset:         56
        .size:           1
        .value_kind:     by_value
      - .offset:         57
        .size:           1
        .value_kind:     by_value
    .group_segment_fixed_size: 420
    .kernarg_segment_align: 8
    .kernarg_segment_size: 60
    .language:       OpenCL C
    .language_version:
      - 2
      - 0
    .max_flat_workgroup_size: 64
    .name:           _ZN9rocsolver6v33100L18getri_kernel_smallILi52EfPfEEvT1_iilPiilS4_bb
    .private_segment_fixed_size: 224
    .sgpr_count:     20
    .sgpr_spill_count: 0
    .symbol:         _ZN9rocsolver6v33100L18getri_kernel_smallILi52EfPfEEvT1_iilPiilS4_bb.kd
    .uniform_work_group_size: 1
    .uses_dynamic_stack: false
    .vgpr_count:     167
    .vgpr_spill_count: 0
    .wavefront_size: 32
    .workgroup_processor_mode: 1
  - .args:
      - .address_space:  global
        .offset:         0
        .size:           8
        .value_kind:     global_buffer
      - .offset:         8
        .size:           4
        .value_kind:     by_value
      - .offset:         12
        .size:           4
        .value_kind:     by_value
      - .offset:         16
        .size:           8
        .value_kind:     by_value
      - .address_space:  global
        .offset:         24
        .size:           8
        .value_kind:     global_buffer
      - .offset:         32
        .size:           4
        .value_kind:     by_value
      - .offset:         40
        .size:           8
        .value_kind:     by_value
      - .address_space:  global
        .offset:         48
        .size:           8
        .value_kind:     global_buffer
      - .offset:         56
        .size:           1
        .value_kind:     by_value
      - .offset:         57
        .size:           1
        .value_kind:     by_value
    .group_segment_fixed_size: 436
    .kernarg_segment_align: 8
    .kernarg_segment_size: 60
    .language:       OpenCL C
    .language_version:
      - 2
      - 0
    .max_flat_workgroup_size: 64
    .name:           _ZN9rocsolver6v33100L18getri_kernel_smallILi53EfPfEEvT1_iilPiilS4_bb
    .private_segment_fixed_size: 224
    .sgpr_count:     20
    .sgpr_spill_count: 0
    .symbol:         _ZN9rocsolver6v33100L18getri_kernel_smallILi53EfPfEEvT1_iilPiilS4_bb.kd
    .uniform_work_group_size: 1
    .uses_dynamic_stack: false
    .vgpr_count:     171
    .vgpr_spill_count: 0
    .wavefront_size: 32
    .workgroup_processor_mode: 1
  - .args:
      - .address_space:  global
        .offset:         0
        .size:           8
        .value_kind:     global_buffer
      - .offset:         8
        .size:           4
        .value_kind:     by_value
      - .offset:         12
        .size:           4
        .value_kind:     by_value
      - .offset:         16
        .size:           8
        .value_kind:     by_value
      - .address_space:  global
        .offset:         24
        .size:           8
        .value_kind:     global_buffer
      - .offset:         32
        .size:           4
        .value_kind:     by_value
      - .offset:         40
        .size:           8
        .value_kind:     by_value
      - .address_space:  global
        .offset:         48
        .size:           8
        .value_kind:     global_buffer
      - .offset:         56
        .size:           1
        .value_kind:     by_value
      - .offset:         57
        .size:           1
        .value_kind:     by_value
    .group_segment_fixed_size: 440
    .kernarg_segment_align: 8
    .kernarg_segment_size: 60
    .language:       OpenCL C
    .language_version:
      - 2
      - 0
    .max_flat_workgroup_size: 64
    .name:           _ZN9rocsolver6v33100L18getri_kernel_smallILi54EfPfEEvT1_iilPiilS4_bb
    .private_segment_fixed_size: 224
    .sgpr_count:     20
    .sgpr_spill_count: 0
    .symbol:         _ZN9rocsolver6v33100L18getri_kernel_smallILi54EfPfEEvT1_iilPiilS4_bb.kd
    .uniform_work_group_size: 1
    .uses_dynamic_stack: false
    .vgpr_count:     172
    .vgpr_spill_count: 0
    .wavefront_size: 32
    .workgroup_processor_mode: 1
  - .args:
      - .address_space:  global
        .offset:         0
        .size:           8
        .value_kind:     global_buffer
      - .offset:         8
        .size:           4
        .value_kind:     by_value
      - .offset:         12
        .size:           4
        .value_kind:     by_value
      - .offset:         16
        .size:           8
        .value_kind:     by_value
      - .address_space:  global
        .offset:         24
        .size:           8
        .value_kind:     global_buffer
      - .offset:         32
        .size:           4
        .value_kind:     by_value
      - .offset:         40
        .size:           8
        .value_kind:     by_value
      - .address_space:  global
        .offset:         48
        .size:           8
        .value_kind:     global_buffer
      - .offset:         56
        .size:           1
        .value_kind:     by_value
      - .offset:         57
        .size:           1
        .value_kind:     by_value
    .group_segment_fixed_size: 444
    .kernarg_segment_align: 8
    .kernarg_segment_size: 60
    .language:       OpenCL C
    .language_version:
      - 2
      - 0
    .max_flat_workgroup_size: 64
    .name:           _ZN9rocsolver6v33100L18getri_kernel_smallILi55EfPfEEvT1_iilPiilS4_bb
    .private_segment_fixed_size: 224
    .sgpr_count:     20
    .sgpr_spill_count: 0
    .symbol:         _ZN9rocsolver6v33100L18getri_kernel_smallILi55EfPfEEvT1_iilPiilS4_bb.kd
    .uniform_work_group_size: 1
    .uses_dynamic_stack: false
    .vgpr_count:     176
    .vgpr_spill_count: 0
    .wavefront_size: 32
    .workgroup_processor_mode: 1
  - .args:
      - .address_space:  global
        .offset:         0
        .size:           8
        .value_kind:     global_buffer
      - .offset:         8
        .size:           4
        .value_kind:     by_value
      - .offset:         12
        .size:           4
        .value_kind:     by_value
      - .offset:         16
        .size:           8
        .value_kind:     by_value
      - .address_space:  global
        .offset:         24
        .size:           8
        .value_kind:     global_buffer
      - .offset:         32
        .size:           4
        .value_kind:     by_value
      - .offset:         40
        .size:           8
        .value_kind:     by_value
      - .address_space:  global
        .offset:         48
        .size:           8
        .value_kind:     global_buffer
      - .offset:         56
        .size:           1
        .value_kind:     by_value
      - .offset:         57
        .size:           1
        .value_kind:     by_value
    .group_segment_fixed_size: 452
    .kernarg_segment_align: 8
    .kernarg_segment_size: 60
    .language:       OpenCL C
    .language_version:
      - 2
      - 0
    .max_flat_workgroup_size: 64
    .name:           _ZN9rocsolver6v33100L18getri_kernel_smallILi56EfPfEEvT1_iilPiilS4_bb
    .private_segment_fixed_size: 240
    .sgpr_count:     20
    .sgpr_spill_count: 0
    .symbol:         _ZN9rocsolver6v33100L18getri_kernel_smallILi56EfPfEEvT1_iilPiilS4_bb.kd
    .uniform_work_group_size: 1
    .uses_dynamic_stack: false
    .vgpr_count:     179
    .vgpr_spill_count: 0
    .wavefront_size: 32
    .workgroup_processor_mode: 1
  - .args:
      - .address_space:  global
        .offset:         0
        .size:           8
        .value_kind:     global_buffer
      - .offset:         8
        .size:           4
        .value_kind:     by_value
      - .offset:         12
        .size:           4
        .value_kind:     by_value
      - .offset:         16
        .size:           8
        .value_kind:     by_value
      - .address_space:  global
        .offset:         24
        .size:           8
        .value_kind:     global_buffer
      - .offset:         32
        .size:           4
        .value_kind:     by_value
      - .offset:         40
        .size:           8
        .value_kind:     by_value
      - .address_space:  global
        .offset:         48
        .size:           8
        .value_kind:     global_buffer
      - .offset:         56
        .size:           1
        .value_kind:     by_value
      - .offset:         57
        .size:           1
        .value_kind:     by_value
    .group_segment_fixed_size: 468
    .kernarg_segment_align: 8
    .kernarg_segment_size: 60
    .language:       OpenCL C
    .language_version:
      - 2
      - 0
    .max_flat_workgroup_size: 64
    .name:           _ZN9rocsolver6v33100L18getri_kernel_smallILi57EfPfEEvT1_iilPiilS4_bb
    .private_segment_fixed_size: 240
    .sgpr_count:     20
    .sgpr_spill_count: 0
    .symbol:         _ZN9rocsolver6v33100L18getri_kernel_smallILi57EfPfEEvT1_iilPiilS4_bb.kd
    .uniform_work_group_size: 1
    .uses_dynamic_stack: false
    .vgpr_count:     183
    .vgpr_spill_count: 0
    .wavefront_size: 32
    .workgroup_processor_mode: 1
  - .args:
      - .address_space:  global
        .offset:         0
        .size:           8
        .value_kind:     global_buffer
      - .offset:         8
        .size:           4
        .value_kind:     by_value
      - .offset:         12
        .size:           4
        .value_kind:     by_value
      - .offset:         16
        .size:           8
        .value_kind:     by_value
      - .address_space:  global
        .offset:         24
        .size:           8
        .value_kind:     global_buffer
      - .offset:         32
        .size:           4
        .value_kind:     by_value
      - .offset:         40
        .size:           8
        .value_kind:     by_value
      - .address_space:  global
        .offset:         48
        .size:           8
        .value_kind:     global_buffer
      - .offset:         56
        .size:           1
        .value_kind:     by_value
      - .offset:         57
        .size:           1
        .value_kind:     by_value
    .group_segment_fixed_size: 472
    .kernarg_segment_align: 8
    .kernarg_segment_size: 60
    .language:       OpenCL C
    .language_version:
      - 2
      - 0
    .max_flat_workgroup_size: 64
    .name:           _ZN9rocsolver6v33100L18getri_kernel_smallILi58EfPfEEvT1_iilPiilS4_bb
    .private_segment_fixed_size: 240
    .sgpr_count:     20
    .sgpr_spill_count: 0
    .symbol:         _ZN9rocsolver6v33100L18getri_kernel_smallILi58EfPfEEvT1_iilPiilS4_bb.kd
    .uniform_work_group_size: 1
    .uses_dynamic_stack: false
    .vgpr_count:     184
    .vgpr_spill_count: 0
    .wavefront_size: 32
    .workgroup_processor_mode: 1
  - .args:
      - .address_space:  global
        .offset:         0
        .size:           8
        .value_kind:     global_buffer
      - .offset:         8
        .size:           4
        .value_kind:     by_value
      - .offset:         12
        .size:           4
        .value_kind:     by_value
      - .offset:         16
        .size:           8
        .value_kind:     by_value
      - .address_space:  global
        .offset:         24
        .size:           8
        .value_kind:     global_buffer
      - .offset:         32
        .size:           4
        .value_kind:     by_value
      - .offset:         40
        .size:           8
        .value_kind:     by_value
      - .address_space:  global
        .offset:         48
        .size:           8
        .value_kind:     global_buffer
      - .offset:         56
        .size:           1
        .value_kind:     by_value
      - .offset:         57
        .size:           1
        .value_kind:     by_value
    .group_segment_fixed_size: 476
    .kernarg_segment_align: 8
    .kernarg_segment_size: 60
    .language:       OpenCL C
    .language_version:
      - 2
      - 0
    .max_flat_workgroup_size: 64
    .name:           _ZN9rocsolver6v33100L18getri_kernel_smallILi59EfPfEEvT1_iilPiilS4_bb
    .private_segment_fixed_size: 240
    .sgpr_count:     20
    .sgpr_spill_count: 0
    .symbol:         _ZN9rocsolver6v33100L18getri_kernel_smallILi59EfPfEEvT1_iilPiilS4_bb.kd
    .uniform_work_group_size: 1
    .uses_dynamic_stack: false
    .vgpr_count:     188
    .vgpr_spill_count: 0
    .wavefront_size: 32
    .workgroup_processor_mode: 1
  - .args:
      - .address_space:  global
        .offset:         0
        .size:           8
        .value_kind:     global_buffer
      - .offset:         8
        .size:           4
        .value_kind:     by_value
      - .offset:         12
        .size:           4
        .value_kind:     by_value
      - .offset:         16
        .size:           8
        .value_kind:     by_value
      - .address_space:  global
        .offset:         24
        .size:           8
        .value_kind:     global_buffer
      - .offset:         32
        .size:           4
        .value_kind:     by_value
      - .offset:         40
        .size:           8
        .value_kind:     by_value
      - .address_space:  global
        .offset:         48
        .size:           8
        .value_kind:     global_buffer
      - .offset:         56
        .size:           1
        .value_kind:     by_value
      - .offset:         57
        .size:           1
        .value_kind:     by_value
    .group_segment_fixed_size: 484
    .kernarg_segment_align: 8
    .kernarg_segment_size: 60
    .language:       OpenCL C
    .language_version:
      - 2
      - 0
    .max_flat_workgroup_size: 64
    .name:           _ZN9rocsolver6v33100L18getri_kernel_smallILi60EfPfEEvT1_iilPiilS4_bb
    .private_segment_fixed_size: 256
    .sgpr_count:     20
    .sgpr_spill_count: 0
    .symbol:         _ZN9rocsolver6v33100L18getri_kernel_smallILi60EfPfEEvT1_iilPiilS4_bb.kd
    .uniform_work_group_size: 1
    .uses_dynamic_stack: false
    .vgpr_count:     191
    .vgpr_spill_count: 0
    .wavefront_size: 32
    .workgroup_processor_mode: 1
  - .args:
      - .address_space:  global
        .offset:         0
        .size:           8
        .value_kind:     global_buffer
      - .offset:         8
        .size:           4
        .value_kind:     by_value
      - .offset:         12
        .size:           4
        .value_kind:     by_value
      - .offset:         16
        .size:           8
        .value_kind:     by_value
      - .address_space:  global
        .offset:         24
        .size:           8
        .value_kind:     global_buffer
      - .offset:         32
        .size:           4
        .value_kind:     by_value
      - .offset:         40
        .size:           8
        .value_kind:     by_value
      - .address_space:  global
        .offset:         48
        .size:           8
        .value_kind:     global_buffer
      - .offset:         56
        .size:           1
        .value_kind:     by_value
      - .offset:         57
        .size:           1
        .value_kind:     by_value
    .group_segment_fixed_size: 500
    .kernarg_segment_align: 8
    .kernarg_segment_size: 60
    .language:       OpenCL C
    .language_version:
      - 2
      - 0
    .max_flat_workgroup_size: 64
    .name:           _ZN9rocsolver6v33100L18getri_kernel_smallILi61EfPfEEvT1_iilPiilS4_bb
    .private_segment_fixed_size: 256
    .sgpr_count:     20
    .sgpr_spill_count: 0
    .symbol:         _ZN9rocsolver6v33100L18getri_kernel_smallILi61EfPfEEvT1_iilPiilS4_bb.kd
    .uniform_work_group_size: 1
    .uses_dynamic_stack: false
    .vgpr_count:     195
    .vgpr_spill_count: 0
    .wavefront_size: 32
    .workgroup_processor_mode: 1
  - .args:
      - .address_space:  global
        .offset:         0
        .size:           8
        .value_kind:     global_buffer
      - .offset:         8
        .size:           4
        .value_kind:     by_value
      - .offset:         12
        .size:           4
        .value_kind:     by_value
      - .offset:         16
        .size:           8
        .value_kind:     by_value
      - .address_space:  global
        .offset:         24
        .size:           8
        .value_kind:     global_buffer
      - .offset:         32
        .size:           4
        .value_kind:     by_value
      - .offset:         40
        .size:           8
        .value_kind:     by_value
      - .address_space:  global
        .offset:         48
        .size:           8
        .value_kind:     global_buffer
      - .offset:         56
        .size:           1
        .value_kind:     by_value
      - .offset:         57
        .size:           1
        .value_kind:     by_value
    .group_segment_fixed_size: 504
    .kernarg_segment_align: 8
    .kernarg_segment_size: 60
    .language:       OpenCL C
    .language_version:
      - 2
      - 0
    .max_flat_workgroup_size: 64
    .name:           _ZN9rocsolver6v33100L18getri_kernel_smallILi62EfPfEEvT1_iilPiilS4_bb
    .private_segment_fixed_size: 256
    .sgpr_count:     20
    .sgpr_spill_count: 0
    .symbol:         _ZN9rocsolver6v33100L18getri_kernel_smallILi62EfPfEEvT1_iilPiilS4_bb.kd
    .uniform_work_group_size: 1
    .uses_dynamic_stack: false
    .vgpr_count:     197
    .vgpr_spill_count: 0
    .wavefront_size: 32
    .workgroup_processor_mode: 1
  - .args:
      - .address_space:  global
        .offset:         0
        .size:           8
        .value_kind:     global_buffer
      - .offset:         8
        .size:           4
        .value_kind:     by_value
      - .offset:         12
        .size:           4
        .value_kind:     by_value
      - .offset:         16
        .size:           8
        .value_kind:     by_value
      - .address_space:  global
        .offset:         24
        .size:           8
        .value_kind:     global_buffer
      - .offset:         32
        .size:           4
        .value_kind:     by_value
      - .offset:         40
        .size:           8
        .value_kind:     by_value
      - .address_space:  global
        .offset:         48
        .size:           8
        .value_kind:     global_buffer
      - .offset:         56
        .size:           1
        .value_kind:     by_value
      - .offset:         57
        .size:           1
        .value_kind:     by_value
    .group_segment_fixed_size: 508
    .kernarg_segment_align: 8
    .kernarg_segment_size: 60
    .language:       OpenCL C
    .language_version:
      - 2
      - 0
    .max_flat_workgroup_size: 64
    .name:           _ZN9rocsolver6v33100L18getri_kernel_smallILi63EfPfEEvT1_iilPiilS4_bb
    .private_segment_fixed_size: 256
    .sgpr_count:     20
    .sgpr_spill_count: 0
    .symbol:         _ZN9rocsolver6v33100L18getri_kernel_smallILi63EfPfEEvT1_iilPiilS4_bb.kd
    .uniform_work_group_size: 1
    .uses_dynamic_stack: false
    .vgpr_count:     201
    .vgpr_spill_count: 0
    .wavefront_size: 32
    .workgroup_processor_mode: 1
  - .args:
      - .address_space:  global
        .offset:         0
        .size:           8
        .value_kind:     global_buffer
      - .offset:         8
        .size:           4
        .value_kind:     by_value
      - .offset:         12
        .size:           4
        .value_kind:     by_value
      - .offset:         16
        .size:           8
        .value_kind:     by_value
      - .address_space:  global
        .offset:         24
        .size:           8
        .value_kind:     global_buffer
      - .offset:         32
        .size:           4
        .value_kind:     by_value
      - .offset:         40
        .size:           8
        .value_kind:     by_value
      - .address_space:  global
        .offset:         48
        .size:           8
        .value_kind:     global_buffer
      - .offset:         56
        .size:           1
        .value_kind:     by_value
      - .offset:         57
        .size:           1
        .value_kind:     by_value
    .group_segment_fixed_size: 516
    .kernarg_segment_align: 8
    .kernarg_segment_size: 60
    .language:       OpenCL C
    .language_version:
      - 2
      - 0
    .max_flat_workgroup_size: 64
    .name:           _ZN9rocsolver6v33100L18getri_kernel_smallILi64EfPfEEvT1_iilPiilS4_bb
    .private_segment_fixed_size: 272
    .sgpr_count:     20
    .sgpr_spill_count: 0
    .symbol:         _ZN9rocsolver6v33100L18getri_kernel_smallILi64EfPfEEvT1_iilPiilS4_bb.kd
    .uniform_work_group_size: 1
    .uses_dynamic_stack: false
    .vgpr_count:     204
    .vgpr_spill_count: 0
    .wavefront_size: 32
    .workgroup_processor_mode: 1
  - .args:
      - .address_space:  global
        .offset:         0
        .size:           8
        .value_kind:     global_buffer
      - .offset:         8
        .size:           4
        .value_kind:     by_value
      - .offset:         12
        .size:           4
        .value_kind:     by_value
      - .offset:         16
        .size:           8
        .value_kind:     by_value
      - .address_space:  global
        .offset:         24
        .size:           8
        .value_kind:     global_buffer
      - .offset:         32
        .size:           4
        .value_kind:     by_value
      - .offset:         40
        .size:           8
        .value_kind:     by_value
      - .address_space:  global
        .offset:         48
        .size:           8
        .value_kind:     global_buffer
      - .offset:         56
        .size:           1
        .value_kind:     by_value
      - .offset:         57
        .size:           1
        .value_kind:     by_value
    .group_segment_fixed_size: 4
    .kernarg_segment_align: 8
    .kernarg_segment_size: 60
    .language:       OpenCL C
    .language_version:
      - 2
      - 0
    .max_flat_workgroup_size: 64
    .name:           _ZN9rocsolver6v33100L18getri_kernel_smallILi1EfPKPfEEvT1_iilPiilS6_bb
    .private_segment_fixed_size: 0
    .sgpr_count:     18
    .sgpr_spill_count: 0
    .symbol:         _ZN9rocsolver6v33100L18getri_kernel_smallILi1EfPKPfEEvT1_iilPiilS6_bb.kd
    .uniform_work_group_size: 1
    .uses_dynamic_stack: false
    .vgpr_count:     5
    .vgpr_spill_count: 0
    .wavefront_size: 32
    .workgroup_processor_mode: 1
  - .args:
      - .address_space:  global
        .offset:         0
        .size:           8
        .value_kind:     global_buffer
      - .offset:         8
        .size:           4
        .value_kind:     by_value
      - .offset:         12
        .size:           4
        .value_kind:     by_value
      - .offset:         16
        .size:           8
        .value_kind:     by_value
      - .address_space:  global
        .offset:         24
        .size:           8
        .value_kind:     global_buffer
      - .offset:         32
        .size:           4
        .value_kind:     by_value
      - .offset:         40
        .size:           8
        .value_kind:     by_value
      - .address_space:  global
        .offset:         48
        .size:           8
        .value_kind:     global_buffer
      - .offset:         56
        .size:           1
        .value_kind:     by_value
      - .offset:         57
        .size:           1
        .value_kind:     by_value
    .group_segment_fixed_size: 20
    .kernarg_segment_align: 8
    .kernarg_segment_size: 60
    .language:       OpenCL C
    .language_version:
      - 2
      - 0
    .max_flat_workgroup_size: 64
    .name:           _ZN9rocsolver6v33100L18getri_kernel_smallILi2EfPKPfEEvT1_iilPiilS6_bb
    .private_segment_fixed_size: 0
    .sgpr_count:     19
    .sgpr_spill_count: 0
    .symbol:         _ZN9rocsolver6v33100L18getri_kernel_smallILi2EfPKPfEEvT1_iilPiilS6_bb.kd
    .uniform_work_group_size: 1
    .uses_dynamic_stack: false
    .vgpr_count:     14
    .vgpr_spill_count: 0
    .wavefront_size: 32
    .workgroup_processor_mode: 1
  - .args:
      - .address_space:  global
        .offset:         0
        .size:           8
        .value_kind:     global_buffer
      - .offset:         8
        .size:           4
        .value_kind:     by_value
      - .offset:         12
        .size:           4
        .value_kind:     by_value
      - .offset:         16
        .size:           8
        .value_kind:     by_value
      - .address_space:  global
        .offset:         24
        .size:           8
        .value_kind:     global_buffer
      - .offset:         32
        .size:           4
        .value_kind:     by_value
      - .offset:         40
        .size:           8
        .value_kind:     by_value
      - .address_space:  global
        .offset:         48
        .size:           8
        .value_kind:     global_buffer
      - .offset:         56
        .size:           1
        .value_kind:     by_value
      - .offset:         57
        .size:           1
        .value_kind:     by_value
    .group_segment_fixed_size: 28
    .kernarg_segment_align: 8
    .kernarg_segment_size: 60
    .language:       OpenCL C
    .language_version:
      - 2
      - 0
    .max_flat_workgroup_size: 64
    .name:           _ZN9rocsolver6v33100L18getri_kernel_smallILi3EfPKPfEEvT1_iilPiilS6_bb
    .private_segment_fixed_size: 0
    .sgpr_count:     19
    .sgpr_spill_count: 0
    .symbol:         _ZN9rocsolver6v33100L18getri_kernel_smallILi3EfPKPfEEvT1_iilPiilS6_bb.kd
    .uniform_work_group_size: 1
    .uses_dynamic_stack: false
    .vgpr_count:     17
    .vgpr_spill_count: 0
    .wavefront_size: 32
    .workgroup_processor_mode: 1
  - .args:
      - .address_space:  global
        .offset:         0
        .size:           8
        .value_kind:     global_buffer
      - .offset:         8
        .size:           4
        .value_kind:     by_value
      - .offset:         12
        .size:           4
        .value_kind:     by_value
      - .offset:         16
        .size:           8
        .value_kind:     by_value
      - .address_space:  global
        .offset:         24
        .size:           8
        .value_kind:     global_buffer
      - .offset:         32
        .size:           4
        .value_kind:     by_value
      - .offset:         40
        .size:           8
        .value_kind:     by_value
      - .address_space:  global
        .offset:         48
        .size:           8
        .value_kind:     global_buffer
      - .offset:         56
        .size:           1
        .value_kind:     by_value
      - .offset:         57
        .size:           1
        .value_kind:     by_value
    .group_segment_fixed_size: 36
    .kernarg_segment_align: 8
    .kernarg_segment_size: 60
    .language:       OpenCL C
    .language_version:
      - 2
      - 0
    .max_flat_workgroup_size: 64
    .name:           _ZN9rocsolver6v33100L18getri_kernel_smallILi4EfPKPfEEvT1_iilPiilS6_bb
    .private_segment_fixed_size: 0
    .sgpr_count:     19
    .sgpr_spill_count: 0
    .symbol:         _ZN9rocsolver6v33100L18getri_kernel_smallILi4EfPKPfEEvT1_iilPiilS6_bb.kd
    .uniform_work_group_size: 1
    .uses_dynamic_stack: false
    .vgpr_count:     21
    .vgpr_spill_count: 0
    .wavefront_size: 32
    .workgroup_processor_mode: 1
  - .args:
      - .address_space:  global
        .offset:         0
        .size:           8
        .value_kind:     global_buffer
      - .offset:         8
        .size:           4
        .value_kind:     by_value
      - .offset:         12
        .size:           4
        .value_kind:     by_value
      - .offset:         16
        .size:           8
        .value_kind:     by_value
      - .address_space:  global
        .offset:         24
        .size:           8
        .value_kind:     global_buffer
      - .offset:         32
        .size:           4
        .value_kind:     by_value
      - .offset:         40
        .size:           8
        .value_kind:     by_value
      - .address_space:  global
        .offset:         48
        .size:           8
        .value_kind:     global_buffer
      - .offset:         56
        .size:           1
        .value_kind:     by_value
      - .offset:         57
        .size:           1
        .value_kind:     by_value
    .group_segment_fixed_size: 52
    .kernarg_segment_align: 8
    .kernarg_segment_size: 60
    .language:       OpenCL C
    .language_version:
      - 2
      - 0
    .max_flat_workgroup_size: 64
    .name:           _ZN9rocsolver6v33100L18getri_kernel_smallILi5EfPKPfEEvT1_iilPiilS6_bb
    .private_segment_fixed_size: 0
    .sgpr_count:     19
    .sgpr_spill_count: 0
    .symbol:         _ZN9rocsolver6v33100L18getri_kernel_smallILi5EfPKPfEEvT1_iilPiilS6_bb.kd
    .uniform_work_group_size: 1
    .uses_dynamic_stack: false
    .vgpr_count:     25
    .vgpr_spill_count: 0
    .wavefront_size: 32
    .workgroup_processor_mode: 1
  - .args:
      - .address_space:  global
        .offset:         0
        .size:           8
        .value_kind:     global_buffer
      - .offset:         8
        .size:           4
        .value_kind:     by_value
      - .offset:         12
        .size:           4
        .value_kind:     by_value
      - .offset:         16
        .size:           8
        .value_kind:     by_value
      - .address_space:  global
        .offset:         24
        .size:           8
        .value_kind:     global_buffer
      - .offset:         32
        .size:           4
        .value_kind:     by_value
      - .offset:         40
        .size:           8
        .value_kind:     by_value
      - .address_space:  global
        .offset:         48
        .size:           8
        .value_kind:     global_buffer
      - .offset:         56
        .size:           1
        .value_kind:     by_value
      - .offset:         57
        .size:           1
        .value_kind:     by_value
    .group_segment_fixed_size: 56
    .kernarg_segment_align: 8
    .kernarg_segment_size: 60
    .language:       OpenCL C
    .language_version:
      - 2
      - 0
    .max_flat_workgroup_size: 64
    .name:           _ZN9rocsolver6v33100L18getri_kernel_smallILi6EfPKPfEEvT1_iilPiilS6_bb
    .private_segment_fixed_size: 0
    .sgpr_count:     19
    .sgpr_spill_count: 0
    .symbol:         _ZN9rocsolver6v33100L18getri_kernel_smallILi6EfPKPfEEvT1_iilPiilS6_bb.kd
    .uniform_work_group_size: 1
    .uses_dynamic_stack: false
    .vgpr_count:     28
    .vgpr_spill_count: 0
    .wavefront_size: 32
    .workgroup_processor_mode: 1
  - .args:
      - .address_space:  global
        .offset:         0
        .size:           8
        .value_kind:     global_buffer
      - .offset:         8
        .size:           4
        .value_kind:     by_value
      - .offset:         12
        .size:           4
        .value_kind:     by_value
      - .offset:         16
        .size:           8
        .value_kind:     by_value
      - .address_space:  global
        .offset:         24
        .size:           8
        .value_kind:     global_buffer
      - .offset:         32
        .size:           4
        .value_kind:     by_value
      - .offset:         40
        .size:           8
        .value_kind:     by_value
      - .address_space:  global
        .offset:         48
        .size:           8
        .value_kind:     global_buffer
      - .offset:         56
        .size:           1
        .value_kind:     by_value
      - .offset:         57
        .size:           1
        .value_kind:     by_value
    .group_segment_fixed_size: 60
    .kernarg_segment_align: 8
    .kernarg_segment_size: 60
    .language:       OpenCL C
    .language_version:
      - 2
      - 0
    .max_flat_workgroup_size: 64
    .name:           _ZN9rocsolver6v33100L18getri_kernel_smallILi7EfPKPfEEvT1_iilPiilS6_bb
    .private_segment_fixed_size: 0
    .sgpr_count:     19
    .sgpr_spill_count: 0
    .symbol:         _ZN9rocsolver6v33100L18getri_kernel_smallILi7EfPKPfEEvT1_iilPiilS6_bb.kd
    .uniform_work_group_size: 1
    .uses_dynamic_stack: false
    .vgpr_count:     31
    .vgpr_spill_count: 0
    .wavefront_size: 32
    .workgroup_processor_mode: 1
  - .args:
      - .address_space:  global
        .offset:         0
        .size:           8
        .value_kind:     global_buffer
      - .offset:         8
        .size:           4
        .value_kind:     by_value
      - .offset:         12
        .size:           4
        .value_kind:     by_value
      - .offset:         16
        .size:           8
        .value_kind:     by_value
      - .address_space:  global
        .offset:         24
        .size:           8
        .value_kind:     global_buffer
      - .offset:         32
        .size:           4
        .value_kind:     by_value
      - .offset:         40
        .size:           8
        .value_kind:     by_value
      - .address_space:  global
        .offset:         48
        .size:           8
        .value_kind:     global_buffer
      - .offset:         56
        .size:           1
        .value_kind:     by_value
      - .offset:         57
        .size:           1
        .value_kind:     by_value
    .group_segment_fixed_size: 68
    .kernarg_segment_align: 8
    .kernarg_segment_size: 60
    .language:       OpenCL C
    .language_version:
      - 2
      - 0
    .max_flat_workgroup_size: 64
    .name:           _ZN9rocsolver6v33100L18getri_kernel_smallILi8EfPKPfEEvT1_iilPiilS6_bb
    .private_segment_fixed_size: 0
    .sgpr_count:     19
    .sgpr_spill_count: 0
    .symbol:         _ZN9rocsolver6v33100L18getri_kernel_smallILi8EfPKPfEEvT1_iilPiilS6_bb.kd
    .uniform_work_group_size: 1
    .uses_dynamic_stack: false
    .vgpr_count:     35
    .vgpr_spill_count: 0
    .wavefront_size: 32
    .workgroup_processor_mode: 1
  - .args:
      - .address_space:  global
        .offset:         0
        .size:           8
        .value_kind:     global_buffer
      - .offset:         8
        .size:           4
        .value_kind:     by_value
      - .offset:         12
        .size:           4
        .value_kind:     by_value
      - .offset:         16
        .size:           8
        .value_kind:     by_value
      - .address_space:  global
        .offset:         24
        .size:           8
        .value_kind:     global_buffer
      - .offset:         32
        .size:           4
        .value_kind:     by_value
      - .offset:         40
        .size:           8
        .value_kind:     by_value
      - .address_space:  global
        .offset:         48
        .size:           8
        .value_kind:     global_buffer
      - .offset:         56
        .size:           1
        .value_kind:     by_value
      - .offset:         57
        .size:           1
        .value_kind:     by_value
    .group_segment_fixed_size: 84
    .kernarg_segment_align: 8
    .kernarg_segment_size: 60
    .language:       OpenCL C
    .language_version:
      - 2
      - 0
    .max_flat_workgroup_size: 64
    .name:           _ZN9rocsolver6v33100L18getri_kernel_smallILi9EfPKPfEEvT1_iilPiilS6_bb
    .private_segment_fixed_size: 0
    .sgpr_count:     19
    .sgpr_spill_count: 0
    .symbol:         _ZN9rocsolver6v33100L18getri_kernel_smallILi9EfPKPfEEvT1_iilPiilS6_bb.kd
    .uniform_work_group_size: 1
    .uses_dynamic_stack: false
    .vgpr_count:     39
    .vgpr_spill_count: 0
    .wavefront_size: 32
    .workgroup_processor_mode: 1
  - .args:
      - .address_space:  global
        .offset:         0
        .size:           8
        .value_kind:     global_buffer
      - .offset:         8
        .size:           4
        .value_kind:     by_value
      - .offset:         12
        .size:           4
        .value_kind:     by_value
      - .offset:         16
        .size:           8
        .value_kind:     by_value
      - .address_space:  global
        .offset:         24
        .size:           8
        .value_kind:     global_buffer
      - .offset:         32
        .size:           4
        .value_kind:     by_value
      - .offset:         40
        .size:           8
        .value_kind:     by_value
      - .address_space:  global
        .offset:         48
        .size:           8
        .value_kind:     global_buffer
      - .offset:         56
        .size:           1
        .value_kind:     by_value
      - .offset:         57
        .size:           1
        .value_kind:     by_value
    .group_segment_fixed_size: 88
    .kernarg_segment_align: 8
    .kernarg_segment_size: 60
    .language:       OpenCL C
    .language_version:
      - 2
      - 0
    .max_flat_workgroup_size: 64
    .name:           _ZN9rocsolver6v33100L18getri_kernel_smallILi10EfPKPfEEvT1_iilPiilS6_bb
    .private_segment_fixed_size: 0
    .sgpr_count:     19
    .sgpr_spill_count: 0
    .symbol:         _ZN9rocsolver6v33100L18getri_kernel_smallILi10EfPKPfEEvT1_iilPiilS6_bb.kd
    .uniform_work_group_size: 1
    .uses_dynamic_stack: false
    .vgpr_count:     43
    .vgpr_spill_count: 0
    .wavefront_size: 32
    .workgroup_processor_mode: 1
  - .args:
      - .address_space:  global
        .offset:         0
        .size:           8
        .value_kind:     global_buffer
      - .offset:         8
        .size:           4
        .value_kind:     by_value
      - .offset:         12
        .size:           4
        .value_kind:     by_value
      - .offset:         16
        .size:           8
        .value_kind:     by_value
      - .address_space:  global
        .offset:         24
        .size:           8
        .value_kind:     global_buffer
      - .offset:         32
        .size:           4
        .value_kind:     by_value
      - .offset:         40
        .size:           8
        .value_kind:     by_value
      - .address_space:  global
        .offset:         48
        .size:           8
        .value_kind:     global_buffer
      - .offset:         56
        .size:           1
        .value_kind:     by_value
      - .offset:         57
        .size:           1
        .value_kind:     by_value
    .group_segment_fixed_size: 92
    .kernarg_segment_align: 8
    .kernarg_segment_size: 60
    .language:       OpenCL C
    .language_version:
      - 2
      - 0
    .max_flat_workgroup_size: 64
    .name:           _ZN9rocsolver6v33100L18getri_kernel_smallILi11EfPKPfEEvT1_iilPiilS6_bb
    .private_segment_fixed_size: 0
    .sgpr_count:     19
    .sgpr_spill_count: 0
    .symbol:         _ZN9rocsolver6v33100L18getri_kernel_smallILi11EfPKPfEEvT1_iilPiilS6_bb.kd
    .uniform_work_group_size: 1
    .uses_dynamic_stack: false
    .vgpr_count:     47
    .vgpr_spill_count: 0
    .wavefront_size: 32
    .workgroup_processor_mode: 1
  - .args:
      - .address_space:  global
        .offset:         0
        .size:           8
        .value_kind:     global_buffer
      - .offset:         8
        .size:           4
        .value_kind:     by_value
      - .offset:         12
        .size:           4
        .value_kind:     by_value
      - .offset:         16
        .size:           8
        .value_kind:     by_value
      - .address_space:  global
        .offset:         24
        .size:           8
        .value_kind:     global_buffer
      - .offset:         32
        .size:           4
        .value_kind:     by_value
      - .offset:         40
        .size:           8
        .value_kind:     by_value
      - .address_space:  global
        .offset:         48
        .size:           8
        .value_kind:     global_buffer
      - .offset:         56
        .size:           1
        .value_kind:     by_value
      - .offset:         57
        .size:           1
        .value_kind:     by_value
    .group_segment_fixed_size: 100
    .kernarg_segment_align: 8
    .kernarg_segment_size: 60
    .language:       OpenCL C
    .language_version:
      - 2
      - 0
    .max_flat_workgroup_size: 64
    .name:           _ZN9rocsolver6v33100L18getri_kernel_smallILi12EfPKPfEEvT1_iilPiilS6_bb
    .private_segment_fixed_size: 0
    .sgpr_count:     19
    .sgpr_spill_count: 0
    .symbol:         _ZN9rocsolver6v33100L18getri_kernel_smallILi12EfPKPfEEvT1_iilPiilS6_bb.kd
    .uniform_work_group_size: 1
    .uses_dynamic_stack: false
    .vgpr_count:     51
    .vgpr_spill_count: 0
    .wavefront_size: 32
    .workgroup_processor_mode: 1
  - .args:
      - .address_space:  global
        .offset:         0
        .size:           8
        .value_kind:     global_buffer
      - .offset:         8
        .size:           4
        .value_kind:     by_value
      - .offset:         12
        .size:           4
        .value_kind:     by_value
      - .offset:         16
        .size:           8
        .value_kind:     by_value
      - .address_space:  global
        .offset:         24
        .size:           8
        .value_kind:     global_buffer
      - .offset:         32
        .size:           4
        .value_kind:     by_value
      - .offset:         40
        .size:           8
        .value_kind:     by_value
      - .address_space:  global
        .offset:         48
        .size:           8
        .value_kind:     global_buffer
      - .offset:         56
        .size:           1
        .value_kind:     by_value
      - .offset:         57
        .size:           1
        .value_kind:     by_value
    .group_segment_fixed_size: 116
    .kernarg_segment_align: 8
    .kernarg_segment_size: 60
    .language:       OpenCL C
    .language_version:
      - 2
      - 0
    .max_flat_workgroup_size: 64
    .name:           _ZN9rocsolver6v33100L18getri_kernel_smallILi13EfPKPfEEvT1_iilPiilS6_bb
    .private_segment_fixed_size: 0
    .sgpr_count:     19
    .sgpr_spill_count: 0
    .symbol:         _ZN9rocsolver6v33100L18getri_kernel_smallILi13EfPKPfEEvT1_iilPiilS6_bb.kd
    .uniform_work_group_size: 1
    .uses_dynamic_stack: false
    .vgpr_count:     57
    .vgpr_spill_count: 0
    .wavefront_size: 32
    .workgroup_processor_mode: 1
  - .args:
      - .address_space:  global
        .offset:         0
        .size:           8
        .value_kind:     global_buffer
      - .offset:         8
        .size:           4
        .value_kind:     by_value
      - .offset:         12
        .size:           4
        .value_kind:     by_value
      - .offset:         16
        .size:           8
        .value_kind:     by_value
      - .address_space:  global
        .offset:         24
        .size:           8
        .value_kind:     global_buffer
      - .offset:         32
        .size:           4
        .value_kind:     by_value
      - .offset:         40
        .size:           8
        .value_kind:     by_value
      - .address_space:  global
        .offset:         48
        .size:           8
        .value_kind:     global_buffer
      - .offset:         56
        .size:           1
        .value_kind:     by_value
      - .offset:         57
        .size:           1
        .value_kind:     by_value
    .group_segment_fixed_size: 120
    .kernarg_segment_align: 8
    .kernarg_segment_size: 60
    .language:       OpenCL C
    .language_version:
      - 2
      - 0
    .max_flat_workgroup_size: 64
    .name:           _ZN9rocsolver6v33100L18getri_kernel_smallILi14EfPKPfEEvT1_iilPiilS6_bb
    .private_segment_fixed_size: 0
    .sgpr_count:     19
    .sgpr_spill_count: 0
    .symbol:         _ZN9rocsolver6v33100L18getri_kernel_smallILi14EfPKPfEEvT1_iilPiilS6_bb.kd
    .uniform_work_group_size: 1
    .uses_dynamic_stack: false
    .vgpr_count:     59
    .vgpr_spill_count: 0
    .wavefront_size: 32
    .workgroup_processor_mode: 1
  - .args:
      - .address_space:  global
        .offset:         0
        .size:           8
        .value_kind:     global_buffer
      - .offset:         8
        .size:           4
        .value_kind:     by_value
      - .offset:         12
        .size:           4
        .value_kind:     by_value
      - .offset:         16
        .size:           8
        .value_kind:     by_value
      - .address_space:  global
        .offset:         24
        .size:           8
        .value_kind:     global_buffer
      - .offset:         32
        .size:           4
        .value_kind:     by_value
      - .offset:         40
        .size:           8
        .value_kind:     by_value
      - .address_space:  global
        .offset:         48
        .size:           8
        .value_kind:     global_buffer
      - .offset:         56
        .size:           1
        .value_kind:     by_value
      - .offset:         57
        .size:           1
        .value_kind:     by_value
    .group_segment_fixed_size: 124
    .kernarg_segment_align: 8
    .kernarg_segment_size: 60
    .language:       OpenCL C
    .language_version:
      - 2
      - 0
    .max_flat_workgroup_size: 64
    .name:           _ZN9rocsolver6v33100L18getri_kernel_smallILi15EfPKPfEEvT1_iilPiilS6_bb
    .private_segment_fixed_size: 0
    .sgpr_count:     19
    .sgpr_spill_count: 0
    .symbol:         _ZN9rocsolver6v33100L18getri_kernel_smallILi15EfPKPfEEvT1_iilPiilS6_bb.kd
    .uniform_work_group_size: 1
    .uses_dynamic_stack: false
    .vgpr_count:     63
    .vgpr_spill_count: 0
    .wavefront_size: 32
    .workgroup_processor_mode: 1
  - .args:
      - .address_space:  global
        .offset:         0
        .size:           8
        .value_kind:     global_buffer
      - .offset:         8
        .size:           4
        .value_kind:     by_value
      - .offset:         12
        .size:           4
        .value_kind:     by_value
      - .offset:         16
        .size:           8
        .value_kind:     by_value
      - .address_space:  global
        .offset:         24
        .size:           8
        .value_kind:     global_buffer
      - .offset:         32
        .size:           4
        .value_kind:     by_value
      - .offset:         40
        .size:           8
        .value_kind:     by_value
      - .address_space:  global
        .offset:         48
        .size:           8
        .value_kind:     global_buffer
      - .offset:         56
        .size:           1
        .value_kind:     by_value
      - .offset:         57
        .size:           1
        .value_kind:     by_value
    .group_segment_fixed_size: 132
    .kernarg_segment_align: 8
    .kernarg_segment_size: 60
    .language:       OpenCL C
    .language_version:
      - 2
      - 0
    .max_flat_workgroup_size: 64
    .name:           _ZN9rocsolver6v33100L18getri_kernel_smallILi16EfPKPfEEvT1_iilPiilS6_bb
    .private_segment_fixed_size: 0
    .sgpr_count:     19
    .sgpr_spill_count: 0
    .symbol:         _ZN9rocsolver6v33100L18getri_kernel_smallILi16EfPKPfEEvT1_iilPiilS6_bb.kd
    .uniform_work_group_size: 1
    .uses_dynamic_stack: false
    .vgpr_count:     65
    .vgpr_spill_count: 0
    .wavefront_size: 32
    .workgroup_processor_mode: 1
  - .args:
      - .address_space:  global
        .offset:         0
        .size:           8
        .value_kind:     global_buffer
      - .offset:         8
        .size:           4
        .value_kind:     by_value
      - .offset:         12
        .size:           4
        .value_kind:     by_value
      - .offset:         16
        .size:           8
        .value_kind:     by_value
      - .address_space:  global
        .offset:         24
        .size:           8
        .value_kind:     global_buffer
      - .offset:         32
        .size:           4
        .value_kind:     by_value
      - .offset:         40
        .size:           8
        .value_kind:     by_value
      - .address_space:  global
        .offset:         48
        .size:           8
        .value_kind:     global_buffer
      - .offset:         56
        .size:           1
        .value_kind:     by_value
      - .offset:         57
        .size:           1
        .value_kind:     by_value
    .group_segment_fixed_size: 148
    .kernarg_segment_align: 8
    .kernarg_segment_size: 60
    .language:       OpenCL C
    .language_version:
      - 2
      - 0
    .max_flat_workgroup_size: 64
    .name:           _ZN9rocsolver6v33100L18getri_kernel_smallILi17EfPKPfEEvT1_iilPiilS6_bb
    .private_segment_fixed_size: 80
    .sgpr_count:     19
    .sgpr_spill_count: 0
    .symbol:         _ZN9rocsolver6v33100L18getri_kernel_smallILi17EfPKPfEEvT1_iilPiilS6_bb.kd
    .uniform_work_group_size: 1
    .uses_dynamic_stack: false
    .vgpr_count:     63
    .vgpr_spill_count: 0
    .wavefront_size: 32
    .workgroup_processor_mode: 1
  - .args:
      - .address_space:  global
        .offset:         0
        .size:           8
        .value_kind:     global_buffer
      - .offset:         8
        .size:           4
        .value_kind:     by_value
      - .offset:         12
        .size:           4
        .value_kind:     by_value
      - .offset:         16
        .size:           8
        .value_kind:     by_value
      - .address_space:  global
        .offset:         24
        .size:           8
        .value_kind:     global_buffer
      - .offset:         32
        .size:           4
        .value_kind:     by_value
      - .offset:         40
        .size:           8
        .value_kind:     by_value
      - .address_space:  global
        .offset:         48
        .size:           8
        .value_kind:     global_buffer
      - .offset:         56
        .size:           1
        .value_kind:     by_value
      - .offset:         57
        .size:           1
        .value_kind:     by_value
    .group_segment_fixed_size: 152
    .kernarg_segment_align: 8
    .kernarg_segment_size: 60
    .language:       OpenCL C
    .language_version:
      - 2
      - 0
    .max_flat_workgroup_size: 64
    .name:           _ZN9rocsolver6v33100L18getri_kernel_smallILi18EfPKPfEEvT1_iilPiilS6_bb
    .private_segment_fixed_size: 80
    .sgpr_count:     19
    .sgpr_spill_count: 0
    .symbol:         _ZN9rocsolver6v33100L18getri_kernel_smallILi18EfPKPfEEvT1_iilPiilS6_bb.kd
    .uniform_work_group_size: 1
    .uses_dynamic_stack: false
    .vgpr_count:     64
    .vgpr_spill_count: 0
    .wavefront_size: 32
    .workgroup_processor_mode: 1
  - .args:
      - .address_space:  global
        .offset:         0
        .size:           8
        .value_kind:     global_buffer
      - .offset:         8
        .size:           4
        .value_kind:     by_value
      - .offset:         12
        .size:           4
        .value_kind:     by_value
      - .offset:         16
        .size:           8
        .value_kind:     by_value
      - .address_space:  global
        .offset:         24
        .size:           8
        .value_kind:     global_buffer
      - .offset:         32
        .size:           4
        .value_kind:     by_value
      - .offset:         40
        .size:           8
        .value_kind:     by_value
      - .address_space:  global
        .offset:         48
        .size:           8
        .value_kind:     global_buffer
      - .offset:         56
        .size:           1
        .value_kind:     by_value
      - .offset:         57
        .size:           1
        .value_kind:     by_value
    .group_segment_fixed_size: 156
    .kernarg_segment_align: 8
    .kernarg_segment_size: 60
    .language:       OpenCL C
    .language_version:
      - 2
      - 0
    .max_flat_workgroup_size: 64
    .name:           _ZN9rocsolver6v33100L18getri_kernel_smallILi19EfPKPfEEvT1_iilPiilS6_bb
    .private_segment_fixed_size: 80
    .sgpr_count:     19
    .sgpr_spill_count: 0
    .symbol:         _ZN9rocsolver6v33100L18getri_kernel_smallILi19EfPKPfEEvT1_iilPiilS6_bb.kd
    .uniform_work_group_size: 1
    .uses_dynamic_stack: false
    .vgpr_count:     68
    .vgpr_spill_count: 0
    .wavefront_size: 32
    .workgroup_processor_mode: 1
  - .args:
      - .address_space:  global
        .offset:         0
        .size:           8
        .value_kind:     global_buffer
      - .offset:         8
        .size:           4
        .value_kind:     by_value
      - .offset:         12
        .size:           4
        .value_kind:     by_value
      - .offset:         16
        .size:           8
        .value_kind:     by_value
      - .address_space:  global
        .offset:         24
        .size:           8
        .value_kind:     global_buffer
      - .offset:         32
        .size:           4
        .value_kind:     by_value
      - .offset:         40
        .size:           8
        .value_kind:     by_value
      - .address_space:  global
        .offset:         48
        .size:           8
        .value_kind:     global_buffer
      - .offset:         56
        .size:           1
        .value_kind:     by_value
      - .offset:         57
        .size:           1
        .value_kind:     by_value
    .group_segment_fixed_size: 164
    .kernarg_segment_align: 8
    .kernarg_segment_size: 60
    .language:       OpenCL C
    .language_version:
      - 2
      - 0
    .max_flat_workgroup_size: 64
    .name:           _ZN9rocsolver6v33100L18getri_kernel_smallILi20EfPKPfEEvT1_iilPiilS6_bb
    .private_segment_fixed_size: 96
    .sgpr_count:     19
    .sgpr_spill_count: 0
    .symbol:         _ZN9rocsolver6v33100L18getri_kernel_smallILi20EfPKPfEEvT1_iilPiilS6_bb.kd
    .uniform_work_group_size: 1
    .uses_dynamic_stack: false
    .vgpr_count:     71
    .vgpr_spill_count: 0
    .wavefront_size: 32
    .workgroup_processor_mode: 1
  - .args:
      - .address_space:  global
        .offset:         0
        .size:           8
        .value_kind:     global_buffer
      - .offset:         8
        .size:           4
        .value_kind:     by_value
      - .offset:         12
        .size:           4
        .value_kind:     by_value
      - .offset:         16
        .size:           8
        .value_kind:     by_value
      - .address_space:  global
        .offset:         24
        .size:           8
        .value_kind:     global_buffer
      - .offset:         32
        .size:           4
        .value_kind:     by_value
      - .offset:         40
        .size:           8
        .value_kind:     by_value
      - .address_space:  global
        .offset:         48
        .size:           8
        .value_kind:     global_buffer
      - .offset:         56
        .size:           1
        .value_kind:     by_value
      - .offset:         57
        .size:           1
        .value_kind:     by_value
    .group_segment_fixed_size: 180
    .kernarg_segment_align: 8
    .kernarg_segment_size: 60
    .language:       OpenCL C
    .language_version:
      - 2
      - 0
    .max_flat_workgroup_size: 64
    .name:           _ZN9rocsolver6v33100L18getri_kernel_smallILi21EfPKPfEEvT1_iilPiilS6_bb
    .private_segment_fixed_size: 96
    .sgpr_count:     19
    .sgpr_spill_count: 0
    .symbol:         _ZN9rocsolver6v33100L18getri_kernel_smallILi21EfPKPfEEvT1_iilPiilS6_bb.kd
    .uniform_work_group_size: 1
    .uses_dynamic_stack: false
    .vgpr_count:     75
    .vgpr_spill_count: 0
    .wavefront_size: 32
    .workgroup_processor_mode: 1
  - .args:
      - .address_space:  global
        .offset:         0
        .size:           8
        .value_kind:     global_buffer
      - .offset:         8
        .size:           4
        .value_kind:     by_value
      - .offset:         12
        .size:           4
        .value_kind:     by_value
      - .offset:         16
        .size:           8
        .value_kind:     by_value
      - .address_space:  global
        .offset:         24
        .size:           8
        .value_kind:     global_buffer
      - .offset:         32
        .size:           4
        .value_kind:     by_value
      - .offset:         40
        .size:           8
        .value_kind:     by_value
      - .address_space:  global
        .offset:         48
        .size:           8
        .value_kind:     global_buffer
      - .offset:         56
        .size:           1
        .value_kind:     by_value
      - .offset:         57
        .size:           1
        .value_kind:     by_value
    .group_segment_fixed_size: 184
    .kernarg_segment_align: 8
    .kernarg_segment_size: 60
    .language:       OpenCL C
    .language_version:
      - 2
      - 0
    .max_flat_workgroup_size: 64
    .name:           _ZN9rocsolver6v33100L18getri_kernel_smallILi22EfPKPfEEvT1_iilPiilS6_bb
    .private_segment_fixed_size: 96
    .sgpr_count:     19
    .sgpr_spill_count: 0
    .symbol:         _ZN9rocsolver6v33100L18getri_kernel_smallILi22EfPKPfEEvT1_iilPiilS6_bb.kd
    .uniform_work_group_size: 1
    .uses_dynamic_stack: false
    .vgpr_count:     76
    .vgpr_spill_count: 0
    .wavefront_size: 32
    .workgroup_processor_mode: 1
  - .args:
      - .address_space:  global
        .offset:         0
        .size:           8
        .value_kind:     global_buffer
      - .offset:         8
        .size:           4
        .value_kind:     by_value
      - .offset:         12
        .size:           4
        .value_kind:     by_value
      - .offset:         16
        .size:           8
        .value_kind:     by_value
      - .address_space:  global
        .offset:         24
        .size:           8
        .value_kind:     global_buffer
      - .offset:         32
        .size:           4
        .value_kind:     by_value
      - .offset:         40
        .size:           8
        .value_kind:     by_value
      - .address_space:  global
        .offset:         48
        .size:           8
        .value_kind:     global_buffer
      - .offset:         56
        .size:           1
        .value_kind:     by_value
      - .offset:         57
        .size:           1
        .value_kind:     by_value
    .group_segment_fixed_size: 188
    .kernarg_segment_align: 8
    .kernarg_segment_size: 60
    .language:       OpenCL C
    .language_version:
      - 2
      - 0
    .max_flat_workgroup_size: 64
    .name:           _ZN9rocsolver6v33100L18getri_kernel_smallILi23EfPKPfEEvT1_iilPiilS6_bb
    .private_segment_fixed_size: 96
    .sgpr_count:     19
    .sgpr_spill_count: 0
    .symbol:         _ZN9rocsolver6v33100L18getri_kernel_smallILi23EfPKPfEEvT1_iilPiilS6_bb.kd
    .uniform_work_group_size: 1
    .uses_dynamic_stack: false
    .vgpr_count:     80
    .vgpr_spill_count: 0
    .wavefront_size: 32
    .workgroup_processor_mode: 1
  - .args:
      - .address_space:  global
        .offset:         0
        .size:           8
        .value_kind:     global_buffer
      - .offset:         8
        .size:           4
        .value_kind:     by_value
      - .offset:         12
        .size:           4
        .value_kind:     by_value
      - .offset:         16
        .size:           8
        .value_kind:     by_value
      - .address_space:  global
        .offset:         24
        .size:           8
        .value_kind:     global_buffer
      - .offset:         32
        .size:           4
        .value_kind:     by_value
      - .offset:         40
        .size:           8
        .value_kind:     by_value
      - .address_space:  global
        .offset:         48
        .size:           8
        .value_kind:     global_buffer
      - .offset:         56
        .size:           1
        .value_kind:     by_value
      - .offset:         57
        .size:           1
        .value_kind:     by_value
    .group_segment_fixed_size: 196
    .kernarg_segment_align: 8
    .kernarg_segment_size: 60
    .language:       OpenCL C
    .language_version:
      - 2
      - 0
    .max_flat_workgroup_size: 64
    .name:           _ZN9rocsolver6v33100L18getri_kernel_smallILi24EfPKPfEEvT1_iilPiilS6_bb
    .private_segment_fixed_size: 112
    .sgpr_count:     19
    .sgpr_spill_count: 0
    .symbol:         _ZN9rocsolver6v33100L18getri_kernel_smallILi24EfPKPfEEvT1_iilPiilS6_bb.kd
    .uniform_work_group_size: 1
    .uses_dynamic_stack: false
    .vgpr_count:     83
    .vgpr_spill_count: 0
    .wavefront_size: 32
    .workgroup_processor_mode: 1
  - .args:
      - .address_space:  global
        .offset:         0
        .size:           8
        .value_kind:     global_buffer
      - .offset:         8
        .size:           4
        .value_kind:     by_value
      - .offset:         12
        .size:           4
        .value_kind:     by_value
      - .offset:         16
        .size:           8
        .value_kind:     by_value
      - .address_space:  global
        .offset:         24
        .size:           8
        .value_kind:     global_buffer
      - .offset:         32
        .size:           4
        .value_kind:     by_value
      - .offset:         40
        .size:           8
        .value_kind:     by_value
      - .address_space:  global
        .offset:         48
        .size:           8
        .value_kind:     global_buffer
      - .offset:         56
        .size:           1
        .value_kind:     by_value
      - .offset:         57
        .size:           1
        .value_kind:     by_value
    .group_segment_fixed_size: 212
    .kernarg_segment_align: 8
    .kernarg_segment_size: 60
    .language:       OpenCL C
    .language_version:
      - 2
      - 0
    .max_flat_workgroup_size: 64
    .name:           _ZN9rocsolver6v33100L18getri_kernel_smallILi25EfPKPfEEvT1_iilPiilS6_bb
    .private_segment_fixed_size: 112
    .sgpr_count:     19
    .sgpr_spill_count: 0
    .symbol:         _ZN9rocsolver6v33100L18getri_kernel_smallILi25EfPKPfEEvT1_iilPiilS6_bb.kd
    .uniform_work_group_size: 1
    .uses_dynamic_stack: false
    .vgpr_count:     87
    .vgpr_spill_count: 0
    .wavefront_size: 32
    .workgroup_processor_mode: 1
  - .args:
      - .address_space:  global
        .offset:         0
        .size:           8
        .value_kind:     global_buffer
      - .offset:         8
        .size:           4
        .value_kind:     by_value
      - .offset:         12
        .size:           4
        .value_kind:     by_value
      - .offset:         16
        .size:           8
        .value_kind:     by_value
      - .address_space:  global
        .offset:         24
        .size:           8
        .value_kind:     global_buffer
      - .offset:         32
        .size:           4
        .value_kind:     by_value
      - .offset:         40
        .size:           8
        .value_kind:     by_value
      - .address_space:  global
        .offset:         48
        .size:           8
        .value_kind:     global_buffer
      - .offset:         56
        .size:           1
        .value_kind:     by_value
      - .offset:         57
        .size:           1
        .value_kind:     by_value
    .group_segment_fixed_size: 216
    .kernarg_segment_align: 8
    .kernarg_segment_size: 60
    .language:       OpenCL C
    .language_version:
      - 2
      - 0
    .max_flat_workgroup_size: 64
    .name:           _ZN9rocsolver6v33100L18getri_kernel_smallILi26EfPKPfEEvT1_iilPiilS6_bb
    .private_segment_fixed_size: 112
    .sgpr_count:     19
    .sgpr_spill_count: 0
    .symbol:         _ZN9rocsolver6v33100L18getri_kernel_smallILi26EfPKPfEEvT1_iilPiilS6_bb.kd
    .uniform_work_group_size: 1
    .uses_dynamic_stack: false
    .vgpr_count:     88
    .vgpr_spill_count: 0
    .wavefront_size: 32
    .workgroup_processor_mode: 1
  - .args:
      - .address_space:  global
        .offset:         0
        .size:           8
        .value_kind:     global_buffer
      - .offset:         8
        .size:           4
        .value_kind:     by_value
      - .offset:         12
        .size:           4
        .value_kind:     by_value
      - .offset:         16
        .size:           8
        .value_kind:     by_value
      - .address_space:  global
        .offset:         24
        .size:           8
        .value_kind:     global_buffer
      - .offset:         32
        .size:           4
        .value_kind:     by_value
      - .offset:         40
        .size:           8
        .value_kind:     by_value
      - .address_space:  global
        .offset:         48
        .size:           8
        .value_kind:     global_buffer
      - .offset:         56
        .size:           1
        .value_kind:     by_value
      - .offset:         57
        .size:           1
        .value_kind:     by_value
    .group_segment_fixed_size: 220
    .kernarg_segment_align: 8
    .kernarg_segment_size: 60
    .language:       OpenCL C
    .language_version:
      - 2
      - 0
    .max_flat_workgroup_size: 64
    .name:           _ZN9rocsolver6v33100L18getri_kernel_smallILi27EfPKPfEEvT1_iilPiilS6_bb
    .private_segment_fixed_size: 112
    .sgpr_count:     19
    .sgpr_spill_count: 0
    .symbol:         _ZN9rocsolver6v33100L18getri_kernel_smallILi27EfPKPfEEvT1_iilPiilS6_bb.kd
    .uniform_work_group_size: 1
    .uses_dynamic_stack: false
    .vgpr_count:     92
    .vgpr_spill_count: 0
    .wavefront_size: 32
    .workgroup_processor_mode: 1
  - .args:
      - .address_space:  global
        .offset:         0
        .size:           8
        .value_kind:     global_buffer
      - .offset:         8
        .size:           4
        .value_kind:     by_value
      - .offset:         12
        .size:           4
        .value_kind:     by_value
      - .offset:         16
        .size:           8
        .value_kind:     by_value
      - .address_space:  global
        .offset:         24
        .size:           8
        .value_kind:     global_buffer
      - .offset:         32
        .size:           4
        .value_kind:     by_value
      - .offset:         40
        .size:           8
        .value_kind:     by_value
      - .address_space:  global
        .offset:         48
        .size:           8
        .value_kind:     global_buffer
      - .offset:         56
        .size:           1
        .value_kind:     by_value
      - .offset:         57
        .size:           1
        .value_kind:     by_value
    .group_segment_fixed_size: 228
    .kernarg_segment_align: 8
    .kernarg_segment_size: 60
    .language:       OpenCL C
    .language_version:
      - 2
      - 0
    .max_flat_workgroup_size: 64
    .name:           _ZN9rocsolver6v33100L18getri_kernel_smallILi28EfPKPfEEvT1_iilPiilS6_bb
    .private_segment_fixed_size: 128
    .sgpr_count:     19
    .sgpr_spill_count: 0
    .symbol:         _ZN9rocsolver6v33100L18getri_kernel_smallILi28EfPKPfEEvT1_iilPiilS6_bb.kd
    .uniform_work_group_size: 1
    .uses_dynamic_stack: false
    .vgpr_count:     95
    .vgpr_spill_count: 0
    .wavefront_size: 32
    .workgroup_processor_mode: 1
  - .args:
      - .address_space:  global
        .offset:         0
        .size:           8
        .value_kind:     global_buffer
      - .offset:         8
        .size:           4
        .value_kind:     by_value
      - .offset:         12
        .size:           4
        .value_kind:     by_value
      - .offset:         16
        .size:           8
        .value_kind:     by_value
      - .address_space:  global
        .offset:         24
        .size:           8
        .value_kind:     global_buffer
      - .offset:         32
        .size:           4
        .value_kind:     by_value
      - .offset:         40
        .size:           8
        .value_kind:     by_value
      - .address_space:  global
        .offset:         48
        .size:           8
        .value_kind:     global_buffer
      - .offset:         56
        .size:           1
        .value_kind:     by_value
      - .offset:         57
        .size:           1
        .value_kind:     by_value
    .group_segment_fixed_size: 244
    .kernarg_segment_align: 8
    .kernarg_segment_size: 60
    .language:       OpenCL C
    .language_version:
      - 2
      - 0
    .max_flat_workgroup_size: 64
    .name:           _ZN9rocsolver6v33100L18getri_kernel_smallILi29EfPKPfEEvT1_iilPiilS6_bb
    .private_segment_fixed_size: 128
    .sgpr_count:     19
    .sgpr_spill_count: 0
    .symbol:         _ZN9rocsolver6v33100L18getri_kernel_smallILi29EfPKPfEEvT1_iilPiilS6_bb.kd
    .uniform_work_group_size: 1
    .uses_dynamic_stack: false
    .vgpr_count:     99
    .vgpr_spill_count: 0
    .wavefront_size: 32
    .workgroup_processor_mode: 1
  - .args:
      - .address_space:  global
        .offset:         0
        .size:           8
        .value_kind:     global_buffer
      - .offset:         8
        .size:           4
        .value_kind:     by_value
      - .offset:         12
        .size:           4
        .value_kind:     by_value
      - .offset:         16
        .size:           8
        .value_kind:     by_value
      - .address_space:  global
        .offset:         24
        .size:           8
        .value_kind:     global_buffer
      - .offset:         32
        .size:           4
        .value_kind:     by_value
      - .offset:         40
        .size:           8
        .value_kind:     by_value
      - .address_space:  global
        .offset:         48
        .size:           8
        .value_kind:     global_buffer
      - .offset:         56
        .size:           1
        .value_kind:     by_value
      - .offset:         57
        .size:           1
        .value_kind:     by_value
    .group_segment_fixed_size: 248
    .kernarg_segment_align: 8
    .kernarg_segment_size: 60
    .language:       OpenCL C
    .language_version:
      - 2
      - 0
    .max_flat_workgroup_size: 64
    .name:           _ZN9rocsolver6v33100L18getri_kernel_smallILi30EfPKPfEEvT1_iilPiilS6_bb
    .private_segment_fixed_size: 128
    .sgpr_count:     19
    .sgpr_spill_count: 0
    .symbol:         _ZN9rocsolver6v33100L18getri_kernel_smallILi30EfPKPfEEvT1_iilPiilS6_bb.kd
    .uniform_work_group_size: 1
    .uses_dynamic_stack: false
    .vgpr_count:     100
    .vgpr_spill_count: 0
    .wavefront_size: 32
    .workgroup_processor_mode: 1
  - .args:
      - .address_space:  global
        .offset:         0
        .size:           8
        .value_kind:     global_buffer
      - .offset:         8
        .size:           4
        .value_kind:     by_value
      - .offset:         12
        .size:           4
        .value_kind:     by_value
      - .offset:         16
        .size:           8
        .value_kind:     by_value
      - .address_space:  global
        .offset:         24
        .size:           8
        .value_kind:     global_buffer
      - .offset:         32
        .size:           4
        .value_kind:     by_value
      - .offset:         40
        .size:           8
        .value_kind:     by_value
      - .address_space:  global
        .offset:         48
        .size:           8
        .value_kind:     global_buffer
      - .offset:         56
        .size:           1
        .value_kind:     by_value
      - .offset:         57
        .size:           1
        .value_kind:     by_value
    .group_segment_fixed_size: 252
    .kernarg_segment_align: 8
    .kernarg_segment_size: 60
    .language:       OpenCL C
    .language_version:
      - 2
      - 0
    .max_flat_workgroup_size: 64
    .name:           _ZN9rocsolver6v33100L18getri_kernel_smallILi31EfPKPfEEvT1_iilPiilS6_bb
    .private_segment_fixed_size: 128
    .sgpr_count:     19
    .sgpr_spill_count: 0
    .symbol:         _ZN9rocsolver6v33100L18getri_kernel_smallILi31EfPKPfEEvT1_iilPiilS6_bb.kd
    .uniform_work_group_size: 1
    .uses_dynamic_stack: false
    .vgpr_count:     104
    .vgpr_spill_count: 0
    .wavefront_size: 32
    .workgroup_processor_mode: 1
  - .args:
      - .address_space:  global
        .offset:         0
        .size:           8
        .value_kind:     global_buffer
      - .offset:         8
        .size:           4
        .value_kind:     by_value
      - .offset:         12
        .size:           4
        .value_kind:     by_value
      - .offset:         16
        .size:           8
        .value_kind:     by_value
      - .address_space:  global
        .offset:         24
        .size:           8
        .value_kind:     global_buffer
      - .offset:         32
        .size:           4
        .value_kind:     by_value
      - .offset:         40
        .size:           8
        .value_kind:     by_value
      - .address_space:  global
        .offset:         48
        .size:           8
        .value_kind:     global_buffer
      - .offset:         56
        .size:           1
        .value_kind:     by_value
      - .offset:         57
        .size:           1
        .value_kind:     by_value
    .group_segment_fixed_size: 260
    .kernarg_segment_align: 8
    .kernarg_segment_size: 60
    .language:       OpenCL C
    .language_version:
      - 2
      - 0
    .max_flat_workgroup_size: 64
    .name:           _ZN9rocsolver6v33100L18getri_kernel_smallILi32EfPKPfEEvT1_iilPiilS6_bb
    .private_segment_fixed_size: 144
    .sgpr_count:     19
    .sgpr_spill_count: 0
    .symbol:         _ZN9rocsolver6v33100L18getri_kernel_smallILi32EfPKPfEEvT1_iilPiilS6_bb.kd
    .uniform_work_group_size: 1
    .uses_dynamic_stack: false
    .vgpr_count:     107
    .vgpr_spill_count: 0
    .wavefront_size: 32
    .workgroup_processor_mode: 1
  - .args:
      - .address_space:  global
        .offset:         0
        .size:           8
        .value_kind:     global_buffer
      - .offset:         8
        .size:           4
        .value_kind:     by_value
      - .offset:         12
        .size:           4
        .value_kind:     by_value
      - .offset:         16
        .size:           8
        .value_kind:     by_value
      - .address_space:  global
        .offset:         24
        .size:           8
        .value_kind:     global_buffer
      - .offset:         32
        .size:           4
        .value_kind:     by_value
      - .offset:         40
        .size:           8
        .value_kind:     by_value
      - .address_space:  global
        .offset:         48
        .size:           8
        .value_kind:     global_buffer
      - .offset:         56
        .size:           1
        .value_kind:     by_value
      - .offset:         57
        .size:           1
        .value_kind:     by_value
    .group_segment_fixed_size: 276
    .kernarg_segment_align: 8
    .kernarg_segment_size: 60
    .language:       OpenCL C
    .language_version:
      - 2
      - 0
    .max_flat_workgroup_size: 64
    .name:           _ZN9rocsolver6v33100L18getri_kernel_smallILi33EfPKPfEEvT1_iilPiilS6_bb
    .private_segment_fixed_size: 144
    .sgpr_count:     19
    .sgpr_spill_count: 0
    .symbol:         _ZN9rocsolver6v33100L18getri_kernel_smallILi33EfPKPfEEvT1_iilPiilS6_bb.kd
    .uniform_work_group_size: 1
    .uses_dynamic_stack: false
    .vgpr_count:     111
    .vgpr_spill_count: 0
    .wavefront_size: 32
    .workgroup_processor_mode: 1
  - .args:
      - .address_space:  global
        .offset:         0
        .size:           8
        .value_kind:     global_buffer
      - .offset:         8
        .size:           4
        .value_kind:     by_value
      - .offset:         12
        .size:           4
        .value_kind:     by_value
      - .offset:         16
        .size:           8
        .value_kind:     by_value
      - .address_space:  global
        .offset:         24
        .size:           8
        .value_kind:     global_buffer
      - .offset:         32
        .size:           4
        .value_kind:     by_value
      - .offset:         40
        .size:           8
        .value_kind:     by_value
      - .address_space:  global
        .offset:         48
        .size:           8
        .value_kind:     global_buffer
      - .offset:         56
        .size:           1
        .value_kind:     by_value
      - .offset:         57
        .size:           1
        .value_kind:     by_value
    .group_segment_fixed_size: 280
    .kernarg_segment_align: 8
    .kernarg_segment_size: 60
    .language:       OpenCL C
    .language_version:
      - 2
      - 0
    .max_flat_workgroup_size: 64
    .name:           _ZN9rocsolver6v33100L18getri_kernel_smallILi34EfPKPfEEvT1_iilPiilS6_bb
    .private_segment_fixed_size: 144
    .sgpr_count:     19
    .sgpr_spill_count: 0
    .symbol:         _ZN9rocsolver6v33100L18getri_kernel_smallILi34EfPKPfEEvT1_iilPiilS6_bb.kd
    .uniform_work_group_size: 1
    .uses_dynamic_stack: false
    .vgpr_count:     113
    .vgpr_spill_count: 0
    .wavefront_size: 32
    .workgroup_processor_mode: 1
  - .args:
      - .address_space:  global
        .offset:         0
        .size:           8
        .value_kind:     global_buffer
      - .offset:         8
        .size:           4
        .value_kind:     by_value
      - .offset:         12
        .size:           4
        .value_kind:     by_value
      - .offset:         16
        .size:           8
        .value_kind:     by_value
      - .address_space:  global
        .offset:         24
        .size:           8
        .value_kind:     global_buffer
      - .offset:         32
        .size:           4
        .value_kind:     by_value
      - .offset:         40
        .size:           8
        .value_kind:     by_value
      - .address_space:  global
        .offset:         48
        .size:           8
        .value_kind:     global_buffer
      - .offset:         56
        .size:           1
        .value_kind:     by_value
      - .offset:         57
        .size:           1
        .value_kind:     by_value
    .group_segment_fixed_size: 284
    .kernarg_segment_align: 8
    .kernarg_segment_size: 60
    .language:       OpenCL C
    .language_version:
      - 2
      - 0
    .max_flat_workgroup_size: 64
    .name:           _ZN9rocsolver6v33100L18getri_kernel_smallILi35EfPKPfEEvT1_iilPiilS6_bb
    .private_segment_fixed_size: 144
    .sgpr_count:     19
    .sgpr_spill_count: 0
    .symbol:         _ZN9rocsolver6v33100L18getri_kernel_smallILi35EfPKPfEEvT1_iilPiilS6_bb.kd
    .uniform_work_group_size: 1
    .uses_dynamic_stack: false
    .vgpr_count:     117
    .vgpr_spill_count: 0
    .wavefront_size: 32
    .workgroup_processor_mode: 1
  - .args:
      - .address_space:  global
        .offset:         0
        .size:           8
        .value_kind:     global_buffer
      - .offset:         8
        .size:           4
        .value_kind:     by_value
      - .offset:         12
        .size:           4
        .value_kind:     by_value
      - .offset:         16
        .size:           8
        .value_kind:     by_value
      - .address_space:  global
        .offset:         24
        .size:           8
        .value_kind:     global_buffer
      - .offset:         32
        .size:           4
        .value_kind:     by_value
      - .offset:         40
        .size:           8
        .value_kind:     by_value
      - .address_space:  global
        .offset:         48
        .size:           8
        .value_kind:     global_buffer
      - .offset:         56
        .size:           1
        .value_kind:     by_value
      - .offset:         57
        .size:           1
        .value_kind:     by_value
    .group_segment_fixed_size: 292
    .kernarg_segment_align: 8
    .kernarg_segment_size: 60
    .language:       OpenCL C
    .language_version:
      - 2
      - 0
    .max_flat_workgroup_size: 64
    .name:           _ZN9rocsolver6v33100L18getri_kernel_smallILi36EfPKPfEEvT1_iilPiilS6_bb
    .private_segment_fixed_size: 160
    .sgpr_count:     19
    .sgpr_spill_count: 0
    .symbol:         _ZN9rocsolver6v33100L18getri_kernel_smallILi36EfPKPfEEvT1_iilPiilS6_bb.kd
    .uniform_work_group_size: 1
    .uses_dynamic_stack: false
    .vgpr_count:     119
    .vgpr_spill_count: 0
    .wavefront_size: 32
    .workgroup_processor_mode: 1
  - .args:
      - .address_space:  global
        .offset:         0
        .size:           8
        .value_kind:     global_buffer
      - .offset:         8
        .size:           4
        .value_kind:     by_value
      - .offset:         12
        .size:           4
        .value_kind:     by_value
      - .offset:         16
        .size:           8
        .value_kind:     by_value
      - .address_space:  global
        .offset:         24
        .size:           8
        .value_kind:     global_buffer
      - .offset:         32
        .size:           4
        .value_kind:     by_value
      - .offset:         40
        .size:           8
        .value_kind:     by_value
      - .address_space:  global
        .offset:         48
        .size:           8
        .value_kind:     global_buffer
      - .offset:         56
        .size:           1
        .value_kind:     by_value
      - .offset:         57
        .size:           1
        .value_kind:     by_value
    .group_segment_fixed_size: 308
    .kernarg_segment_align: 8
    .kernarg_segment_size: 60
    .language:       OpenCL C
    .language_version:
      - 2
      - 0
    .max_flat_workgroup_size: 64
    .name:           _ZN9rocsolver6v33100L18getri_kernel_smallILi37EfPKPfEEvT1_iilPiilS6_bb
    .private_segment_fixed_size: 160
    .sgpr_count:     19
    .sgpr_spill_count: 0
    .symbol:         _ZN9rocsolver6v33100L18getri_kernel_smallILi37EfPKPfEEvT1_iilPiilS6_bb.kd
    .uniform_work_group_size: 1
    .uses_dynamic_stack: false
    .vgpr_count:     123
    .vgpr_spill_count: 0
    .wavefront_size: 32
    .workgroup_processor_mode: 1
  - .args:
      - .address_space:  global
        .offset:         0
        .size:           8
        .value_kind:     global_buffer
      - .offset:         8
        .size:           4
        .value_kind:     by_value
      - .offset:         12
        .size:           4
        .value_kind:     by_value
      - .offset:         16
        .size:           8
        .value_kind:     by_value
      - .address_space:  global
        .offset:         24
        .size:           8
        .value_kind:     global_buffer
      - .offset:         32
        .size:           4
        .value_kind:     by_value
      - .offset:         40
        .size:           8
        .value_kind:     by_value
      - .address_space:  global
        .offset:         48
        .size:           8
        .value_kind:     global_buffer
      - .offset:         56
        .size:           1
        .value_kind:     by_value
      - .offset:         57
        .size:           1
        .value_kind:     by_value
    .group_segment_fixed_size: 312
    .kernarg_segment_align: 8
    .kernarg_segment_size: 60
    .language:       OpenCL C
    .language_version:
      - 2
      - 0
    .max_flat_workgroup_size: 64
    .name:           _ZN9rocsolver6v33100L18getri_kernel_smallILi38EfPKPfEEvT1_iilPiilS6_bb
    .private_segment_fixed_size: 160
    .sgpr_count:     19
    .sgpr_spill_count: 0
    .symbol:         _ZN9rocsolver6v33100L18getri_kernel_smallILi38EfPKPfEEvT1_iilPiilS6_bb.kd
    .uniform_work_group_size: 1
    .uses_dynamic_stack: false
    .vgpr_count:     125
    .vgpr_spill_count: 0
    .wavefront_size: 32
    .workgroup_processor_mode: 1
  - .args:
      - .address_space:  global
        .offset:         0
        .size:           8
        .value_kind:     global_buffer
      - .offset:         8
        .size:           4
        .value_kind:     by_value
      - .offset:         12
        .size:           4
        .value_kind:     by_value
      - .offset:         16
        .size:           8
        .value_kind:     by_value
      - .address_space:  global
        .offset:         24
        .size:           8
        .value_kind:     global_buffer
      - .offset:         32
        .size:           4
        .value_kind:     by_value
      - .offset:         40
        .size:           8
        .value_kind:     by_value
      - .address_space:  global
        .offset:         48
        .size:           8
        .value_kind:     global_buffer
      - .offset:         56
        .size:           1
        .value_kind:     by_value
      - .offset:         57
        .size:           1
        .value_kind:     by_value
    .group_segment_fixed_size: 316
    .kernarg_segment_align: 8
    .kernarg_segment_size: 60
    .language:       OpenCL C
    .language_version:
      - 2
      - 0
    .max_flat_workgroup_size: 64
    .name:           _ZN9rocsolver6v33100L18getri_kernel_smallILi39EfPKPfEEvT1_iilPiilS6_bb
    .private_segment_fixed_size: 160
    .sgpr_count:     19
    .sgpr_spill_count: 0
    .symbol:         _ZN9rocsolver6v33100L18getri_kernel_smallILi39EfPKPfEEvT1_iilPiilS6_bb.kd
    .uniform_work_group_size: 1
    .uses_dynamic_stack: false
    .vgpr_count:     129
    .vgpr_spill_count: 0
    .wavefront_size: 32
    .workgroup_processor_mode: 1
  - .args:
      - .address_space:  global
        .offset:         0
        .size:           8
        .value_kind:     global_buffer
      - .offset:         8
        .size:           4
        .value_kind:     by_value
      - .offset:         12
        .size:           4
        .value_kind:     by_value
      - .offset:         16
        .size:           8
        .value_kind:     by_value
      - .address_space:  global
        .offset:         24
        .size:           8
        .value_kind:     global_buffer
      - .offset:         32
        .size:           4
        .value_kind:     by_value
      - .offset:         40
        .size:           8
        .value_kind:     by_value
      - .address_space:  global
        .offset:         48
        .size:           8
        .value_kind:     global_buffer
      - .offset:         56
        .size:           1
        .value_kind:     by_value
      - .offset:         57
        .size:           1
        .value_kind:     by_value
    .group_segment_fixed_size: 324
    .kernarg_segment_align: 8
    .kernarg_segment_size: 60
    .language:       OpenCL C
    .language_version:
      - 2
      - 0
    .max_flat_workgroup_size: 64
    .name:           _ZN9rocsolver6v33100L18getri_kernel_smallILi40EfPKPfEEvT1_iilPiilS6_bb
    .private_segment_fixed_size: 176
    .sgpr_count:     19
    .sgpr_spill_count: 0
    .symbol:         _ZN9rocsolver6v33100L18getri_kernel_smallILi40EfPKPfEEvT1_iilPiilS6_bb.kd
    .uniform_work_group_size: 1
    .uses_dynamic_stack: false
    .vgpr_count:     132
    .vgpr_spill_count: 0
    .wavefront_size: 32
    .workgroup_processor_mode: 1
  - .args:
      - .address_space:  global
        .offset:         0
        .size:           8
        .value_kind:     global_buffer
      - .offset:         8
        .size:           4
        .value_kind:     by_value
      - .offset:         12
        .size:           4
        .value_kind:     by_value
      - .offset:         16
        .size:           8
        .value_kind:     by_value
      - .address_space:  global
        .offset:         24
        .size:           8
        .value_kind:     global_buffer
      - .offset:         32
        .size:           4
        .value_kind:     by_value
      - .offset:         40
        .size:           8
        .value_kind:     by_value
      - .address_space:  global
        .offset:         48
        .size:           8
        .value_kind:     global_buffer
      - .offset:         56
        .size:           1
        .value_kind:     by_value
      - .offset:         57
        .size:           1
        .value_kind:     by_value
    .group_segment_fixed_size: 340
    .kernarg_segment_align: 8
    .kernarg_segment_size: 60
    .language:       OpenCL C
    .language_version:
      - 2
      - 0
    .max_flat_workgroup_size: 64
    .name:           _ZN9rocsolver6v33100L18getri_kernel_smallILi41EfPKPfEEvT1_iilPiilS6_bb
    .private_segment_fixed_size: 176
    .sgpr_count:     19
    .sgpr_spill_count: 0
    .symbol:         _ZN9rocsolver6v33100L18getri_kernel_smallILi41EfPKPfEEvT1_iilPiilS6_bb.kd
    .uniform_work_group_size: 1
    .uses_dynamic_stack: false
    .vgpr_count:     135
    .vgpr_spill_count: 0
    .wavefront_size: 32
    .workgroup_processor_mode: 1
  - .args:
      - .address_space:  global
        .offset:         0
        .size:           8
        .value_kind:     global_buffer
      - .offset:         8
        .size:           4
        .value_kind:     by_value
      - .offset:         12
        .size:           4
        .value_kind:     by_value
      - .offset:         16
        .size:           8
        .value_kind:     by_value
      - .address_space:  global
        .offset:         24
        .size:           8
        .value_kind:     global_buffer
      - .offset:         32
        .size:           4
        .value_kind:     by_value
      - .offset:         40
        .size:           8
        .value_kind:     by_value
      - .address_space:  global
        .offset:         48
        .size:           8
        .value_kind:     global_buffer
      - .offset:         56
        .size:           1
        .value_kind:     by_value
      - .offset:         57
        .size:           1
        .value_kind:     by_value
    .group_segment_fixed_size: 344
    .kernarg_segment_align: 8
    .kernarg_segment_size: 60
    .language:       OpenCL C
    .language_version:
      - 2
      - 0
    .max_flat_workgroup_size: 64
    .name:           _ZN9rocsolver6v33100L18getri_kernel_smallILi42EfPKPfEEvT1_iilPiilS6_bb
    .private_segment_fixed_size: 176
    .sgpr_count:     19
    .sgpr_spill_count: 0
    .symbol:         _ZN9rocsolver6v33100L18getri_kernel_smallILi42EfPKPfEEvT1_iilPiilS6_bb.kd
    .uniform_work_group_size: 1
    .uses_dynamic_stack: false
    .vgpr_count:     136
    .vgpr_spill_count: 0
    .wavefront_size: 32
    .workgroup_processor_mode: 1
  - .args:
      - .address_space:  global
        .offset:         0
        .size:           8
        .value_kind:     global_buffer
      - .offset:         8
        .size:           4
        .value_kind:     by_value
      - .offset:         12
        .size:           4
        .value_kind:     by_value
      - .offset:         16
        .size:           8
        .value_kind:     by_value
      - .address_space:  global
        .offset:         24
        .size:           8
        .value_kind:     global_buffer
      - .offset:         32
        .size:           4
        .value_kind:     by_value
      - .offset:         40
        .size:           8
        .value_kind:     by_value
      - .address_space:  global
        .offset:         48
        .size:           8
        .value_kind:     global_buffer
      - .offset:         56
        .size:           1
        .value_kind:     by_value
      - .offset:         57
        .size:           1
        .value_kind:     by_value
    .group_segment_fixed_size: 348
    .kernarg_segment_align: 8
    .kernarg_segment_size: 60
    .language:       OpenCL C
    .language_version:
      - 2
      - 0
    .max_flat_workgroup_size: 64
    .name:           _ZN9rocsolver6v33100L18getri_kernel_smallILi43EfPKPfEEvT1_iilPiilS6_bb
    .private_segment_fixed_size: 176
    .sgpr_count:     19
    .sgpr_spill_count: 0
    .symbol:         _ZN9rocsolver6v33100L18getri_kernel_smallILi43EfPKPfEEvT1_iilPiilS6_bb.kd
    .uniform_work_group_size: 1
    .uses_dynamic_stack: false
    .vgpr_count:     140
    .vgpr_spill_count: 0
    .wavefront_size: 32
    .workgroup_processor_mode: 1
  - .args:
      - .address_space:  global
        .offset:         0
        .size:           8
        .value_kind:     global_buffer
      - .offset:         8
        .size:           4
        .value_kind:     by_value
      - .offset:         12
        .size:           4
        .value_kind:     by_value
      - .offset:         16
        .size:           8
        .value_kind:     by_value
      - .address_space:  global
        .offset:         24
        .size:           8
        .value_kind:     global_buffer
      - .offset:         32
        .size:           4
        .value_kind:     by_value
      - .offset:         40
        .size:           8
        .value_kind:     by_value
      - .address_space:  global
        .offset:         48
        .size:           8
        .value_kind:     global_buffer
      - .offset:         56
        .size:           1
        .value_kind:     by_value
      - .offset:         57
        .size:           1
        .value_kind:     by_value
    .group_segment_fixed_size: 356
    .kernarg_segment_align: 8
    .kernarg_segment_size: 60
    .language:       OpenCL C
    .language_version:
      - 2
      - 0
    .max_flat_workgroup_size: 64
    .name:           _ZN9rocsolver6v33100L18getri_kernel_smallILi44EfPKPfEEvT1_iilPiilS6_bb
    .private_segment_fixed_size: 192
    .sgpr_count:     19
    .sgpr_spill_count: 0
    .symbol:         _ZN9rocsolver6v33100L18getri_kernel_smallILi44EfPKPfEEvT1_iilPiilS6_bb.kd
    .uniform_work_group_size: 1
    .uses_dynamic_stack: false
    .vgpr_count:     143
    .vgpr_spill_count: 0
    .wavefront_size: 32
    .workgroup_processor_mode: 1
  - .args:
      - .address_space:  global
        .offset:         0
        .size:           8
        .value_kind:     global_buffer
      - .offset:         8
        .size:           4
        .value_kind:     by_value
      - .offset:         12
        .size:           4
        .value_kind:     by_value
      - .offset:         16
        .size:           8
        .value_kind:     by_value
      - .address_space:  global
        .offset:         24
        .size:           8
        .value_kind:     global_buffer
      - .offset:         32
        .size:           4
        .value_kind:     by_value
      - .offset:         40
        .size:           8
        .value_kind:     by_value
      - .address_space:  global
        .offset:         48
        .size:           8
        .value_kind:     global_buffer
      - .offset:         56
        .size:           1
        .value_kind:     by_value
      - .offset:         57
        .size:           1
        .value_kind:     by_value
    .group_segment_fixed_size: 372
    .kernarg_segment_align: 8
    .kernarg_segment_size: 60
    .language:       OpenCL C
    .language_version:
      - 2
      - 0
    .max_flat_workgroup_size: 64
    .name:           _ZN9rocsolver6v33100L18getri_kernel_smallILi45EfPKPfEEvT1_iilPiilS6_bb
    .private_segment_fixed_size: 192
    .sgpr_count:     19
    .sgpr_spill_count: 0
    .symbol:         _ZN9rocsolver6v33100L18getri_kernel_smallILi45EfPKPfEEvT1_iilPiilS6_bb.kd
    .uniform_work_group_size: 1
    .uses_dynamic_stack: false
    .vgpr_count:     147
    .vgpr_spill_count: 0
    .wavefront_size: 32
    .workgroup_processor_mode: 1
  - .args:
      - .address_space:  global
        .offset:         0
        .size:           8
        .value_kind:     global_buffer
      - .offset:         8
        .size:           4
        .value_kind:     by_value
      - .offset:         12
        .size:           4
        .value_kind:     by_value
      - .offset:         16
        .size:           8
        .value_kind:     by_value
      - .address_space:  global
        .offset:         24
        .size:           8
        .value_kind:     global_buffer
      - .offset:         32
        .size:           4
        .value_kind:     by_value
      - .offset:         40
        .size:           8
        .value_kind:     by_value
      - .address_space:  global
        .offset:         48
        .size:           8
        .value_kind:     global_buffer
      - .offset:         56
        .size:           1
        .value_kind:     by_value
      - .offset:         57
        .size:           1
        .value_kind:     by_value
    .group_segment_fixed_size: 376
    .kernarg_segment_align: 8
    .kernarg_segment_size: 60
    .language:       OpenCL C
    .language_version:
      - 2
      - 0
    .max_flat_workgroup_size: 64
    .name:           _ZN9rocsolver6v33100L18getri_kernel_smallILi46EfPKPfEEvT1_iilPiilS6_bb
    .private_segment_fixed_size: 192
    .sgpr_count:     19
    .sgpr_spill_count: 0
    .symbol:         _ZN9rocsolver6v33100L18getri_kernel_smallILi46EfPKPfEEvT1_iilPiilS6_bb.kd
    .uniform_work_group_size: 1
    .uses_dynamic_stack: false
    .vgpr_count:     148
    .vgpr_spill_count: 0
    .wavefront_size: 32
    .workgroup_processor_mode: 1
  - .args:
      - .address_space:  global
        .offset:         0
        .size:           8
        .value_kind:     global_buffer
      - .offset:         8
        .size:           4
        .value_kind:     by_value
      - .offset:         12
        .size:           4
        .value_kind:     by_value
      - .offset:         16
        .size:           8
        .value_kind:     by_value
      - .address_space:  global
        .offset:         24
        .size:           8
        .value_kind:     global_buffer
      - .offset:         32
        .size:           4
        .value_kind:     by_value
      - .offset:         40
        .size:           8
        .value_kind:     by_value
      - .address_space:  global
        .offset:         48
        .size:           8
        .value_kind:     global_buffer
      - .offset:         56
        .size:           1
        .value_kind:     by_value
      - .offset:         57
        .size:           1
        .value_kind:     by_value
    .group_segment_fixed_size: 380
    .kernarg_segment_align: 8
    .kernarg_segment_size: 60
    .language:       OpenCL C
    .language_version:
      - 2
      - 0
    .max_flat_workgroup_size: 64
    .name:           _ZN9rocsolver6v33100L18getri_kernel_smallILi47EfPKPfEEvT1_iilPiilS6_bb
    .private_segment_fixed_size: 192
    .sgpr_count:     19
    .sgpr_spill_count: 0
    .symbol:         _ZN9rocsolver6v33100L18getri_kernel_smallILi47EfPKPfEEvT1_iilPiilS6_bb.kd
    .uniform_work_group_size: 1
    .uses_dynamic_stack: false
    .vgpr_count:     152
    .vgpr_spill_count: 0
    .wavefront_size: 32
    .workgroup_processor_mode: 1
  - .args:
      - .address_space:  global
        .offset:         0
        .size:           8
        .value_kind:     global_buffer
      - .offset:         8
        .size:           4
        .value_kind:     by_value
      - .offset:         12
        .size:           4
        .value_kind:     by_value
      - .offset:         16
        .size:           8
        .value_kind:     by_value
      - .address_space:  global
        .offset:         24
        .size:           8
        .value_kind:     global_buffer
      - .offset:         32
        .size:           4
        .value_kind:     by_value
      - .offset:         40
        .size:           8
        .value_kind:     by_value
      - .address_space:  global
        .offset:         48
        .size:           8
        .value_kind:     global_buffer
      - .offset:         56
        .size:           1
        .value_kind:     by_value
      - .offset:         57
        .size:           1
        .value_kind:     by_value
    .group_segment_fixed_size: 388
    .kernarg_segment_align: 8
    .kernarg_segment_size: 60
    .language:       OpenCL C
    .language_version:
      - 2
      - 0
    .max_flat_workgroup_size: 64
    .name:           _ZN9rocsolver6v33100L18getri_kernel_smallILi48EfPKPfEEvT1_iilPiilS6_bb
    .private_segment_fixed_size: 208
    .sgpr_count:     19
    .sgpr_spill_count: 0
    .symbol:         _ZN9rocsolver6v33100L18getri_kernel_smallILi48EfPKPfEEvT1_iilPiilS6_bb.kd
    .uniform_work_group_size: 1
    .uses_dynamic_stack: false
    .vgpr_count:     155
    .vgpr_spill_count: 0
    .wavefront_size: 32
    .workgroup_processor_mode: 1
  - .args:
      - .address_space:  global
        .offset:         0
        .size:           8
        .value_kind:     global_buffer
      - .offset:         8
        .size:           4
        .value_kind:     by_value
      - .offset:         12
        .size:           4
        .value_kind:     by_value
      - .offset:         16
        .size:           8
        .value_kind:     by_value
      - .address_space:  global
        .offset:         24
        .size:           8
        .value_kind:     global_buffer
      - .offset:         32
        .size:           4
        .value_kind:     by_value
      - .offset:         40
        .size:           8
        .value_kind:     by_value
      - .address_space:  global
        .offset:         48
        .size:           8
        .value_kind:     global_buffer
      - .offset:         56
        .size:           1
        .value_kind:     by_value
      - .offset:         57
        .size:           1
        .value_kind:     by_value
    .group_segment_fixed_size: 404
    .kernarg_segment_align: 8
    .kernarg_segment_size: 60
    .language:       OpenCL C
    .language_version:
      - 2
      - 0
    .max_flat_workgroup_size: 64
    .name:           _ZN9rocsolver6v33100L18getri_kernel_smallILi49EfPKPfEEvT1_iilPiilS6_bb
    .private_segment_fixed_size: 208
    .sgpr_count:     19
    .sgpr_spill_count: 0
    .symbol:         _ZN9rocsolver6v33100L18getri_kernel_smallILi49EfPKPfEEvT1_iilPiilS6_bb.kd
    .uniform_work_group_size: 1
    .uses_dynamic_stack: false
    .vgpr_count:     160
    .vgpr_spill_count: 0
    .wavefront_size: 32
    .workgroup_processor_mode: 1
  - .args:
      - .address_space:  global
        .offset:         0
        .size:           8
        .value_kind:     global_buffer
      - .offset:         8
        .size:           4
        .value_kind:     by_value
      - .offset:         12
        .size:           4
        .value_kind:     by_value
      - .offset:         16
        .size:           8
        .value_kind:     by_value
      - .address_space:  global
        .offset:         24
        .size:           8
        .value_kind:     global_buffer
      - .offset:         32
        .size:           4
        .value_kind:     by_value
      - .offset:         40
        .size:           8
        .value_kind:     by_value
      - .address_space:  global
        .offset:         48
        .size:           8
        .value_kind:     global_buffer
      - .offset:         56
        .size:           1
        .value_kind:     by_value
      - .offset:         57
        .size:           1
        .value_kind:     by_value
    .group_segment_fixed_size: 408
    .kernarg_segment_align: 8
    .kernarg_segment_size: 60
    .language:       OpenCL C
    .language_version:
      - 2
      - 0
    .max_flat_workgroup_size: 64
    .name:           _ZN9rocsolver6v33100L18getri_kernel_smallILi50EfPKPfEEvT1_iilPiilS6_bb
    .private_segment_fixed_size: 208
    .sgpr_count:     19
    .sgpr_spill_count: 0
    .symbol:         _ZN9rocsolver6v33100L18getri_kernel_smallILi50EfPKPfEEvT1_iilPiilS6_bb.kd
    .uniform_work_group_size: 1
    .uses_dynamic_stack: false
    .vgpr_count:     160
    .vgpr_spill_count: 0
    .wavefront_size: 32
    .workgroup_processor_mode: 1
  - .args:
      - .address_space:  global
        .offset:         0
        .size:           8
        .value_kind:     global_buffer
      - .offset:         8
        .size:           4
        .value_kind:     by_value
      - .offset:         12
        .size:           4
        .value_kind:     by_value
      - .offset:         16
        .size:           8
        .value_kind:     by_value
      - .address_space:  global
        .offset:         24
        .size:           8
        .value_kind:     global_buffer
      - .offset:         32
        .size:           4
        .value_kind:     by_value
      - .offset:         40
        .size:           8
        .value_kind:     by_value
      - .address_space:  global
        .offset:         48
        .size:           8
        .value_kind:     global_buffer
      - .offset:         56
        .size:           1
        .value_kind:     by_value
      - .offset:         57
        .size:           1
        .value_kind:     by_value
    .group_segment_fixed_size: 412
    .kernarg_segment_align: 8
    .kernarg_segment_size: 60
    .language:       OpenCL C
    .language_version:
      - 2
      - 0
    .max_flat_workgroup_size: 64
    .name:           _ZN9rocsolver6v33100L18getri_kernel_smallILi51EfPKPfEEvT1_iilPiilS6_bb
    .private_segment_fixed_size: 208
    .sgpr_count:     19
    .sgpr_spill_count: 0
    .symbol:         _ZN9rocsolver6v33100L18getri_kernel_smallILi51EfPKPfEEvT1_iilPiilS6_bb.kd
    .uniform_work_group_size: 1
    .uses_dynamic_stack: false
    .vgpr_count:     164
    .vgpr_spill_count: 0
    .wavefront_size: 32
    .workgroup_processor_mode: 1
  - .args:
      - .address_space:  global
        .offset:         0
        .size:           8
        .value_kind:     global_buffer
      - .offset:         8
        .size:           4
        .value_kind:     by_value
      - .offset:         12
        .size:           4
        .value_kind:     by_value
      - .offset:         16
        .size:           8
        .value_kind:     by_value
      - .address_space:  global
        .offset:         24
        .size:           8
        .value_kind:     global_buffer
      - .offset:         32
        .size:           4
        .value_kind:     by_value
      - .offset:         40
        .size:           8
        .value_kind:     by_value
      - .address_space:  global
        .offset:         48
        .size:           8
        .value_kind:     global_buffer
      - .offset:         56
        .size:           1
        .value_kind:     by_value
      - .offset:         57
        .size:           1
        .value_kind:     by_value
    .group_segment_fixed_size: 420
    .kernarg_segment_align: 8
    .kernarg_segment_size: 60
    .language:       OpenCL C
    .language_version:
      - 2
      - 0
    .max_flat_workgroup_size: 64
    .name:           _ZN9rocsolver6v33100L18getri_kernel_smallILi52EfPKPfEEvT1_iilPiilS6_bb
    .private_segment_fixed_size: 224
    .sgpr_count:     19
    .sgpr_spill_count: 0
    .symbol:         _ZN9rocsolver6v33100L18getri_kernel_smallILi52EfPKPfEEvT1_iilPiilS6_bb.kd
    .uniform_work_group_size: 1
    .uses_dynamic_stack: false
    .vgpr_count:     167
    .vgpr_spill_count: 0
    .wavefront_size: 32
    .workgroup_processor_mode: 1
  - .args:
      - .address_space:  global
        .offset:         0
        .size:           8
        .value_kind:     global_buffer
      - .offset:         8
        .size:           4
        .value_kind:     by_value
      - .offset:         12
        .size:           4
        .value_kind:     by_value
      - .offset:         16
        .size:           8
        .value_kind:     by_value
      - .address_space:  global
        .offset:         24
        .size:           8
        .value_kind:     global_buffer
      - .offset:         32
        .size:           4
        .value_kind:     by_value
      - .offset:         40
        .size:           8
        .value_kind:     by_value
      - .address_space:  global
        .offset:         48
        .size:           8
        .value_kind:     global_buffer
      - .offset:         56
        .size:           1
        .value_kind:     by_value
      - .offset:         57
        .size:           1
        .value_kind:     by_value
    .group_segment_fixed_size: 436
    .kernarg_segment_align: 8
    .kernarg_segment_size: 60
    .language:       OpenCL C
    .language_version:
      - 2
      - 0
    .max_flat_workgroup_size: 64
    .name:           _ZN9rocsolver6v33100L18getri_kernel_smallILi53EfPKPfEEvT1_iilPiilS6_bb
    .private_segment_fixed_size: 224
    .sgpr_count:     19
    .sgpr_spill_count: 0
    .symbol:         _ZN9rocsolver6v33100L18getri_kernel_smallILi53EfPKPfEEvT1_iilPiilS6_bb.kd
    .uniform_work_group_size: 1
    .uses_dynamic_stack: false
    .vgpr_count:     171
    .vgpr_spill_count: 0
    .wavefront_size: 32
    .workgroup_processor_mode: 1
  - .args:
      - .address_space:  global
        .offset:         0
        .size:           8
        .value_kind:     global_buffer
      - .offset:         8
        .size:           4
        .value_kind:     by_value
      - .offset:         12
        .size:           4
        .value_kind:     by_value
      - .offset:         16
        .size:           8
        .value_kind:     by_value
      - .address_space:  global
        .offset:         24
        .size:           8
        .value_kind:     global_buffer
      - .offset:         32
        .size:           4
        .value_kind:     by_value
      - .offset:         40
        .size:           8
        .value_kind:     by_value
      - .address_space:  global
        .offset:         48
        .size:           8
        .value_kind:     global_buffer
      - .offset:         56
        .size:           1
        .value_kind:     by_value
      - .offset:         57
        .size:           1
        .value_kind:     by_value
    .group_segment_fixed_size: 440
    .kernarg_segment_align: 8
    .kernarg_segment_size: 60
    .language:       OpenCL C
    .language_version:
      - 2
      - 0
    .max_flat_workgroup_size: 64
    .name:           _ZN9rocsolver6v33100L18getri_kernel_smallILi54EfPKPfEEvT1_iilPiilS6_bb
    .private_segment_fixed_size: 224
    .sgpr_count:     19
    .sgpr_spill_count: 0
    .symbol:         _ZN9rocsolver6v33100L18getri_kernel_smallILi54EfPKPfEEvT1_iilPiilS6_bb.kd
    .uniform_work_group_size: 1
    .uses_dynamic_stack: false
    .vgpr_count:     172
    .vgpr_spill_count: 0
    .wavefront_size: 32
    .workgroup_processor_mode: 1
  - .args:
      - .address_space:  global
        .offset:         0
        .size:           8
        .value_kind:     global_buffer
      - .offset:         8
        .size:           4
        .value_kind:     by_value
      - .offset:         12
        .size:           4
        .value_kind:     by_value
      - .offset:         16
        .size:           8
        .value_kind:     by_value
      - .address_space:  global
        .offset:         24
        .size:           8
        .value_kind:     global_buffer
      - .offset:         32
        .size:           4
        .value_kind:     by_value
      - .offset:         40
        .size:           8
        .value_kind:     by_value
      - .address_space:  global
        .offset:         48
        .size:           8
        .value_kind:     global_buffer
      - .offset:         56
        .size:           1
        .value_kind:     by_value
      - .offset:         57
        .size:           1
        .value_kind:     by_value
    .group_segment_fixed_size: 444
    .kernarg_segment_align: 8
    .kernarg_segment_size: 60
    .language:       OpenCL C
    .language_version:
      - 2
      - 0
    .max_flat_workgroup_size: 64
    .name:           _ZN9rocsolver6v33100L18getri_kernel_smallILi55EfPKPfEEvT1_iilPiilS6_bb
    .private_segment_fixed_size: 224
    .sgpr_count:     19
    .sgpr_spill_count: 0
    .symbol:         _ZN9rocsolver6v33100L18getri_kernel_smallILi55EfPKPfEEvT1_iilPiilS6_bb.kd
    .uniform_work_group_size: 1
    .uses_dynamic_stack: false
    .vgpr_count:     176
    .vgpr_spill_count: 0
    .wavefront_size: 32
    .workgroup_processor_mode: 1
  - .args:
      - .address_space:  global
        .offset:         0
        .size:           8
        .value_kind:     global_buffer
      - .offset:         8
        .size:           4
        .value_kind:     by_value
      - .offset:         12
        .size:           4
        .value_kind:     by_value
      - .offset:         16
        .size:           8
        .value_kind:     by_value
      - .address_space:  global
        .offset:         24
        .size:           8
        .value_kind:     global_buffer
      - .offset:         32
        .size:           4
        .value_kind:     by_value
      - .offset:         40
        .size:           8
        .value_kind:     by_value
      - .address_space:  global
        .offset:         48
        .size:           8
        .value_kind:     global_buffer
      - .offset:         56
        .size:           1
        .value_kind:     by_value
      - .offset:         57
        .size:           1
        .value_kind:     by_value
    .group_segment_fixed_size: 452
    .kernarg_segment_align: 8
    .kernarg_segment_size: 60
    .language:       OpenCL C
    .language_version:
      - 2
      - 0
    .max_flat_workgroup_size: 64
    .name:           _ZN9rocsolver6v33100L18getri_kernel_smallILi56EfPKPfEEvT1_iilPiilS6_bb
    .private_segment_fixed_size: 240
    .sgpr_count:     19
    .sgpr_spill_count: 0
    .symbol:         _ZN9rocsolver6v33100L18getri_kernel_smallILi56EfPKPfEEvT1_iilPiilS6_bb.kd
    .uniform_work_group_size: 1
    .uses_dynamic_stack: false
    .vgpr_count:     179
    .vgpr_spill_count: 0
    .wavefront_size: 32
    .workgroup_processor_mode: 1
  - .args:
      - .address_space:  global
        .offset:         0
        .size:           8
        .value_kind:     global_buffer
      - .offset:         8
        .size:           4
        .value_kind:     by_value
      - .offset:         12
        .size:           4
        .value_kind:     by_value
      - .offset:         16
        .size:           8
        .value_kind:     by_value
      - .address_space:  global
        .offset:         24
        .size:           8
        .value_kind:     global_buffer
      - .offset:         32
        .size:           4
        .value_kind:     by_value
      - .offset:         40
        .size:           8
        .value_kind:     by_value
      - .address_space:  global
        .offset:         48
        .size:           8
        .value_kind:     global_buffer
      - .offset:         56
        .size:           1
        .value_kind:     by_value
      - .offset:         57
        .size:           1
        .value_kind:     by_value
    .group_segment_fixed_size: 468
    .kernarg_segment_align: 8
    .kernarg_segment_size: 60
    .language:       OpenCL C
    .language_version:
      - 2
      - 0
    .max_flat_workgroup_size: 64
    .name:           _ZN9rocsolver6v33100L18getri_kernel_smallILi57EfPKPfEEvT1_iilPiilS6_bb
    .private_segment_fixed_size: 240
    .sgpr_count:     19
    .sgpr_spill_count: 0
    .symbol:         _ZN9rocsolver6v33100L18getri_kernel_smallILi57EfPKPfEEvT1_iilPiilS6_bb.kd
    .uniform_work_group_size: 1
    .uses_dynamic_stack: false
    .vgpr_count:     183
    .vgpr_spill_count: 0
    .wavefront_size: 32
    .workgroup_processor_mode: 1
  - .args:
      - .address_space:  global
        .offset:         0
        .size:           8
        .value_kind:     global_buffer
      - .offset:         8
        .size:           4
        .value_kind:     by_value
      - .offset:         12
        .size:           4
        .value_kind:     by_value
      - .offset:         16
        .size:           8
        .value_kind:     by_value
      - .address_space:  global
        .offset:         24
        .size:           8
        .value_kind:     global_buffer
      - .offset:         32
        .size:           4
        .value_kind:     by_value
      - .offset:         40
        .size:           8
        .value_kind:     by_value
      - .address_space:  global
        .offset:         48
        .size:           8
        .value_kind:     global_buffer
      - .offset:         56
        .size:           1
        .value_kind:     by_value
      - .offset:         57
        .size:           1
        .value_kind:     by_value
    .group_segment_fixed_size: 472
    .kernarg_segment_align: 8
    .kernarg_segment_size: 60
    .language:       OpenCL C
    .language_version:
      - 2
      - 0
    .max_flat_workgroup_size: 64
    .name:           _ZN9rocsolver6v33100L18getri_kernel_smallILi58EfPKPfEEvT1_iilPiilS6_bb
    .private_segment_fixed_size: 240
    .sgpr_count:     19
    .sgpr_spill_count: 0
    .symbol:         _ZN9rocsolver6v33100L18getri_kernel_smallILi58EfPKPfEEvT1_iilPiilS6_bb.kd
    .uniform_work_group_size: 1
    .uses_dynamic_stack: false
    .vgpr_count:     184
    .vgpr_spill_count: 0
    .wavefront_size: 32
    .workgroup_processor_mode: 1
  - .args:
      - .address_space:  global
        .offset:         0
        .size:           8
        .value_kind:     global_buffer
      - .offset:         8
        .size:           4
        .value_kind:     by_value
      - .offset:         12
        .size:           4
        .value_kind:     by_value
      - .offset:         16
        .size:           8
        .value_kind:     by_value
      - .address_space:  global
        .offset:         24
        .size:           8
        .value_kind:     global_buffer
      - .offset:         32
        .size:           4
        .value_kind:     by_value
      - .offset:         40
        .size:           8
        .value_kind:     by_value
      - .address_space:  global
        .offset:         48
        .size:           8
        .value_kind:     global_buffer
      - .offset:         56
        .size:           1
        .value_kind:     by_value
      - .offset:         57
        .size:           1
        .value_kind:     by_value
    .group_segment_fixed_size: 476
    .kernarg_segment_align: 8
    .kernarg_segment_size: 60
    .language:       OpenCL C
    .language_version:
      - 2
      - 0
    .max_flat_workgroup_size: 64
    .name:           _ZN9rocsolver6v33100L18getri_kernel_smallILi59EfPKPfEEvT1_iilPiilS6_bb
    .private_segment_fixed_size: 240
    .sgpr_count:     19
    .sgpr_spill_count: 0
    .symbol:         _ZN9rocsolver6v33100L18getri_kernel_smallILi59EfPKPfEEvT1_iilPiilS6_bb.kd
    .uniform_work_group_size: 1
    .uses_dynamic_stack: false
    .vgpr_count:     188
    .vgpr_spill_count: 0
    .wavefront_size: 32
    .workgroup_processor_mode: 1
  - .args:
      - .address_space:  global
        .offset:         0
        .size:           8
        .value_kind:     global_buffer
      - .offset:         8
        .size:           4
        .value_kind:     by_value
      - .offset:         12
        .size:           4
        .value_kind:     by_value
      - .offset:         16
        .size:           8
        .value_kind:     by_value
      - .address_space:  global
        .offset:         24
        .size:           8
        .value_kind:     global_buffer
      - .offset:         32
        .size:           4
        .value_kind:     by_value
      - .offset:         40
        .size:           8
        .value_kind:     by_value
      - .address_space:  global
        .offset:         48
        .size:           8
        .value_kind:     global_buffer
      - .offset:         56
        .size:           1
        .value_kind:     by_value
      - .offset:         57
        .size:           1
        .value_kind:     by_value
    .group_segment_fixed_size: 484
    .kernarg_segment_align: 8
    .kernarg_segment_size: 60
    .language:       OpenCL C
    .language_version:
      - 2
      - 0
    .max_flat_workgroup_size: 64
    .name:           _ZN9rocsolver6v33100L18getri_kernel_smallILi60EfPKPfEEvT1_iilPiilS6_bb
    .private_segment_fixed_size: 256
    .sgpr_count:     19
    .sgpr_spill_count: 0
    .symbol:         _ZN9rocsolver6v33100L18getri_kernel_smallILi60EfPKPfEEvT1_iilPiilS6_bb.kd
    .uniform_work_group_size: 1
    .uses_dynamic_stack: false
    .vgpr_count:     191
    .vgpr_spill_count: 0
    .wavefront_size: 32
    .workgroup_processor_mode: 1
  - .args:
      - .address_space:  global
        .offset:         0
        .size:           8
        .value_kind:     global_buffer
      - .offset:         8
        .size:           4
        .value_kind:     by_value
      - .offset:         12
        .size:           4
        .value_kind:     by_value
      - .offset:         16
        .size:           8
        .value_kind:     by_value
      - .address_space:  global
        .offset:         24
        .size:           8
        .value_kind:     global_buffer
      - .offset:         32
        .size:           4
        .value_kind:     by_value
      - .offset:         40
        .size:           8
        .value_kind:     by_value
      - .address_space:  global
        .offset:         48
        .size:           8
        .value_kind:     global_buffer
      - .offset:         56
        .size:           1
        .value_kind:     by_value
      - .offset:         57
        .size:           1
        .value_kind:     by_value
    .group_segment_fixed_size: 500
    .kernarg_segment_align: 8
    .kernarg_segment_size: 60
    .language:       OpenCL C
    .language_version:
      - 2
      - 0
    .max_flat_workgroup_size: 64
    .name:           _ZN9rocsolver6v33100L18getri_kernel_smallILi61EfPKPfEEvT1_iilPiilS6_bb
    .private_segment_fixed_size: 256
    .sgpr_count:     19
    .sgpr_spill_count: 0
    .symbol:         _ZN9rocsolver6v33100L18getri_kernel_smallILi61EfPKPfEEvT1_iilPiilS6_bb.kd
    .uniform_work_group_size: 1
    .uses_dynamic_stack: false
    .vgpr_count:     195
    .vgpr_spill_count: 0
    .wavefront_size: 32
    .workgroup_processor_mode: 1
  - .args:
      - .address_space:  global
        .offset:         0
        .size:           8
        .value_kind:     global_buffer
      - .offset:         8
        .size:           4
        .value_kind:     by_value
      - .offset:         12
        .size:           4
        .value_kind:     by_value
      - .offset:         16
        .size:           8
        .value_kind:     by_value
      - .address_space:  global
        .offset:         24
        .size:           8
        .value_kind:     global_buffer
      - .offset:         32
        .size:           4
        .value_kind:     by_value
      - .offset:         40
        .size:           8
        .value_kind:     by_value
      - .address_space:  global
        .offset:         48
        .size:           8
        .value_kind:     global_buffer
      - .offset:         56
        .size:           1
        .value_kind:     by_value
      - .offset:         57
        .size:           1
        .value_kind:     by_value
    .group_segment_fixed_size: 504
    .kernarg_segment_align: 8
    .kernarg_segment_size: 60
    .language:       OpenCL C
    .language_version:
      - 2
      - 0
    .max_flat_workgroup_size: 64
    .name:           _ZN9rocsolver6v33100L18getri_kernel_smallILi62EfPKPfEEvT1_iilPiilS6_bb
    .private_segment_fixed_size: 256
    .sgpr_count:     19
    .sgpr_spill_count: 0
    .symbol:         _ZN9rocsolver6v33100L18getri_kernel_smallILi62EfPKPfEEvT1_iilPiilS6_bb.kd
    .uniform_work_group_size: 1
    .uses_dynamic_stack: false
    .vgpr_count:     197
    .vgpr_spill_count: 0
    .wavefront_size: 32
    .workgroup_processor_mode: 1
  - .args:
      - .address_space:  global
        .offset:         0
        .size:           8
        .value_kind:     global_buffer
      - .offset:         8
        .size:           4
        .value_kind:     by_value
      - .offset:         12
        .size:           4
        .value_kind:     by_value
      - .offset:         16
        .size:           8
        .value_kind:     by_value
      - .address_space:  global
        .offset:         24
        .size:           8
        .value_kind:     global_buffer
      - .offset:         32
        .size:           4
        .value_kind:     by_value
      - .offset:         40
        .size:           8
        .value_kind:     by_value
      - .address_space:  global
        .offset:         48
        .size:           8
        .value_kind:     global_buffer
      - .offset:         56
        .size:           1
        .value_kind:     by_value
      - .offset:         57
        .size:           1
        .value_kind:     by_value
    .group_segment_fixed_size: 508
    .kernarg_segment_align: 8
    .kernarg_segment_size: 60
    .language:       OpenCL C
    .language_version:
      - 2
      - 0
    .max_flat_workgroup_size: 64
    .name:           _ZN9rocsolver6v33100L18getri_kernel_smallILi63EfPKPfEEvT1_iilPiilS6_bb
    .private_segment_fixed_size: 256
    .sgpr_count:     19
    .sgpr_spill_count: 0
    .symbol:         _ZN9rocsolver6v33100L18getri_kernel_smallILi63EfPKPfEEvT1_iilPiilS6_bb.kd
    .uniform_work_group_size: 1
    .uses_dynamic_stack: false
    .vgpr_count:     201
    .vgpr_spill_count: 0
    .wavefront_size: 32
    .workgroup_processor_mode: 1
  - .args:
      - .address_space:  global
        .offset:         0
        .size:           8
        .value_kind:     global_buffer
      - .offset:         8
        .size:           4
        .value_kind:     by_value
      - .offset:         12
        .size:           4
        .value_kind:     by_value
      - .offset:         16
        .size:           8
        .value_kind:     by_value
      - .address_space:  global
        .offset:         24
        .size:           8
        .value_kind:     global_buffer
      - .offset:         32
        .size:           4
        .value_kind:     by_value
      - .offset:         40
        .size:           8
        .value_kind:     by_value
      - .address_space:  global
        .offset:         48
        .size:           8
        .value_kind:     global_buffer
      - .offset:         56
        .size:           1
        .value_kind:     by_value
      - .offset:         57
        .size:           1
        .value_kind:     by_value
    .group_segment_fixed_size: 516
    .kernarg_segment_align: 8
    .kernarg_segment_size: 60
    .language:       OpenCL C
    .language_version:
      - 2
      - 0
    .max_flat_workgroup_size: 64
    .name:           _ZN9rocsolver6v33100L18getri_kernel_smallILi64EfPKPfEEvT1_iilPiilS6_bb
    .private_segment_fixed_size: 272
    .sgpr_count:     19
    .sgpr_spill_count: 0
    .symbol:         _ZN9rocsolver6v33100L18getri_kernel_smallILi64EfPKPfEEvT1_iilPiilS6_bb.kd
    .uniform_work_group_size: 1
    .uses_dynamic_stack: false
    .vgpr_count:     204
    .vgpr_spill_count: 0
    .wavefront_size: 32
    .workgroup_processor_mode: 1
amdhsa.target:   amdgcn-amd-amdhsa--gfx1100
amdhsa.version:
  - 1
  - 2
...

	.end_amdgpu_metadata
